;; amdgpu-corpus repo=ROCm/rocBLAS kind=compiled arch=gfx1100 opt=O3
	.text
	.amdgcn_target "amdgcn-amd-amdhsa--gfx1100"
	.amdhsa_code_object_version 6
	.section	.text._ZL23rocblas_set_matrix_trsmILi128ELi8EfPKPfEvlliT2_llT1_li,"axG",@progbits,_ZL23rocblas_set_matrix_trsmILi128ELi8EfPKPfEvlliT2_llT1_li,comdat
	.globl	_ZL23rocblas_set_matrix_trsmILi128ELi8EfPKPfEvlliT2_llT1_li ; -- Begin function _ZL23rocblas_set_matrix_trsmILi128ELi8EfPKPfEvlliT2_llT1_li
	.p2align	8
	.type	_ZL23rocblas_set_matrix_trsmILi128ELi8EfPKPfEvlliT2_llT1_li,@function
_ZL23rocblas_set_matrix_trsmILi128ELi8EfPKPfEvlliT2_llT1_li: ; @_ZL23rocblas_set_matrix_trsmILi128ELi8EfPKPfEvlliT2_llT1_li
; %bb.0:
	s_load_b128 s[8:11], s[0:1], 0x0
	v_dual_mov_b32 v1, 0 :: v_dual_and_b32 v2, 0x3ff, v0
	v_bfe_u32 v4, v0, 10, 10
	s_mov_b32 s5, 0
	s_delay_alu instid0(VALU_DEP_2) | instskip(NEXT) | instid1(VALU_DEP_3)
	v_mov_b32_e32 v3, v1
	v_lshl_add_u32 v0, s13, 7, v2
	s_delay_alu instid0(VALU_DEP_3) | instskip(SKIP_1) | instid1(VALU_DEP_2)
	v_lshl_add_u32 v2, s14, 3, v4
	s_waitcnt lgkmcnt(0)
	v_cmp_gt_u64_e32 vcc_lo, s[8:9], v[0:1]
	s_delay_alu instid0(VALU_DEP_2) | instskip(NEXT) | instid1(VALU_DEP_1)
	v_cmp_gt_u64_e64 s2, s[10:11], v[2:3]
	s_and_b32 s2, vcc_lo, s2
	s_delay_alu instid0(SALU_CYCLE_1)
	s_and_saveexec_b32 s3, s2
	s_cbranch_execz .LBB0_2
; %bb.1:
	s_clause 0x1
	s_load_b128 s[8:11], s[0:1], 0x18
	s_load_b64 s[0:1], s[0:1], 0x38
	s_mov_b32 s4, s15
	s_delay_alu instid0(SALU_CYCLE_1)
	s_lshl_b64 s[2:3], s[4:5], 3
	s_waitcnt lgkmcnt(0)
	v_mad_u64_u32 v[3:4], null, v2, s10, 0
	s_add_u32 s2, s8, s2
	s_addc_u32 s3, s9, s3
	s_lshl_b64 s[0:1], s[0:1], 2
	s_load_b64 s[2:3], s[2:3], 0x0
	s_delay_alu instid0(VALU_DEP_1) | instskip(NEXT) | instid1(VALU_DEP_1)
	v_mad_u64_u32 v[5:6], null, v2, s11, v[4:5]
	v_mov_b32_e32 v4, v5
	s_delay_alu instid0(VALU_DEP_1) | instskip(SKIP_4) | instid1(VALU_DEP_2)
	v_lshlrev_b64 v[2:3], 2, v[3:4]
	v_lshlrev_b64 v[4:5], 2, v[0:1]
	s_waitcnt lgkmcnt(0)
	s_add_u32 s0, s2, s0
	s_addc_u32 s1, s3, s1
	v_add_co_u32 v0, vcc_lo, s0, v2
	v_add_co_ci_u32_e32 v3, vcc_lo, s1, v3, vcc_lo
	s_delay_alu instid0(VALU_DEP_2) | instskip(NEXT) | instid1(VALU_DEP_2)
	v_add_co_u32 v2, vcc_lo, v0, v4
	v_add_co_ci_u32_e32 v3, vcc_lo, v3, v5, vcc_lo
	global_store_b32 v[2:3], v1, off
.LBB0_2:
	s_nop 0
	s_sendmsg sendmsg(MSG_DEALLOC_VGPRS)
	s_endpgm
	.section	.rodata,"a",@progbits
	.p2align	6, 0x0
	.amdhsa_kernel _ZL23rocblas_set_matrix_trsmILi128ELi8EfPKPfEvlliT2_llT1_li
		.amdhsa_group_segment_fixed_size 0
		.amdhsa_private_segment_fixed_size 0
		.amdhsa_kernarg_size 68
		.amdhsa_user_sgpr_count 13
		.amdhsa_user_sgpr_dispatch_ptr 0
		.amdhsa_user_sgpr_queue_ptr 0
		.amdhsa_user_sgpr_kernarg_segment_ptr 1
		.amdhsa_user_sgpr_dispatch_id 0
		.amdhsa_user_sgpr_private_segment_size 0
		.amdhsa_wavefront_size32 1
		.amdhsa_uses_dynamic_stack 0
		.amdhsa_enable_private_segment 0
		.amdhsa_system_sgpr_workgroup_id_x 1
		.amdhsa_system_sgpr_workgroup_id_y 1
		.amdhsa_system_sgpr_workgroup_id_z 1
		.amdhsa_system_sgpr_workgroup_info 0
		.amdhsa_system_vgpr_workitem_id 1
		.amdhsa_next_free_vgpr 7
		.amdhsa_next_free_sgpr 16
		.amdhsa_reserve_vcc 1
		.amdhsa_float_round_mode_32 0
		.amdhsa_float_round_mode_16_64 0
		.amdhsa_float_denorm_mode_32 3
		.amdhsa_float_denorm_mode_16_64 3
		.amdhsa_dx10_clamp 1
		.amdhsa_ieee_mode 1
		.amdhsa_fp16_overflow 0
		.amdhsa_workgroup_processor_mode 1
		.amdhsa_memory_ordered 1
		.amdhsa_forward_progress 0
		.amdhsa_shared_vgpr_count 0
		.amdhsa_exception_fp_ieee_invalid_op 0
		.amdhsa_exception_fp_denorm_src 0
		.amdhsa_exception_fp_ieee_div_zero 0
		.amdhsa_exception_fp_ieee_overflow 0
		.amdhsa_exception_fp_ieee_underflow 0
		.amdhsa_exception_fp_ieee_inexact 0
		.amdhsa_exception_int_div_zero 0
	.end_amdhsa_kernel
	.section	.text._ZL23rocblas_set_matrix_trsmILi128ELi8EfPKPfEvlliT2_llT1_li,"axG",@progbits,_ZL23rocblas_set_matrix_trsmILi128ELi8EfPKPfEvlliT2_llT1_li,comdat
.Lfunc_end0:
	.size	_ZL23rocblas_set_matrix_trsmILi128ELi8EfPKPfEvlliT2_llT1_li, .Lfunc_end0-_ZL23rocblas_set_matrix_trsmILi128ELi8EfPKPfEvlliT2_llT1_li
                                        ; -- End function
	.section	.AMDGPU.csdata,"",@progbits
; Kernel info:
; codeLenInByte = 256
; NumSgprs: 18
; NumVgprs: 7
; ScratchSize: 0
; MemoryBound: 0
; FloatMode: 240
; IeeeMode: 1
; LDSByteSize: 0 bytes/workgroup (compile time only)
; SGPRBlocks: 2
; VGPRBlocks: 0
; NumSGPRsForWavesPerEU: 18
; NumVGPRsForWavesPerEU: 7
; Occupancy: 16
; WaveLimiterHint : 1
; COMPUTE_PGM_RSRC2:SCRATCH_EN: 0
; COMPUTE_PGM_RSRC2:USER_SGPR: 13
; COMPUTE_PGM_RSRC2:TRAP_HANDLER: 0
; COMPUTE_PGM_RSRC2:TGID_X_EN: 1
; COMPUTE_PGM_RSRC2:TGID_Y_EN: 1
; COMPUTE_PGM_RSRC2:TGID_Z_EN: 1
; COMPUTE_PGM_RSRC2:TIDIG_COMP_CNT: 1
	.section	.text._ZL38rocblas_trsm_small_left_device_sharedBILi4ELi4ELb0EffPKPKfPKPfEv13rocblas_fill_18rocblas_operation_17rocblas_diagonal_iiT3_T4_lilT5_lili,"axG",@progbits,_ZL38rocblas_trsm_small_left_device_sharedBILi4ELi4ELb0EffPKPKfPKPfEv13rocblas_fill_18rocblas_operation_17rocblas_diagonal_iiT3_T4_lilT5_lili,comdat
	.globl	_ZL38rocblas_trsm_small_left_device_sharedBILi4ELi4ELb0EffPKPKfPKPfEv13rocblas_fill_18rocblas_operation_17rocblas_diagonal_iiT3_T4_lilT5_lili ; -- Begin function _ZL38rocblas_trsm_small_left_device_sharedBILi4ELi4ELb0EffPKPKfPKPfEv13rocblas_fill_18rocblas_operation_17rocblas_diagonal_iiT3_T4_lilT5_lili
	.p2align	8
	.type	_ZL38rocblas_trsm_small_left_device_sharedBILi4ELi4ELb0EffPKPKfPKPfEv13rocblas_fill_18rocblas_operation_17rocblas_diagonal_iiT3_T4_lilT5_lili,@function
_ZL38rocblas_trsm_small_left_device_sharedBILi4ELi4ELb0EffPKPKfPKPfEv13rocblas_fill_18rocblas_operation_17rocblas_diagonal_iiT3_T4_lilT5_lili: ; @_ZL38rocblas_trsm_small_left_device_sharedBILi4ELi4ELb0EffPKPKfPKPfEv13rocblas_fill_18rocblas_operation_17rocblas_diagonal_iiT3_T4_lilT5_lili
; %bb.0:
	s_clause 0x1
	s_load_b128 s[8:11], s[0:1], 0x38
	s_load_b128 s[4:7], s[0:1], 0x4
	s_mov_b32 s12, s15
	s_mov_b32 s13, 0
	s_mov_b32 s27, exec_lo
	s_lshl_b64 s[20:21], s[12:13], 3
	s_waitcnt lgkmcnt(0)
	s_add_u32 s2, s8, s20
	s_addc_u32 s3, s9, s21
	s_load_b32 s26, s[0:1], 0x14
	s_load_b64 s[2:3], s[2:3], 0x0
	s_min_i32 s12, s6, 4
	s_delay_alu instid0(SALU_CYCLE_1)
	s_add_i32 s15, s12, -1
	v_cmpx_gt_i32_e64 s12, v0
	s_cbranch_execz .LBB1_10
; %bb.1:
	s_clause 0x1
	s_load_b32 s8, s[0:1], 0x28
	s_load_b128 s[16:19], s[0:1], 0x18
	s_waitcnt lgkmcnt(0)
	s_ashr_i32 s9, s8, 31
	s_add_u32 s16, s16, s20
	s_addc_u32 s17, s17, s21
	s_cmp_lt_u32 s15, 3
	s_load_b64 s[16:17], s[16:17], 0x0
	s_cbranch_scc1 .LBB1_4
; %bb.2:
	v_lshlrev_b32_e32 v3, 2, v0
	s_lshl_b64 s[20:21], s[18:19], 2
	s_mul_hi_i32 s28, s8, 12
	s_waitcnt lgkmcnt(0)
	s_add_u32 s13, s16, s20
	s_addc_u32 s20, s17, s21
	v_add_co_u32 v1, s13, s13, v3
	s_delay_alu instid0(VALU_DEP_1)
	v_add_co_ci_u32_e64 v2, null, s20, 0, s13
	s_and_b32 s13, s12, -4
	s_mul_i32 s29, s8, 12
	s_lshl_b64 s[20:21], s[8:9], 4
	s_lshl_b64 s[22:23], s[8:9], 3
	;; [unrolled: 1-line block ×3, first 2 shown]
	s_mov_b32 s30, 0
	.p2align	6
.LBB1_3:                                ; =>This Inner Loop Header: Depth=1
	v_add_co_u32 v4, vcc_lo, v1, s24
	v_add_co_ci_u32_e32 v5, vcc_lo, s25, v2, vcc_lo
	v_add_co_u32 v6, vcc_lo, v1, s22
	v_add_co_ci_u32_e32 v7, vcc_lo, s23, v2, vcc_lo
	;; [unrolled: 2-line block ×3, first 2 shown]
	s_clause 0x3
	global_load_b32 v10, v[1:2], off
	global_load_b32 v4, v[4:5], off
	;; [unrolled: 1-line block ×4, first 2 shown]
	v_add_co_u32 v1, vcc_lo, v1, s20
	v_add_co_ci_u32_e32 v2, vcc_lo, s21, v2, vcc_lo
	s_add_i32 s30, s30, 4
	s_waitcnt vmcnt(2)
	ds_store_2addr_b32 v3, v10, v4 offset1:4
	s_waitcnt vmcnt(0)
	ds_store_2addr_b32 v3, v5, v6 offset0:8 offset1:12
	v_add_nc_u32_e32 v3, 64, v3
	s_cmp_eq_u32 s13, s30
	s_cbranch_scc0 .LBB1_3
.LBB1_4:
	s_and_b32 s20, s12, 3
	s_delay_alu instid0(SALU_CYCLE_1)
	s_cmp_eq_u32 s20, 0
	s_cbranch_scc1 .LBB1_7
; %bb.5:
	s_mul_i32 s21, s9, s13
	s_mul_hi_u32 s22, s8, s13
	v_lshlrev_b32_e32 v1, 2, v0
	s_add_i32 s23, s22, s21
	s_mul_i32 s22, s8, s13
	s_lshl_b64 s[18:19], s[18:19], 2
	s_lshl_b64 s[22:23], s[22:23], 2
	v_lshl_or_b32 v3, s13, 4, v1
	s_add_u32 s13, s22, s18
	s_addc_u32 s18, s23, s19
	s_waitcnt lgkmcnt(0)
	s_add_u32 s13, s16, s13
	s_addc_u32 s16, s17, s18
	v_add_co_u32 v1, s13, s13, v1
	s_delay_alu instid0(VALU_DEP_1)
	v_add_co_ci_u32_e64 v2, null, s16, 0, s13
	s_lshl_b64 s[8:9], s[8:9], 2
.LBB1_6:                                ; =>This Inner Loop Header: Depth=1
	global_load_b32 v4, v[1:2], off
	v_add_co_u32 v1, vcc_lo, v1, s8
	v_add_co_ci_u32_e32 v2, vcc_lo, s9, v2, vcc_lo
	s_add_i32 s20, s20, -1
	s_delay_alu instid0(SALU_CYCLE_1)
	s_cmp_lg_u32 s20, 0
	s_waitcnt vmcnt(0)
	ds_store_b32 v3, v4
	v_add_nc_u32_e32 v3, 16, v3
	s_cbranch_scc1 .LBB1_6
.LBB1_7:
	v_mul_u32_u24_e32 v1, 5, v0
	s_cmpk_lg_i32 s5, 0x84
	s_delay_alu instid0(VALU_DEP_1)
	v_dual_mov_b32 v2, 1.0 :: v_dual_lshlrev_b32 v1, 2, v1
	s_cbranch_scc0 .LBB1_9
; %bb.8:
	ds_load_b32 v2, v1
	s_waitcnt lgkmcnt(0)
	v_div_scale_f32 v3, null, v2, v2, 1.0
	s_delay_alu instid0(VALU_DEP_1) | instskip(SKIP_2) | instid1(VALU_DEP_1)
	v_rcp_f32_e32 v4, v3
	s_waitcnt_depctr 0xfff
	v_fma_f32 v5, -v3, v4, 1.0
	v_fmac_f32_e32 v4, v5, v4
	v_div_scale_f32 v5, vcc_lo, 1.0, v2, 1.0
	s_delay_alu instid0(VALU_DEP_1) | instskip(NEXT) | instid1(VALU_DEP_1)
	v_mul_f32_e32 v6, v5, v4
	v_fma_f32 v7, -v3, v6, v5
	s_delay_alu instid0(VALU_DEP_1) | instskip(NEXT) | instid1(VALU_DEP_1)
	v_fmac_f32_e32 v6, v7, v4
	v_fma_f32 v3, -v3, v6, v5
	s_delay_alu instid0(VALU_DEP_1) | instskip(NEXT) | instid1(VALU_DEP_1)
	v_div_fmas_f32 v3, v3, v4, v6
	v_div_fixup_f32 v2, v3, v2, 1.0
.LBB1_9:
	ds_store_b32 v1, v2
.LBB1_10:
	s_or_b32 exec_lo, exec_lo, s27
	s_clause 0x1
	s_load_b32 s5, s[0:1], 0x60
	s_load_b32 s0, s[0:1], 0x48
	s_lshl_b64 s[8:9], s[10:11], 2
	v_lshl_or_b32 v3, v0, 2, 64
	s_waitcnt lgkmcnt(0)
	s_add_u32 s1, s2, s8
	s_addc_u32 s8, s3, s9
	s_lshl_b32 s2, s14, 2
	s_delay_alu instid0(SALU_CYCLE_1)
	s_sub_i32 s7, s7, s2
	s_add_i32 s5, s5, -1
	s_mul_hi_i32 s3, s0, s2
	s_cmp_ge_u32 s14, s5
	s_mul_i32 s2, s0, s2
	s_cselect_b32 s5, s7, 4
	s_lshl_b64 s[2:3], s[2:3], 2
	v_cmp_gt_i32_e32 vcc_lo, s5, v0
	s_add_u32 s1, s1, s2
	s_addc_u32 s2, s8, s3
	s_cmp_gt_i32 s6, 0
	s_cselect_b32 s3, -1, 0
	s_delay_alu instid0(SALU_CYCLE_1) | instskip(NEXT) | instid1(SALU_CYCLE_1)
	s_and_b32 s3, vcc_lo, s3
	s_and_saveexec_b32 s5, s3
	s_cbranch_execz .LBB1_13
; %bb.11:
	v_mad_i64_i32 v[1:2], null, s0, v0, 0
	v_lshl_or_b32 v4, v0, 2, 64
	s_mov_b32 s7, s12
	s_delay_alu instid0(VALU_DEP_2) | instskip(NEXT) | instid1(VALU_DEP_1)
	v_lshlrev_b64 v[1:2], 2, v[1:2]
	v_add_co_u32 v1, vcc_lo, s1, v1
	s_delay_alu instid0(VALU_DEP_2)
	v_add_co_ci_u32_e32 v2, vcc_lo, s2, v2, vcc_lo
.LBB1_12:                               ; =>This Inner Loop Header: Depth=1
	global_load_b32 v5, v[1:2], off
	v_add_co_u32 v1, vcc_lo, v1, 4
	v_add_co_ci_u32_e32 v2, vcc_lo, 0, v2, vcc_lo
	s_add_i32 s7, s7, -1
	s_delay_alu instid0(SALU_CYCLE_1)
	s_cmp_lg_u32 s7, 0
	s_waitcnt vmcnt(0)
	v_mul_f32_e32 v5, s26, v5
	ds_store_b32 v4, v5
	v_add_nc_u32_e32 v4, 16, v4
	s_cbranch_scc1 .LBB1_12
.LBB1_13:
	s_or_b32 exec_lo, exec_lo, s5
	s_cmpk_eq_i32 s4, 0x6f
	s_mov_b32 s4, -1
	s_waitcnt vmcnt(0) lgkmcnt(0)
	s_waitcnt_vscnt null, 0x0
	; wave barrier
	s_waitcnt lgkmcnt(0)
	buffer_gl0_inv
	s_cbranch_scc1 .LBB1_23
; %bb.14:
	s_cmp_gt_i32 s6, 3
	s_cbranch_scc0 .LBB1_16
; %bb.15:
	v_dual_mov_b32 v4, 0 :: v_dual_lshlrev_b32 v15, 2, v0
	s_mov_b32 s4, 4
	ds_load_2addr_b32 v[1:2], v15 offset0:16 offset1:20
	ds_load_b32 v16, v4
	ds_load_b64 v[11:12], v4 offset:16
	ds_load_2addr_b32 v[13:14], v15 offset0:24 offset1:28
	ds_load_b96 v[8:10], v4 offset:32
	ds_load_b128 v[4:7], v4 offset:48
	s_waitcnt lgkmcnt(4)
	v_mul_f32_e32 v1, v1, v16
	s_waitcnt lgkmcnt(3)
	s_delay_alu instid0(VALU_DEP_1) | instskip(SKIP_2) | instid1(VALU_DEP_2)
	v_fma_f32 v2, -v1, v11, v2
	s_waitcnt lgkmcnt(1)
	v_fma_f32 v8, -v1, v8, v13
	v_mul_f32_e32 v2, v2, v12
	s_delay_alu instid0(VALU_DEP_1) | instskip(NEXT) | instid1(VALU_DEP_1)
	v_fma_f32 v8, -v2, v9, v8
	v_mul_f32_e32 v8, v8, v10
	s_waitcnt lgkmcnt(0)
	v_fma_f32 v4, -v1, v4, v14
	ds_store_2addr_b32 v15, v1, v2 offset0:16 offset1:20
	v_fma_f32 v4, -v2, v5, v4
	s_delay_alu instid0(VALU_DEP_1) | instskip(NEXT) | instid1(VALU_DEP_1)
	v_fma_f32 v4, -v8, v6, v4
	v_mul_f32_e32 v4, v4, v7
	ds_store_2addr_b32 v15, v8, v4 offset0:24 offset1:28
	s_cmp_ge_i32 s4, s12
	s_cbranch_scc0 .LBB1_17
	s_branch .LBB1_22
.LBB1_16:
	s_mov_b32 s4, 0
	s_delay_alu instid0(SALU_CYCLE_1)
	s_cmp_ge_i32 s4, s12
	s_cbranch_scc1 .LBB1_22
.LBB1_17:
	v_lshl_or_b32 v1, v0, 2, 64
	v_lshlrev_b32_e32 v2, 2, v0
	s_lshl_b32 s5, s4, 4
	s_set_inst_prefetch_distance 0x1
	s_branch .LBB1_19
	.p2align	6
.LBB1_18:                               ;   in Loop: Header=BB1_19 Depth=1
	s_mul_i32 s7, s4, 20
	s_delay_alu instid0(SALU_CYCLE_1)
	v_dual_mov_b32 v6, s7 :: v_dual_add_nc_u32 v5, 64, v5
	s_add_i32 s4, s4, 1
	s_add_i32 s5, s5, 16
	s_cmp_ge_i32 s4, s12
	ds_load_b32 v6, v6
	s_waitcnt lgkmcnt(0)
	v_mul_f32_e32 v4, v4, v6
	ds_store_b32 v5, v4
	s_cbranch_scc1 .LBB1_22
.LBB1_19:                               ; =>This Loop Header: Depth=1
                                        ;     Child Loop BB1_21 Depth 2
	s_delay_alu instid0(VALU_DEP_1)
	v_lshl_or_b32 v5, s4, 4, v2
	s_cmp_eq_u32 s4, 0
	ds_load_b32 v4, v5 offset:64
	s_cbranch_scc1 .LBB1_18
; %bb.20:                               ;   in Loop: Header=BB1_19 Depth=1
	v_mov_b32_e32 v6, v1
	s_mov_b32 s7, 0
	s_mov_b32 s8, s5
.LBB1_21:                               ;   Parent Loop BB1_19 Depth=1
                                        ; =>  This Inner Loop Header: Depth=2
	s_delay_alu instid0(SALU_CYCLE_1)
	v_mov_b32_e32 v7, s8
	s_add_i32 s7, s7, 1
	s_add_i32 s8, s8, 4
	s_cmp_lt_u32 s7, s4
	ds_load_b32 v8, v6
	ds_load_b32 v7, v7
	v_add_nc_u32_e32 v6, 16, v6
	s_waitcnt lgkmcnt(0)
	v_fma_f32 v4, -v8, v7, v4
	s_cbranch_scc1 .LBB1_21
	s_branch .LBB1_18
.LBB1_22:
	s_set_inst_prefetch_distance 0x2
	s_mov_b32 s4, 0
.LBB1_23:
	s_delay_alu instid0(SALU_CYCLE_1)
	s_and_b32 vcc_lo, exec_lo, s4
	s_cbranch_vccz .LBB1_39
; %bb.24:
	s_cmp_gt_i32 s6, 3
	s_cbranch_scc0 .LBB1_26
; %bb.25:
	s_lshl_b32 s5, s12, 2
	s_lshl_b32 s4, s15, 2
	s_add_i32 s6, s5, -8
	v_or_b32_e32 v1, s4, v0
	s_add_i32 s7, s5, -12
	s_add_i32 s5, s5, -16
	v_or_b32_e32 v2, s6, v0
	s_add_i32 s6, s12, -2
	v_or_b32_e32 v4, s5, v0
	s_add_i32 s5, s6, s4
	s_add_i32 s9, s12, -4
	s_lshl_b32 s5, s5, 2
	v_lshlrev_b32_e32 v10, 2, v1
	v_or_b32_e32 v1, s7, v0
	s_add_i32 s4, s9, s4
	s_mul_i32 s8, s15, 20
	s_lshl_b32 s4, s4, 2
	v_lshlrev_b32_e32 v6, 2, v4
	v_dual_mov_b32 v5, s4 :: v_dual_lshlrev_b32 v12, 2, v1
	v_mov_b32_e32 v1, s5
	ds_load_b32 v8, v10 offset:64
	s_sub_i32 s5, s8, 20
	ds_load_b32 v15, v12 offset:64
	v_dual_mov_b32 v4, s5 :: v_dual_lshlrev_b32 v11, 2, v2
	ds_load_2addr_b32 v[1:2], v1 offset1:1
	s_lshl_b32 s5, s6, 2
	ds_load_b32 v14, v11 offset:64
	s_add_i32 s4, s9, s5
	ds_load_b32 v13, v4
	s_lshl_b32 s4, s4, 2
	s_add_i32 s5, s12, -5
	v_mov_b32_e32 v7, s4
	ds_load_b32 v16, v6 offset:64
	ds_load_2addr_b32 v[4:5], v5 offset1:1
	s_add_i32 s4, s9, s7
	ds_load_2addr_b32 v[6:7], v7 offset1:1
	s_lshl_b32 s4, s4, 2
	s_delay_alu instid0(SALU_CYCLE_1)
	v_mov_b32_e32 v9, s4
	s_sub_i32 s4, s8, 60
	s_waitcnt lgkmcnt(5)
	v_mul_f32_e32 v2, v8, v2
	ds_load_2addr_b32 v[8:9], v9 offset1:1
	v_mov_b32_e32 v17, s4
	s_waitcnt lgkmcnt(5)
	v_fma_f32 v1, -v2, v1, v14
	s_waitcnt lgkmcnt(4)
	s_delay_alu instid0(VALU_DEP_1) | instskip(SKIP_4) | instid1(VALU_DEP_2)
	v_mul_f32_e32 v1, v1, v13
	s_waitcnt lgkmcnt(2)
	v_fma_f32 v4, -v2, v4, v16
	v_fma_f32 v5, -v2, v5, v15
	s_waitcnt lgkmcnt(1)
	v_fma_f32 v4, -v1, v6, v4
	v_lshlrev_b32_e32 v6, 2, v0
	ds_load_b32 v14, v17
	v_fma_f32 v5, -v1, v7, v5
	v_lshl_or_b32 v6, s9, 4, v6
	s_waitcnt lgkmcnt(1)
	s_delay_alu instid0(VALU_DEP_2) | instskip(NEXT) | instid1(VALU_DEP_1)
	v_mul_f32_e32 v5, v5, v9
	v_fma_f32 v4, -v5, v8, v4
	s_waitcnt lgkmcnt(0)
	s_delay_alu instid0(VALU_DEP_1)
	v_mul_f32_e32 v4, v4, v14
	ds_store_b32 v10, v2 offset:64
	ds_store_b32 v11, v1 offset:64
	;; [unrolled: 1-line block ×4, first 2 shown]
	s_cmp_lt_i32 s5, 0
	s_cbranch_scc0 .LBB1_27
	s_branch .LBB1_39
.LBB1_26:
	s_mov_b32 s5, s15
	s_delay_alu instid0(SALU_CYCLE_1)
	s_cmp_lt_i32 s5, 0
	s_cbranch_scc1 .LBB1_39
.LBB1_27:
	s_bitcmp1_b32 s5, 0
	s_cselect_b32 s4, -1, 0
	s_delay_alu instid0(SALU_CYCLE_1)
	s_and_b32 vcc_lo, exec_lo, s4
	s_mov_b32 s4, s5
	s_cbranch_vccnz .LBB1_32
; %bb.28:
	s_lshl_b32 s4, s5, 2
	s_cmp_le_i32 s15, s5
	v_or_b32_e32 v1, s4, v0
	s_delay_alu instid0(VALU_DEP_1)
	v_lshlrev_b32_e32 v2, 2, v1
	ds_load_b32 v1, v2 offset:64
	s_cbranch_scc1 .LBB1_31
; %bb.29:
	s_lshl_b32 s6, s12, 4
	s_delay_alu instid0(SALU_CYCLE_1) | instskip(SKIP_3) | instid1(VALU_DEP_1)
	v_lshl_or_b32 v4, v0, 2, s6
	s_add_i32 s4, s6, s4
	s_mov_b32 s6, s15
	s_add_i32 s4, s4, -16
	v_add_nc_u32_e32 v4, 48, v4
.LBB1_30:                               ; =>This Inner Loop Header: Depth=1
	v_mov_b32_e32 v5, s4
	s_add_i32 s6, s6, -1
	s_add_i32 s4, s4, -16
	s_cmp_gt_i32 s6, s5
	ds_load_b32 v6, v4
	ds_load_b32 v5, v5
	v_add_nc_u32_e32 v4, -16, v4
	s_waitcnt lgkmcnt(0)
	v_fma_f32 v1, -v6, v5, v1
	s_cbranch_scc1 .LBB1_30
.LBB1_31:
	s_mul_i32 s4, s5, 20
	s_delay_alu instid0(SALU_CYCLE_1)
	v_mov_b32_e32 v4, s4
	s_add_i32 s4, s5, -1
	ds_load_b32 v4, v4
	s_waitcnt lgkmcnt(0)
	v_dual_mul_f32 v1, v1, v4 :: v_dual_add_nc_u32 v2, 64, v2
	ds_store_b32 v2, v1
.LBB1_32:
	s_cmp_eq_u32 s5, 0
	s_cbranch_scc1 .LBB1_39
; %bb.33:
	s_lshl_b32 s5, s12, 4
	s_lshl_b32 s6, s4, 2
	v_lshl_or_b32 v1, v0, 2, s5
	s_add_i32 s6, s5, s6
	v_lshlrev_b32_e32 v2, 2, v0
	s_add_i32 s5, s6, -16
	s_sub_i32 s6, s6, 20
	v_add_nc_u32_e32 v1, 48, v1
	s_branch .LBB1_35
.LBB1_34:                               ;   in Loop: Header=BB1_35 Depth=1
	s_sub_i32 s7, s7, 20
	v_add_nc_u32_e32 v4, 64, v6
	v_mov_b32_e32 v6, s7
	s_add_i32 s7, s4, -2
	s_add_i32 s5, s5, -8
	;; [unrolled: 1-line block ×3, first 2 shown]
	s_cmp_lt_i32 s4, 2
	ds_load_b32 v6, v6
	s_mov_b32 s4, s7
	s_waitcnt lgkmcnt(0)
	v_mul_f32_e32 v5, v5, v6
	ds_store_b32 v4, v5
	s_cbranch_scc1 .LBB1_39
.LBB1_35:                               ; =>This Loop Header: Depth=1
                                        ;     Child Loop BB1_36 Depth 2
                                        ;     Child Loop BB1_38 Depth 2
	v_lshl_or_b32 v5, s4, 4, v2
	s_delay_alu instid0(VALU_DEP_2)
	v_mov_b32_e32 v6, v1
	s_cmp_le_i32 s15, s4
	s_mov_b32 s7, s5
	s_mov_b32 s8, s15
	ds_load_b32 v4, v5 offset:64
	s_cbranch_scc1 .LBB1_37
.LBB1_36:                               ;   Parent Loop BB1_35 Depth=1
                                        ; =>  This Inner Loop Header: Depth=2
	v_mov_b32_e32 v7, s7
	s_add_i32 s8, s8, -1
	s_add_i32 s7, s7, -16
	s_cmp_gt_i32 s8, s4
	ds_load_b32 v8, v6
	ds_load_b32 v7, v7
	v_add_nc_u32_e32 v6, -16, v6
	s_waitcnt lgkmcnt(0)
	v_fma_f32 v4, -v8, v7, v4
	s_cbranch_scc1 .LBB1_36
.LBB1_37:                               ;   in Loop: Header=BB1_35 Depth=1
	s_mul_i32 s7, s4, 20
	v_add_nc_u32_e32 v7, 64, v5
	v_mov_b32_e32 v5, s7
	s_lshl_b32 s8, s4, 4
	s_mov_b32 s9, s12
	s_add_i32 s8, s8, -16
	s_cmp_lt_i32 s15, s4
	ds_load_b32 v8, v5
	v_lshl_or_b32 v6, v0, 2, s8
	s_mov_b32 s8, s6
	ds_load_b32 v5, v6 offset:64
	s_waitcnt lgkmcnt(1)
	v_mul_f32_e32 v8, v4, v8
	v_mov_b32_e32 v4, v1
	ds_store_b32 v7, v8
	s_cbranch_scc1 .LBB1_34
.LBB1_38:                               ;   Parent Loop BB1_35 Depth=1
                                        ; =>  This Inner Loop Header: Depth=2
	v_mov_b32_e32 v7, s8
	s_add_i32 s9, s9, -1
	s_add_i32 s8, s8, -16
	s_cmp_gt_i32 s9, s4
	ds_load_b32 v8, v4
	ds_load_b32 v7, v7
	v_add_nc_u32_e32 v4, -16, v4
	s_waitcnt lgkmcnt(0)
	v_fma_f32 v5, -v8, v7, v5
	s_cbranch_scc1 .LBB1_38
	s_branch .LBB1_34
.LBB1_39:
	s_waitcnt vmcnt(0) lgkmcnt(0)
	s_waitcnt_vscnt null, 0x0
	; wave barrier
	s_waitcnt lgkmcnt(0)
	buffer_gl0_inv
	s_and_saveexec_b32 s4, s3
	s_cbranch_execz .LBB1_42
; %bb.40:
	v_mad_i64_i32 v[1:2], null, s0, v0, 0
	s_delay_alu instid0(VALU_DEP_1) | instskip(NEXT) | instid1(VALU_DEP_1)
	v_lshlrev_b64 v[0:1], 2, v[1:2]
	v_add_co_u32 v0, vcc_lo, s1, v0
	s_delay_alu instid0(VALU_DEP_2)
	v_add_co_ci_u32_e32 v1, vcc_lo, s2, v1, vcc_lo
.LBB1_41:                               ; =>This Inner Loop Header: Depth=1
	ds_load_b32 v2, v3
	v_add_nc_u32_e32 v3, 16, v3
	s_add_i32 s12, s12, -1
	s_delay_alu instid0(SALU_CYCLE_1)
	s_cmp_lg_u32 s12, 0
	s_waitcnt lgkmcnt(0)
	global_store_b32 v[0:1], v2, off
	v_add_co_u32 v0, vcc_lo, v0, 4
	v_add_co_ci_u32_e32 v1, vcc_lo, 0, v1, vcc_lo
	s_cbranch_scc1 .LBB1_41
.LBB1_42:
	s_nop 0
	s_sendmsg sendmsg(MSG_DEALLOC_VGPRS)
	s_endpgm
	.section	.rodata,"a",@progbits
	.p2align	6, 0x0
	.amdhsa_kernel _ZL38rocblas_trsm_small_left_device_sharedBILi4ELi4ELb0EffPKPKfPKPfEv13rocblas_fill_18rocblas_operation_17rocblas_diagonal_iiT3_T4_lilT5_lili
		.amdhsa_group_segment_fixed_size 128
		.amdhsa_private_segment_fixed_size 0
		.amdhsa_kernarg_size 352
		.amdhsa_user_sgpr_count 14
		.amdhsa_user_sgpr_dispatch_ptr 0
		.amdhsa_user_sgpr_queue_ptr 0
		.amdhsa_user_sgpr_kernarg_segment_ptr 1
		.amdhsa_user_sgpr_dispatch_id 0
		.amdhsa_user_sgpr_private_segment_size 0
		.amdhsa_wavefront_size32 1
		.amdhsa_uses_dynamic_stack 0
		.amdhsa_enable_private_segment 0
		.amdhsa_system_sgpr_workgroup_id_x 1
		.amdhsa_system_sgpr_workgroup_id_y 0
		.amdhsa_system_sgpr_workgroup_id_z 1
		.amdhsa_system_sgpr_workgroup_info 0
		.amdhsa_system_vgpr_workitem_id 0
		.amdhsa_next_free_vgpr 18
		.amdhsa_next_free_sgpr 31
		.amdhsa_reserve_vcc 1
		.amdhsa_float_round_mode_32 0
		.amdhsa_float_round_mode_16_64 0
		.amdhsa_float_denorm_mode_32 3
		.amdhsa_float_denorm_mode_16_64 3
		.amdhsa_dx10_clamp 1
		.amdhsa_ieee_mode 1
		.amdhsa_fp16_overflow 0
		.amdhsa_workgroup_processor_mode 1
		.amdhsa_memory_ordered 1
		.amdhsa_forward_progress 0
		.amdhsa_shared_vgpr_count 0
		.amdhsa_exception_fp_ieee_invalid_op 0
		.amdhsa_exception_fp_denorm_src 0
		.amdhsa_exception_fp_ieee_div_zero 0
		.amdhsa_exception_fp_ieee_overflow 0
		.amdhsa_exception_fp_ieee_underflow 0
		.amdhsa_exception_fp_ieee_inexact 0
		.amdhsa_exception_int_div_zero 0
	.end_amdhsa_kernel
	.section	.text._ZL38rocblas_trsm_small_left_device_sharedBILi4ELi4ELb0EffPKPKfPKPfEv13rocblas_fill_18rocblas_operation_17rocblas_diagonal_iiT3_T4_lilT5_lili,"axG",@progbits,_ZL38rocblas_trsm_small_left_device_sharedBILi4ELi4ELb0EffPKPKfPKPfEv13rocblas_fill_18rocblas_operation_17rocblas_diagonal_iiT3_T4_lilT5_lili,comdat
.Lfunc_end1:
	.size	_ZL38rocblas_trsm_small_left_device_sharedBILi4ELi4ELb0EffPKPKfPKPfEv13rocblas_fill_18rocblas_operation_17rocblas_diagonal_iiT3_T4_lilT5_lili, .Lfunc_end1-_ZL38rocblas_trsm_small_left_device_sharedBILi4ELi4ELb0EffPKPKfPKPfEv13rocblas_fill_18rocblas_operation_17rocblas_diagonal_iiT3_T4_lilT5_lili
                                        ; -- End function
	.section	.AMDGPU.csdata,"",@progbits
; Kernel info:
; codeLenInByte = 2332
; NumSgprs: 33
; NumVgprs: 18
; ScratchSize: 0
; MemoryBound: 0
; FloatMode: 240
; IeeeMode: 1
; LDSByteSize: 128 bytes/workgroup (compile time only)
; SGPRBlocks: 4
; VGPRBlocks: 2
; NumSGPRsForWavesPerEU: 33
; NumVGPRsForWavesPerEU: 18
; Occupancy: 16
; WaveLimiterHint : 0
; COMPUTE_PGM_RSRC2:SCRATCH_EN: 0
; COMPUTE_PGM_RSRC2:USER_SGPR: 14
; COMPUTE_PGM_RSRC2:TRAP_HANDLER: 0
; COMPUTE_PGM_RSRC2:TGID_X_EN: 1
; COMPUTE_PGM_RSRC2:TGID_Y_EN: 0
; COMPUTE_PGM_RSRC2:TGID_Z_EN: 1
; COMPUTE_PGM_RSRC2:TIDIG_COMP_CNT: 0
	.section	.text._ZL30rocblas_trsm_small_left_deviceILi4ELi4ELb0EffPKPKfPKPfEv13rocblas_fill_18rocblas_operation_17rocblas_diagonal_iiT3_T4_lilT5_lili,"axG",@progbits,_ZL30rocblas_trsm_small_left_deviceILi4ELi4ELb0EffPKPKfPKPfEv13rocblas_fill_18rocblas_operation_17rocblas_diagonal_iiT3_T4_lilT5_lili,comdat
	.globl	_ZL30rocblas_trsm_small_left_deviceILi4ELi4ELb0EffPKPKfPKPfEv13rocblas_fill_18rocblas_operation_17rocblas_diagonal_iiT3_T4_lilT5_lili ; -- Begin function _ZL30rocblas_trsm_small_left_deviceILi4ELi4ELb0EffPKPKfPKPfEv13rocblas_fill_18rocblas_operation_17rocblas_diagonal_iiT3_T4_lilT5_lili
	.p2align	8
	.type	_ZL30rocblas_trsm_small_left_deviceILi4ELi4ELb0EffPKPKfPKPfEv13rocblas_fill_18rocblas_operation_17rocblas_diagonal_iiT3_T4_lilT5_lili,@function
_ZL30rocblas_trsm_small_left_deviceILi4ELi4ELb0EffPKPKfPKPfEv13rocblas_fill_18rocblas_operation_17rocblas_diagonal_iiT3_T4_lilT5_lili: ; @_ZL30rocblas_trsm_small_left_deviceILi4ELi4ELb0EffPKPKfPKPfEv13rocblas_fill_18rocblas_operation_17rocblas_diagonal_iiT3_T4_lilT5_lili
; %bb.0:
	s_clause 0x1
	s_load_b128 s[8:11], s[0:1], 0x38
	s_load_b128 s[4:7], s[0:1], 0x4
	s_mov_b32 s2, s15
	s_mov_b32 s3, 0
	s_delay_alu instid0(SALU_CYCLE_1)
	s_lshl_b64 s[22:23], s[2:3], 3
	s_waitcnt lgkmcnt(0)
	s_add_u32 s8, s8, s22
	s_addc_u32 s9, s9, s23
	s_load_b32 s15, s[0:1], 0x14
	s_load_b64 s[12:13], s[8:9], 0x0
	s_min_i32 s2, s6, 4
	s_mov_b32 s9, exec_lo
	s_add_i32 s8, s2, -1
	v_cmpx_gt_i32_e64 s2, v0
	s_cbranch_execz .LBB2_10
; %bb.1:
	s_clause 0x1
	s_load_b32 s20, s[0:1], 0x28
	s_load_b128 s[16:19], s[0:1], 0x18
	v_lshlrev_b32_e32 v3, 2, v0
	s_waitcnt lgkmcnt(0)
	s_ashr_i32 s21, s20, 31
	s_add_u32 s16, s16, s22
	s_addc_u32 s17, s17, s23
	s_cmp_lt_u32 s8, 3
	s_load_b64 s[16:17], s[16:17], 0x0
	s_cbranch_scc1 .LBB2_4
; %bb.2:
	s_lshl_b64 s[22:23], s[18:19], 2
	v_mov_b32_e32 v4, v3
	s_waitcnt lgkmcnt(0)
	s_add_u32 s3, s16, s22
	s_addc_u32 s22, s17, s23
	v_add_co_u32 v1, s3, s3, v3
	s_delay_alu instid0(VALU_DEP_1)
	v_add_co_ci_u32_e64 v2, null, s22, 0, s3
	s_and_b32 s3, s2, -4
	s_mul_hi_i32 s28, s20, 12
	s_mul_i32 s29, s20, 12
	s_lshl_b64 s[22:23], s[20:21], 4
	s_lshl_b64 s[24:25], s[20:21], 3
	;; [unrolled: 1-line block ×3, first 2 shown]
	s_mov_b32 s30, 0
	.p2align	6
.LBB2_3:                                ; =>This Inner Loop Header: Depth=1
	v_add_co_u32 v5, vcc_lo, v1, s26
	v_add_co_ci_u32_e32 v6, vcc_lo, s27, v2, vcc_lo
	v_add_co_u32 v7, vcc_lo, v1, s24
	v_add_co_ci_u32_e32 v8, vcc_lo, s25, v2, vcc_lo
	;; [unrolled: 2-line block ×3, first 2 shown]
	s_clause 0x3
	global_load_b32 v11, v[1:2], off
	global_load_b32 v5, v[5:6], off
	;; [unrolled: 1-line block ×4, first 2 shown]
	v_add_co_u32 v1, vcc_lo, v1, s22
	v_add_co_ci_u32_e32 v2, vcc_lo, s23, v2, vcc_lo
	s_add_i32 s30, s30, 4
	s_waitcnt vmcnt(2)
	ds_store_2addr_b32 v4, v11, v5 offset1:4
	s_waitcnt vmcnt(0)
	ds_store_2addr_b32 v4, v6, v7 offset0:8 offset1:12
	v_add_nc_u32_e32 v4, 64, v4
	s_cmp_eq_u32 s3, s30
	s_cbranch_scc0 .LBB2_3
.LBB2_4:
	s_and_b32 s22, s2, 3
	s_delay_alu instid0(SALU_CYCLE_1)
	s_cmp_eq_u32 s22, 0
	s_cbranch_scc1 .LBB2_7
; %bb.5:
	s_mul_i32 s23, s21, s3
	s_mul_hi_u32 s25, s20, s3
	s_mul_i32 s24, s20, s3
	s_add_i32 s25, s25, s23
	s_lshl_b64 s[18:19], s[18:19], 2
	s_lshl_b64 s[24:25], s[24:25], 2
	v_lshl_or_b32 v4, s3, 4, v3
	s_add_u32 s3, s24, s18
	s_addc_u32 s18, s25, s19
	s_waitcnt lgkmcnt(0)
	s_add_u32 s3, s16, s3
	s_addc_u32 s16, s17, s18
	v_add_co_u32 v1, s3, s3, v3
	s_delay_alu instid0(VALU_DEP_1)
	v_add_co_ci_u32_e64 v2, null, s16, 0, s3
	s_lshl_b64 s[16:17], s[20:21], 2
.LBB2_6:                                ; =>This Inner Loop Header: Depth=1
	global_load_b32 v3, v[1:2], off
	v_add_co_u32 v1, vcc_lo, v1, s16
	v_add_co_ci_u32_e32 v2, vcc_lo, s17, v2, vcc_lo
	s_add_i32 s22, s22, -1
	s_delay_alu instid0(SALU_CYCLE_1)
	s_cmp_lg_u32 s22, 0
	s_waitcnt vmcnt(0)
	ds_store_b32 v4, v3
	v_add_nc_u32_e32 v4, 16, v4
	s_cbranch_scc1 .LBB2_6
.LBB2_7:
	v_mul_u32_u24_e32 v1, 5, v0
	s_cmpk_lg_i32 s5, 0x84
	s_delay_alu instid0(VALU_DEP_1)
	v_dual_mov_b32 v2, 1.0 :: v_dual_lshlrev_b32 v1, 2, v1
	s_cbranch_scc0 .LBB2_9
; %bb.8:
	ds_load_b32 v2, v1
	s_waitcnt lgkmcnt(0)
	v_div_scale_f32 v3, null, v2, v2, 1.0
	s_delay_alu instid0(VALU_DEP_1) | instskip(SKIP_2) | instid1(VALU_DEP_1)
	v_rcp_f32_e32 v4, v3
	s_waitcnt_depctr 0xfff
	v_fma_f32 v5, -v3, v4, 1.0
	v_fmac_f32_e32 v4, v5, v4
	v_div_scale_f32 v5, vcc_lo, 1.0, v2, 1.0
	s_delay_alu instid0(VALU_DEP_1) | instskip(NEXT) | instid1(VALU_DEP_1)
	v_mul_f32_e32 v6, v5, v4
	v_fma_f32 v7, -v3, v6, v5
	s_delay_alu instid0(VALU_DEP_1) | instskip(NEXT) | instid1(VALU_DEP_1)
	v_fmac_f32_e32 v6, v7, v4
	v_fma_f32 v3, -v3, v6, v5
	s_delay_alu instid0(VALU_DEP_1) | instskip(NEXT) | instid1(VALU_DEP_1)
	v_div_fmas_f32 v3, v3, v4, v6
	v_div_fixup_f32 v2, v3, v2, 1.0
.LBB2_9:
	ds_store_b32 v1, v2
.LBB2_10:
	s_or_b32 exec_lo, exec_lo, s9
	s_load_b32 s3, s[0:1], 0x60
	s_lshl_b32 s5, s14, 2
	s_waitcnt lgkmcnt(0)
	s_sub_i32 s7, s7, s5
	; wave barrier
	buffer_gl0_inv
	s_add_i32 s3, s3, -1
	s_delay_alu instid0(SALU_CYCLE_1) | instskip(SKIP_1) | instid1(SALU_CYCLE_1)
	s_cmp_ge_u32 s14, s3
	s_cselect_b32 s3, s7, 4
	v_cmp_gt_i32_e32 vcc_lo, s3, v0
	s_mov_b32 s3, -1
	s_and_saveexec_b32 s7, vcc_lo
	s_cbranch_execz .LBB2_41
; %bb.11:
	s_load_b32 s0, s[0:1], 0x48
	v_add_nc_u32_e32 v2, s5, v0
	s_lshl_b64 s[10:11], s[10:11], 2
	s_waitcnt lgkmcnt(0)
	s_delay_alu instid0(VALU_DEP_1) | instskip(SKIP_3) | instid1(VALU_DEP_1)
	v_mad_i64_i32 v[0:1], null, s0, v2, 0
	s_add_u32 s0, s12, s10
	s_addc_u32 s1, s13, s11
	s_cmpk_eq_i32 s4, 0x6f
	v_lshlrev_b64 v[2:3], 2, v[0:1]
	s_delay_alu instid0(VALU_DEP_1) | instskip(NEXT) | instid1(VALU_DEP_2)
	v_add_co_u32 v0, vcc_lo, s0, v2
	v_add_co_ci_u32_e32 v1, vcc_lo, s1, v3, vcc_lo
	s_cbranch_scc1 .LBB2_21
; %bb.12:
	s_cmp_gt_i32 s6, 3
	s_cbranch_scc0 .LBB2_14
; %bb.13:
	global_load_b128 v[4:7], v[0:1], off
	v_mov_b32_e32 v8, 0
	s_mov_b32 s0, 4
	ds_load_b32 v17, v8
	ds_load_b64 v[15:16], v8 offset:16
	ds_load_b96 v[12:14], v8 offset:32
	s_waitcnt vmcnt(0)
	v_mul_f32_e32 v4, s15, v4
	s_waitcnt lgkmcnt(2)
	s_delay_alu instid0(VALU_DEP_1) | instskip(SKIP_1) | instid1(VALU_DEP_1)
	v_mul_f32_e32 v4, v4, v17
	s_waitcnt lgkmcnt(1)
	v_mul_f32_e32 v15, v4, v15
	ds_load_b128 v[8:11], v8 offset:48
	v_fma_f32 v5, v5, s15, -v15
	s_delay_alu instid0(VALU_DEP_1) | instskip(SKIP_2) | instid1(VALU_DEP_1)
	v_mul_f32_e32 v5, v5, v16
	s_waitcnt lgkmcnt(1)
	v_mul_f32_e32 v12, v4, v12
	v_fma_f32 v6, v6, s15, -v12
	s_waitcnt lgkmcnt(0)
	v_mul_f32_e32 v8, v4, v8
	s_delay_alu instid0(VALU_DEP_2) | instskip(NEXT) | instid1(VALU_DEP_2)
	v_fma_f32 v6, -v5, v13, v6
	v_fma_f32 v7, v7, s15, -v8
	s_delay_alu instid0(VALU_DEP_2) | instskip(NEXT) | instid1(VALU_DEP_2)
	v_mul_f32_e32 v6, v6, v14
	v_fma_f32 v7, -v5, v9, v7
	s_delay_alu instid0(VALU_DEP_1) | instskip(NEXT) | instid1(VALU_DEP_1)
	v_fma_f32 v7, -v6, v10, v7
	v_mul_f32_e32 v7, v7, v11
	global_store_b128 v[0:1], v[4:7], off
	s_cmp_ge_i32 s0, s2
	s_cbranch_scc0 .LBB2_15
	s_branch .LBB2_20
.LBB2_14:
	s_mov_b32 s0, 0
	s_delay_alu instid0(SALU_CYCLE_1)
	s_cmp_ge_i32 s0, s2
	s_cbranch_scc1 .LBB2_20
.LBB2_15:
	s_lshl_b32 s3, s0, 4
	s_mov_b32 s1, 0
	s_set_inst_prefetch_distance 0x1
	s_branch .LBB2_17
	.p2align	6
.LBB2_16:                               ;   in Loop: Header=BB2_17 Depth=1
	s_mul_i32 s4, s0, 20
	s_add_i32 s0, s0, 1
	v_mov_b32_e32 v6, s4
	s_add_i32 s3, s3, 16
	s_cmp_ge_i32 s0, s2
	ds_load_b32 v6, v6
	s_waitcnt lgkmcnt(0)
	v_mul_f32_e32 v6, v8, v6
	global_store_b32 v[4:5], v6, off
	s_cbranch_scc1 .LBB2_20
.LBB2_17:                               ; =>This Loop Header: Depth=1
                                        ;     Child Loop BB2_19 Depth 2
	s_lshl_b64 s[4:5], s[0:1], 2
	s_cmp_eq_u32 s0, 0
	v_add_co_u32 v4, vcc_lo, v0, s4
	v_add_co_ci_u32_e32 v5, vcc_lo, s5, v1, vcc_lo
	global_load_b32 v6, v[4:5], off
	s_waitcnt vmcnt(0)
	v_mul_f32_e32 v8, s15, v6
	s_cbranch_scc1 .LBB2_16
; %bb.18:                               ;   in Loop: Header=BB2_17 Depth=1
	v_dual_mov_b32 v7, v1 :: v_dual_mov_b32 v6, v0
	s_mov_b32 s4, 0
	s_mov_b32 s5, s3
.LBB2_19:                               ;   Parent Loop BB2_17 Depth=1
                                        ; =>  This Inner Loop Header: Depth=2
	global_load_b32 v9, v[6:7], off
	v_mov_b32_e32 v10, s5
	v_add_co_u32 v6, vcc_lo, v6, 4
	v_add_co_ci_u32_e32 v7, vcc_lo, 0, v7, vcc_lo
	ds_load_b32 v10, v10
	s_add_i32 s4, s4, 1
	s_add_i32 s5, s5, 4
	s_cmp_lt_u32 s4, s0
	s_waitcnt vmcnt(0) lgkmcnt(0)
	v_fma_f32 v8, -v9, v10, v8
	s_cbranch_scc1 .LBB2_19
	s_branch .LBB2_16
.LBB2_20:
	s_set_inst_prefetch_distance 0x2
	s_mov_b32 s3, 0
.LBB2_21:
	s_delay_alu instid0(SALU_CYCLE_1)
	s_and_b32 vcc_lo, exec_lo, s3
	s_cbranch_vccz .LBB2_41
; %bb.22:
	s_cmp_gt_i32 s6, 3
	s_cbranch_scc0 .LBB2_24
; %bb.23:
	s_ashr_i32 s9, s8, 31
	s_mov_b32 s3, 0
	s_lshl_b64 s[0:1], s[8:9], 2
	s_add_i32 s4, s2, -4
	v_add_co_u32 v7, vcc_lo, v0, s0
	v_add_co_ci_u32_e32 v8, vcc_lo, s1, v1, vcc_lo
	s_lshl_b64 s[0:1], s[2:3], 2
	s_delay_alu instid0(SALU_CYCLE_1)
	v_add_co_u32 v4, vcc_lo, v0, s0
	global_load_b32 v13, v[7:8], off
	v_add_co_ci_u32_e32 v5, vcc_lo, s1, v1, vcc_lo
	s_add_i32 s0, s2, -2
	s_lshl_b32 s1, s8, 2
	global_load_b96 v[4:6], v[4:5], off offset:-16
	s_add_i32 s3, s0, s1
	s_add_i32 s1, s4, s1
	s_lshl_b32 s3, s3, 2
	s_lshl_b32 s1, s1, 2
	s_delay_alu instid0(SALU_CYCLE_1)
	v_dual_mov_b32 v9, s3 :: v_dual_mov_b32 v12, s1
	s_mul_i32 s3, s8, 20
	s_lshl_b32 s0, s0, 2
	s_sub_i32 s5, s3, 20
	ds_load_2addr_b32 v[9:10], v9 offset1:1
	s_add_i32 s0, s4, s0
	s_lshl_b32 s1, s2, 2
	s_lshl_b32 s0, s0, 2
	s_delay_alu instid0(SALU_CYCLE_1) | instskip(SKIP_3) | instid1(SALU_CYCLE_1)
	v_dual_mov_b32 v11, s5 :: v_dual_mov_b32 v14, s0
	ds_load_b32 v15, v11
	ds_load_2addr_b32 v[11:12], v12 offset1:1
	s_add_i32 s1, s1, s4
	s_lshl_b32 s0, s1, 2
	s_delay_alu instid0(SALU_CYCLE_1)
	s_sub_i32 s0, s0, 48
	s_waitcnt vmcnt(1)
	v_mul_f32_e32 v16, s15, v13
	ds_load_2addr_b32 v[13:14], v14 offset1:1
	s_waitcnt lgkmcnt(3)
	v_mul_f32_e32 v16, v16, v10
	v_mov_b32_e32 v10, s0
	s_sub_i32 s0, s3, 60
	s_ashr_i32 s3, s2, 31
	s_waitcnt lgkmcnt(1)
	v_dual_mov_b32 v18, s0 :: v_dual_mul_f32 v11, v16, v11
	v_mul_f32_e32 v17, v16, v9
	v_mul_f32_e32 v12, v16, v12
	s_lshl_b64 s[0:1], s[2:3], 2
	s_add_i32 s3, s2, -5
	s_waitcnt vmcnt(0)
	v_fma_f32 v4, v4, s15, -v11
	v_fma_f32 v6, v6, s15, -v17
	ds_load_b32 v17, v18
	ds_load_2addr_b32 v[9:10], v10 offset1:1
	v_fma_f32 v5, v5, s15, -v12
	global_store_b32 v[7:8], v16, off
	v_mul_f32_e32 v6, v6, v15
	s_waitcnt lgkmcnt(2)
	s_delay_alu instid0(VALU_DEP_1) | instskip(SKIP_2) | instid1(VALU_DEP_2)
	v_fma_f32 v5, -v6, v14, v5
	v_fma_f32 v4, -v6, v13, v4
	s_waitcnt lgkmcnt(0)
	v_mul_f32_e32 v5, v5, v10
	s_delay_alu instid0(VALU_DEP_1) | instskip(SKIP_2) | instid1(VALU_DEP_3)
	v_fma_f32 v4, -v5, v9, v4
	v_add_co_u32 v9, vcc_lo, v0, s0
	v_add_co_ci_u32_e32 v10, vcc_lo, s1, v1, vcc_lo
	v_mul_f32_e32 v4, v4, v17
	global_store_b96 v[9:10], v[4:6], off offset:-16
	s_cmp_lt_i32 s3, 0
	s_cbranch_scc0 .LBB2_25
	s_branch .LBB2_41
.LBB2_24:
	s_mov_b32 s3, s8
	s_delay_alu instid0(SALU_CYCLE_1)
	s_cmp_lt_i32 s3, 0
	s_cbranch_scc1 .LBB2_41
.LBB2_25:
	s_add_i32 s0, s3, 1
	s_delay_alu instid0(SALU_CYCLE_1)
	s_and_b32 s4, s0, 3
	s_mov_b32 s0, s3
	s_cmp_eq_u32 s4, 0
	s_cbranch_scc1 .LBB2_30
; %bb.26:
	s_lshl_b32 s0, s2, 4
	s_lshl_b32 s1, s3, 2
	s_ashr_i32 s9, s8, 31
	s_add_i32 s5, s0, s1
	s_lshl_b64 s[0:1], s[8:9], 2
	s_add_i32 s5, s5, -16
	s_add_u32 s0, s12, s0
	s_addc_u32 s1, s13, s1
	s_add_u32 s0, s0, s10
	s_addc_u32 s1, s1, s11
	v_add_co_u32 v4, vcc_lo, s0, v2
	v_add_co_ci_u32_e32 v5, vcc_lo, s1, v3, vcc_lo
	s_mov_b32 s1, 0
	s_mov_b32 s0, s3
	;; [unrolled: 1-line block ×3, first 2 shown]
	s_set_inst_prefetch_distance 0x1
	s_branch .LBB2_28
	.p2align	6
.LBB2_27:                               ;   in Loop: Header=BB2_28 Depth=1
	s_mul_i32 s7, s0, 20
	s_ashr_i32 s17, s0, 31
	v_mov_b32_e32 v6, s7
	s_mov_b32 s16, s0
	s_add_i32 s6, s6, 1
	s_lshl_b64 s[16:17], s[16:17], 2
	s_add_i32 s0, s0, -1
	ds_load_b32 v9, v6
	v_add_co_u32 v6, vcc_lo, v0, s16
	v_add_co_ci_u32_e32 v7, vcc_lo, s17, v1, vcc_lo
	s_add_i32 s5, s5, -4
	s_cmp_lg_u32 s6, s4
	s_waitcnt lgkmcnt(0)
	v_mul_f32_e32 v8, v8, v9
	global_store_b32 v[6:7], v8, off
	s_cbranch_scc0 .LBB2_30
.LBB2_28:                               ; =>This Loop Header: Depth=1
                                        ;     Child Loop BB2_29 Depth 2
	s_lshl_b64 s[16:17], s[0:1], 2
	s_cmp_le_i32 s8, s0
	v_add_co_u32 v6, vcc_lo, v0, s16
	v_add_co_ci_u32_e32 v7, vcc_lo, s17, v1, vcc_lo
	s_mov_b32 s7, s5
	s_mov_b32 s9, s8
	global_load_b32 v6, v[6:7], off
	s_waitcnt vmcnt(0)
	v_dual_mul_f32 v8, s15, v6 :: v_dual_mov_b32 v7, v5
	v_mov_b32_e32 v6, v4
	s_cbranch_scc1 .LBB2_27
.LBB2_29:                               ;   Parent Loop BB2_28 Depth=1
                                        ; =>  This Inner Loop Header: Depth=2
	global_load_b32 v9, v[6:7], off
	v_mov_b32_e32 v10, s7
	v_add_co_u32 v6, vcc_lo, v6, -4
	v_add_co_ci_u32_e32 v7, vcc_lo, -1, v7, vcc_lo
	ds_load_b32 v10, v10
	s_add_i32 s9, s9, -1
	s_add_i32 s7, s7, -16
	s_cmp_gt_i32 s9, s0
	s_waitcnt vmcnt(0) lgkmcnt(0)
	v_fma_f32 v8, -v9, v10, v8
	s_cbranch_scc1 .LBB2_29
	s_branch .LBB2_27
.LBB2_30:
	s_set_inst_prefetch_distance 0x2
	s_cmp_lt_u32 s3, 3
	s_cbranch_scc1 .LBB2_41
; %bb.31:
	s_lshl_b32 s1, s2, 4
	s_lshl_b32 s3, s0, 2
	s_ashr_i32 s9, s8, 31
	s_add_i32 s1, s1, s3
	s_lshl_b64 s[4:5], s[8:9], 2
	s_add_i32 s3, s1, -16
	s_add_u32 s4, s12, s4
	s_addc_u32 s5, s13, s5
	s_add_u32 s4, s4, s10
	s_addc_u32 s5, s5, s11
	v_add_co_u32 v2, vcc_lo, s4, v2
	v_add_co_ci_u32_e32 v3, vcc_lo, s5, v3, vcc_lo
	s_sub_i32 s6, s1, 20
	s_sub_i32 s7, s1, 24
	;; [unrolled: 1-line block ×3, first 2 shown]
	s_mov_b32 s1, 0
	s_branch .LBB2_33
.LBB2_32:                               ;   in Loop: Header=BB2_33 Depth=1
	s_sub_i32 s4, s5, 20
	s_add_i32 s3, s3, -16
	v_mov_b32_e32 v6, s4
	s_add_i32 s4, s0, -4
	s_add_i32 s6, s6, -16
	;; [unrolled: 1-line block ×4, first 2 shown]
	ds_load_b32 v6, v6
	s_cmp_lt_i32 s0, 4
	s_mov_b32 s0, s4
	s_waitcnt lgkmcnt(0)
	v_mul_f32_e32 v6, v8, v6
	global_store_b32 v[4:5], v6, off offset:-12
	s_cbranch_scc1 .LBB2_41
.LBB2_33:                               ; =>This Loop Header: Depth=1
                                        ;     Child Loop BB2_34 Depth 2
                                        ;     Child Loop BB2_36 Depth 2
	;; [unrolled: 1-line block ×4, first 2 shown]
	s_lshl_b64 s[4:5], s[0:1], 2
	s_cmp_le_i32 s8, s0
	v_add_co_u32 v4, vcc_lo, v0, s4
	v_add_co_ci_u32_e32 v5, vcc_lo, s5, v1, vcc_lo
	s_mov_b32 s4, s3
	s_mov_b32 s5, s8
	global_load_b32 v4, v[4:5], off
	s_waitcnt vmcnt(0)
	v_dual_mul_f32 v6, s15, v4 :: v_dual_mov_b32 v5, v3
	v_mov_b32_e32 v4, v2
	s_cbranch_scc1 .LBB2_35
.LBB2_34:                               ;   Parent Loop BB2_33 Depth=1
                                        ; =>  This Inner Loop Header: Depth=2
	global_load_b32 v7, v[4:5], off
	v_mov_b32_e32 v8, s4
	v_add_co_u32 v4, vcc_lo, v4, -4
	v_add_co_ci_u32_e32 v5, vcc_lo, -1, v5, vcc_lo
	ds_load_b32 v8, v8
	s_add_i32 s5, s5, -1
	s_add_i32 s4, s4, -16
	s_cmp_gt_i32 s5, s0
	s_waitcnt vmcnt(0) lgkmcnt(0)
	v_fma_f32 v6, -v7, v8, v6
	s_cbranch_scc1 .LBB2_34
.LBB2_35:                               ;   in Loop: Header=BB2_33 Depth=1
	s_add_i32 s4, s0, -1
	s_mov_b32 s5, s1
	s_mul_i32 s10, s0, 20
	s_lshl_b64 s[4:5], s[4:5], 2
	s_delay_alu instid0(SALU_CYCLE_1)
	v_add_co_u32 v4, vcc_lo, v0, s4
	v_add_co_ci_u32_e32 v5, vcc_lo, s5, v1, vcc_lo
	s_ashr_i32 s5, s0, 31
	s_mov_b32 s4, s0
	global_load_b32 v7, v[4:5], off
	v_mov_b32_e32 v4, s10
	s_lshl_b64 s[4:5], s[4:5], 2
	s_cmp_lt_i32 s8, s0
	ds_load_b32 v8, v4
	v_add_co_u32 v4, vcc_lo, v0, s4
	v_add_co_ci_u32_e32 v5, vcc_lo, s5, v1, vcc_lo
	s_mov_b32 s4, s6
	s_mov_b32 s5, s2
	s_waitcnt lgkmcnt(0)
	v_mul_f32_e32 v9, v6, v8
	global_store_b32 v[4:5], v9, off
	s_waitcnt vmcnt(0)
	v_dual_mul_f32 v8, s15, v7 :: v_dual_mov_b32 v7, v3
	v_mov_b32_e32 v6, v2
	s_cbranch_scc1 .LBB2_37
.LBB2_36:                               ;   Parent Loop BB2_33 Depth=1
                                        ; =>  This Inner Loop Header: Depth=2
	global_load_b32 v9, v[6:7], off
	v_mov_b32_e32 v10, s4
	v_add_co_u32 v6, vcc_lo, v6, -4
	v_add_co_ci_u32_e32 v7, vcc_lo, -1, v7, vcc_lo
	ds_load_b32 v10, v10
	s_add_i32 s5, s5, -1
	s_add_i32 s4, s4, -16
	s_cmp_gt_i32 s5, s0
	s_waitcnt vmcnt(0) lgkmcnt(0)
	v_fma_f32 v8, -v9, v10, v8
	s_cbranch_scc1 .LBB2_36
.LBB2_37:                               ;   in Loop: Header=BB2_33 Depth=1
	s_add_i32 s4, s0, -2
	s_mov_b32 s5, s1
	s_sub_i32 s10, s10, 20
	s_lshl_b64 s[12:13], s[4:5], 2
	s_cmp_le_i32 s8, s4
	v_add_co_u32 v6, vcc_lo, v0, s12
	v_add_co_ci_u32_e32 v7, vcc_lo, s13, v1, vcc_lo
	s_mov_b32 s5, s7
	s_mov_b32 s11, s8
	global_load_b32 v6, v[6:7], off
	v_mov_b32_e32 v7, s10
	ds_load_b32 v7, v7
	s_waitcnt vmcnt(0) lgkmcnt(0)
	v_dual_mul_f32 v9, v8, v7 :: v_dual_mul_f32 v8, s15, v6
	v_dual_mov_b32 v7, v3 :: v_dual_mov_b32 v6, v2
	global_store_b32 v[4:5], v9, off offset:-4
	s_cbranch_scc1 .LBB2_39
.LBB2_38:                               ;   Parent Loop BB2_33 Depth=1
                                        ; =>  This Inner Loop Header: Depth=2
	global_load_b32 v9, v[6:7], off
	v_mov_b32_e32 v10, s5
	v_add_co_u32 v6, vcc_lo, v6, -4
	v_add_co_ci_u32_e32 v7, vcc_lo, -1, v7, vcc_lo
	ds_load_b32 v10, v10
	s_add_i32 s11, s11, -1
	s_add_i32 s5, s5, -16
	s_cmp_gt_i32 s11, s4
	s_waitcnt vmcnt(0) lgkmcnt(0)
	v_fma_f32 v8, -v9, v10, v8
	s_cbranch_scc1 .LBB2_38
.LBB2_39:                               ;   in Loop: Header=BB2_33 Depth=1
	s_add_i32 s4, s0, -3
	s_mov_b32 s5, s1
	s_mov_b32 s11, s8
	s_lshl_b64 s[12:13], s[4:5], 2
	s_sub_i32 s5, s10, 20
	v_add_co_u32 v6, vcc_lo, v0, s12
	v_add_co_ci_u32_e32 v7, vcc_lo, s13, v1, vcc_lo
	s_cmp_le_i32 s8, s4
	s_mov_b32 s10, s9
	global_load_b32 v6, v[6:7], off
	v_mov_b32_e32 v7, s5
	ds_load_b32 v7, v7
	s_waitcnt vmcnt(0) lgkmcnt(0)
	v_dual_mul_f32 v9, v8, v7 :: v_dual_mul_f32 v8, s15, v6
	v_dual_mov_b32 v7, v3 :: v_dual_mov_b32 v6, v2
	global_store_b32 v[4:5], v9, off offset:-8
	s_cbranch_scc1 .LBB2_32
.LBB2_40:                               ;   Parent Loop BB2_33 Depth=1
                                        ; =>  This Inner Loop Header: Depth=2
	global_load_b32 v9, v[6:7], off
	v_mov_b32_e32 v10, s10
	v_add_co_u32 v6, vcc_lo, v6, -4
	v_add_co_ci_u32_e32 v7, vcc_lo, -1, v7, vcc_lo
	ds_load_b32 v10, v10
	s_add_i32 s11, s11, -1
	s_add_i32 s10, s10, -16
	s_cmp_gt_i32 s11, s4
	s_waitcnt vmcnt(0) lgkmcnt(0)
	v_fma_f32 v8, -v9, v10, v8
	s_cbranch_scc1 .LBB2_40
	s_branch .LBB2_32
.LBB2_41:
	s_nop 0
	s_sendmsg sendmsg(MSG_DEALLOC_VGPRS)
	s_endpgm
	.section	.rodata,"a",@progbits
	.p2align	6, 0x0
	.amdhsa_kernel _ZL30rocblas_trsm_small_left_deviceILi4ELi4ELb0EffPKPKfPKPfEv13rocblas_fill_18rocblas_operation_17rocblas_diagonal_iiT3_T4_lilT5_lili
		.amdhsa_group_segment_fixed_size 64
		.amdhsa_private_segment_fixed_size 0
		.amdhsa_kernarg_size 352
		.amdhsa_user_sgpr_count 14
		.amdhsa_user_sgpr_dispatch_ptr 0
		.amdhsa_user_sgpr_queue_ptr 0
		.amdhsa_user_sgpr_kernarg_segment_ptr 1
		.amdhsa_user_sgpr_dispatch_id 0
		.amdhsa_user_sgpr_private_segment_size 0
		.amdhsa_wavefront_size32 1
		.amdhsa_uses_dynamic_stack 0
		.amdhsa_enable_private_segment 0
		.amdhsa_system_sgpr_workgroup_id_x 1
		.amdhsa_system_sgpr_workgroup_id_y 0
		.amdhsa_system_sgpr_workgroup_id_z 1
		.amdhsa_system_sgpr_workgroup_info 0
		.amdhsa_system_vgpr_workitem_id 0
		.amdhsa_next_free_vgpr 19
		.amdhsa_next_free_sgpr 31
		.amdhsa_reserve_vcc 1
		.amdhsa_float_round_mode_32 0
		.amdhsa_float_round_mode_16_64 0
		.amdhsa_float_denorm_mode_32 3
		.amdhsa_float_denorm_mode_16_64 3
		.amdhsa_dx10_clamp 1
		.amdhsa_ieee_mode 1
		.amdhsa_fp16_overflow 0
		.amdhsa_workgroup_processor_mode 1
		.amdhsa_memory_ordered 1
		.amdhsa_forward_progress 0
		.amdhsa_shared_vgpr_count 0
		.amdhsa_exception_fp_ieee_invalid_op 0
		.amdhsa_exception_fp_denorm_src 0
		.amdhsa_exception_fp_ieee_div_zero 0
		.amdhsa_exception_fp_ieee_overflow 0
		.amdhsa_exception_fp_ieee_underflow 0
		.amdhsa_exception_fp_ieee_inexact 0
		.amdhsa_exception_int_div_zero 0
	.end_amdhsa_kernel
	.section	.text._ZL30rocblas_trsm_small_left_deviceILi4ELi4ELb0EffPKPKfPKPfEv13rocblas_fill_18rocblas_operation_17rocblas_diagonal_iiT3_T4_lilT5_lili,"axG",@progbits,_ZL30rocblas_trsm_small_left_deviceILi4ELi4ELb0EffPKPKfPKPfEv13rocblas_fill_18rocblas_operation_17rocblas_diagonal_iiT3_T4_lilT5_lili,comdat
.Lfunc_end2:
	.size	_ZL30rocblas_trsm_small_left_deviceILi4ELi4ELb0EffPKPKfPKPfEv13rocblas_fill_18rocblas_operation_17rocblas_diagonal_iiT3_T4_lilT5_lili, .Lfunc_end2-_ZL30rocblas_trsm_small_left_deviceILi4ELi4ELb0EffPKPKfPKPfEv13rocblas_fill_18rocblas_operation_17rocblas_diagonal_iiT3_T4_lilT5_lili
                                        ; -- End function
	.section	.AMDGPU.csdata,"",@progbits
; Kernel info:
; codeLenInByte = 2628
; NumSgprs: 33
; NumVgprs: 19
; ScratchSize: 0
; MemoryBound: 0
; FloatMode: 240
; IeeeMode: 1
; LDSByteSize: 64 bytes/workgroup (compile time only)
; SGPRBlocks: 4
; VGPRBlocks: 2
; NumSGPRsForWavesPerEU: 33
; NumVGPRsForWavesPerEU: 19
; Occupancy: 16
; WaveLimiterHint : 1
; COMPUTE_PGM_RSRC2:SCRATCH_EN: 0
; COMPUTE_PGM_RSRC2:USER_SGPR: 14
; COMPUTE_PGM_RSRC2:TRAP_HANDLER: 0
; COMPUTE_PGM_RSRC2:TGID_X_EN: 1
; COMPUTE_PGM_RSRC2:TGID_Y_EN: 0
; COMPUTE_PGM_RSRC2:TGID_Z_EN: 1
; COMPUTE_PGM_RSRC2:TIDIG_COMP_CNT: 0
	.section	.text._ZL38rocblas_trsm_small_left_device_sharedBILi4ELi4ELb1EffPKPKfPKPfEv13rocblas_fill_18rocblas_operation_17rocblas_diagonal_iiT3_T4_lilT5_lili,"axG",@progbits,_ZL38rocblas_trsm_small_left_device_sharedBILi4ELi4ELb1EffPKPKfPKPfEv13rocblas_fill_18rocblas_operation_17rocblas_diagonal_iiT3_T4_lilT5_lili,comdat
	.globl	_ZL38rocblas_trsm_small_left_device_sharedBILi4ELi4ELb1EffPKPKfPKPfEv13rocblas_fill_18rocblas_operation_17rocblas_diagonal_iiT3_T4_lilT5_lili ; -- Begin function _ZL38rocblas_trsm_small_left_device_sharedBILi4ELi4ELb1EffPKPKfPKPfEv13rocblas_fill_18rocblas_operation_17rocblas_diagonal_iiT3_T4_lilT5_lili
	.p2align	8
	.type	_ZL38rocblas_trsm_small_left_device_sharedBILi4ELi4ELb1EffPKPKfPKPfEv13rocblas_fill_18rocblas_operation_17rocblas_diagonal_iiT3_T4_lilT5_lili,@function
_ZL38rocblas_trsm_small_left_device_sharedBILi4ELi4ELb1EffPKPKfPKPfEv13rocblas_fill_18rocblas_operation_17rocblas_diagonal_iiT3_T4_lilT5_lili: ; @_ZL38rocblas_trsm_small_left_device_sharedBILi4ELi4ELb1EffPKPKfPKPfEv13rocblas_fill_18rocblas_operation_17rocblas_diagonal_iiT3_T4_lilT5_lili
; %bb.0:
	s_clause 0x1
	s_load_b128 s[8:11], s[0:1], 0x38
	s_load_b128 s[4:7], s[0:1], 0x4
	s_mov_b32 s12, s15
	s_mov_b32 s13, 0
	s_mov_b32 s27, exec_lo
	s_lshl_b64 s[20:21], s[12:13], 3
	s_waitcnt lgkmcnt(0)
	s_add_u32 s2, s8, s20
	s_addc_u32 s3, s9, s21
	s_load_b32 s26, s[0:1], 0x14
	s_load_b64 s[2:3], s[2:3], 0x0
	s_min_i32 s12, s6, 4
	s_delay_alu instid0(SALU_CYCLE_1)
	s_add_i32 s15, s12, -1
	v_cmpx_gt_i32_e64 s12, v0
	s_cbranch_execz .LBB3_10
; %bb.1:
	s_clause 0x1
	s_load_b32 s8, s[0:1], 0x28
	s_load_b128 s[16:19], s[0:1], 0x18
	s_waitcnt lgkmcnt(0)
	s_ashr_i32 s9, s8, 31
	s_add_u32 s16, s16, s20
	s_addc_u32 s17, s17, s21
	s_cmp_lt_u32 s15, 3
	s_load_b64 s[16:17], s[16:17], 0x0
	s_cbranch_scc1 .LBB3_4
; %bb.2:
	v_lshlrev_b32_e32 v3, 2, v0
	s_lshl_b64 s[20:21], s[18:19], 2
	s_mul_hi_i32 s28, s8, 12
	s_waitcnt lgkmcnt(0)
	s_add_u32 s13, s16, s20
	s_addc_u32 s20, s17, s21
	v_add_co_u32 v1, s13, s13, v3
	s_delay_alu instid0(VALU_DEP_1)
	v_add_co_ci_u32_e64 v2, null, s20, 0, s13
	s_and_b32 s13, s12, -4
	s_mul_i32 s29, s8, 12
	s_lshl_b64 s[20:21], s[8:9], 4
	s_lshl_b64 s[22:23], s[8:9], 3
	s_lshl_b64 s[24:25], s[8:9], 2
	s_mov_b32 s30, 0
	.p2align	6
.LBB3_3:                                ; =>This Inner Loop Header: Depth=1
	v_add_co_u32 v4, vcc_lo, v1, s24
	v_add_co_ci_u32_e32 v5, vcc_lo, s25, v2, vcc_lo
	v_add_co_u32 v6, vcc_lo, v1, s22
	v_add_co_ci_u32_e32 v7, vcc_lo, s23, v2, vcc_lo
	;; [unrolled: 2-line block ×3, first 2 shown]
	s_clause 0x3
	global_load_b32 v10, v[1:2], off
	global_load_b32 v4, v[4:5], off
	;; [unrolled: 1-line block ×4, first 2 shown]
	v_add_co_u32 v1, vcc_lo, v1, s20
	v_add_co_ci_u32_e32 v2, vcc_lo, s21, v2, vcc_lo
	s_add_i32 s30, s30, 4
	s_waitcnt vmcnt(2)
	ds_store_2addr_b32 v3, v10, v4 offset1:4
	s_waitcnt vmcnt(0)
	ds_store_2addr_b32 v3, v5, v6 offset0:8 offset1:12
	v_add_nc_u32_e32 v3, 64, v3
	s_cmp_eq_u32 s13, s30
	s_cbranch_scc0 .LBB3_3
.LBB3_4:
	s_and_b32 s20, s12, 3
	s_delay_alu instid0(SALU_CYCLE_1)
	s_cmp_eq_u32 s20, 0
	s_cbranch_scc1 .LBB3_7
; %bb.5:
	s_mul_i32 s21, s9, s13
	s_mul_hi_u32 s22, s8, s13
	v_lshlrev_b32_e32 v1, 2, v0
	s_add_i32 s23, s22, s21
	s_mul_i32 s22, s8, s13
	s_lshl_b64 s[18:19], s[18:19], 2
	s_lshl_b64 s[22:23], s[22:23], 2
	v_lshl_or_b32 v3, s13, 4, v1
	s_add_u32 s13, s22, s18
	s_addc_u32 s18, s23, s19
	s_waitcnt lgkmcnt(0)
	s_add_u32 s13, s16, s13
	s_addc_u32 s16, s17, s18
	v_add_co_u32 v1, s13, s13, v1
	s_delay_alu instid0(VALU_DEP_1)
	v_add_co_ci_u32_e64 v2, null, s16, 0, s13
	s_lshl_b64 s[8:9], s[8:9], 2
.LBB3_6:                                ; =>This Inner Loop Header: Depth=1
	global_load_b32 v4, v[1:2], off
	v_add_co_u32 v1, vcc_lo, v1, s8
	v_add_co_ci_u32_e32 v2, vcc_lo, s9, v2, vcc_lo
	s_add_i32 s20, s20, -1
	s_delay_alu instid0(SALU_CYCLE_1)
	s_cmp_lg_u32 s20, 0
	s_waitcnt vmcnt(0)
	ds_store_b32 v3, v4
	v_add_nc_u32_e32 v3, 16, v3
	s_cbranch_scc1 .LBB3_6
.LBB3_7:
	v_mul_u32_u24_e32 v1, 5, v0
	s_cmpk_lg_i32 s5, 0x84
	s_delay_alu instid0(VALU_DEP_1)
	v_dual_mov_b32 v2, 1.0 :: v_dual_lshlrev_b32 v1, 2, v1
	s_cbranch_scc0 .LBB3_9
; %bb.8:
	ds_load_b32 v2, v1
	s_waitcnt lgkmcnt(0)
	v_div_scale_f32 v3, null, v2, v2, 1.0
	s_delay_alu instid0(VALU_DEP_1) | instskip(SKIP_2) | instid1(VALU_DEP_1)
	v_rcp_f32_e32 v4, v3
	s_waitcnt_depctr 0xfff
	v_fma_f32 v5, -v3, v4, 1.0
	v_fmac_f32_e32 v4, v5, v4
	v_div_scale_f32 v5, vcc_lo, 1.0, v2, 1.0
	s_delay_alu instid0(VALU_DEP_1) | instskip(NEXT) | instid1(VALU_DEP_1)
	v_mul_f32_e32 v6, v5, v4
	v_fma_f32 v7, -v3, v6, v5
	s_delay_alu instid0(VALU_DEP_1) | instskip(NEXT) | instid1(VALU_DEP_1)
	v_fmac_f32_e32 v6, v7, v4
	v_fma_f32 v3, -v3, v6, v5
	s_delay_alu instid0(VALU_DEP_1) | instskip(NEXT) | instid1(VALU_DEP_1)
	v_div_fmas_f32 v3, v3, v4, v6
	v_div_fixup_f32 v2, v3, v2, 1.0
.LBB3_9:
	ds_store_b32 v1, v2
.LBB3_10:
	s_or_b32 exec_lo, exec_lo, s27
	s_clause 0x1
	s_load_b32 s5, s[0:1], 0x60
	s_load_b32 s0, s[0:1], 0x48
	s_lshl_b64 s[8:9], s[10:11], 2
	v_lshl_or_b32 v3, v0, 2, 64
	s_waitcnt lgkmcnt(0)
	s_add_u32 s1, s2, s8
	s_addc_u32 s8, s3, s9
	s_lshl_b32 s2, s14, 2
	s_delay_alu instid0(SALU_CYCLE_1)
	s_sub_i32 s7, s7, s2
	s_add_i32 s5, s5, -1
	s_mul_hi_i32 s3, s0, s2
	s_cmp_ge_u32 s14, s5
	s_mul_i32 s2, s0, s2
	s_cselect_b32 s5, s7, 4
	s_lshl_b64 s[2:3], s[2:3], 2
	v_cmp_gt_i32_e32 vcc_lo, s5, v0
	s_add_u32 s1, s1, s2
	s_addc_u32 s2, s8, s3
	s_cmp_gt_i32 s6, 0
	s_cselect_b32 s3, -1, 0
	s_delay_alu instid0(SALU_CYCLE_1) | instskip(NEXT) | instid1(SALU_CYCLE_1)
	s_and_b32 s3, vcc_lo, s3
	s_and_saveexec_b32 s5, s3
	s_cbranch_execz .LBB3_13
; %bb.11:
	v_mad_i64_i32 v[1:2], null, s0, v0, 0
	v_lshl_or_b32 v4, v0, 2, 64
	s_mov_b32 s7, s12
	s_delay_alu instid0(VALU_DEP_2) | instskip(NEXT) | instid1(VALU_DEP_1)
	v_lshlrev_b64 v[1:2], 2, v[1:2]
	v_add_co_u32 v1, vcc_lo, s1, v1
	s_delay_alu instid0(VALU_DEP_2)
	v_add_co_ci_u32_e32 v2, vcc_lo, s2, v2, vcc_lo
.LBB3_12:                               ; =>This Inner Loop Header: Depth=1
	global_load_b32 v5, v[1:2], off
	v_add_co_u32 v1, vcc_lo, v1, 4
	v_add_co_ci_u32_e32 v2, vcc_lo, 0, v2, vcc_lo
	s_add_i32 s7, s7, -1
	s_delay_alu instid0(SALU_CYCLE_1)
	s_cmp_lg_u32 s7, 0
	s_waitcnt vmcnt(0)
	v_mul_f32_e32 v5, s26, v5
	ds_store_b32 v4, v5
	v_add_nc_u32_e32 v4, 16, v4
	s_cbranch_scc1 .LBB3_12
.LBB3_13:
	s_or_b32 exec_lo, exec_lo, s5
	s_cmpk_eq_i32 s4, 0x6f
	s_mov_b32 s4, -1
	s_waitcnt vmcnt(0) lgkmcnt(0)
	s_waitcnt_vscnt null, 0x0
	; wave barrier
	s_waitcnt lgkmcnt(0)
	buffer_gl0_inv
	s_cbranch_scc1 .LBB3_29
; %bb.14:
	s_cmp_gt_i32 s6, 3
	s_cbranch_scc0 .LBB3_16
; %bb.15:
	s_mul_i32 s7, s15, 20
	s_delay_alu instid0(SALU_CYCLE_1) | instskip(SKIP_3) | instid1(VALU_DEP_1)
	v_dual_mov_b32 v4, s7 :: v_dual_lshlrev_b32 v1, 2, v0
	s_lshl_b32 s4, s12, 2
	s_sub_i32 s8, s7, 20
	s_add_i32 s5, s4, -8
	v_lshl_or_b32 v10, s15, 4, v1
	v_or_b32_e32 v2, s5, v0
	s_add_i32 s5, s4, -12
	s_add_i32 s4, s4, -16
	v_or_b32_e32 v1, s5, v0
	s_add_i32 s5, s5, s15
	ds_load_b32 v8, v10 offset:64
	ds_load_b32 v9, v4
	s_lshl_b32 s5, s5, 2
	s_delay_alu instid0(SALU_CYCLE_1) | instskip(SKIP_4) | instid1(VALU_DEP_2)
	v_dual_mov_b32 v6, s5 :: v_dual_lshlrev_b32 v11, 2, v2
	v_or_b32_e32 v2, s4, v0
	v_dual_mov_b32 v5, s8 :: v_dual_lshlrev_b32 v12, 2, v1
	s_sub_i32 s5, s7, 40
	s_add_i32 s4, s4, s15
	v_dual_mov_b32 v4, s5 :: v_dual_lshlrev_b32 v13, 2, v2
	ds_load_2addr_b32 v[1:2], v5 offset1:1
	ds_load_b32 v14, v6
	ds_load_b32 v15, v11 offset:64
	ds_load_b32 v16, v12 offset:64
	s_lshl_b32 s4, s4, 2
	s_delay_alu instid0(SALU_CYCLE_1) | instskip(SKIP_3) | instid1(VALU_DEP_1)
	s_add_i32 s4, s4, -4
	s_waitcnt lgkmcnt(4)
	v_mul_f32_e32 v18, v8, v9
	s_waitcnt lgkmcnt(1)
	v_fma_f32 v2, -v18, v2, v15
	v_mov_b32_e32 v6, s4
	s_sub_i32 s4, s7, 60
	s_waitcnt lgkmcnt(0)
	v_fma_f32 v14, -v18, v14, v16
	v_dual_mov_b32 v8, s4 :: v_dual_mul_f32 v1, v2, v1
	ds_load_b32 v17, v13 offset:64
	ds_load_2addr_b32 v[4:5], v4 offset1:1
	ds_load_2addr_b32 v[6:7], v6 offset1:1
	s_add_i32 s7, s12, -5
	ds_load_2addr_b32 v[8:9], v8 offset1:1
	s_waitcnt lgkmcnt(2)
	v_fma_f32 v2, -v1, v5, v14
	s_waitcnt lgkmcnt(1)
	v_fma_f32 v5, -v18, v7, v17
	s_delay_alu instid0(VALU_DEP_2) | instskip(NEXT) | instid1(VALU_DEP_2)
	v_mul_f32_e32 v2, v2, v4
	v_fma_f32 v4, -v1, v6, v5
	ds_store_b32 v10, v18 offset:64
	ds_store_b32 v11, v1 offset:64
	;; [unrolled: 1-line block ×3, first 2 shown]
	s_waitcnt lgkmcnt(3)
	v_fma_f32 v4, -v2, v9, v4
	s_delay_alu instid0(VALU_DEP_1)
	v_mul_f32_e32 v4, v4, v8
	ds_store_b32 v13, v4 offset:64
	s_cmp_lt_i32 s7, 0
	s_mov_b32 s4, 0
	s_cbranch_scc0 .LBB3_17
	s_branch .LBB3_29
.LBB3_16:
	s_mov_b32 s7, s15
	s_delay_alu instid0(SALU_CYCLE_1)
	s_cmp_lt_i32 s7, 0
	s_mov_b32 s4, 0
	s_cbranch_scc1 .LBB3_29
.LBB3_17:
	s_bitcmp1_b32 s7, 0
	s_cselect_b32 s5, -1, 0
	s_delay_alu instid0(SALU_CYCLE_1)
	s_and_b32 vcc_lo, exec_lo, s5
	s_mov_b32 s5, s7
	s_cbranch_vccnz .LBB3_22
; %bb.18:
	v_lshlrev_b32_e32 v4, 2, v0
	s_cmp_le_i32 s15, s7
	s_delay_alu instid0(VALU_DEP_1)
	v_lshl_or_b32 v2, s7, 4, v4
	ds_load_b32 v1, v2 offset:64
	s_cbranch_scc1 .LBB3_21
; %bb.19:
	v_lshl_or_b32 v4, s12, 4, v4
	s_lshl_b32 s5, s7, 4
	s_lshl_b32 s8, s12, 2
	s_delay_alu instid0(SALU_CYCLE_1) | instskip(NEXT) | instid1(VALU_DEP_1)
	s_add_i32 s5, s5, s8
	v_add_nc_u32_e32 v4, 48, v4
	s_add_i32 s5, s5, -4
	s_mov_b32 s8, s15
.LBB3_20:                               ; =>This Inner Loop Header: Depth=1
	v_mov_b32_e32 v5, s5
	s_add_i32 s8, s8, -1
	s_add_i32 s5, s5, -4
	s_cmp_gt_i32 s8, s7
	ds_load_b32 v6, v4
	ds_load_b32 v5, v5
	v_add_nc_u32_e32 v4, -16, v4
	s_waitcnt lgkmcnt(0)
	v_fma_f32 v1, -v6, v5, v1
	s_cbranch_scc1 .LBB3_20
.LBB3_21:
	s_mul_i32 s5, s7, 20
	s_delay_alu instid0(SALU_CYCLE_1)
	v_mov_b32_e32 v4, s5
	s_add_i32 s5, s7, -1
	ds_load_b32 v4, v4
	s_waitcnt lgkmcnt(0)
	v_dual_mul_f32 v1, v1, v4 :: v_dual_add_nc_u32 v2, 64, v2
	ds_store_b32 v2, v1
.LBB3_22:
	s_cmp_eq_u32 s7, 0
	s_cbranch_scc1 .LBB3_29
; %bb.23:
	v_lshlrev_b32_e32 v1, 2, v0
	s_lshl_b32 s7, s5, 4
	s_lshl_b32 s8, s12, 2
	s_delay_alu instid0(SALU_CYCLE_1) | instskip(NEXT) | instid1(VALU_DEP_1)
	s_add_i32 s8, s7, s8
	v_lshl_or_b32 v2, s12, 4, v1
	s_add_i32 s7, s8, -4
	s_sub_i32 s8, s8, 20
	s_delay_alu instid0(VALU_DEP_1)
	v_add_nc_u32_e32 v2, 48, v2
	s_branch .LBB3_25
.LBB3_24:                               ;   in Loop: Header=BB3_25 Depth=1
	s_sub_i32 s9, s9, 20
	v_add_nc_u32_e32 v4, 64, v6
	v_mov_b32_e32 v6, s9
	s_add_i32 s9, s5, -2
	s_sub_i32 s7, s7, 32
	s_sub_i32 s8, s8, 32
	s_cmp_lt_i32 s5, 2
	ds_load_b32 v6, v6
	s_mov_b32 s5, s9
	s_waitcnt lgkmcnt(0)
	v_mul_f32_e32 v5, v5, v6
	ds_store_b32 v4, v5
	s_cbranch_scc1 .LBB3_29
.LBB3_25:                               ; =>This Loop Header: Depth=1
                                        ;     Child Loop BB3_26 Depth 2
                                        ;     Child Loop BB3_28 Depth 2
	v_lshl_or_b32 v5, s5, 4, v1
	s_delay_alu instid0(VALU_DEP_2)
	v_mov_b32_e32 v6, v2
	s_cmp_le_i32 s15, s5
	s_mov_b32 s9, s7
	s_mov_b32 s10, s15
	ds_load_b32 v4, v5 offset:64
	s_cbranch_scc1 .LBB3_27
.LBB3_26:                               ;   Parent Loop BB3_25 Depth=1
                                        ; =>  This Inner Loop Header: Depth=2
	v_mov_b32_e32 v7, s9
	s_add_i32 s10, s10, -1
	s_add_i32 s9, s9, -4
	s_cmp_gt_i32 s10, s5
	ds_load_b32 v8, v6
	ds_load_b32 v7, v7
	v_add_nc_u32_e32 v6, -16, v6
	s_waitcnt lgkmcnt(0)
	v_fma_f32 v4, -v8, v7, v4
	s_cbranch_scc1 .LBB3_26
.LBB3_27:                               ;   in Loop: Header=BB3_25 Depth=1
	s_mul_i32 s9, s5, 20
	v_add_nc_u32_e32 v7, 64, v5
	v_mov_b32_e32 v5, s9
	s_lshl_b32 s10, s5, 4
	s_mov_b32 s11, s12
	s_add_i32 s10, s10, -16
	s_cmp_lt_i32 s15, s5
	ds_load_b32 v8, v5
	v_lshl_or_b32 v6, v0, 2, s10
	s_mov_b32 s10, s8
	ds_load_b32 v5, v6 offset:64
	s_waitcnt lgkmcnt(1)
	v_mul_f32_e32 v8, v4, v8
	v_mov_b32_e32 v4, v2
	ds_store_b32 v7, v8
	s_cbranch_scc1 .LBB3_24
.LBB3_28:                               ;   Parent Loop BB3_25 Depth=1
                                        ; =>  This Inner Loop Header: Depth=2
	v_mov_b32_e32 v7, s10
	s_add_i32 s11, s11, -1
	s_add_i32 s10, s10, -4
	s_cmp_gt_i32 s11, s5
	ds_load_b32 v8, v4
	ds_load_b32 v7, v7
	v_add_nc_u32_e32 v4, -16, v4
	s_waitcnt lgkmcnt(0)
	v_fma_f32 v5, -v8, v7, v5
	s_cbranch_scc1 .LBB3_28
	s_branch .LBB3_24
.LBB3_29:
	s_and_b32 vcc_lo, exec_lo, s4
	s_cbranch_vccz .LBB3_38
; %bb.30:
	s_cmp_gt_i32 s6, 3
	s_cbranch_scc0 .LBB3_32
; %bb.31:
	v_dual_mov_b32 v15, 0 :: v_dual_lshlrev_b32 v14, 2, v0
	s_mov_b32 s4, 4
	ds_load_2addr_b32 v[1:2], v14 offset0:16 offset1:20
	ds_load_b128 v[4:7], v15
	ds_load_2addr_b32 v[8:9], v14 offset0:24 offset1:28
	ds_load_2addr_b32 v[10:11], v15 offset0:5 offset1:6
	s_waitcnt lgkmcnt(2)
	v_mul_f32_e32 v1, v1, v4
	ds_load_b64 v[12:13], v15 offset:40
	ds_load_b32 v4, v15 offset:28
	v_fma_f32 v2, -v1, v5, v2
	s_waitcnt lgkmcnt(2)
	s_delay_alu instid0(VALU_DEP_1)
	v_mul_f32_e32 v2, v2, v10
	v_fma_f32 v5, -v1, v6, v8
	ds_load_b32 v6, v15 offset:60
	v_fma_f32 v7, -v1, v7, v9
	ds_store_2addr_b32 v14, v1, v2 offset0:16 offset1:20
	v_fma_f32 v5, -v2, v11, v5
	s_waitcnt lgkmcnt(3)
	s_delay_alu instid0(VALU_DEP_1) | instskip(SKIP_2) | instid1(VALU_DEP_1)
	v_mul_f32_e32 v5, v5, v12
	s_waitcnt lgkmcnt(2)
	v_fma_f32 v4, -v2, v4, v7
	v_fma_f32 v4, -v5, v13, v4
	s_waitcnt lgkmcnt(1)
	s_delay_alu instid0(VALU_DEP_1)
	v_mul_f32_e32 v4, v4, v6
	ds_store_2addr_b32 v14, v5, v4 offset0:24 offset1:28
	s_cmp_ge_i32 s4, s12
	s_cbranch_scc0 .LBB3_33
	s_branch .LBB3_38
.LBB3_32:
	s_mov_b32 s4, 0
	s_delay_alu instid0(SALU_CYCLE_1)
	s_cmp_ge_i32 s4, s12
	s_cbranch_scc1 .LBB3_38
.LBB3_33:
	v_lshl_or_b32 v1, v0, 2, 64
	v_lshlrev_b32_e32 v2, 2, v0
	s_lshl_b32 s5, s4, 2
	s_set_inst_prefetch_distance 0x1
	s_branch .LBB3_35
	.p2align	6
.LBB3_34:                               ;   in Loop: Header=BB3_35 Depth=1
	s_mul_i32 s6, s4, 20
	s_delay_alu instid0(SALU_CYCLE_1)
	v_dual_mov_b32 v6, s6 :: v_dual_add_nc_u32 v5, 64, v5
	s_add_i32 s4, s4, 1
	s_add_i32 s5, s5, 4
	s_cmp_ge_i32 s4, s12
	ds_load_b32 v6, v6
	s_waitcnt lgkmcnt(0)
	v_mul_f32_e32 v4, v4, v6
	ds_store_b32 v5, v4
	s_cbranch_scc1 .LBB3_38
.LBB3_35:                               ; =>This Loop Header: Depth=1
                                        ;     Child Loop BB3_37 Depth 2
	s_delay_alu instid0(VALU_DEP_1)
	v_lshl_or_b32 v5, s4, 4, v2
	s_cmp_eq_u32 s4, 0
	ds_load_b32 v4, v5 offset:64
	s_cbranch_scc1 .LBB3_34
; %bb.36:                               ;   in Loop: Header=BB3_35 Depth=1
	v_mov_b32_e32 v6, v1
	s_mov_b32 s6, 0
	s_mov_b32 s7, s5
.LBB3_37:                               ;   Parent Loop BB3_35 Depth=1
                                        ; =>  This Inner Loop Header: Depth=2
	s_delay_alu instid0(SALU_CYCLE_1)
	v_mov_b32_e32 v7, s7
	s_add_i32 s6, s6, 1
	s_add_i32 s7, s7, 16
	s_cmp_lt_u32 s6, s4
	ds_load_b32 v8, v6
	ds_load_b32 v7, v7
	v_add_nc_u32_e32 v6, 16, v6
	s_waitcnt lgkmcnt(0)
	v_fma_f32 v4, -v8, v7, v4
	s_cbranch_scc1 .LBB3_37
	s_branch .LBB3_34
.LBB3_38:
	s_set_inst_prefetch_distance 0x2
	s_waitcnt vmcnt(0) lgkmcnt(0)
	s_waitcnt_vscnt null, 0x0
	; wave barrier
	s_waitcnt lgkmcnt(0)
	buffer_gl0_inv
	s_and_saveexec_b32 s4, s3
	s_cbranch_execz .LBB3_41
; %bb.39:
	v_mad_i64_i32 v[1:2], null, s0, v0, 0
	s_delay_alu instid0(VALU_DEP_1) | instskip(NEXT) | instid1(VALU_DEP_1)
	v_lshlrev_b64 v[0:1], 2, v[1:2]
	v_add_co_u32 v0, vcc_lo, s1, v0
	s_delay_alu instid0(VALU_DEP_2)
	v_add_co_ci_u32_e32 v1, vcc_lo, s2, v1, vcc_lo
.LBB3_40:                               ; =>This Inner Loop Header: Depth=1
	ds_load_b32 v2, v3
	v_add_nc_u32_e32 v3, 16, v3
	s_add_i32 s12, s12, -1
	s_delay_alu instid0(SALU_CYCLE_1)
	s_cmp_lg_u32 s12, 0
	s_waitcnt lgkmcnt(0)
	global_store_b32 v[0:1], v2, off
	v_add_co_u32 v0, vcc_lo, v0, 4
	v_add_co_ci_u32_e32 v1, vcc_lo, 0, v1, vcc_lo
	s_cbranch_scc1 .LBB3_40
.LBB3_41:
	s_nop 0
	s_sendmsg sendmsg(MSG_DEALLOC_VGPRS)
	s_endpgm
	.section	.rodata,"a",@progbits
	.p2align	6, 0x0
	.amdhsa_kernel _ZL38rocblas_trsm_small_left_device_sharedBILi4ELi4ELb1EffPKPKfPKPfEv13rocblas_fill_18rocblas_operation_17rocblas_diagonal_iiT3_T4_lilT5_lili
		.amdhsa_group_segment_fixed_size 128
		.amdhsa_private_segment_fixed_size 0
		.amdhsa_kernarg_size 352
		.amdhsa_user_sgpr_count 14
		.amdhsa_user_sgpr_dispatch_ptr 0
		.amdhsa_user_sgpr_queue_ptr 0
		.amdhsa_user_sgpr_kernarg_segment_ptr 1
		.amdhsa_user_sgpr_dispatch_id 0
		.amdhsa_user_sgpr_private_segment_size 0
		.amdhsa_wavefront_size32 1
		.amdhsa_uses_dynamic_stack 0
		.amdhsa_enable_private_segment 0
		.amdhsa_system_sgpr_workgroup_id_x 1
		.amdhsa_system_sgpr_workgroup_id_y 0
		.amdhsa_system_sgpr_workgroup_id_z 1
		.amdhsa_system_sgpr_workgroup_info 0
		.amdhsa_system_vgpr_workitem_id 0
		.amdhsa_next_free_vgpr 19
		.amdhsa_next_free_sgpr 31
		.amdhsa_reserve_vcc 1
		.amdhsa_float_round_mode_32 0
		.amdhsa_float_round_mode_16_64 0
		.amdhsa_float_denorm_mode_32 3
		.amdhsa_float_denorm_mode_16_64 3
		.amdhsa_dx10_clamp 1
		.amdhsa_ieee_mode 1
		.amdhsa_fp16_overflow 0
		.amdhsa_workgroup_processor_mode 1
		.amdhsa_memory_ordered 1
		.amdhsa_forward_progress 0
		.amdhsa_shared_vgpr_count 0
		.amdhsa_exception_fp_ieee_invalid_op 0
		.amdhsa_exception_fp_denorm_src 0
		.amdhsa_exception_fp_ieee_div_zero 0
		.amdhsa_exception_fp_ieee_overflow 0
		.amdhsa_exception_fp_ieee_underflow 0
		.amdhsa_exception_fp_ieee_inexact 0
		.amdhsa_exception_int_div_zero 0
	.end_amdhsa_kernel
	.section	.text._ZL38rocblas_trsm_small_left_device_sharedBILi4ELi4ELb1EffPKPKfPKPfEv13rocblas_fill_18rocblas_operation_17rocblas_diagonal_iiT3_T4_lilT5_lili,"axG",@progbits,_ZL38rocblas_trsm_small_left_device_sharedBILi4ELi4ELb1EffPKPKfPKPfEv13rocblas_fill_18rocblas_operation_17rocblas_diagonal_iiT3_T4_lilT5_lili,comdat
.Lfunc_end3:
	.size	_ZL38rocblas_trsm_small_left_device_sharedBILi4ELi4ELb1EffPKPKfPKPfEv13rocblas_fill_18rocblas_operation_17rocblas_diagonal_iiT3_T4_lilT5_lili, .Lfunc_end3-_ZL38rocblas_trsm_small_left_device_sharedBILi4ELi4ELb1EffPKPKfPKPfEv13rocblas_fill_18rocblas_operation_17rocblas_diagonal_iiT3_T4_lilT5_lili
                                        ; -- End function
	.section	.AMDGPU.csdata,"",@progbits
; Kernel info:
; codeLenInByte = 2324
; NumSgprs: 33
; NumVgprs: 19
; ScratchSize: 0
; MemoryBound: 0
; FloatMode: 240
; IeeeMode: 1
; LDSByteSize: 128 bytes/workgroup (compile time only)
; SGPRBlocks: 4
; VGPRBlocks: 2
; NumSGPRsForWavesPerEU: 33
; NumVGPRsForWavesPerEU: 19
; Occupancy: 16
; WaveLimiterHint : 0
; COMPUTE_PGM_RSRC2:SCRATCH_EN: 0
; COMPUTE_PGM_RSRC2:USER_SGPR: 14
; COMPUTE_PGM_RSRC2:TRAP_HANDLER: 0
; COMPUTE_PGM_RSRC2:TGID_X_EN: 1
; COMPUTE_PGM_RSRC2:TGID_Y_EN: 0
; COMPUTE_PGM_RSRC2:TGID_Z_EN: 1
; COMPUTE_PGM_RSRC2:TIDIG_COMP_CNT: 0
	.section	.text._ZL30rocblas_trsm_small_left_deviceILi4ELi4ELb1EffPKPKfPKPfEv13rocblas_fill_18rocblas_operation_17rocblas_diagonal_iiT3_T4_lilT5_lili,"axG",@progbits,_ZL30rocblas_trsm_small_left_deviceILi4ELi4ELb1EffPKPKfPKPfEv13rocblas_fill_18rocblas_operation_17rocblas_diagonal_iiT3_T4_lilT5_lili,comdat
	.globl	_ZL30rocblas_trsm_small_left_deviceILi4ELi4ELb1EffPKPKfPKPfEv13rocblas_fill_18rocblas_operation_17rocblas_diagonal_iiT3_T4_lilT5_lili ; -- Begin function _ZL30rocblas_trsm_small_left_deviceILi4ELi4ELb1EffPKPKfPKPfEv13rocblas_fill_18rocblas_operation_17rocblas_diagonal_iiT3_T4_lilT5_lili
	.p2align	8
	.type	_ZL30rocblas_trsm_small_left_deviceILi4ELi4ELb1EffPKPKfPKPfEv13rocblas_fill_18rocblas_operation_17rocblas_diagonal_iiT3_T4_lilT5_lili,@function
_ZL30rocblas_trsm_small_left_deviceILi4ELi4ELb1EffPKPKfPKPfEv13rocblas_fill_18rocblas_operation_17rocblas_diagonal_iiT3_T4_lilT5_lili: ; @_ZL30rocblas_trsm_small_left_deviceILi4ELi4ELb1EffPKPKfPKPfEv13rocblas_fill_18rocblas_operation_17rocblas_diagonal_iiT3_T4_lilT5_lili
; %bb.0:
	s_clause 0x1
	s_load_b128 s[8:11], s[0:1], 0x38
	s_load_b128 s[4:7], s[0:1], 0x4
	s_mov_b32 s2, s15
	s_mov_b32 s3, 0
	s_delay_alu instid0(SALU_CYCLE_1)
	s_lshl_b64 s[22:23], s[2:3], 3
	s_waitcnt lgkmcnt(0)
	s_add_u32 s8, s8, s22
	s_addc_u32 s9, s9, s23
	s_load_b32 s15, s[0:1], 0x14
	s_load_b64 s[12:13], s[8:9], 0x0
	s_min_i32 s2, s6, 4
	s_mov_b32 s9, exec_lo
	s_add_i32 s8, s2, -1
	v_cmpx_gt_i32_e64 s2, v0
	s_cbranch_execz .LBB4_10
; %bb.1:
	s_clause 0x1
	s_load_b32 s20, s[0:1], 0x28
	s_load_b128 s[16:19], s[0:1], 0x18
	v_lshlrev_b32_e32 v3, 2, v0
	s_waitcnt lgkmcnt(0)
	s_ashr_i32 s21, s20, 31
	s_add_u32 s16, s16, s22
	s_addc_u32 s17, s17, s23
	s_cmp_lt_u32 s8, 3
	s_load_b64 s[16:17], s[16:17], 0x0
	s_cbranch_scc1 .LBB4_4
; %bb.2:
	s_lshl_b64 s[22:23], s[18:19], 2
	v_mov_b32_e32 v4, v3
	s_waitcnt lgkmcnt(0)
	s_add_u32 s3, s16, s22
	s_addc_u32 s22, s17, s23
	v_add_co_u32 v1, s3, s3, v3
	s_delay_alu instid0(VALU_DEP_1)
	v_add_co_ci_u32_e64 v2, null, s22, 0, s3
	s_and_b32 s3, s2, -4
	s_mul_hi_i32 s28, s20, 12
	s_mul_i32 s29, s20, 12
	s_lshl_b64 s[22:23], s[20:21], 4
	s_lshl_b64 s[24:25], s[20:21], 3
	;; [unrolled: 1-line block ×3, first 2 shown]
	s_mov_b32 s30, 0
	.p2align	6
.LBB4_3:                                ; =>This Inner Loop Header: Depth=1
	v_add_co_u32 v5, vcc_lo, v1, s26
	v_add_co_ci_u32_e32 v6, vcc_lo, s27, v2, vcc_lo
	v_add_co_u32 v7, vcc_lo, v1, s24
	v_add_co_ci_u32_e32 v8, vcc_lo, s25, v2, vcc_lo
	;; [unrolled: 2-line block ×3, first 2 shown]
	s_clause 0x3
	global_load_b32 v11, v[1:2], off
	global_load_b32 v5, v[5:6], off
	;; [unrolled: 1-line block ×4, first 2 shown]
	v_add_co_u32 v1, vcc_lo, v1, s22
	v_add_co_ci_u32_e32 v2, vcc_lo, s23, v2, vcc_lo
	s_add_i32 s30, s30, 4
	s_waitcnt vmcnt(2)
	ds_store_2addr_b32 v4, v11, v5 offset1:4
	s_waitcnt vmcnt(0)
	ds_store_2addr_b32 v4, v6, v7 offset0:8 offset1:12
	v_add_nc_u32_e32 v4, 64, v4
	s_cmp_eq_u32 s3, s30
	s_cbranch_scc0 .LBB4_3
.LBB4_4:
	s_and_b32 s22, s2, 3
	s_delay_alu instid0(SALU_CYCLE_1)
	s_cmp_eq_u32 s22, 0
	s_cbranch_scc1 .LBB4_7
; %bb.5:
	s_mul_i32 s23, s21, s3
	s_mul_hi_u32 s25, s20, s3
	s_mul_i32 s24, s20, s3
	s_add_i32 s25, s25, s23
	s_lshl_b64 s[18:19], s[18:19], 2
	s_lshl_b64 s[24:25], s[24:25], 2
	v_lshl_or_b32 v4, s3, 4, v3
	s_add_u32 s3, s24, s18
	s_addc_u32 s18, s25, s19
	s_waitcnt lgkmcnt(0)
	s_add_u32 s3, s16, s3
	s_addc_u32 s16, s17, s18
	v_add_co_u32 v1, s3, s3, v3
	s_delay_alu instid0(VALU_DEP_1)
	v_add_co_ci_u32_e64 v2, null, s16, 0, s3
	s_lshl_b64 s[16:17], s[20:21], 2
.LBB4_6:                                ; =>This Inner Loop Header: Depth=1
	global_load_b32 v3, v[1:2], off
	v_add_co_u32 v1, vcc_lo, v1, s16
	v_add_co_ci_u32_e32 v2, vcc_lo, s17, v2, vcc_lo
	s_add_i32 s22, s22, -1
	s_delay_alu instid0(SALU_CYCLE_1)
	s_cmp_lg_u32 s22, 0
	s_waitcnt vmcnt(0)
	ds_store_b32 v4, v3
	v_add_nc_u32_e32 v4, 16, v4
	s_cbranch_scc1 .LBB4_6
.LBB4_7:
	v_mul_u32_u24_e32 v1, 5, v0
	s_cmpk_lg_i32 s5, 0x84
	s_delay_alu instid0(VALU_DEP_1)
	v_dual_mov_b32 v2, 1.0 :: v_dual_lshlrev_b32 v1, 2, v1
	s_cbranch_scc0 .LBB4_9
; %bb.8:
	ds_load_b32 v2, v1
	s_waitcnt lgkmcnt(0)
	v_div_scale_f32 v3, null, v2, v2, 1.0
	s_delay_alu instid0(VALU_DEP_1) | instskip(SKIP_2) | instid1(VALU_DEP_1)
	v_rcp_f32_e32 v4, v3
	s_waitcnt_depctr 0xfff
	v_fma_f32 v5, -v3, v4, 1.0
	v_fmac_f32_e32 v4, v5, v4
	v_div_scale_f32 v5, vcc_lo, 1.0, v2, 1.0
	s_delay_alu instid0(VALU_DEP_1) | instskip(NEXT) | instid1(VALU_DEP_1)
	v_mul_f32_e32 v6, v5, v4
	v_fma_f32 v7, -v3, v6, v5
	s_delay_alu instid0(VALU_DEP_1) | instskip(NEXT) | instid1(VALU_DEP_1)
	v_fmac_f32_e32 v6, v7, v4
	v_fma_f32 v3, -v3, v6, v5
	s_delay_alu instid0(VALU_DEP_1) | instskip(NEXT) | instid1(VALU_DEP_1)
	v_div_fmas_f32 v3, v3, v4, v6
	v_div_fixup_f32 v2, v3, v2, 1.0
.LBB4_9:
	ds_store_b32 v1, v2
.LBB4_10:
	s_or_b32 exec_lo, exec_lo, s9
	s_load_b32 s3, s[0:1], 0x60
	s_lshl_b32 s5, s14, 2
	s_waitcnt lgkmcnt(0)
	s_sub_i32 s7, s7, s5
	; wave barrier
	buffer_gl0_inv
	s_add_i32 s3, s3, -1
	s_delay_alu instid0(SALU_CYCLE_1) | instskip(SKIP_1) | instid1(SALU_CYCLE_1)
	s_cmp_ge_u32 s14, s3
	s_cselect_b32 s3, s7, 4
	v_cmp_gt_i32_e32 vcc_lo, s3, v0
	s_mov_b32 s3, -1
	s_and_saveexec_b32 s7, vcc_lo
	s_cbranch_execz .LBB4_40
; %bb.11:
	s_load_b32 s0, s[0:1], 0x48
	v_add_nc_u32_e32 v2, s5, v0
	s_lshl_b64 s[10:11], s[10:11], 2
	s_waitcnt lgkmcnt(0)
	s_delay_alu instid0(VALU_DEP_1) | instskip(SKIP_3) | instid1(VALU_DEP_1)
	v_mad_i64_i32 v[0:1], null, s0, v2, 0
	s_add_u32 s0, s12, s10
	s_addc_u32 s1, s13, s11
	s_cmpk_eq_i32 s4, 0x6f
	v_lshlrev_b64 v[2:3], 2, v[0:1]
	s_delay_alu instid0(VALU_DEP_1) | instskip(NEXT) | instid1(VALU_DEP_2)
	v_add_co_u32 v0, vcc_lo, s0, v2
	v_add_co_ci_u32_e32 v1, vcc_lo, s1, v3, vcc_lo
	s_cbranch_scc1 .LBB4_31
; %bb.12:
	s_cmp_gt_i32 s6, 3
	s_cbranch_scc0 .LBB4_14
; %bb.13:
	s_ashr_i32 s9, s8, 31
	s_mov_b32 s3, 0
	s_lshl_b64 s[0:1], s[8:9], 2
	s_add_i32 s4, s2, -5
	v_add_co_u32 v7, vcc_lo, v0, s0
	v_add_co_ci_u32_e32 v8, vcc_lo, s1, v1, vcc_lo
	s_lshl_b64 s[0:1], s[2:3], 2
	s_delay_alu instid0(SALU_CYCLE_1)
	v_add_co_u32 v4, vcc_lo, v0, s0
	global_load_b32 v11, v[7:8], off
	v_add_co_ci_u32_e32 v5, vcc_lo, s1, v1, vcc_lo
	s_lshl_b32 s1, s2, 2
	s_mul_i32 s0, s8, 20
	s_add_i32 s1, s1, s8
	global_load_b96 v[4:6], v[4:5], off offset:-16
	s_sub_i32 s3, s0, 20
	s_delay_alu instid0(SALU_CYCLE_1) | instskip(SKIP_1) | instid1(SALU_CYCLE_1)
	v_dual_mov_b32 v9, s0 :: v_dual_mov_b32 v10, s3
	s_lshl_b32 s1, s1, 2
	s_sub_i32 s3, s1, 48
	ds_load_b32 v15, v9
	v_mov_b32_e32 v12, s3
	s_addk_i32 s1, 0xffbc
	s_ashr_i32 s3, s2, 31
	ds_load_b32 v16, v12
	ds_load_2addr_b32 v[9:10], v10 offset1:1
	v_mov_b32_e32 v12, s1
	s_sub_i32 s1, s0, 40
	s_sub_i32 s0, s0, 60
	v_mov_b32_e32 v13, s1
	s_waitcnt vmcnt(1)
	v_mul_f32_e32 v17, s15, v11
	ds_load_2addr_b32 v[11:12], v12 offset1:1
	ds_load_2addr_b32 v[13:14], v13 offset1:1
	s_waitcnt lgkmcnt(4)
	v_mul_f32_e32 v17, v17, v15
	v_mov_b32_e32 v15, s0
	s_lshl_b64 s[0:1], s[2:3], 2
	s_waitcnt lgkmcnt(2)
	s_delay_alu instid0(VALU_DEP_2) | instskip(SKIP_1) | instid1(VALU_DEP_1)
	v_mul_f32_e32 v10, v17, v10
	s_waitcnt vmcnt(0)
	v_fma_f32 v6, v6, s15, -v10
	s_delay_alu instid0(VALU_DEP_1)
	v_mul_f32_e32 v6, v6, v9
	v_mul_f32_e32 v18, v17, v16
	ds_load_2addr_b32 v[15:16], v15 offset1:1
	s_waitcnt lgkmcnt(2)
	v_mul_f32_e32 v9, v17, v12
	global_store_b32 v[7:8], v17, off
	v_fma_f32 v5, v5, s15, -v18
	v_fma_f32 v4, v4, s15, -v9
	v_add_co_u32 v9, vcc_lo, v0, s0
	s_waitcnt lgkmcnt(1)
	s_delay_alu instid0(VALU_DEP_3) | instskip(SKIP_2) | instid1(VALU_DEP_3)
	v_fma_f32 v5, -v6, v14, v5
	v_add_co_ci_u32_e32 v10, vcc_lo, s1, v1, vcc_lo
	v_fma_f32 v4, -v6, v11, v4
	v_mul_f32_e32 v5, v5, v13
	s_waitcnt lgkmcnt(0)
	s_delay_alu instid0(VALU_DEP_1) | instskip(NEXT) | instid1(VALU_DEP_1)
	v_fma_f32 v4, -v5, v16, v4
	v_mul_f32_e32 v4, v4, v15
	global_store_b96 v[9:10], v[4:6], off offset:-16
	s_cmp_lt_i32 s4, 0
	s_mov_b32 s3, 0
	s_cbranch_scc0 .LBB4_15
	s_branch .LBB4_31
.LBB4_14:
	s_mov_b32 s4, s8
	s_delay_alu instid0(SALU_CYCLE_1)
	s_cmp_lt_i32 s4, 0
	s_mov_b32 s3, 0
	s_cbranch_scc1 .LBB4_31
.LBB4_15:
	s_add_i32 s0, s4, 1
	s_mov_b32 s1, 0
	s_and_b32 s5, s0, 3
	s_mov_b32 s0, s4
	s_cmp_eq_u32 s5, 0
	s_cbranch_scc1 .LBB4_20
; %bb.16:
	s_lshl_b32 s0, s4, 4
	s_lshl_b32 s7, s2, 2
	s_ashr_i32 s9, s8, 31
	s_add_i32 s0, s0, s7
	s_lshl_b64 s[16:17], s[8:9], 2
	s_add_i32 s7, s0, -4
	s_add_u32 s0, s12, s16
	s_addc_u32 s9, s13, s17
	s_add_u32 s0, s0, s10
	s_addc_u32 s9, s9, s11
	v_add_co_u32 v4, vcc_lo, s0, v2
	v_add_co_ci_u32_e32 v5, vcc_lo, s9, v3, vcc_lo
	s_mov_b32 s0, s4
	s_mov_b32 s9, s1
	s_set_inst_prefetch_distance 0x1
	s_branch .LBB4_18
	.p2align	6
.LBB4_17:                               ;   in Loop: Header=BB4_18 Depth=1
	s_mul_i32 s14, s0, 20
	s_ashr_i32 s17, s0, 31
	v_mov_b32_e32 v6, s14
	s_mov_b32 s16, s0
	s_add_i32 s9, s9, 1
	s_lshl_b64 s[16:17], s[16:17], 2
	s_add_i32 s0, s0, -1
	ds_load_b32 v9, v6
	v_add_co_u32 v6, vcc_lo, v0, s16
	v_add_co_ci_u32_e32 v7, vcc_lo, s17, v1, vcc_lo
	s_add_i32 s7, s7, -16
	s_cmp_lg_u32 s9, s5
	s_waitcnt lgkmcnt(0)
	v_mul_f32_e32 v8, v8, v9
	global_store_b32 v[6:7], v8, off
	s_cbranch_scc0 .LBB4_20
.LBB4_18:                               ; =>This Loop Header: Depth=1
                                        ;     Child Loop BB4_19 Depth 2
	s_lshl_b64 s[16:17], s[0:1], 2
	s_cmp_le_i32 s8, s0
	v_add_co_u32 v6, vcc_lo, v0, s16
	v_add_co_ci_u32_e32 v7, vcc_lo, s17, v1, vcc_lo
	s_mov_b32 s14, s7
	s_mov_b32 s16, s8
	global_load_b32 v6, v[6:7], off
	s_waitcnt vmcnt(0)
	v_dual_mul_f32 v8, s15, v6 :: v_dual_mov_b32 v7, v5
	v_mov_b32_e32 v6, v4
	s_cbranch_scc1 .LBB4_17
.LBB4_19:                               ;   Parent Loop BB4_18 Depth=1
                                        ; =>  This Inner Loop Header: Depth=2
	global_load_b32 v9, v[6:7], off
	v_mov_b32_e32 v10, s14
	v_add_co_u32 v6, vcc_lo, v6, -4
	v_add_co_ci_u32_e32 v7, vcc_lo, -1, v7, vcc_lo
	ds_load_b32 v10, v10
	s_add_i32 s16, s16, -1
	s_add_i32 s14, s14, -4
	s_cmp_gt_i32 s16, s0
	s_waitcnt vmcnt(0) lgkmcnt(0)
	v_fma_f32 v8, -v9, v10, v8
	s_cbranch_scc1 .LBB4_19
	s_branch .LBB4_17
.LBB4_20:
	s_set_inst_prefetch_distance 0x2
	s_cmp_lt_u32 s4, 3
	s_cbranch_scc1 .LBB4_31
; %bb.21:
	s_lshl_b32 s1, s0, 4
	s_lshl_b32 s4, s2, 2
	s_ashr_i32 s9, s8, 31
	s_add_i32 s1, s1, s4
	s_lshl_b64 s[4:5], s[8:9], 2
	s_add_i32 s7, s1, -4
	s_add_u32 s4, s12, s4
	s_addc_u32 s5, s13, s5
	s_add_u32 s4, s4, s10
	s_addc_u32 s5, s5, s11
	v_add_co_u32 v2, vcc_lo, s4, v2
	v_add_co_ci_u32_e32 v3, vcc_lo, s5, v3, vcc_lo
	s_sub_i32 s9, s1, 20
	s_sub_i32 s10, s1, 36
	;; [unrolled: 1-line block ×3, first 2 shown]
	s_mov_b32 s1, 0
	s_branch .LBB4_23
.LBB4_22:                               ;   in Loop: Header=BB4_23 Depth=1
	s_sub_i32 s4, s5, 20
	s_sub_i32 s7, s7, 64
	v_mov_b32_e32 v6, s4
	s_add_i32 s4, s0, -4
	s_sub_i32 s9, s9, 64
	s_sub_i32 s10, s10, 64
	;; [unrolled: 1-line block ×3, first 2 shown]
	ds_load_b32 v6, v6
	s_cmp_lt_i32 s0, 4
	s_mov_b32 s0, s4
	s_waitcnt lgkmcnt(0)
	v_mul_f32_e32 v6, v8, v6
	global_store_b32 v[4:5], v6, off offset:-12
	s_cbranch_scc1 .LBB4_31
.LBB4_23:                               ; =>This Loop Header: Depth=1
                                        ;     Child Loop BB4_24 Depth 2
                                        ;     Child Loop BB4_26 Depth 2
	;; [unrolled: 1-line block ×4, first 2 shown]
	s_lshl_b64 s[4:5], s[0:1], 2
	s_cmp_le_i32 s8, s0
	v_add_co_u32 v4, vcc_lo, v0, s4
	v_add_co_ci_u32_e32 v5, vcc_lo, s5, v1, vcc_lo
	s_mov_b32 s4, s7
	s_mov_b32 s5, s8
	global_load_b32 v4, v[4:5], off
	s_waitcnt vmcnt(0)
	v_dual_mul_f32 v6, s15, v4 :: v_dual_mov_b32 v5, v3
	v_mov_b32_e32 v4, v2
	s_cbranch_scc1 .LBB4_25
.LBB4_24:                               ;   Parent Loop BB4_23 Depth=1
                                        ; =>  This Inner Loop Header: Depth=2
	global_load_b32 v7, v[4:5], off
	v_mov_b32_e32 v8, s4
	v_add_co_u32 v4, vcc_lo, v4, -4
	v_add_co_ci_u32_e32 v5, vcc_lo, -1, v5, vcc_lo
	ds_load_b32 v8, v8
	s_add_i32 s5, s5, -1
	s_add_i32 s4, s4, -4
	s_cmp_gt_i32 s5, s0
	s_waitcnt vmcnt(0) lgkmcnt(0)
	v_fma_f32 v6, -v7, v8, v6
	s_cbranch_scc1 .LBB4_24
.LBB4_25:                               ;   in Loop: Header=BB4_23 Depth=1
	s_add_i32 s4, s0, -1
	s_mov_b32 s5, s1
	s_mul_i32 s12, s0, 20
	s_lshl_b64 s[4:5], s[4:5], 2
	s_delay_alu instid0(SALU_CYCLE_1)
	v_add_co_u32 v4, vcc_lo, v0, s4
	v_add_co_ci_u32_e32 v5, vcc_lo, s5, v1, vcc_lo
	s_ashr_i32 s5, s0, 31
	s_mov_b32 s4, s0
	global_load_b32 v7, v[4:5], off
	v_mov_b32_e32 v4, s12
	s_lshl_b64 s[4:5], s[4:5], 2
	s_cmp_lt_i32 s8, s0
	ds_load_b32 v8, v4
	v_add_co_u32 v4, vcc_lo, v0, s4
	v_add_co_ci_u32_e32 v5, vcc_lo, s5, v1, vcc_lo
	s_mov_b32 s4, s9
	s_mov_b32 s5, s2
	s_waitcnt lgkmcnt(0)
	v_mul_f32_e32 v9, v6, v8
	global_store_b32 v[4:5], v9, off
	s_waitcnt vmcnt(0)
	v_dual_mul_f32 v8, s15, v7 :: v_dual_mov_b32 v7, v3
	v_mov_b32_e32 v6, v2
	s_cbranch_scc1 .LBB4_27
.LBB4_26:                               ;   Parent Loop BB4_23 Depth=1
                                        ; =>  This Inner Loop Header: Depth=2
	global_load_b32 v9, v[6:7], off
	v_mov_b32_e32 v10, s4
	v_add_co_u32 v6, vcc_lo, v6, -4
	v_add_co_ci_u32_e32 v7, vcc_lo, -1, v7, vcc_lo
	ds_load_b32 v10, v10
	s_add_i32 s5, s5, -1
	s_add_i32 s4, s4, -4
	s_cmp_gt_i32 s5, s0
	s_waitcnt vmcnt(0) lgkmcnt(0)
	v_fma_f32 v8, -v9, v10, v8
	s_cbranch_scc1 .LBB4_26
.LBB4_27:                               ;   in Loop: Header=BB4_23 Depth=1
	s_add_i32 s4, s0, -2
	s_mov_b32 s5, s1
	s_sub_i32 s12, s12, 20
	s_lshl_b64 s[16:17], s[4:5], 2
	s_cmp_le_i32 s8, s4
	v_add_co_u32 v6, vcc_lo, v0, s16
	v_add_co_ci_u32_e32 v7, vcc_lo, s17, v1, vcc_lo
	s_mov_b32 s5, s10
	s_mov_b32 s13, s8
	global_load_b32 v6, v[6:7], off
	v_mov_b32_e32 v7, s12
	ds_load_b32 v7, v7
	s_waitcnt vmcnt(0) lgkmcnt(0)
	v_dual_mul_f32 v9, v8, v7 :: v_dual_mul_f32 v8, s15, v6
	v_dual_mov_b32 v7, v3 :: v_dual_mov_b32 v6, v2
	global_store_b32 v[4:5], v9, off offset:-4
	s_cbranch_scc1 .LBB4_29
.LBB4_28:                               ;   Parent Loop BB4_23 Depth=1
                                        ; =>  This Inner Loop Header: Depth=2
	global_load_b32 v9, v[6:7], off
	v_mov_b32_e32 v10, s5
	v_add_co_u32 v6, vcc_lo, v6, -4
	v_add_co_ci_u32_e32 v7, vcc_lo, -1, v7, vcc_lo
	ds_load_b32 v10, v10
	s_add_i32 s13, s13, -1
	s_add_i32 s5, s5, -4
	s_cmp_gt_i32 s13, s4
	s_waitcnt vmcnt(0) lgkmcnt(0)
	v_fma_f32 v8, -v9, v10, v8
	s_cbranch_scc1 .LBB4_28
.LBB4_29:                               ;   in Loop: Header=BB4_23 Depth=1
	s_add_i32 s4, s0, -3
	s_mov_b32 s5, s1
	s_mov_b32 s13, s8
	s_lshl_b64 s[16:17], s[4:5], 2
	s_sub_i32 s5, s12, 20
	v_add_co_u32 v6, vcc_lo, v0, s16
	v_add_co_ci_u32_e32 v7, vcc_lo, s17, v1, vcc_lo
	s_cmp_le_i32 s8, s4
	s_mov_b32 s12, s11
	global_load_b32 v6, v[6:7], off
	v_mov_b32_e32 v7, s5
	ds_load_b32 v7, v7
	s_waitcnt vmcnt(0) lgkmcnt(0)
	v_dual_mul_f32 v9, v8, v7 :: v_dual_mul_f32 v8, s15, v6
	v_dual_mov_b32 v7, v3 :: v_dual_mov_b32 v6, v2
	global_store_b32 v[4:5], v9, off offset:-8
	s_cbranch_scc1 .LBB4_22
.LBB4_30:                               ;   Parent Loop BB4_23 Depth=1
                                        ; =>  This Inner Loop Header: Depth=2
	global_load_b32 v9, v[6:7], off
	v_mov_b32_e32 v10, s12
	v_add_co_u32 v6, vcc_lo, v6, -4
	v_add_co_ci_u32_e32 v7, vcc_lo, -1, v7, vcc_lo
	ds_load_b32 v10, v10
	s_add_i32 s13, s13, -1
	s_add_i32 s12, s12, -4
	s_cmp_gt_i32 s13, s4
	s_waitcnt vmcnt(0) lgkmcnt(0)
	v_fma_f32 v8, -v9, v10, v8
	s_cbranch_scc1 .LBB4_30
	s_branch .LBB4_22
.LBB4_31:
	s_and_b32 vcc_lo, exec_lo, s3
	s_cbranch_vccz .LBB4_40
; %bb.32:
	s_cmp_gt_i32 s6, 3
	s_cbranch_scc0 .LBB4_34
; %bb.33:
	global_load_b128 v[2:5], v[0:1], off
	v_mov_b32_e32 v12, 0
	s_mov_b32 s0, 4
	ds_load_b128 v[6:9], v12
	ds_load_2addr_b32 v[10:11], v12 offset0:5 offset1:6
	s_waitcnt vmcnt(0)
	v_mul_f32_e32 v2, s15, v2
	s_waitcnt lgkmcnt(1)
	s_delay_alu instid0(VALU_DEP_1) | instskip(NEXT) | instid1(VALU_DEP_1)
	v_mul_f32_e32 v2, v2, v6
	v_mul_f32_e32 v13, v2, v7
	ds_load_b64 v[6:7], v12 offset:40
	ds_load_b32 v14, v12 offset:28
	ds_load_b32 v12, v12 offset:60
	v_fma_f32 v3, v3, s15, -v13
	s_waitcnt lgkmcnt(3)
	s_delay_alu instid0(VALU_DEP_1) | instskip(NEXT) | instid1(VALU_DEP_1)
	v_dual_mul_f32 v8, v2, v8 :: v_dual_mul_f32 v3, v3, v10
	v_fma_f32 v4, v4, s15, -v8
	v_mul_f32_e32 v8, v2, v9
	s_delay_alu instid0(VALU_DEP_2) | instskip(NEXT) | instid1(VALU_DEP_2)
	v_fma_f32 v4, -v3, v11, v4
	v_fma_f32 v5, v5, s15, -v8
	s_waitcnt lgkmcnt(2)
	s_delay_alu instid0(VALU_DEP_2) | instskip(SKIP_1) | instid1(VALU_DEP_2)
	v_mul_f32_e32 v4, v4, v6
	s_waitcnt lgkmcnt(1)
	v_fma_f32 v5, -v3, v14, v5
	s_delay_alu instid0(VALU_DEP_1) | instskip(SKIP_1) | instid1(VALU_DEP_1)
	v_fma_f32 v5, -v4, v7, v5
	s_waitcnt lgkmcnt(0)
	v_mul_f32_e32 v5, v5, v12
	global_store_b128 v[0:1], v[2:5], off
	s_cmp_ge_i32 s0, s2
	s_cbranch_scc0 .LBB4_35
	s_branch .LBB4_40
.LBB4_34:
	s_mov_b32 s0, 0
	s_delay_alu instid0(SALU_CYCLE_1)
	s_cmp_ge_i32 s0, s2
	s_cbranch_scc1 .LBB4_40
.LBB4_35:
	s_lshl_b32 s3, s0, 2
	s_mov_b32 s1, 0
	s_set_inst_prefetch_distance 0x1
	s_branch .LBB4_37
	.p2align	6
.LBB4_36:                               ;   in Loop: Header=BB4_37 Depth=1
	s_mul_i32 s4, s0, 20
	s_add_i32 s0, s0, 1
	v_mov_b32_e32 v4, s4
	s_add_i32 s3, s3, 4
	s_cmp_ge_i32 s0, s2
	ds_load_b32 v4, v4
	s_waitcnt lgkmcnt(0)
	v_mul_f32_e32 v4, v6, v4
	global_store_b32 v[2:3], v4, off
	s_cbranch_scc1 .LBB4_40
.LBB4_37:                               ; =>This Loop Header: Depth=1
                                        ;     Child Loop BB4_39 Depth 2
	s_lshl_b64 s[4:5], s[0:1], 2
	s_cmp_eq_u32 s0, 0
	v_add_co_u32 v2, vcc_lo, v0, s4
	v_add_co_ci_u32_e32 v3, vcc_lo, s5, v1, vcc_lo
	global_load_b32 v4, v[2:3], off
	s_waitcnt vmcnt(0)
	v_mul_f32_e32 v6, s15, v4
	s_cbranch_scc1 .LBB4_36
; %bb.38:                               ;   in Loop: Header=BB4_37 Depth=1
	v_dual_mov_b32 v5, v1 :: v_dual_mov_b32 v4, v0
	s_mov_b32 s4, 0
	s_mov_b32 s5, s3
.LBB4_39:                               ;   Parent Loop BB4_37 Depth=1
                                        ; =>  This Inner Loop Header: Depth=2
	global_load_b32 v7, v[4:5], off
	v_mov_b32_e32 v8, s5
	v_add_co_u32 v4, vcc_lo, v4, 4
	v_add_co_ci_u32_e32 v5, vcc_lo, 0, v5, vcc_lo
	ds_load_b32 v8, v8
	s_add_i32 s4, s4, 1
	s_add_i32 s5, s5, 16
	s_cmp_lt_u32 s4, s0
	s_waitcnt vmcnt(0) lgkmcnt(0)
	v_fma_f32 v6, -v7, v8, v6
	s_cbranch_scc1 .LBB4_39
	s_branch .LBB4_36
.LBB4_40:
	s_set_inst_prefetch_distance 0x2
	s_nop 0
	s_sendmsg sendmsg(MSG_DEALLOC_VGPRS)
	s_endpgm
	.section	.rodata,"a",@progbits
	.p2align	6, 0x0
	.amdhsa_kernel _ZL30rocblas_trsm_small_left_deviceILi4ELi4ELb1EffPKPKfPKPfEv13rocblas_fill_18rocblas_operation_17rocblas_diagonal_iiT3_T4_lilT5_lili
		.amdhsa_group_segment_fixed_size 64
		.amdhsa_private_segment_fixed_size 0
		.amdhsa_kernarg_size 352
		.amdhsa_user_sgpr_count 14
		.amdhsa_user_sgpr_dispatch_ptr 0
		.amdhsa_user_sgpr_queue_ptr 0
		.amdhsa_user_sgpr_kernarg_segment_ptr 1
		.amdhsa_user_sgpr_dispatch_id 0
		.amdhsa_user_sgpr_private_segment_size 0
		.amdhsa_wavefront_size32 1
		.amdhsa_uses_dynamic_stack 0
		.amdhsa_enable_private_segment 0
		.amdhsa_system_sgpr_workgroup_id_x 1
		.amdhsa_system_sgpr_workgroup_id_y 0
		.amdhsa_system_sgpr_workgroup_id_z 1
		.amdhsa_system_sgpr_workgroup_info 0
		.amdhsa_system_vgpr_workitem_id 0
		.amdhsa_next_free_vgpr 19
		.amdhsa_next_free_sgpr 31
		.amdhsa_reserve_vcc 1
		.amdhsa_float_round_mode_32 0
		.amdhsa_float_round_mode_16_64 0
		.amdhsa_float_denorm_mode_32 3
		.amdhsa_float_denorm_mode_16_64 3
		.amdhsa_dx10_clamp 1
		.amdhsa_ieee_mode 1
		.amdhsa_fp16_overflow 0
		.amdhsa_workgroup_processor_mode 1
		.amdhsa_memory_ordered 1
		.amdhsa_forward_progress 0
		.amdhsa_shared_vgpr_count 0
		.amdhsa_exception_fp_ieee_invalid_op 0
		.amdhsa_exception_fp_denorm_src 0
		.amdhsa_exception_fp_ieee_div_zero 0
		.amdhsa_exception_fp_ieee_overflow 0
		.amdhsa_exception_fp_ieee_underflow 0
		.amdhsa_exception_fp_ieee_inexact 0
		.amdhsa_exception_int_div_zero 0
	.end_amdhsa_kernel
	.section	.text._ZL30rocblas_trsm_small_left_deviceILi4ELi4ELb1EffPKPKfPKPfEv13rocblas_fill_18rocblas_operation_17rocblas_diagonal_iiT3_T4_lilT5_lili,"axG",@progbits,_ZL30rocblas_trsm_small_left_deviceILi4ELi4ELb1EffPKPKfPKPfEv13rocblas_fill_18rocblas_operation_17rocblas_diagonal_iiT3_T4_lilT5_lili,comdat
.Lfunc_end4:
	.size	_ZL30rocblas_trsm_small_left_deviceILi4ELi4ELb1EffPKPKfPKPfEv13rocblas_fill_18rocblas_operation_17rocblas_diagonal_iiT3_T4_lilT5_lili, .Lfunc_end4-_ZL30rocblas_trsm_small_left_deviceILi4ELi4ELb1EffPKPKfPKPfEv13rocblas_fill_18rocblas_operation_17rocblas_diagonal_iiT3_T4_lilT5_lili
                                        ; -- End function
	.section	.AMDGPU.csdata,"",@progbits
; Kernel info:
; codeLenInByte = 2608
; NumSgprs: 33
; NumVgprs: 19
; ScratchSize: 0
; MemoryBound: 0
; FloatMode: 240
; IeeeMode: 1
; LDSByteSize: 64 bytes/workgroup (compile time only)
; SGPRBlocks: 4
; VGPRBlocks: 2
; NumSGPRsForWavesPerEU: 33
; NumVGPRsForWavesPerEU: 19
; Occupancy: 16
; WaveLimiterHint : 1
; COMPUTE_PGM_RSRC2:SCRATCH_EN: 0
; COMPUTE_PGM_RSRC2:USER_SGPR: 14
; COMPUTE_PGM_RSRC2:TRAP_HANDLER: 0
; COMPUTE_PGM_RSRC2:TGID_X_EN: 1
; COMPUTE_PGM_RSRC2:TGID_Y_EN: 0
; COMPUTE_PGM_RSRC2:TGID_Z_EN: 1
; COMPUTE_PGM_RSRC2:TIDIG_COMP_CNT: 0
	.section	.text._ZL31rocblas_trsm_small_right_deviceIffPKPKfPKPfLi4EEv13rocblas_fill_18rocblas_operation_17rocblas_diagonal_iiT0_T1_lilT2_lili,"axG",@progbits,_ZL31rocblas_trsm_small_right_deviceIffPKPKfPKPfLi4EEv13rocblas_fill_18rocblas_operation_17rocblas_diagonal_iiT0_T1_lilT2_lili,comdat
	.globl	_ZL31rocblas_trsm_small_right_deviceIffPKPKfPKPfLi4EEv13rocblas_fill_18rocblas_operation_17rocblas_diagonal_iiT0_T1_lilT2_lili ; -- Begin function _ZL31rocblas_trsm_small_right_deviceIffPKPKfPKPfLi4EEv13rocblas_fill_18rocblas_operation_17rocblas_diagonal_iiT0_T1_lilT2_lili
	.p2align	8
	.type	_ZL31rocblas_trsm_small_right_deviceIffPKPKfPKPfLi4EEv13rocblas_fill_18rocblas_operation_17rocblas_diagonal_iiT0_T1_lilT2_lili,@function
_ZL31rocblas_trsm_small_right_deviceIffPKPKfPKPfLi4EEv13rocblas_fill_18rocblas_operation_17rocblas_diagonal_iiT0_T1_lilT2_lili: ; @_ZL31rocblas_trsm_small_right_deviceIffPKPKfPKPfLi4EEv13rocblas_fill_18rocblas_operation_17rocblas_diagonal_iiT0_T1_lilT2_lili
; %bb.0:
	s_clause 0x1
	s_load_b128 s[8:11], s[0:1], 0x38
	s_load_b64 s[12:13], s[0:1], 0x10
	s_mov_b32 s20, s15
	s_mov_b32 s21, 0
	s_mov_b32 s15, exec_lo
	s_lshl_b64 s[22:23], s[20:21], 3
	s_waitcnt lgkmcnt(0)
	s_add_u32 s2, s8, s22
	s_addc_u32 s3, s9, s23
	s_load_b128 s[4:7], s[0:1], 0x0
	s_load_b64 s[2:3], s[2:3], 0x0
	s_min_i32 s20, s12, 4
	s_delay_alu instid0(SALU_CYCLE_1)
	s_add_i32 s28, s20, -1
	v_cmpx_gt_i32_e64 s20, v0
	s_cbranch_execz .LBB5_9
; %bb.1:
	s_clause 0x1
	s_load_b32 s8, s[0:1], 0x28
	s_load_b128 s[16:19], s[0:1], 0x18
	s_waitcnt lgkmcnt(0)
	s_ashr_i32 s9, s8, 31
	s_add_u32 s16, s16, s22
	s_addc_u32 s17, s17, s23
	s_cmp_lt_u32 s28, 3
	s_load_b64 s[16:17], s[16:17], 0x0
	s_cbranch_scc1 .LBB5_4
; %bb.2:
	v_lshlrev_b32_e32 v3, 2, v0
	s_lshl_b64 s[22:23], s[18:19], 2
	s_mul_hi_i32 s29, s8, 12
	s_waitcnt lgkmcnt(0)
	s_add_u32 s21, s16, s22
	s_addc_u32 s22, s17, s23
	v_add_co_u32 v1, s21, s21, v3
	s_delay_alu instid0(VALU_DEP_1)
	v_add_co_ci_u32_e64 v2, null, s22, 0, s21
	s_and_b32 s21, s20, -4
	s_mul_i32 s30, s8, 12
	s_lshl_b64 s[22:23], s[8:9], 4
	s_lshl_b64 s[24:25], s[8:9], 3
	;; [unrolled: 1-line block ×3, first 2 shown]
	s_mov_b32 s31, 0
	.p2align	6
.LBB5_3:                                ; =>This Inner Loop Header: Depth=1
	v_add_co_u32 v4, vcc_lo, v1, s26
	v_add_co_ci_u32_e32 v5, vcc_lo, s27, v2, vcc_lo
	v_add_co_u32 v6, vcc_lo, v1, s24
	v_add_co_ci_u32_e32 v7, vcc_lo, s25, v2, vcc_lo
	;; [unrolled: 2-line block ×3, first 2 shown]
	s_clause 0x3
	global_load_b32 v10, v[1:2], off
	global_load_b32 v4, v[4:5], off
	;; [unrolled: 1-line block ×4, first 2 shown]
	v_add_co_u32 v1, vcc_lo, v1, s22
	v_add_co_ci_u32_e32 v2, vcc_lo, s23, v2, vcc_lo
	s_add_i32 s31, s31, 4
	s_waitcnt vmcnt(2)
	ds_store_2addr_b32 v3, v10, v4 offset1:4
	s_waitcnt vmcnt(0)
	ds_store_2addr_b32 v3, v5, v6 offset0:8 offset1:12
	v_add_nc_u32_e32 v3, 64, v3
	s_cmp_eq_u32 s21, s31
	s_cbranch_scc0 .LBB5_3
.LBB5_4:
	s_and_b32 s22, s20, 3
	s_delay_alu instid0(SALU_CYCLE_1)
	s_cmp_eq_u32 s22, 0
	s_cbranch_scc1 .LBB5_7
; %bb.5:
	s_mul_i32 s23, s9, s21
	s_mul_hi_u32 s24, s8, s21
	s_lshl_b64 s[18:19], s[18:19], 2
	s_add_i32 s25, s24, s23
	s_mul_i32 s24, s8, s21
	v_lshlrev_b32_e32 v1, 2, v0
	s_lshl_b64 s[24:25], s[24:25], 2
	s_delay_alu instid0(SALU_CYCLE_1)
	s_add_u32 s18, s24, s18
	s_addc_u32 s19, s25, s19
	s_waitcnt lgkmcnt(0)
	s_add_u32 s16, s16, s18
	v_lshl_or_b32 v3, s21, 4, v1
	s_addc_u32 s17, s17, s19
	v_add_co_u32 v1, s16, s16, v1
	s_delay_alu instid0(VALU_DEP_1)
	v_add_co_ci_u32_e64 v2, null, s17, 0, s16
	s_lshl_b64 s[8:9], s[8:9], 2
.LBB5_6:                                ; =>This Inner Loop Header: Depth=1
	global_load_b32 v4, v[1:2], off
	v_add_co_u32 v1, vcc_lo, v1, s8
	v_add_co_ci_u32_e32 v2, vcc_lo, s9, v2, vcc_lo
	s_add_i32 s22, s22, -1
	s_delay_alu instid0(SALU_CYCLE_1)
	s_cmp_lg_u32 s22, 0
	s_waitcnt vmcnt(0)
	ds_store_b32 v3, v4
	v_add_nc_u32_e32 v3, 16, v3
	s_cbranch_scc1 .LBB5_6
.LBB5_7:
	s_cmpk_eq_i32 s6, 0x84
	s_cbranch_scc0 .LBB5_9
; %bb.8:
	v_mul_u32_u24_e32 v1, 5, v0
	s_delay_alu instid0(VALU_DEP_1)
	v_dual_mov_b32 v2, 1.0 :: v_dual_lshlrev_b32 v1, 2, v1
	ds_store_b32 v1, v2
.LBB5_9:
	s_or_b32 exec_lo, exec_lo, s15
	s_waitcnt lgkmcnt(0)
	s_load_b32 s6, s[0:1], 0x60
	s_lshl_b64 s[8:9], s[10:11], 2
	s_load_b32 s0, s[0:1], 0x48
	s_add_u32 s1, s2, s8
	s_addc_u32 s10, s3, s9
	s_lshl_b32 s11, s14, 2
	s_mov_b32 s23, 0
	s_sub_i32 s7, s7, s11
	s_waitcnt lgkmcnt(0)
	s_add_i32 s6, s6, -1
	s_delay_alu instid0(SALU_CYCLE_1) | instskip(SKIP_4) | instid1(SALU_CYCLE_1)
	s_cmp_ge_u32 s14, s6
	s_cselect_b32 s11, s7, 4
	s_ashr_i32 s15, s14, 31
	v_cmp_gt_i32_e32 vcc_lo, s11, v0
	s_lshl_b64 s[6:7], s[14:15], 4
	s_add_u32 s18, s1, s6
	s_addc_u32 s19, s10, s7
	s_cmp_gt_i32 s12, 0
	s_cselect_b32 s1, -1, 0
	s_delay_alu instid0(SALU_CYCLE_1) | instskip(NEXT) | instid1(SALU_CYCLE_1)
	s_and_b32 s21, vcc_lo, s1
	s_and_saveexec_b32 s22, s21
	s_cbranch_execz .LBB5_16
; %bb.10:
	s_ashr_i32 s1, s0, 31
	s_cmp_lt_u32 s12, 4
	s_cbranch_scc1 .LBB5_13
; %bb.11:
	v_lshlrev_b32_e32 v1, 2, v0
	v_lshl_or_b32 v3, v0, 2, 64
	s_and_b32 s23, s12, 0x7ffffffc
	s_mul_hi_i32 s24, s0, 12
	s_mul_i32 s25, s0, 12
	v_add_co_u32 v1, s10, s18, v1
	s_delay_alu instid0(VALU_DEP_1)
	v_add_co_ci_u32_e64 v2, null, s19, 0, s10
	s_lshl_b64 s[10:11], s[0:1], 4
	s_lshl_b64 s[14:15], s[0:1], 3
	;; [unrolled: 1-line block ×3, first 2 shown]
	s_mov_b32 s26, 0
	.p2align	6
.LBB5_12:                               ; =>This Inner Loop Header: Depth=1
	v_add_co_u32 v4, vcc_lo, v1, s16
	v_add_co_ci_u32_e32 v5, vcc_lo, s17, v2, vcc_lo
	v_add_co_u32 v6, vcc_lo, v1, s14
	v_add_co_ci_u32_e32 v7, vcc_lo, s15, v2, vcc_lo
	;; [unrolled: 2-line block ×3, first 2 shown]
	s_clause 0x3
	global_load_b32 v10, v[1:2], off
	global_load_b32 v4, v[4:5], off
	global_load_b32 v5, v[6:7], off
	global_load_b32 v6, v[8:9], off
	v_add_co_u32 v1, vcc_lo, v1, s10
	v_add_co_ci_u32_e32 v2, vcc_lo, s11, v2, vcc_lo
	s_add_i32 s26, s26, 4
	s_delay_alu instid0(SALU_CYCLE_1)
	s_cmp_lg_u32 s23, s26
	s_waitcnt vmcnt(2)
	v_dual_mul_f32 v7, s13, v10 :: v_dual_mul_f32 v4, s13, v4
	s_waitcnt vmcnt(0)
	v_dual_mul_f32 v5, s13, v5 :: v_dual_mul_f32 v6, s13, v6
	ds_store_2addr_b32 v3, v7, v4 offset1:4
	ds_store_2addr_b32 v3, v5, v6 offset0:8 offset1:12
	v_add_nc_u32_e32 v3, 64, v3
	s_cbranch_scc1 .LBB5_12
.LBB5_13:
	s_and_b32 s14, s12, 3
	s_delay_alu instid0(SALU_CYCLE_1)
	s_cmp_eq_u32 s14, 0
	s_cbranch_scc1 .LBB5_16
; %bb.14:
	s_mul_hi_i32 s11, s0, s23
	s_mul_i32 s10, s0, s23
	v_lshlrev_b32_e32 v1, 2, v0
	s_lshl_b64 s[10:11], s[10:11], 2
	s_delay_alu instid0(SALU_CYCLE_1)
	s_add_u32 s10, s10, s6
	s_addc_u32 s11, s11, s7
	s_add_u32 s10, s10, s8
	v_lshl_or_b32 v2, s23, 4, v1
	s_addc_u32 s11, s11, s9
	s_add_u32 s10, s2, s10
	s_addc_u32 s11, s3, s11
	v_add_co_u32 v1, s10, s10, v1
	v_add_nc_u32_e32 v3, 64, v2
	v_add_co_ci_u32_e64 v2, null, s11, 0, s10
	s_lshl_b64 s[10:11], s[0:1], 2
.LBB5_15:                               ; =>This Inner Loop Header: Depth=1
	global_load_b32 v4, v[1:2], off
	v_add_co_u32 v1, vcc_lo, v1, s10
	v_add_co_ci_u32_e32 v2, vcc_lo, s11, v2, vcc_lo
	s_add_i32 s14, s14, -1
	s_delay_alu instid0(SALU_CYCLE_1)
	s_cmp_lg_u32 s14, 0
	s_waitcnt vmcnt(0)
	v_mul_f32_e32 v4, s13, v4
	ds_store_b32 v3, v4
	v_add_nc_u32_e32 v3, 16, v3
	s_cbranch_scc1 .LBB5_15
.LBB5_16:
	s_or_b32 exec_lo, exec_lo, s22
	s_cmpk_eq_i32 s5, 0x6f
	s_waitcnt lgkmcnt(0)
	s_cselect_b32 s1, -1, 0
	s_cmpk_eq_i32 s4, 0x79
	; wave barrier
	buffer_gl0_inv
	s_cselect_b32 s10, -1, 0
	s_cmpk_lg_i32 s4, 0x79
	s_cselect_b32 s5, -1, 0
	s_and_b32 s10, s10, s1
	s_delay_alu instid0(SALU_CYCLE_1)
	s_and_not1_b32 vcc_lo, exec_lo, s10
	s_mov_b32 s10, -1
	s_cbranch_vccz .LBB5_62
; %bb.17:
	s_cmpk_lg_i32 s4, 0x7a
	s_cselect_b32 s4, -1, 0
	s_xor_b32 s1, s1, -1
	s_delay_alu instid0(SALU_CYCLE_1)
	s_or_b32 s4, s4, s1
	s_cmp_gt_i32 s12, 3
	s_cselect_b32 s1, -1, 0
	s_and_b32 vcc_lo, exec_lo, s4
	s_mov_b32 s4, -1
	s_cbranch_vccz .LBB5_45
; %bb.18:
	s_and_not1_b32 vcc_lo, exec_lo, s5
	s_cbranch_vccnz .LBB5_28
; %bb.19:
	s_and_b32 vcc_lo, exec_lo, s1
	s_mov_b32 s4, 0
	s_cbranch_vccz .LBB5_21
; %bb.20:
	v_dual_mov_b32 v10, 0 :: v_dual_lshlrev_b32 v9, 2, v0
	s_mov_b32 s4, 4
	ds_load_2addr_b32 v[5:6], v9 offset0:16 offset1:20
	ds_load_b128 v[1:4], v10
	ds_load_2addr_b32 v[7:8], v10 offset0:5 offset1:6
	s_waitcnt lgkmcnt(1)
	v_div_scale_f32 v11, null, v1, v1, v5
	v_div_scale_f32 v14, vcc_lo, v5, v1, v5
	s_delay_alu instid0(VALU_DEP_2) | instskip(SKIP_2) | instid1(VALU_DEP_1)
	v_rcp_f32_e32 v12, v11
	s_waitcnt_depctr 0xfff
	v_fma_f32 v13, -v11, v12, 1.0
	v_fmac_f32_e32 v12, v13, v12
	s_delay_alu instid0(VALU_DEP_1) | instskip(NEXT) | instid1(VALU_DEP_1)
	v_mul_f32_e32 v13, v14, v12
	v_fma_f32 v15, -v11, v13, v14
	s_delay_alu instid0(VALU_DEP_1) | instskip(NEXT) | instid1(VALU_DEP_1)
	v_fmac_f32_e32 v13, v15, v12
	v_fma_f32 v11, -v11, v13, v14
	s_delay_alu instid0(VALU_DEP_1) | instskip(NEXT) | instid1(VALU_DEP_1)
	v_div_fmas_f32 v11, v11, v12, v13
	v_div_fixup_f32 v11, v11, v1, v5
	s_delay_alu instid0(VALU_DEP_1) | instskip(SKIP_1) | instid1(VALU_DEP_1)
	v_fma_f32 v12, -v11, v2, v6
	s_waitcnt lgkmcnt(0)
	v_div_scale_f32 v5, null, v7, v7, v12
	v_div_scale_f32 v6, vcc_lo, v12, v7, v12
	s_delay_alu instid0(VALU_DEP_2) | instskip(SKIP_2) | instid1(VALU_DEP_1)
	v_rcp_f32_e32 v13, v5
	s_waitcnt_depctr 0xfff
	v_fma_f32 v1, -v5, v13, 1.0
	v_fmac_f32_e32 v13, v1, v13
	ds_load_2addr_b32 v[1:2], v9 offset0:24 offset1:28
	v_mul_f32_e32 v14, v6, v13
	s_delay_alu instid0(VALU_DEP_1) | instskip(NEXT) | instid1(VALU_DEP_1)
	v_fma_f32 v15, -v5, v14, v6
	v_fmac_f32_e32 v14, v15, v13
	s_delay_alu instid0(VALU_DEP_1)
	v_fma_f32 v15, -v5, v14, v6
	ds_load_b64 v[5:6], v10 offset:40
	s_waitcnt lgkmcnt(1)
	v_fma_f32 v1, -v11, v3, v1
	v_fma_f32 v2, -v11, v4, v2
	v_div_fmas_f32 v13, v15, v13, v14
	s_delay_alu instid0(VALU_DEP_1)
	v_div_fixup_f32 v3, v13, v7, v12
	ds_load_b32 v7, v10 offset:60
	ds_load_b32 v10, v10 offset:28
	v_fma_f32 v1, -v3, v8, v1
	ds_store_2addr_b32 v9, v11, v3 offset0:16 offset1:20
	s_waitcnt lgkmcnt(3)
	v_div_scale_f32 v8, null, v5, v5, v1
	v_div_scale_f32 v14, vcc_lo, v1, v5, v1
	s_delay_alu instid0(VALU_DEP_2) | instskip(SKIP_4) | instid1(VALU_DEP_1)
	v_rcp_f32_e32 v12, v8
	s_waitcnt lgkmcnt(1)
	v_fma_f32 v2, -v3, v10, v2
	s_waitcnt_depctr 0xfff
	v_fma_f32 v13, -v8, v12, 1.0
	v_fmac_f32_e32 v12, v13, v12
	s_delay_alu instid0(VALU_DEP_1) | instskip(NEXT) | instid1(VALU_DEP_1)
	v_mul_f32_e32 v13, v14, v12
	v_fma_f32 v15, -v8, v13, v14
	s_delay_alu instid0(VALU_DEP_1) | instskip(NEXT) | instid1(VALU_DEP_1)
	v_fmac_f32_e32 v13, v15, v12
	v_fma_f32 v8, -v8, v13, v14
	s_delay_alu instid0(VALU_DEP_1) | instskip(NEXT) | instid1(VALU_DEP_1)
	v_div_fmas_f32 v4, v8, v12, v13
	v_div_fixup_f32 v1, v4, v5, v1
	s_delay_alu instid0(VALU_DEP_1) | instskip(NEXT) | instid1(VALU_DEP_1)
	v_fma_f32 v2, -v1, v6, v2
	v_div_scale_f32 v4, null, v7, v7, v2
	s_delay_alu instid0(VALU_DEP_1) | instskip(SKIP_2) | instid1(VALU_DEP_1)
	v_rcp_f32_e32 v5, v4
	s_waitcnt_depctr 0xfff
	v_fma_f32 v6, -v4, v5, 1.0
	v_fmac_f32_e32 v5, v6, v5
	v_div_scale_f32 v6, vcc_lo, v2, v7, v2
	s_delay_alu instid0(VALU_DEP_1) | instskip(NEXT) | instid1(VALU_DEP_1)
	v_mul_f32_e32 v8, v6, v5
	v_fma_f32 v10, -v4, v8, v6
	s_delay_alu instid0(VALU_DEP_1) | instskip(NEXT) | instid1(VALU_DEP_1)
	v_fmac_f32_e32 v8, v10, v5
	v_fma_f32 v4, -v4, v8, v6
	s_delay_alu instid0(VALU_DEP_1) | instskip(NEXT) | instid1(VALU_DEP_1)
	v_div_fmas_f32 v4, v4, v5, v8
	v_div_fixup_f32 v2, v4, v7, v2
	ds_store_2addr_b32 v9, v1, v2 offset0:24 offset1:28
.LBB5_21:
	s_cmp_ge_i32 s4, s20
	s_cbranch_scc1 .LBB5_27
; %bb.22:
	v_lshl_or_b32 v1, v0, 2, 64
	v_lshlrev_b32_e32 v2, 2, v0
	s_lshl_b32 s5, s4, 2
	s_branch .LBB5_24
.LBB5_23:                               ;   in Loop: Header=BB5_24 Depth=1
	s_mul_i32 s10, s4, 20
	s_delay_alu instid0(SALU_CYCLE_1)
	v_dual_mov_b32 v5, s10 :: v_dual_add_nc_u32 v4, 64, v4
	s_add_i32 s4, s4, 1
	s_add_i32 s5, s5, 4
	s_cmp_ge_i32 s4, s20
	ds_load_b32 v5, v5
	s_waitcnt lgkmcnt(0)
	v_div_scale_f32 v6, null, v5, v5, v3
	s_delay_alu instid0(VALU_DEP_1) | instskip(SKIP_2) | instid1(VALU_DEP_1)
	v_rcp_f32_e32 v7, v6
	s_waitcnt_depctr 0xfff
	v_fma_f32 v8, -v6, v7, 1.0
	v_fmac_f32_e32 v7, v8, v7
	v_div_scale_f32 v8, vcc_lo, v3, v5, v3
	s_delay_alu instid0(VALU_DEP_1) | instskip(NEXT) | instid1(VALU_DEP_1)
	v_mul_f32_e32 v9, v8, v7
	v_fma_f32 v10, -v6, v9, v8
	s_delay_alu instid0(VALU_DEP_1) | instskip(NEXT) | instid1(VALU_DEP_1)
	v_fmac_f32_e32 v9, v10, v7
	v_fma_f32 v6, -v6, v9, v8
	s_delay_alu instid0(VALU_DEP_1) | instskip(NEXT) | instid1(VALU_DEP_1)
	v_div_fmas_f32 v6, v6, v7, v9
	v_div_fixup_f32 v3, v6, v5, v3
	ds_store_b32 v4, v3
	s_cbranch_scc1 .LBB5_27
.LBB5_24:                               ; =>This Loop Header: Depth=1
                                        ;     Child Loop BB5_26 Depth 2
	s_delay_alu instid0(VALU_DEP_1)
	v_lshl_or_b32 v4, s4, 4, v2
	s_cmp_eq_u32 s4, 0
	ds_load_b32 v3, v4 offset:64
	s_cbranch_scc1 .LBB5_23
; %bb.25:                               ;   in Loop: Header=BB5_24 Depth=1
	v_mov_b32_e32 v5, v1
	s_mov_b32 s10, 0
	s_mov_b32 s11, s5
.LBB5_26:                               ;   Parent Loop BB5_24 Depth=1
                                        ; =>  This Inner Loop Header: Depth=2
	s_delay_alu instid0(SALU_CYCLE_1)
	v_mov_b32_e32 v6, s11
	s_add_i32 s10, s10, 1
	s_add_i32 s11, s11, 16
	s_cmp_ge_u32 s10, s4
	ds_load_b32 v7, v5
	ds_load_b32 v6, v6
	v_add_nc_u32_e32 v5, 16, v5
	s_waitcnt lgkmcnt(0)
	v_fma_f32 v3, -v7, v6, v3
	s_cbranch_scc0 .LBB5_26
	s_branch .LBB5_23
.LBB5_27:
	s_mov_b32 s4, 0
.LBB5_28:
	s_delay_alu instid0(SALU_CYCLE_1)
	s_and_b32 vcc_lo, exec_lo, s4
	s_cbranch_vccz .LBB5_44
; %bb.29:
	s_and_b32 vcc_lo, exec_lo, s1
	s_mov_b32 s5, s28
	s_cbranch_vccz .LBB5_31
; %bb.30:
	s_lshl_b32 s4, s28, 2
	s_add_i32 s5, s20, -2
	v_or_b32_e32 v1, s4, v0
	s_add_i32 s10, s4, s5
	s_lshl_b32 s5, s5, 2
	s_lshl_b32 s10, s10, 2
	s_add_i32 s13, s20, -4
	v_dual_mov_b32 v2, s10 :: v_dual_lshlrev_b32 v7, 2, v1
	s_lshl_b32 s10, s20, 2
	v_or_b32_e32 v5, s5, v0
	ds_load_2addr_b32 v[1:2], v2 offset1:1
	ds_load_b32 v3, v7 offset:64
	s_add_i32 s10, s10, -12
	s_add_i32 s4, s4, s13
	v_or_b32_e32 v6, s10, v0
	s_lshl_b32 s4, s4, 2
	v_lshlrev_b32_e32 v4, 2, v0
	s_mul_i32 s11, s28, 20
	v_lshlrev_b32_e32 v8, 2, v5
	s_sub_i32 s14, s11, 20
	v_lshlrev_b32_e32 v9, 2, v6
	v_lshl_or_b32 v10, s13, 4, v4
	v_mov_b32_e32 v4, s14
	ds_load_b32 v5, v8 offset:64
	ds_load_b32 v11, v9 offset:64
	;; [unrolled: 1-line block ×3, first 2 shown]
	ds_load_b32 v13, v4
	s_add_i32 s5, s5, s13
	s_add_i32 s10, s10, s13
	s_waitcnt lgkmcnt(4)
	v_div_scale_f32 v4, null, v2, v2, v3
	v_div_scale_f32 v15, vcc_lo, v3, v2, v3
	s_delay_alu instid0(VALU_DEP_2) | instskip(SKIP_2) | instid1(VALU_DEP_1)
	v_rcp_f32_e32 v6, v4
	s_waitcnt_depctr 0xfff
	v_fma_f32 v14, -v4, v6, 1.0
	v_fmac_f32_e32 v6, v14, v6
	s_delay_alu instid0(VALU_DEP_1) | instskip(NEXT) | instid1(VALU_DEP_1)
	v_mul_f32_e32 v14, v15, v6
	v_fma_f32 v16, -v4, v14, v15
	s_delay_alu instid0(VALU_DEP_1) | instskip(NEXT) | instid1(VALU_DEP_1)
	v_fmac_f32_e32 v14, v16, v6
	v_fma_f32 v4, -v4, v14, v15
	s_delay_alu instid0(VALU_DEP_1) | instskip(NEXT) | instid1(VALU_DEP_1)
	v_div_fmas_f32 v4, v4, v6, v14
	v_div_fixup_f32 v14, v4, v2, v3
	s_waitcnt lgkmcnt(3)
	s_delay_alu instid0(VALU_DEP_1) | instskip(SKIP_1) | instid1(VALU_DEP_1)
	v_fma_f32 v15, -v14, v1, v5
	s_waitcnt lgkmcnt(0)
	v_div_scale_f32 v5, null, v13, v13, v15
	v_div_scale_f32 v6, vcc_lo, v15, v13, v15
	s_delay_alu instid0(VALU_DEP_2) | instskip(SKIP_2) | instid1(VALU_DEP_1)
	v_rcp_f32_e32 v16, v5
	s_waitcnt_depctr 0xfff
	v_fma_f32 v1, -v5, v16, 1.0
	v_dual_fmac_f32 v16, v1, v16 :: v_dual_mov_b32 v1, s4
	s_lshl_b32 s4, s5, 2
	s_add_i32 s5, s20, -5
	s_delay_alu instid0(VALU_DEP_1) | instskip(SKIP_2) | instid1(SALU_CYCLE_1)
	v_dual_mov_b32 v4, s4 :: v_dual_mul_f32 v17, v6, v16
	ds_load_2addr_b32 v[1:2], v1 offset1:1
	s_lshl_b32 s4, s10, 2
	v_mov_b32_e32 v18, s4
	v_fma_f32 v3, -v5, v17, v6
	s_sub_i32 s4, s11, 60
	s_delay_alu instid0(VALU_DEP_1)
	v_fmac_f32_e32 v17, v3, v16
	ds_load_2addr_b32 v[3:4], v4 offset1:1
	v_fma_f32 v19, -v5, v17, v6
	ds_load_2addr_b32 v[5:6], v18 offset1:1
	v_mov_b32_e32 v18, s4
	v_div_fmas_f32 v16, v19, v16, v17
	s_waitcnt lgkmcnt(2)
	v_fma_f32 v2, -v14, v2, v11
	ds_load_b32 v17, v18
	v_fma_f32 v1, -v14, v1, v12
	v_div_fixup_f32 v11, v16, v13, v15
	s_waitcnt lgkmcnt(2)
	s_delay_alu instid0(VALU_DEP_1) | instskip(NEXT) | instid1(VALU_DEP_3)
	v_fma_f32 v2, -v11, v4, v2
	v_fma_f32 v1, -v11, v3, v1
	s_waitcnt lgkmcnt(1)
	s_delay_alu instid0(VALU_DEP_2) | instskip(SKIP_1) | instid1(VALU_DEP_2)
	v_div_scale_f32 v4, null, v6, v6, v2
	v_div_scale_f32 v16, vcc_lo, v2, v6, v2
	v_rcp_f32_e32 v13, v4
	s_waitcnt_depctr 0xfff
	v_fma_f32 v15, -v4, v13, 1.0
	s_delay_alu instid0(VALU_DEP_1) | instskip(NEXT) | instid1(VALU_DEP_1)
	v_fmac_f32_e32 v13, v15, v13
	v_mul_f32_e32 v15, v16, v13
	s_delay_alu instid0(VALU_DEP_1) | instskip(NEXT) | instid1(VALU_DEP_1)
	v_fma_f32 v18, -v4, v15, v16
	v_fmac_f32_e32 v15, v18, v13
	s_delay_alu instid0(VALU_DEP_1) | instskip(NEXT) | instid1(VALU_DEP_1)
	v_fma_f32 v4, -v4, v15, v16
	v_div_fmas_f32 v4, v4, v13, v15
	s_delay_alu instid0(VALU_DEP_1) | instskip(NEXT) | instid1(VALU_DEP_1)
	v_div_fixup_f32 v2, v4, v6, v2
	v_fma_f32 v1, -v2, v5, v1
	s_waitcnt lgkmcnt(0)
	s_delay_alu instid0(VALU_DEP_1) | instskip(NEXT) | instid1(VALU_DEP_1)
	v_div_scale_f32 v3, null, v17, v17, v1
	v_rcp_f32_e32 v4, v3
	s_waitcnt_depctr 0xfff
	v_fma_f32 v5, -v3, v4, 1.0
	s_delay_alu instid0(VALU_DEP_1) | instskip(SKIP_1) | instid1(VALU_DEP_1)
	v_fmac_f32_e32 v4, v5, v4
	v_div_scale_f32 v5, vcc_lo, v1, v17, v1
	v_mul_f32_e32 v6, v5, v4
	s_delay_alu instid0(VALU_DEP_1) | instskip(NEXT) | instid1(VALU_DEP_1)
	v_fma_f32 v12, -v3, v6, v5
	v_fmac_f32_e32 v6, v12, v4
	s_delay_alu instid0(VALU_DEP_1) | instskip(NEXT) | instid1(VALU_DEP_1)
	v_fma_f32 v3, -v3, v6, v5
	v_div_fmas_f32 v3, v3, v4, v6
	s_delay_alu instid0(VALU_DEP_1)
	v_div_fixup_f32 v1, v3, v17, v1
	ds_store_b32 v7, v14 offset:64
	ds_store_b32 v8, v11 offset:64
	;; [unrolled: 1-line block ×4, first 2 shown]
.LBB5_31:
	s_cmp_lt_i32 s5, 0
	s_cbranch_scc1 .LBB5_44
; %bb.32:
	s_bitcmp1_b32 s5, 0
	s_cselect_b32 s4, -1, 0
	s_delay_alu instid0(SALU_CYCLE_1)
	s_and_b32 vcc_lo, exec_lo, s4
	s_mov_b32 s4, s5
	s_cbranch_vccnz .LBB5_37
; %bb.33:
	s_lshl_b32 s4, s5, 2
	s_cmp_le_i32 s28, s5
	v_or_b32_e32 v1, s4, v0
	s_delay_alu instid0(VALU_DEP_1)
	v_lshlrev_b32_e32 v2, 2, v1
	ds_load_b32 v1, v2 offset:64
	s_cbranch_scc1 .LBB5_36
; %bb.34:
	s_lshl_b32 s10, s20, 4
	s_delay_alu instid0(SALU_CYCLE_1) | instskip(SKIP_3) | instid1(VALU_DEP_1)
	v_lshl_or_b32 v3, v0, 2, s10
	s_add_i32 s4, s10, s4
	s_mov_b32 s10, s28
	s_add_i32 s4, s4, -16
	v_add_nc_u32_e32 v3, 48, v3
.LBB5_35:                               ; =>This Inner Loop Header: Depth=1
	v_mov_b32_e32 v4, s4
	s_add_i32 s10, s10, -1
	s_add_i32 s4, s4, -16
	s_cmp_gt_i32 s10, s5
	ds_load_b32 v5, v3
	ds_load_b32 v4, v4
	v_add_nc_u32_e32 v3, -16, v3
	s_waitcnt lgkmcnt(0)
	v_fma_f32 v1, -v5, v4, v1
	s_cbranch_scc1 .LBB5_35
.LBB5_36:
	s_mul_i32 s4, s5, 20
	s_delay_alu instid0(SALU_CYCLE_1) | instskip(SKIP_4) | instid1(VALU_DEP_1)
	v_dual_mov_b32 v3, s4 :: v_dual_add_nc_u32 v2, 64, v2
	s_add_i32 s4, s5, -1
	ds_load_b32 v3, v3
	s_waitcnt lgkmcnt(0)
	v_div_scale_f32 v4, null, v3, v3, v1
	v_rcp_f32_e32 v5, v4
	s_waitcnt_depctr 0xfff
	v_fma_f32 v6, -v4, v5, 1.0
	s_delay_alu instid0(VALU_DEP_1) | instskip(SKIP_1) | instid1(VALU_DEP_1)
	v_fmac_f32_e32 v5, v6, v5
	v_div_scale_f32 v6, vcc_lo, v1, v3, v1
	v_mul_f32_e32 v7, v6, v5
	s_delay_alu instid0(VALU_DEP_1) | instskip(NEXT) | instid1(VALU_DEP_1)
	v_fma_f32 v8, -v4, v7, v6
	v_fmac_f32_e32 v7, v8, v5
	s_delay_alu instid0(VALU_DEP_1) | instskip(NEXT) | instid1(VALU_DEP_1)
	v_fma_f32 v4, -v4, v7, v6
	v_div_fmas_f32 v4, v4, v5, v7
	s_delay_alu instid0(VALU_DEP_1)
	v_div_fixup_f32 v1, v4, v3, v1
	ds_store_b32 v2, v1
.LBB5_37:
	s_cmp_eq_u32 s5, 0
	s_cbranch_scc1 .LBB5_44
; %bb.38:
	s_lshl_b32 s5, s20, 4
	s_lshl_b32 s10, s4, 2
	v_lshl_or_b32 v1, v0, 2, s5
	v_lshlrev_b32_e32 v2, 2, v0
	s_add_i32 s10, s5, s10
	s_delay_alu instid0(SALU_CYCLE_1) | instskip(NEXT) | instid1(VALU_DEP_2)
	s_add_i32 s5, s10, -16
	v_add_nc_u32_e32 v1, 48, v1
	s_sub_i32 s10, s10, 20
	s_branch .LBB5_40
.LBB5_39:                               ;   in Loop: Header=BB5_40 Depth=1
	s_sub_i32 s11, s11, 20
	v_add_nc_u32_e32 v3, 64, v5
	v_mov_b32_e32 v5, s11
	s_add_i32 s11, s4, -2
	s_add_i32 s5, s5, -8
	;; [unrolled: 1-line block ×3, first 2 shown]
	s_cmp_lt_i32 s4, 2
	ds_load_b32 v5, v5
	s_mov_b32 s4, s11
	s_waitcnt lgkmcnt(0)
	v_div_scale_f32 v6, null, v5, v5, v4
	v_div_scale_f32 v9, vcc_lo, v4, v5, v4
	s_delay_alu instid0(VALU_DEP_2) | instskip(SKIP_2) | instid1(VALU_DEP_1)
	v_rcp_f32_e32 v7, v6
	s_waitcnt_depctr 0xfff
	v_fma_f32 v8, -v6, v7, 1.0
	v_fmac_f32_e32 v7, v8, v7
	s_delay_alu instid0(VALU_DEP_1) | instskip(NEXT) | instid1(VALU_DEP_1)
	v_mul_f32_e32 v8, v9, v7
	v_fma_f32 v10, -v6, v8, v9
	s_delay_alu instid0(VALU_DEP_1) | instskip(NEXT) | instid1(VALU_DEP_1)
	v_fmac_f32_e32 v8, v10, v7
	v_fma_f32 v6, -v6, v8, v9
	s_delay_alu instid0(VALU_DEP_1) | instskip(NEXT) | instid1(VALU_DEP_1)
	v_div_fmas_f32 v6, v6, v7, v8
	v_div_fixup_f32 v4, v6, v5, v4
	ds_store_b32 v3, v4
	s_cbranch_scc1 .LBB5_44
.LBB5_40:                               ; =>This Loop Header: Depth=1
                                        ;     Child Loop BB5_41 Depth 2
                                        ;     Child Loop BB5_43 Depth 2
	v_lshl_or_b32 v4, s4, 4, v2
	s_delay_alu instid0(VALU_DEP_2)
	v_mov_b32_e32 v5, v1
	s_cmp_le_i32 s28, s4
	s_mov_b32 s11, s5
	s_mov_b32 s13, s28
	ds_load_b32 v3, v4 offset:64
	s_cbranch_scc1 .LBB5_42
.LBB5_41:                               ;   Parent Loop BB5_40 Depth=1
                                        ; =>  This Inner Loop Header: Depth=2
	v_mov_b32_e32 v6, s11
	s_add_i32 s13, s13, -1
	s_add_i32 s11, s11, -16
	s_cmp_le_i32 s13, s4
	ds_load_b32 v7, v5
	ds_load_b32 v6, v6
	v_add_nc_u32_e32 v5, -16, v5
	s_waitcnt lgkmcnt(0)
	v_fma_f32 v3, -v7, v6, v3
	s_cbranch_scc0 .LBB5_41
.LBB5_42:                               ;   in Loop: Header=BB5_40 Depth=1
	s_mul_i32 s11, s4, 20
	v_add_nc_u32_e32 v6, 64, v4
	v_mov_b32_e32 v4, s11
	s_lshl_b32 s13, s4, 4
	s_mov_b32 s14, s20
	s_add_i32 s13, s13, -16
	s_cmp_lt_i32 s28, s4
	ds_load_b32 v7, v4
	v_lshl_or_b32 v5, v0, 2, s13
	s_mov_b32 s13, s10
	ds_load_b32 v4, v5 offset:64
	s_waitcnt lgkmcnt(1)
	v_div_scale_f32 v8, null, v7, v7, v3
	s_delay_alu instid0(VALU_DEP_1) | instskip(SKIP_2) | instid1(VALU_DEP_1)
	v_rcp_f32_e32 v9, v8
	s_waitcnt_depctr 0xfff
	v_fma_f32 v10, -v8, v9, 1.0
	v_fmac_f32_e32 v9, v10, v9
	v_div_scale_f32 v10, vcc_lo, v3, v7, v3
	s_delay_alu instid0(VALU_DEP_1) | instskip(NEXT) | instid1(VALU_DEP_1)
	v_mul_f32_e32 v11, v10, v9
	v_fma_f32 v12, -v8, v11, v10
	s_delay_alu instid0(VALU_DEP_1) | instskip(NEXT) | instid1(VALU_DEP_1)
	v_fmac_f32_e32 v11, v12, v9
	v_fma_f32 v8, -v8, v11, v10
	s_delay_alu instid0(VALU_DEP_1) | instskip(NEXT) | instid1(VALU_DEP_1)
	v_div_fmas_f32 v8, v8, v9, v11
	v_div_fixup_f32 v7, v8, v7, v3
	v_mov_b32_e32 v3, v1
	ds_store_b32 v6, v7
	s_cbranch_scc1 .LBB5_39
.LBB5_43:                               ;   Parent Loop BB5_40 Depth=1
                                        ; =>  This Inner Loop Header: Depth=2
	v_mov_b32_e32 v6, s13
	s_add_i32 s14, s14, -1
	s_add_i32 s13, s13, -16
	s_cmp_gt_i32 s14, s4
	ds_load_b32 v7, v3
	ds_load_b32 v6, v6
	v_add_nc_u32_e32 v3, -16, v3
	s_waitcnt lgkmcnt(0)
	v_fma_f32 v4, -v7, v6, v4
	s_cbranch_scc1 .LBB5_43
	s_branch .LBB5_39
.LBB5_44:
	s_mov_b32 s4, 0
.LBB5_45:
	s_delay_alu instid0(SALU_CYCLE_1)
	s_and_not1_b32 vcc_lo, exec_lo, s4
	s_cbranch_vccnz .LBB5_61
; %bb.46:
	s_and_b32 vcc_lo, exec_lo, s1
	s_mov_b32 s4, s28
	s_cbranch_vccz .LBB5_48
; %bb.47:
	s_mul_i32 s1, s28, 20
	s_delay_alu instid0(SALU_CYCLE_1) | instskip(SKIP_3) | instid1(VALU_DEP_1)
	v_dual_mov_b32 v2, s1 :: v_dual_lshlrev_b32 v1, 2, v0
	s_lshl_b32 s4, s20, 2
	s_sub_i32 s11, s1, 20
	s_add_i32 s5, s4, -12
	v_lshl_or_b32 v8, s28, 4, v1
	s_add_i32 s4, s4, -16
	s_add_i32 s10, s20, -2
	ds_load_b32 v3, v2
	ds_load_b32 v4, v8 offset:64
	v_or_b32_e32 v5, s4, v0
	v_or_b32_e32 v2, s5, v0
	s_add_i32 s5, s5, s28
	v_lshl_or_b32 v9, s10, 4, v1
	s_lshl_b32 s5, s5, 2
	s_delay_alu instid0(VALU_DEP_2) | instskip(SKIP_1) | instid1(SALU_CYCLE_1)
	v_dual_mov_b32 v1, s11 :: v_dual_lshlrev_b32 v10, 2, v2
	s_add_i32 s4, s4, s10
	s_lshl_b32 s4, s4, 2
	s_waitcnt lgkmcnt(0)
	v_div_scale_f32 v13, null, v3, v3, v4
	v_div_scale_f32 v16, vcc_lo, v4, v3, v4
	s_delay_alu instid0(VALU_DEP_2)
	v_rcp_f32_e32 v14, v13
	s_waitcnt_depctr 0xfff
	v_fma_f32 v15, -v13, v14, 1.0
	v_lshlrev_b32_e32 v11, 2, v5
	v_mov_b32_e32 v5, s5
	s_sub_i32 s5, s1, 40
	s_sub_i32 s1, s1, 60
	v_fmac_f32_e32 v14, v15, v14
	ds_load_b32 v6, v9 offset:64
	ds_load_b32 v7, v10 offset:64
	;; [unrolled: 1-line block ×3, first 2 shown]
	ds_load_2addr_b32 v[1:2], v1 offset1:1
	ds_load_b32 v5, v5
	v_mul_f32_e32 v15, v16, v14
	s_delay_alu instid0(VALU_DEP_1) | instskip(NEXT) | instid1(VALU_DEP_1)
	v_fma_f32 v17, -v13, v15, v16
	v_fmac_f32_e32 v15, v17, v14
	s_delay_alu instid0(VALU_DEP_1) | instskip(NEXT) | instid1(VALU_DEP_1)
	v_fma_f32 v13, -v13, v15, v16
	v_div_fmas_f32 v13, v13, v14, v15
	s_delay_alu instid0(VALU_DEP_1) | instskip(SKIP_2) | instid1(VALU_DEP_2)
	v_div_fixup_f32 v13, v13, v3, v4
	v_mov_b32_e32 v3, s5
	s_waitcnt lgkmcnt(1)
	v_fma_f32 v4, -v13, v2, v6
	s_delay_alu instid0(VALU_DEP_1) | instskip(SKIP_1) | instid1(VALU_DEP_2)
	v_div_scale_f32 v6, null, v1, v1, v4
	v_div_scale_f32 v15, vcc_lo, v4, v1, v4
	v_rcp_f32_e32 v14, v6
	s_waitcnt_depctr 0xfff
	v_fma_f32 v2, -v6, v14, 1.0
	s_delay_alu instid0(VALU_DEP_1) | instskip(NEXT) | instid1(VALU_DEP_1)
	v_fmac_f32_e32 v14, v2, v14
	v_mul_f32_e32 v16, v15, v14
	s_delay_alu instid0(VALU_DEP_1) | instskip(NEXT) | instid1(VALU_DEP_1)
	v_fma_f32 v2, -v6, v16, v15
	v_fmac_f32_e32 v16, v2, v14
	ds_load_2addr_b32 v[2:3], v3 offset1:1
	v_fma_f32 v6, -v6, v16, v15
	v_mov_b32_e32 v15, s4
	s_add_i32 s4, s20, -5
	s_delay_alu instid0(VALU_DEP_2) | instskip(SKIP_3) | instid1(VALU_DEP_3)
	v_div_fmas_f32 v6, v6, v14, v16
	s_waitcnt lgkmcnt(1)
	v_fma_f32 v16, -v13, v5, v7
	v_mov_b32_e32 v14, s1
	v_div_fixup_f32 v1, v6, v1, v4
	ds_load_2addr_b32 v[4:5], v15 offset1:1
	ds_load_2addr_b32 v[6:7], v14 offset1:1
	s_waitcnt lgkmcnt(2)
	v_fma_f32 v3, -v1, v3, v16
	s_delay_alu instid0(VALU_DEP_1) | instskip(SKIP_1) | instid1(VALU_DEP_2)
	v_div_scale_f32 v14, null, v2, v2, v3
	v_div_scale_f32 v17, vcc_lo, v3, v2, v3
	v_rcp_f32_e32 v15, v14
	s_waitcnt lgkmcnt(1)
	v_fma_f32 v5, -v13, v5, v12
	s_delay_alu instid0(VALU_DEP_1) | instskip(SKIP_2) | instid1(VALU_DEP_1)
	v_fma_f32 v4, -v1, v4, v5
	s_waitcnt_depctr 0xfff
	v_fma_f32 v16, -v14, v15, 1.0
	v_fmac_f32_e32 v15, v16, v15
	s_delay_alu instid0(VALU_DEP_1) | instskip(NEXT) | instid1(VALU_DEP_1)
	v_mul_f32_e32 v16, v17, v15
	v_fma_f32 v18, -v14, v16, v17
	s_delay_alu instid0(VALU_DEP_1) | instskip(NEXT) | instid1(VALU_DEP_1)
	v_fmac_f32_e32 v16, v18, v15
	v_fma_f32 v14, -v14, v16, v17
	s_delay_alu instid0(VALU_DEP_1) | instskip(NEXT) | instid1(VALU_DEP_1)
	v_div_fmas_f32 v12, v14, v15, v16
	v_div_fixup_f32 v2, v12, v2, v3
	s_waitcnt lgkmcnt(0)
	s_delay_alu instid0(VALU_DEP_1) | instskip(NEXT) | instid1(VALU_DEP_1)
	v_fma_f32 v3, -v2, v7, v4
	v_div_scale_f32 v4, null, v6, v6, v3
	s_delay_alu instid0(VALU_DEP_1) | instskip(SKIP_2) | instid1(VALU_DEP_1)
	v_rcp_f32_e32 v5, v4
	s_waitcnt_depctr 0xfff
	v_fma_f32 v7, -v4, v5, 1.0
	v_fmac_f32_e32 v5, v7, v5
	v_div_scale_f32 v7, vcc_lo, v3, v6, v3
	s_delay_alu instid0(VALU_DEP_1) | instskip(NEXT) | instid1(VALU_DEP_1)
	v_mul_f32_e32 v12, v7, v5
	v_fma_f32 v14, -v4, v12, v7
	s_delay_alu instid0(VALU_DEP_1) | instskip(NEXT) | instid1(VALU_DEP_1)
	v_fmac_f32_e32 v12, v14, v5
	v_fma_f32 v4, -v4, v12, v7
	s_delay_alu instid0(VALU_DEP_1) | instskip(NEXT) | instid1(VALU_DEP_1)
	v_div_fmas_f32 v4, v4, v5, v12
	v_div_fixup_f32 v3, v4, v6, v3
	ds_store_b32 v8, v13 offset:64
	ds_store_b32 v9, v1 offset:64
	;; [unrolled: 1-line block ×4, first 2 shown]
.LBB5_48:
	s_cmp_lt_i32 s4, 0
	s_cbranch_scc1 .LBB5_61
; %bb.49:
	s_bitcmp1_b32 s4, 0
	s_cselect_b32 s1, -1, 0
	s_delay_alu instid0(SALU_CYCLE_1)
	s_and_b32 vcc_lo, exec_lo, s1
	s_mov_b32 s1, s4
	s_cbranch_vccnz .LBB5_54
; %bb.50:
	v_lshlrev_b32_e32 v3, 2, v0
	s_cmp_le_i32 s28, s4
	s_delay_alu instid0(VALU_DEP_1)
	v_lshl_or_b32 v2, s4, 4, v3
	ds_load_b32 v1, v2 offset:64
	s_cbranch_scc1 .LBB5_53
; %bb.51:
	v_lshl_or_b32 v3, s20, 4, v3
	s_lshl_b32 s1, s4, 4
	s_lshl_b32 s5, s20, 2
	s_delay_alu instid0(SALU_CYCLE_1) | instskip(NEXT) | instid1(VALU_DEP_1)
	s_add_i32 s1, s1, s5
	v_add_nc_u32_e32 v3, 48, v3
	s_add_i32 s1, s1, -4
	s_mov_b32 s5, s28
.LBB5_52:                               ; =>This Inner Loop Header: Depth=1
	v_mov_b32_e32 v4, s1
	s_add_i32 s5, s5, -1
	s_add_i32 s1, s1, -4
	s_cmp_gt_i32 s5, s4
	ds_load_b32 v5, v3
	ds_load_b32 v4, v4
	v_add_nc_u32_e32 v3, -16, v3
	s_waitcnt lgkmcnt(0)
	v_fma_f32 v1, -v5, v4, v1
	s_cbranch_scc1 .LBB5_52
.LBB5_53:
	s_mul_i32 s1, s4, 20
	s_delay_alu instid0(SALU_CYCLE_1) | instskip(SKIP_4) | instid1(VALU_DEP_1)
	v_dual_mov_b32 v3, s1 :: v_dual_add_nc_u32 v2, 64, v2
	s_add_i32 s1, s4, -1
	ds_load_b32 v3, v3
	s_waitcnt lgkmcnt(0)
	v_div_scale_f32 v4, null, v3, v3, v1
	v_rcp_f32_e32 v5, v4
	s_waitcnt_depctr 0xfff
	v_fma_f32 v6, -v4, v5, 1.0
	s_delay_alu instid0(VALU_DEP_1) | instskip(SKIP_1) | instid1(VALU_DEP_1)
	v_fmac_f32_e32 v5, v6, v5
	v_div_scale_f32 v6, vcc_lo, v1, v3, v1
	v_mul_f32_e32 v7, v6, v5
	s_delay_alu instid0(VALU_DEP_1) | instskip(NEXT) | instid1(VALU_DEP_1)
	v_fma_f32 v8, -v4, v7, v6
	v_fmac_f32_e32 v7, v8, v5
	s_delay_alu instid0(VALU_DEP_1) | instskip(NEXT) | instid1(VALU_DEP_1)
	v_fma_f32 v4, -v4, v7, v6
	v_div_fmas_f32 v4, v4, v5, v7
	s_delay_alu instid0(VALU_DEP_1)
	v_div_fixup_f32 v1, v4, v3, v1
	ds_store_b32 v2, v1
.LBB5_54:
	s_cmp_eq_u32 s4, 0
	s_cbranch_scc1 .LBB5_61
; %bb.55:
	v_lshlrev_b32_e32 v1, 2, v0
	s_lshl_b32 s4, s1, 4
	s_lshl_b32 s5, s20, 2
	s_delay_alu instid0(SALU_CYCLE_1) | instskip(NEXT) | instid1(VALU_DEP_1)
	s_add_i32 s5, s4, s5
	v_lshl_or_b32 v2, s20, 4, v1
	s_add_i32 s4, s5, -4
	s_sub_i32 s5, s5, 20
	s_delay_alu instid0(VALU_DEP_1)
	v_add_nc_u32_e32 v2, 48, v2
	s_branch .LBB5_57
.LBB5_56:                               ;   in Loop: Header=BB5_57 Depth=1
	s_sub_i32 s10, s10, 20
	v_add_nc_u32_e32 v3, 64, v5
	v_mov_b32_e32 v5, s10
	s_add_i32 s10, s1, -2
	s_sub_i32 s4, s4, 32
	s_sub_i32 s5, s5, 32
	s_cmp_lt_i32 s1, 2
	ds_load_b32 v5, v5
	s_mov_b32 s1, s10
	s_waitcnt lgkmcnt(0)
	v_div_scale_f32 v6, null, v5, v5, v4
	v_div_scale_f32 v9, vcc_lo, v4, v5, v4
	s_delay_alu instid0(VALU_DEP_2) | instskip(SKIP_2) | instid1(VALU_DEP_1)
	v_rcp_f32_e32 v7, v6
	s_waitcnt_depctr 0xfff
	v_fma_f32 v8, -v6, v7, 1.0
	v_fmac_f32_e32 v7, v8, v7
	s_delay_alu instid0(VALU_DEP_1) | instskip(NEXT) | instid1(VALU_DEP_1)
	v_mul_f32_e32 v8, v9, v7
	v_fma_f32 v10, -v6, v8, v9
	s_delay_alu instid0(VALU_DEP_1) | instskip(NEXT) | instid1(VALU_DEP_1)
	v_fmac_f32_e32 v8, v10, v7
	v_fma_f32 v6, -v6, v8, v9
	s_delay_alu instid0(VALU_DEP_1) | instskip(NEXT) | instid1(VALU_DEP_1)
	v_div_fmas_f32 v6, v6, v7, v8
	v_div_fixup_f32 v4, v6, v5, v4
	ds_store_b32 v3, v4
	s_cbranch_scc1 .LBB5_61
.LBB5_57:                               ; =>This Loop Header: Depth=1
                                        ;     Child Loop BB5_58 Depth 2
                                        ;     Child Loop BB5_60 Depth 2
	v_lshl_or_b32 v4, s1, 4, v1
	s_delay_alu instid0(VALU_DEP_2)
	v_mov_b32_e32 v5, v2
	s_cmp_le_i32 s28, s1
	s_mov_b32 s10, s4
	s_mov_b32 s11, s28
	ds_load_b32 v3, v4 offset:64
	s_cbranch_scc1 .LBB5_59
.LBB5_58:                               ;   Parent Loop BB5_57 Depth=1
                                        ; =>  This Inner Loop Header: Depth=2
	v_mov_b32_e32 v6, s10
	s_add_i32 s11, s11, -1
	s_add_i32 s10, s10, -4
	s_cmp_le_i32 s11, s1
	ds_load_b32 v7, v5
	ds_load_b32 v6, v6
	v_add_nc_u32_e32 v5, -16, v5
	s_waitcnt lgkmcnt(0)
	v_fma_f32 v3, -v7, v6, v3
	s_cbranch_scc0 .LBB5_58
.LBB5_59:                               ;   in Loop: Header=BB5_57 Depth=1
	s_mul_i32 s10, s1, 20
	v_add_nc_u32_e32 v6, 64, v4
	v_mov_b32_e32 v4, s10
	s_lshl_b32 s11, s1, 4
	s_mov_b32 s13, s20
	s_add_i32 s11, s11, -16
	s_cmp_lt_i32 s28, s1
	ds_load_b32 v7, v4
	v_lshl_or_b32 v5, v0, 2, s11
	s_mov_b32 s11, s5
	ds_load_b32 v4, v5 offset:64
	s_waitcnt lgkmcnt(1)
	v_div_scale_f32 v8, null, v7, v7, v3
	s_delay_alu instid0(VALU_DEP_1) | instskip(SKIP_2) | instid1(VALU_DEP_1)
	v_rcp_f32_e32 v9, v8
	s_waitcnt_depctr 0xfff
	v_fma_f32 v10, -v8, v9, 1.0
	v_fmac_f32_e32 v9, v10, v9
	v_div_scale_f32 v10, vcc_lo, v3, v7, v3
	s_delay_alu instid0(VALU_DEP_1) | instskip(NEXT) | instid1(VALU_DEP_1)
	v_mul_f32_e32 v11, v10, v9
	v_fma_f32 v12, -v8, v11, v10
	s_delay_alu instid0(VALU_DEP_1) | instskip(NEXT) | instid1(VALU_DEP_1)
	v_fmac_f32_e32 v11, v12, v9
	v_fma_f32 v8, -v8, v11, v10
	s_delay_alu instid0(VALU_DEP_1) | instskip(NEXT) | instid1(VALU_DEP_1)
	v_div_fmas_f32 v8, v8, v9, v11
	v_div_fixup_f32 v7, v8, v7, v3
	v_mov_b32_e32 v3, v2
	ds_store_b32 v6, v7
	s_cbranch_scc1 .LBB5_56
.LBB5_60:                               ;   Parent Loop BB5_57 Depth=1
                                        ; =>  This Inner Loop Header: Depth=2
	v_mov_b32_e32 v6, s11
	s_add_i32 s13, s13, -1
	s_add_i32 s11, s11, -4
	s_cmp_gt_i32 s13, s1
	ds_load_b32 v7, v3
	ds_load_b32 v6, v6
	v_add_nc_u32_e32 v3, -16, v3
	s_waitcnt lgkmcnt(0)
	v_fma_f32 v4, -v7, v6, v4
	s_cbranch_scc1 .LBB5_60
	s_branch .LBB5_56
.LBB5_61:
	s_mov_b32 s10, 0
.LBB5_62:
	s_delay_alu instid0(SALU_CYCLE_1)
	s_and_not1_b32 vcc_lo, exec_lo, s10
	s_cbranch_vccnz .LBB5_71
; %bb.63:
	s_cmp_gt_i32 s12, 3
	s_mov_b32 s1, 0
	s_cbranch_scc0 .LBB5_65
; %bb.64:
	v_dual_mov_b32 v11, 0 :: v_dual_lshlrev_b32 v10, 2, v0
	s_mov_b32 s1, 4
	ds_load_2addr_b32 v[1:2], v10 offset0:16 offset1:20
	ds_load_b32 v8, v11
	ds_load_b64 v[6:7], v11 offset:16
	ds_load_b96 v[3:5], v11 offset:32
	s_waitcnt lgkmcnt(2)
	v_div_scale_f32 v9, null, v8, v8, v1
	v_div_scale_f32 v14, vcc_lo, v1, v8, v1
	s_delay_alu instid0(VALU_DEP_2) | instskip(SKIP_2) | instid1(VALU_DEP_1)
	v_rcp_f32_e32 v12, v9
	s_waitcnt_depctr 0xfff
	v_fma_f32 v13, -v9, v12, 1.0
	v_fmac_f32_e32 v12, v13, v12
	s_delay_alu instid0(VALU_DEP_1) | instskip(NEXT) | instid1(VALU_DEP_1)
	v_mul_f32_e32 v13, v14, v12
	v_fma_f32 v15, -v9, v13, v14
	s_delay_alu instid0(VALU_DEP_1) | instskip(NEXT) | instid1(VALU_DEP_1)
	v_fmac_f32_e32 v13, v15, v12
	v_fma_f32 v9, -v9, v13, v14
	s_delay_alu instid0(VALU_DEP_1) | instskip(NEXT) | instid1(VALU_DEP_1)
	v_div_fmas_f32 v9, v9, v12, v13
	v_div_fixup_f32 v12, v9, v8, v1
	s_waitcnt lgkmcnt(1)
	s_delay_alu instid0(VALU_DEP_1) | instskip(NEXT) | instid1(VALU_DEP_1)
	v_fma_f32 v1, -v12, v6, v2
	v_div_scale_f32 v2, null, v7, v7, v1
	v_div_scale_f32 v13, vcc_lo, v1, v7, v1
	s_delay_alu instid0(VALU_DEP_2) | instskip(SKIP_2) | instid1(VALU_DEP_1)
	v_rcp_f32_e32 v6, v2
	s_waitcnt_depctr 0xfff
	v_fma_f32 v8, -v2, v6, 1.0
	v_fmac_f32_e32 v6, v8, v6
	ds_load_2addr_b32 v[8:9], v10 offset0:24 offset1:28
	v_mul_f32_e32 v14, v13, v6
	s_delay_alu instid0(VALU_DEP_1) | instskip(NEXT) | instid1(VALU_DEP_1)
	v_fma_f32 v15, -v2, v14, v13
	v_fmac_f32_e32 v14, v15, v6
	s_delay_alu instid0(VALU_DEP_1) | instskip(SKIP_2) | instid1(VALU_DEP_2)
	v_fma_f32 v2, -v2, v14, v13
	s_waitcnt lgkmcnt(0)
	v_fma_f32 v3, -v12, v3, v8
	v_div_fmas_f32 v2, v2, v6, v14
	s_delay_alu instid0(VALU_DEP_1) | instskip(NEXT) | instid1(VALU_DEP_1)
	v_div_fixup_f32 v6, v2, v7, v1
	v_fma_f32 v7, -v6, v4, v3
	ds_store_2addr_b32 v10, v12, v6 offset0:16 offset1:20
	v_div_scale_f32 v8, null, v5, v5, v7
	v_div_scale_f32 v14, vcc_lo, v7, v5, v7
	s_delay_alu instid0(VALU_DEP_2) | instskip(SKIP_2) | instid1(VALU_DEP_1)
	v_rcp_f32_e32 v13, v8
	s_waitcnt_depctr 0xfff
	v_fma_f32 v1, -v8, v13, 1.0
	v_fmac_f32_e32 v13, v1, v13
	ds_load_b128 v[1:4], v11 offset:48
	v_mul_f32_e32 v11, v14, v13
	s_delay_alu instid0(VALU_DEP_1) | instskip(NEXT) | instid1(VALU_DEP_1)
	v_fma_f32 v15, -v8, v11, v14
	v_fmac_f32_e32 v11, v15, v13
	s_delay_alu instid0(VALU_DEP_1) | instskip(SKIP_2) | instid1(VALU_DEP_2)
	v_fma_f32 v8, -v8, v11, v14
	s_waitcnt lgkmcnt(0)
	v_fma_f32 v1, -v12, v1, v9
	v_div_fmas_f32 v8, v8, v13, v11
	s_delay_alu instid0(VALU_DEP_2) | instskip(NEXT) | instid1(VALU_DEP_2)
	v_fma_f32 v1, -v6, v2, v1
	v_div_fixup_f32 v2, v8, v5, v7
	s_delay_alu instid0(VALU_DEP_1) | instskip(NEXT) | instid1(VALU_DEP_1)
	v_fma_f32 v1, -v2, v3, v1
	v_div_scale_f32 v3, null, v4, v4, v1
	s_delay_alu instid0(VALU_DEP_1) | instskip(SKIP_2) | instid1(VALU_DEP_1)
	v_rcp_f32_e32 v5, v3
	s_waitcnt_depctr 0xfff
	v_fma_f32 v7, -v3, v5, 1.0
	v_fmac_f32_e32 v5, v7, v5
	v_div_scale_f32 v7, vcc_lo, v1, v4, v1
	s_delay_alu instid0(VALU_DEP_1) | instskip(NEXT) | instid1(VALU_DEP_1)
	v_mul_f32_e32 v8, v7, v5
	v_fma_f32 v9, -v3, v8, v7
	s_delay_alu instid0(VALU_DEP_1) | instskip(NEXT) | instid1(VALU_DEP_1)
	v_fmac_f32_e32 v8, v9, v5
	v_fma_f32 v3, -v3, v8, v7
	s_delay_alu instid0(VALU_DEP_1) | instskip(NEXT) | instid1(VALU_DEP_1)
	v_div_fmas_f32 v3, v3, v5, v8
	v_div_fixup_f32 v1, v3, v4, v1
	ds_store_2addr_b32 v10, v2, v1 offset0:24 offset1:28
.LBB5_65:
	s_cmp_ge_i32 s1, s20
	s_cbranch_scc1 .LBB5_71
; %bb.66:
	v_lshl_or_b32 v1, v0, 2, 64
	v_lshlrev_b32_e32 v2, 2, v0
	s_lshl_b32 s4, s1, 4
	s_branch .LBB5_68
.LBB5_67:                               ;   in Loop: Header=BB5_68 Depth=1
	s_mul_i32 s5, s1, 20
	s_delay_alu instid0(SALU_CYCLE_1)
	v_dual_mov_b32 v5, s5 :: v_dual_add_nc_u32 v4, 64, v4
	s_add_i32 s1, s1, 1
	s_add_i32 s4, s4, 16
	s_cmp_ge_i32 s1, s20
	ds_load_b32 v5, v5
	s_waitcnt lgkmcnt(0)
	v_div_scale_f32 v6, null, v5, v5, v3
	s_delay_alu instid0(VALU_DEP_1) | instskip(SKIP_2) | instid1(VALU_DEP_1)
	v_rcp_f32_e32 v7, v6
	s_waitcnt_depctr 0xfff
	v_fma_f32 v8, -v6, v7, 1.0
	v_fmac_f32_e32 v7, v8, v7
	v_div_scale_f32 v8, vcc_lo, v3, v5, v3
	s_delay_alu instid0(VALU_DEP_1) | instskip(NEXT) | instid1(VALU_DEP_1)
	v_mul_f32_e32 v9, v8, v7
	v_fma_f32 v10, -v6, v9, v8
	s_delay_alu instid0(VALU_DEP_1) | instskip(NEXT) | instid1(VALU_DEP_1)
	v_fmac_f32_e32 v9, v10, v7
	v_fma_f32 v6, -v6, v9, v8
	s_delay_alu instid0(VALU_DEP_1) | instskip(NEXT) | instid1(VALU_DEP_1)
	v_div_fmas_f32 v6, v6, v7, v9
	v_div_fixup_f32 v3, v6, v5, v3
	ds_store_b32 v4, v3
	s_cbranch_scc1 .LBB5_71
.LBB5_68:                               ; =>This Loop Header: Depth=1
                                        ;     Child Loop BB5_70 Depth 2
	s_delay_alu instid0(VALU_DEP_1)
	v_lshl_or_b32 v4, s1, 4, v2
	s_cmp_eq_u32 s1, 0
	ds_load_b32 v3, v4 offset:64
	s_cbranch_scc1 .LBB5_67
; %bb.69:                               ;   in Loop: Header=BB5_68 Depth=1
	v_mov_b32_e32 v5, v1
	s_mov_b32 s5, 0
	s_mov_b32 s10, s4
.LBB5_70:                               ;   Parent Loop BB5_68 Depth=1
                                        ; =>  This Inner Loop Header: Depth=2
	s_delay_alu instid0(SALU_CYCLE_1)
	v_mov_b32_e32 v6, s10
	s_add_i32 s5, s5, 1
	s_add_i32 s10, s10, 4
	s_cmp_ge_u32 s5, s1
	ds_load_b32 v7, v5
	ds_load_b32 v6, v6
	v_add_nc_u32_e32 v5, 16, v5
	s_waitcnt lgkmcnt(0)
	v_fma_f32 v3, -v7, v6, v3
	s_cbranch_scc0 .LBB5_70
	s_branch .LBB5_67
.LBB5_71:
	s_and_saveexec_b32 s1, s21
	s_cbranch_execz .LBB5_78
; %bb.72:
	v_lshlrev_b32_e32 v3, 2, v0
	s_ashr_i32 s1, s0, 31
	s_cmp_lt_u32 s12, 4
	s_mov_b32 s13, 0
	s_cbranch_scc1 .LBB5_75
; %bb.73:
	v_add_co_u32 v1, s4, s18, v3
	s_delay_alu instid0(VALU_DEP_1)
	v_add_co_ci_u32_e64 v2, null, s19, 0, s4
	v_lshl_or_b32 v0, v0, 2, 64
	s_and_b32 s13, s12, 0x7ffffffc
	s_mul_hi_i32 s16, s0, 12
	s_mul_i32 s17, s0, 12
	s_lshl_b64 s[4:5], s[0:1], 4
	s_lshl_b64 s[10:11], s[0:1], 3
	;; [unrolled: 1-line block ×3, first 2 shown]
	s_mov_b32 s18, 0
	.p2align	6
.LBB5_74:                               ; =>This Inner Loop Header: Depth=1
	ds_load_2addr_b32 v[4:5], v0 offset1:4
	ds_load_2addr_b32 v[6:7], v0 offset0:8 offset1:12
	v_add_co_u32 v8, vcc_lo, v1, s14
	v_add_co_ci_u32_e32 v9, vcc_lo, s15, v2, vcc_lo
	v_add_co_u32 v10, vcc_lo, v1, s10
	v_add_co_ci_u32_e32 v11, vcc_lo, s11, v2, vcc_lo
	;; [unrolled: 2-line block ×3, first 2 shown]
	v_add_nc_u32_e32 v0, 64, v0
	s_add_i32 s18, s18, 4
	s_delay_alu instid0(SALU_CYCLE_1)
	s_cmp_lg_u32 s13, s18
	s_waitcnt lgkmcnt(1)
	global_store_b32 v[1:2], v4, off
	v_add_co_u32 v1, vcc_lo, v1, s4
	v_add_co_ci_u32_e32 v2, vcc_lo, s5, v2, vcc_lo
	global_store_b32 v[8:9], v5, off
	s_waitcnt lgkmcnt(0)
	s_clause 0x1
	global_store_b32 v[10:11], v6, off
	global_store_b32 v[12:13], v7, off
	s_cbranch_scc1 .LBB5_74
.LBB5_75:
	s_and_b32 s4, s12, 3
	s_delay_alu instid0(SALU_CYCLE_1)
	s_cmp_eq_u32 s4, 0
	s_cbranch_scc1 .LBB5_78
; %bb.76:
	s_mul_hi_i32 s11, s0, s13
	s_mul_i32 s10, s0, s13
	v_lshl_or_b32 v2, s13, 4, v3
	s_lshl_b64 s[10:11], s[10:11], 2
	s_delay_alu instid0(SALU_CYCLE_1)
	s_add_u32 s5, s10, s6
	s_addc_u32 s6, s11, s7
	s_add_u32 s5, s5, s8
	s_addc_u32 s6, s6, s9
	;; [unrolled: 2-line block ×3, first 2 shown]
	v_add_co_u32 v0, s2, s2, v3
	s_delay_alu instid0(VALU_DEP_1)
	v_add_co_ci_u32_e64 v1, null, s3, 0, s2
	v_add_nc_u32_e32 v2, 64, v2
	s_lshl_b64 s[0:1], s[0:1], 2
.LBB5_77:                               ; =>This Inner Loop Header: Depth=1
	ds_load_b32 v3, v2
	v_add_nc_u32_e32 v2, 16, v2
	s_add_i32 s4, s4, -1
	s_delay_alu instid0(SALU_CYCLE_1)
	s_cmp_lg_u32 s4, 0
	s_waitcnt lgkmcnt(0)
	global_store_b32 v[0:1], v3, off
	v_add_co_u32 v0, vcc_lo, v0, s0
	v_add_co_ci_u32_e32 v1, vcc_lo, s1, v1, vcc_lo
	s_cbranch_scc1 .LBB5_77
.LBB5_78:
	s_nop 0
	s_sendmsg sendmsg(MSG_DEALLOC_VGPRS)
	s_endpgm
	.section	.rodata,"a",@progbits
	.p2align	6, 0x0
	.amdhsa_kernel _ZL31rocblas_trsm_small_right_deviceIffPKPKfPKPfLi4EEv13rocblas_fill_18rocblas_operation_17rocblas_diagonal_iiT0_T1_lilT2_lili
		.amdhsa_group_segment_fixed_size 128
		.amdhsa_private_segment_fixed_size 0
		.amdhsa_kernarg_size 352
		.amdhsa_user_sgpr_count 14
		.amdhsa_user_sgpr_dispatch_ptr 0
		.amdhsa_user_sgpr_queue_ptr 0
		.amdhsa_user_sgpr_kernarg_segment_ptr 1
		.amdhsa_user_sgpr_dispatch_id 0
		.amdhsa_user_sgpr_private_segment_size 0
		.amdhsa_wavefront_size32 1
		.amdhsa_uses_dynamic_stack 0
		.amdhsa_enable_private_segment 0
		.amdhsa_system_sgpr_workgroup_id_x 1
		.amdhsa_system_sgpr_workgroup_id_y 0
		.amdhsa_system_sgpr_workgroup_id_z 1
		.amdhsa_system_sgpr_workgroup_info 0
		.amdhsa_system_vgpr_workitem_id 0
		.amdhsa_next_free_vgpr 20
		.amdhsa_next_free_sgpr 32
		.amdhsa_reserve_vcc 1
		.amdhsa_float_round_mode_32 0
		.amdhsa_float_round_mode_16_64 0
		.amdhsa_float_denorm_mode_32 3
		.amdhsa_float_denorm_mode_16_64 3
		.amdhsa_dx10_clamp 1
		.amdhsa_ieee_mode 1
		.amdhsa_fp16_overflow 0
		.amdhsa_workgroup_processor_mode 1
		.amdhsa_memory_ordered 1
		.amdhsa_forward_progress 0
		.amdhsa_shared_vgpr_count 0
		.amdhsa_exception_fp_ieee_invalid_op 0
		.amdhsa_exception_fp_denorm_src 0
		.amdhsa_exception_fp_ieee_div_zero 0
		.amdhsa_exception_fp_ieee_overflow 0
		.amdhsa_exception_fp_ieee_underflow 0
		.amdhsa_exception_fp_ieee_inexact 0
		.amdhsa_exception_int_div_zero 0
	.end_amdhsa_kernel
	.section	.text._ZL31rocblas_trsm_small_right_deviceIffPKPKfPKPfLi4EEv13rocblas_fill_18rocblas_operation_17rocblas_diagonal_iiT0_T1_lilT2_lili,"axG",@progbits,_ZL31rocblas_trsm_small_right_deviceIffPKPKfPKPfLi4EEv13rocblas_fill_18rocblas_operation_17rocblas_diagonal_iiT0_T1_lilT2_lili,comdat
.Lfunc_end5:
	.size	_ZL31rocblas_trsm_small_right_deviceIffPKPKfPKPfLi4EEv13rocblas_fill_18rocblas_operation_17rocblas_diagonal_iiT0_T1_lilT2_lili, .Lfunc_end5-_ZL31rocblas_trsm_small_right_deviceIffPKPKfPKPfLi4EEv13rocblas_fill_18rocblas_operation_17rocblas_diagonal_iiT0_T1_lilT2_lili
                                        ; -- End function
	.section	.AMDGPU.csdata,"",@progbits
; Kernel info:
; codeLenInByte = 6140
; NumSgprs: 34
; NumVgprs: 20
; ScratchSize: 0
; MemoryBound: 0
; FloatMode: 240
; IeeeMode: 1
; LDSByteSize: 128 bytes/workgroup (compile time only)
; SGPRBlocks: 4
; VGPRBlocks: 2
; NumSGPRsForWavesPerEU: 34
; NumVGPRsForWavesPerEU: 20
; Occupancy: 16
; WaveLimiterHint : 0
; COMPUTE_PGM_RSRC2:SCRATCH_EN: 0
; COMPUTE_PGM_RSRC2:USER_SGPR: 14
; COMPUTE_PGM_RSRC2:TRAP_HANDLER: 0
; COMPUTE_PGM_RSRC2:TGID_X_EN: 1
; COMPUTE_PGM_RSRC2:TGID_Y_EN: 0
; COMPUTE_PGM_RSRC2:TGID_Z_EN: 1
; COMPUTE_PGM_RSRC2:TIDIG_COMP_CNT: 0
	.section	.text._ZL38rocblas_trsm_small_left_device_sharedBILi8ELi8ELb0EffPKPKfPKPfEv13rocblas_fill_18rocblas_operation_17rocblas_diagonal_iiT3_T4_lilT5_lili,"axG",@progbits,_ZL38rocblas_trsm_small_left_device_sharedBILi8ELi8ELb0EffPKPKfPKPfEv13rocblas_fill_18rocblas_operation_17rocblas_diagonal_iiT3_T4_lilT5_lili,comdat
	.globl	_ZL38rocblas_trsm_small_left_device_sharedBILi8ELi8ELb0EffPKPKfPKPfEv13rocblas_fill_18rocblas_operation_17rocblas_diagonal_iiT3_T4_lilT5_lili ; -- Begin function _ZL38rocblas_trsm_small_left_device_sharedBILi8ELi8ELb0EffPKPKfPKPfEv13rocblas_fill_18rocblas_operation_17rocblas_diagonal_iiT3_T4_lilT5_lili
	.p2align	8
	.type	_ZL38rocblas_trsm_small_left_device_sharedBILi8ELi8ELb0EffPKPKfPKPfEv13rocblas_fill_18rocblas_operation_17rocblas_diagonal_iiT3_T4_lilT5_lili,@function
_ZL38rocblas_trsm_small_left_device_sharedBILi8ELi8ELb0EffPKPKfPKPfEv13rocblas_fill_18rocblas_operation_17rocblas_diagonal_iiT3_T4_lilT5_lili: ; @_ZL38rocblas_trsm_small_left_device_sharedBILi8ELi8ELb0EffPKPKfPKPfEv13rocblas_fill_18rocblas_operation_17rocblas_diagonal_iiT3_T4_lilT5_lili
; %bb.0:
	s_clause 0x1
	s_load_b128 s[8:11], s[0:1], 0x38
	s_load_b128 s[4:7], s[0:1], 0x4
	s_mov_b32 s12, s15
	s_mov_b32 s13, 0
	s_mov_b32 s27, exec_lo
	s_lshl_b64 s[20:21], s[12:13], 3
	s_waitcnt lgkmcnt(0)
	s_add_u32 s2, s8, s20
	s_addc_u32 s3, s9, s21
	s_load_b32 s26, s[0:1], 0x14
	s_load_b64 s[2:3], s[2:3], 0x0
	s_min_i32 s12, s6, 8
	s_delay_alu instid0(SALU_CYCLE_1)
	s_add_i32 s15, s12, -1
	v_cmpx_gt_i32_e64 s12, v0
	s_cbranch_execz .LBB6_10
; %bb.1:
	s_clause 0x1
	s_load_b32 s8, s[0:1], 0x28
	s_load_b128 s[16:19], s[0:1], 0x18
	s_waitcnt lgkmcnt(0)
	s_ashr_i32 s9, s8, 31
	s_add_u32 s16, s16, s20
	s_addc_u32 s17, s17, s21
	s_cmp_lt_u32 s15, 3
	s_load_b64 s[16:17], s[16:17], 0x0
	s_cbranch_scc1 .LBB6_4
; %bb.2:
	v_lshlrev_b32_e32 v3, 2, v0
	s_lshl_b64 s[20:21], s[18:19], 2
	s_mul_hi_i32 s28, s8, 12
	s_waitcnt lgkmcnt(0)
	s_add_u32 s13, s16, s20
	s_addc_u32 s20, s17, s21
	v_add_co_u32 v1, s13, s13, v3
	s_delay_alu instid0(VALU_DEP_1)
	v_add_co_ci_u32_e64 v2, null, s20, 0, s13
	s_and_b32 s13, s12, -4
	s_mul_i32 s29, s8, 12
	s_lshl_b64 s[20:21], s[8:9], 4
	s_lshl_b64 s[22:23], s[8:9], 3
	;; [unrolled: 1-line block ×3, first 2 shown]
	s_mov_b32 s30, 0
	.p2align	6
.LBB6_3:                                ; =>This Inner Loop Header: Depth=1
	v_add_co_u32 v4, vcc_lo, v1, s24
	v_add_co_ci_u32_e32 v5, vcc_lo, s25, v2, vcc_lo
	v_add_co_u32 v6, vcc_lo, v1, s22
	v_add_co_ci_u32_e32 v7, vcc_lo, s23, v2, vcc_lo
	;; [unrolled: 2-line block ×3, first 2 shown]
	s_clause 0x3
	global_load_b32 v10, v[1:2], off
	global_load_b32 v4, v[4:5], off
	;; [unrolled: 1-line block ×4, first 2 shown]
	v_add_co_u32 v1, vcc_lo, v1, s20
	v_add_co_ci_u32_e32 v2, vcc_lo, s21, v2, vcc_lo
	s_add_i32 s30, s30, 4
	s_waitcnt vmcnt(2)
	ds_store_2addr_b32 v3, v10, v4 offset1:8
	s_waitcnt vmcnt(0)
	ds_store_2addr_b32 v3, v5, v6 offset0:16 offset1:24
	v_add_nc_u32_e32 v3, 0x80, v3
	s_cmp_eq_u32 s13, s30
	s_cbranch_scc0 .LBB6_3
.LBB6_4:
	s_and_b32 s20, s12, 3
	s_delay_alu instid0(SALU_CYCLE_1)
	s_cmp_eq_u32 s20, 0
	s_cbranch_scc1 .LBB6_7
; %bb.5:
	s_mul_i32 s21, s9, s13
	s_mul_hi_u32 s22, s8, s13
	v_lshlrev_b32_e32 v1, 2, v0
	s_add_i32 s23, s22, s21
	s_mul_i32 s22, s8, s13
	s_lshl_b64 s[18:19], s[18:19], 2
	s_lshl_b64 s[22:23], s[22:23], 2
	v_lshl_or_b32 v3, s13, 5, v1
	s_add_u32 s13, s22, s18
	s_addc_u32 s18, s23, s19
	s_waitcnt lgkmcnt(0)
	s_add_u32 s13, s16, s13
	s_addc_u32 s16, s17, s18
	v_add_co_u32 v1, s13, s13, v1
	s_delay_alu instid0(VALU_DEP_1)
	v_add_co_ci_u32_e64 v2, null, s16, 0, s13
	s_lshl_b64 s[8:9], s[8:9], 2
.LBB6_6:                                ; =>This Inner Loop Header: Depth=1
	global_load_b32 v4, v[1:2], off
	v_add_co_u32 v1, vcc_lo, v1, s8
	v_add_co_ci_u32_e32 v2, vcc_lo, s9, v2, vcc_lo
	s_add_i32 s20, s20, -1
	s_delay_alu instid0(SALU_CYCLE_1)
	s_cmp_lg_u32 s20, 0
	s_waitcnt vmcnt(0)
	ds_store_b32 v3, v4
	v_add_nc_u32_e32 v3, 32, v3
	s_cbranch_scc1 .LBB6_6
.LBB6_7:
	v_mul_u32_u24_e32 v1, 9, v0
	s_cmpk_lg_i32 s5, 0x84
	s_delay_alu instid0(VALU_DEP_1)
	v_dual_mov_b32 v2, 1.0 :: v_dual_lshlrev_b32 v1, 2, v1
	s_cbranch_scc0 .LBB6_9
; %bb.8:
	ds_load_b32 v2, v1
	s_waitcnt lgkmcnt(0)
	v_div_scale_f32 v3, null, v2, v2, 1.0
	s_delay_alu instid0(VALU_DEP_1) | instskip(SKIP_2) | instid1(VALU_DEP_1)
	v_rcp_f32_e32 v4, v3
	s_waitcnt_depctr 0xfff
	v_fma_f32 v5, -v3, v4, 1.0
	v_fmac_f32_e32 v4, v5, v4
	v_div_scale_f32 v5, vcc_lo, 1.0, v2, 1.0
	s_delay_alu instid0(VALU_DEP_1) | instskip(NEXT) | instid1(VALU_DEP_1)
	v_mul_f32_e32 v6, v5, v4
	v_fma_f32 v7, -v3, v6, v5
	s_delay_alu instid0(VALU_DEP_1) | instskip(NEXT) | instid1(VALU_DEP_1)
	v_fmac_f32_e32 v6, v7, v4
	v_fma_f32 v3, -v3, v6, v5
	s_delay_alu instid0(VALU_DEP_1) | instskip(NEXT) | instid1(VALU_DEP_1)
	v_div_fmas_f32 v3, v3, v4, v6
	v_div_fixup_f32 v2, v3, v2, 1.0
.LBB6_9:
	ds_store_b32 v1, v2
.LBB6_10:
	s_or_b32 exec_lo, exec_lo, s27
	s_clause 0x1
	s_load_b32 s5, s[0:1], 0x60
	s_load_b32 s0, s[0:1], 0x48
	s_lshl_b64 s[8:9], s[10:11], 2
	v_lshlrev_b32_e32 v5, 2, v0
	s_waitcnt lgkmcnt(0)
	s_add_u32 s1, s2, s8
	s_addc_u32 s8, s3, s9
	s_lshl_b32 s2, s14, 3
	s_delay_alu instid0(SALU_CYCLE_1)
	s_sub_i32 s7, s7, s2
	s_add_i32 s5, s5, -1
	s_mul_hi_i32 s3, s0, s2
	s_cmp_ge_u32 s14, s5
	s_mul_i32 s2, s0, s2
	s_cselect_b32 s5, s7, 8
	s_lshl_b64 s[2:3], s[2:3], 2
	v_cmp_gt_i32_e32 vcc_lo, s5, v0
	s_add_u32 s1, s1, s2
	s_addc_u32 s2, s8, s3
	s_cmp_gt_i32 s6, 0
	s_mov_b32 s5, -1
	s_cselect_b32 s3, -1, 0
	s_delay_alu instid0(SALU_CYCLE_1) | instskip(NEXT) | instid1(SALU_CYCLE_1)
	s_and_b32 s3, vcc_lo, s3
	s_and_saveexec_b32 s7, s3
	s_cbranch_execz .LBB6_19
; %bb.11:
	v_mad_i64_i32 v[1:2], null, s0, v0, 0
	s_cmp_eq_u32 s6, 1
	s_delay_alu instid0(VALU_DEP_1) | instskip(NEXT) | instid1(VALU_DEP_1)
	v_lshlrev_b64 v[1:2], 2, v[1:2]
	v_add_co_u32 v1, vcc_lo, s1, v1
	s_delay_alu instid0(VALU_DEP_2)
	v_add_co_ci_u32_e32 v2, vcc_lo, s2, v2, vcc_lo
	global_load_b32 v3, v[1:2], off
	s_waitcnt vmcnt(0)
	v_mul_f32_e32 v3, s26, v3
	ds_store_b32 v5, v3 offset:256
	s_cbranch_scc1 .LBB6_19
; %bb.12:
	global_load_b32 v4, v[1:2], off offset:4
	v_or_b32_e32 v3, 0x100, v5
	s_cmp_eq_u32 s6, 2
	s_waitcnt vmcnt(0)
	v_mul_f32_e32 v4, s26, v4
	ds_store_b32 v3, v4 offset:32
	s_cbranch_scc1 .LBB6_19
; %bb.13:
	global_load_b32 v4, v[1:2], off offset:8
	s_cmp_eq_u32 s6, 3
	s_waitcnt vmcnt(0)
	v_mul_f32_e32 v4, s26, v4
	ds_store_b32 v3, v4 offset:64
	s_cbranch_scc1 .LBB6_19
; %bb.14:
	global_load_b32 v4, v[1:2], off offset:12
	;; [unrolled: 7-line block ×6, first 2 shown]
	s_waitcnt vmcnt(0)
	v_mul_f32_e32 v1, s26, v1
	ds_store_b32 v3, v1 offset:224
.LBB6_19:
	s_or_b32 exec_lo, exec_lo, s7
	s_cmpk_eq_i32 s4, 0x6f
	s_waitcnt vmcnt(0) lgkmcnt(0)
	s_waitcnt_vscnt null, 0x0
	; wave barrier
	s_waitcnt lgkmcnt(0)
	buffer_gl0_inv
	s_cbranch_scc1 .LBB6_42
; %bb.20:
	s_cmp_gt_i32 s6, 7
	s_cbranch_scc0 .LBB6_22
; %bb.21:
	v_mov_b32_e32 v31, 0
	s_mov_b32 s5, 8
	ds_load_2addr_b32 v[13:14], v5 offset0:64 offset1:72
	ds_load_b32 v10, v31
	ds_load_b64 v[17:18], v31 offset:32
	ds_load_2addr_b32 v[23:24], v5 offset0:80 offset1:88
	ds_load_b96 v[20:22], v31 offset:64
	ds_load_b128 v[1:4], v31 offset:96
	ds_load_2addr_b32 v[25:26], v5 offset0:96 offset1:104
	ds_load_b128 v[6:9], v31 offset:128
	s_waitcnt lgkmcnt(6)
	v_mul_f32_e32 v32, v13, v10
	ds_load_b128 v[10:13], v31 offset:160
	s_waitcnt lgkmcnt(6)
	v_fma_f32 v19, -v32, v17, v14
	ds_load_2addr_b32 v[27:28], v5 offset0:112 offset1:120
	ds_load_b128 v[14:17], v31 offset:192
	s_waitcnt lgkmcnt(6)
	v_fma_f32 v20, -v32, v20, v23
	s_waitcnt lgkmcnt(5)
	v_fma_f32 v1, -v32, v1, v24
	;; [unrolled: 2-line block ×3, first 2 shown]
	v_mul_f32_e32 v33, v19, v18
	s_delay_alu instid0(VALU_DEP_1)
	v_fma_f32 v23, -v33, v21, v20
	ds_load_b128 v[18:21], v31 offset:224
	ds_load_b32 v34, v31 offset:144
	v_fma_f32 v1, -v33, v2, v1
	ds_load_b64 v[29:30], v31 offset:176
	v_fma_f32 v6, -v33, v7, v6
	v_mul_f32_e32 v25, v23, v22
	ds_load_b96 v[22:24], v31 offset:208
	s_waitcnt lgkmcnt(6)
	v_fma_f32 v2, -v32, v10, v26
	v_fma_f32 v1, -v25, v3, v1
	s_waitcnt lgkmcnt(4)
	v_fma_f32 v7, -v32, v14, v27
	v_fma_f32 v6, -v25, v8, v6
	s_delay_alu instid0(VALU_DEP_3) | instskip(SKIP_1) | instid1(VALU_DEP_4)
	v_mul_f32_e32 v8, v1, v4
	v_fma_f32 v10, -v33, v11, v2
	v_fma_f32 v7, -v33, v15, v7
	ds_load_b128 v[1:4], v31 offset:240
	v_fma_f32 v6, -v8, v9, v6
	v_fma_f32 v10, -v25, v12, v10
	s_waitcnt lgkmcnt(4)
	v_fma_f32 v9, -v32, v18, v28
	v_fma_f32 v7, -v25, v16, v7
	s_waitcnt lgkmcnt(3)
	v_mul_f32_e32 v6, v6, v34
	v_fma_f32 v10, -v8, v13, v10
	v_fma_f32 v9, -v33, v19, v9
	;; [unrolled: 1-line block ×3, first 2 shown]
	s_waitcnt lgkmcnt(2)
	s_delay_alu instid0(VALU_DEP_3) | instskip(NEXT) | instid1(VALU_DEP_3)
	v_fma_f32 v10, -v6, v29, v10
	v_fma_f32 v9, -v25, v20, v9
	s_waitcnt lgkmcnt(1)
	v_fma_f32 v7, -v6, v22, v7
	s_delay_alu instid0(VALU_DEP_3) | instskip(NEXT) | instid1(VALU_DEP_3)
	v_mul_f32_e32 v10, v10, v30
	v_fma_f32 v9, -v8, v21, v9
	s_delay_alu instid0(VALU_DEP_2) | instskip(NEXT) | instid1(VALU_DEP_1)
	v_fma_f32 v7, -v10, v23, v7
	v_mul_f32_e32 v7, v7, v24
	s_waitcnt lgkmcnt(0)
	s_delay_alu instid0(VALU_DEP_3) | instskip(NEXT) | instid1(VALU_DEP_1)
	v_fma_f32 v1, -v6, v1, v9
	v_fma_f32 v1, -v10, v2, v1
	s_delay_alu instid0(VALU_DEP_1) | instskip(NEXT) | instid1(VALU_DEP_1)
	v_fma_f32 v1, -v7, v3, v1
	v_mul_f32_e32 v1, v1, v4
	ds_store_2addr_b32 v5, v32, v33 offset0:64 offset1:72
	ds_store_2addr_b32 v5, v25, v8 offset0:80 offset1:88
	;; [unrolled: 1-line block ×4, first 2 shown]
	s_cmp_lt_i32 s5, s12
	s_cbranch_scc1 .LBB6_23
	s_branch .LBB6_41
.LBB6_22:
	s_mov_b32 s5, 0
	s_delay_alu instid0(SALU_CYCLE_1)
	s_cmp_lt_i32 s5, s12
	s_cbranch_scc0 .LBB6_41
.LBB6_23:
	s_or_b32 s4, s5, 3
	s_delay_alu instid0(SALU_CYCLE_1)
	s_cmp_ge_u32 s4, s12
	s_cbranch_scc1 .LBB6_29
; %bb.24:
	v_lshl_or_b32 v6, v0, 2, 0x100
	s_lshl_b32 s7, s5, 5
.LBB6_25:                               ; =>This Loop Header: Depth=1
                                        ;     Child Loop BB6_26 Depth 2
	v_lshl_or_b32 v7, s5, 5, v5
	s_delay_alu instid0(VALU_DEP_2)
	v_mov_b32_e32 v8, v6
	s_cmp_eq_u32 s5, 0
	s_mov_b32 s4, s5
	s_mov_b32 s8, s7
	ds_load_2addr_b32 v[1:2], v7 offset0:64 offset1:72
	ds_load_2addr_b32 v[3:4], v7 offset0:80 offset1:88
	s_cbranch_scc1 .LBB6_27
.LBB6_26:                               ;   Parent Loop BB6_25 Depth=1
                                        ; =>  This Inner Loop Header: Depth=2
	v_mov_b32_e32 v21, s8
	s_add_i32 s4, s4, -4
	s_add_i32 s8, s8, 16
	s_cmp_lg_u32 s4, 0
	ds_load_2addr_b32 v[25:26], v8 offset1:8
	ds_load_b128 v[9:12], v21
	ds_load_b128 v[13:16], v21 offset:32
	ds_load_b128 v[17:20], v21 offset:64
	;; [unrolled: 1-line block ×3, first 2 shown]
	ds_load_2addr_b32 v[27:28], v8 offset0:16 offset1:24
	v_add_nc_u32_e32 v8, 0x80, v8
	s_waitcnt lgkmcnt(4)
	v_fma_f32 v1, -v25, v9, v1
	s_waitcnt lgkmcnt(3)
	v_fma_f32 v2, -v25, v13, v2
	;; [unrolled: 2-line block ×4, first 2 shown]
	v_fma_f32 v1, -v26, v10, v1
	v_fma_f32 v2, -v26, v14, v2
	;; [unrolled: 1-line block ×3, first 2 shown]
	s_delay_alu instid0(VALU_DEP_4)
	v_fma_f32 v4, -v26, v22, v4
	s_waitcnt lgkmcnt(0)
	v_fma_f32 v1, -v27, v11, v1
	v_fma_f32 v2, -v27, v15, v2
	v_fma_f32 v3, -v27, v19, v3
	v_fma_f32 v4, -v27, v23, v4
	s_delay_alu instid0(VALU_DEP_4) | instskip(NEXT) | instid1(VALU_DEP_4)
	v_fma_f32 v1, -v28, v12, v1
	v_fma_f32 v2, -v28, v16, v2
	s_delay_alu instid0(VALU_DEP_4) | instskip(NEXT) | instid1(VALU_DEP_4)
	v_fma_f32 v3, -v28, v20, v3
	v_fma_f32 v4, -v28, v24, v4
	s_cbranch_scc1 .LBB6_26
.LBB6_27:                               ;   in Loop: Header=BB6_25 Depth=1
	s_lshl_b32 s4, s5, 3
	s_mul_i32 s8, s5, 36
	s_or_b32 s9, s4, 8
	v_dual_mov_b32 v8, s8 :: v_dual_add_nc_u32 v7, 0x100, v7
	s_add_i32 s8, s9, s5
	s_or_b32 s10, s4, 16
	s_lshl_b32 s8, s8, 2
	s_add_i32 s11, s10, s5
	v_mov_b32_e32 v9, s8
	ds_load_b32 v17, v8
	s_lshl_b32 s8, s11, 2
	s_or_b32 s11, s4, 24
	s_addk_i32 s7, 0x80
	ds_load_b64 v[15:16], v9
	s_add_i32 s4, s11, s5
	v_mov_b32_e32 v8, s8
	s_lshl_b32 s4, s4, 2
	s_waitcnt lgkmcnt(1)
	v_mul_f32_e32 v1, v1, v17
	s_waitcnt lgkmcnt(0)
	s_delay_alu instid0(VALU_DEP_1) | instskip(SKIP_3) | instid1(VALU_DEP_2)
	v_fma_f32 v2, -v1, v15, v2
	v_mov_b32_e32 v9, s4
	s_add_i32 s4, s5, 4
	s_add_i32 s5, s5, 7
	v_mul_f32_e32 v2, v2, v16
	ds_load_b96 v[12:14], v8
	ds_load_b128 v[8:11], v9
	s_cmp_lt_i32 s5, s12
	s_waitcnt lgkmcnt(0)
	v_fma_f32 v4, -v1, v8, v4
	v_or_b32_e32 v8, s9, v0
	s_delay_alu instid0(VALU_DEP_2) | instskip(NEXT) | instid1(VALU_DEP_2)
	v_fma_f32 v4, -v2, v9, v4
	v_lshlrev_b32_e32 v8, 2, v8
	v_fma_f32 v3, -v1, v12, v3
	v_or_b32_e32 v12, s11, v0
	v_or_b32_e32 v9, s10, v0
	s_delay_alu instid0(VALU_DEP_3) | instskip(NEXT) | instid1(VALU_DEP_1)
	v_fma_f32 v3, -v2, v13, v3
	v_mul_f32_e32 v3, v3, v14
	s_delay_alu instid0(VALU_DEP_1) | instskip(SKIP_1) | instid1(VALU_DEP_2)
	v_fma_f32 v4, -v3, v10, v4
	v_lshlrev_b32_e32 v10, 2, v12
	v_dual_mul_f32 v4, v4, v11 :: v_dual_lshlrev_b32 v9, 2, v9
	ds_store_b32 v7, v1
	ds_store_b32 v8, v2 offset:256
	ds_store_b32 v9, v3 offset:256
	;; [unrolled: 1-line block ×3, first 2 shown]
	s_cbranch_scc0 .LBB6_30
; %bb.28:                               ;   in Loop: Header=BB6_25 Depth=1
	s_mov_b32 s5, s4
	s_branch .LBB6_25
.LBB6_29:
	s_mov_b32 s4, s5
.LBB6_30:
	s_delay_alu instid0(SALU_CYCLE_1)
	s_cmp_ge_i32 s4, s12
	s_cbranch_scc1 .LBB6_41
; %bb.31:
	v_lshl_or_b32 v1, v0, 2, 0x100
	s_add_i32 s5, s4, -1
	s_lshl_b32 s7, s4, 5
	s_mov_b32 s8, 0
	s_mov_b32 s9, s4
	s_branch .LBB6_33
.LBB6_32:                               ;   in Loop: Header=BB6_33 Depth=1
	s_mul_i32 s10, s4, 36
	v_add_nc_u16 v6, s9, 1
	v_mov_b32_e32 v4, s10
	s_add_i32 s4, s4, 1
	s_add_i32 s8, s8, 1
	;; [unrolled: 1-line block ×3, first 2 shown]
	v_readfirstlane_b32 s9, v6
	ds_load_b32 v4, v4
	v_add_nc_u32_e32 v2, 0x100, v2
	s_cmp_ge_i32 s4, s12
	s_waitcnt lgkmcnt(0)
	v_mul_f32_e32 v3, v3, v4
	ds_store_b32 v2, v3
	s_cbranch_scc1 .LBB6_41
.LBB6_33:                               ; =>This Loop Header: Depth=1
                                        ;     Child Loop BB6_36 Depth 2
                                        ;     Child Loop BB6_40 Depth 2
	v_lshl_or_b32 v2, s4, 5, v5
	s_cmp_eq_u32 s4, 0
	ds_load_b32 v3, v2 offset:256
	s_cbranch_scc1 .LBB6_32
; %bb.34:                               ;   in Loop: Header=BB6_33 Depth=1
	s_add_i32 s10, s5, s8
	s_delay_alu instid0(SALU_CYCLE_1)
	s_cmp_lt_u32 s10, 7
	s_cbranch_scc1 .LBB6_38
; %bb.35:                               ;   in Loop: Header=BB6_33 Depth=1
	v_mov_b32_e32 v4, v1
	s_and_b32 s10, s4, -8
	s_mov_b32 s11, 0
	s_mov_b32 s13, s7
	s_set_inst_prefetch_distance 0x1
	.p2align	6
.LBB6_36:                               ;   Parent Loop BB6_33 Depth=1
                                        ; =>  This Inner Loop Header: Depth=2
	v_mov_b32_e32 v10, s13
	s_add_i32 s11, s11, 8
	s_add_i32 s13, s13, 32
	s_cmp_lg_u32 s10, s11
	ds_load_2addr_b32 v[14:15], v4 offset1:8
	ds_load_b128 v[6:9], v10
	ds_load_2addr_b32 v[16:17], v4 offset0:16 offset1:24
	ds_load_2addr_b32 v[18:19], v4 offset0:32 offset1:40
	ds_load_b128 v[10:13], v10 offset:16
	s_waitcnt lgkmcnt(3)
	v_fma_f32 v3, -v14, v6, v3
	s_delay_alu instid0(VALU_DEP_1) | instskip(SKIP_4) | instid1(VALU_DEP_1)
	v_fma_f32 v3, -v15, v7, v3
	ds_load_2addr_b32 v[6:7], v4 offset0:48 offset1:56
	v_add_nc_u32_e32 v4, 0x100, v4
	s_waitcnt lgkmcnt(3)
	v_fma_f32 v3, -v16, v8, v3
	v_fma_f32 v3, -v17, v9, v3
	s_waitcnt lgkmcnt(1)
	s_delay_alu instid0(VALU_DEP_1) | instskip(NEXT) | instid1(VALU_DEP_1)
	v_fma_f32 v3, -v18, v10, v3
	v_fma_f32 v3, -v19, v11, v3
	s_waitcnt lgkmcnt(0)
	s_delay_alu instid0(VALU_DEP_1) | instskip(NEXT) | instid1(VALU_DEP_1)
	v_fma_f32 v3, -v6, v12, v3
	v_fma_f32 v3, -v7, v13, v3
	s_cbranch_scc1 .LBB6_36
; %bb.37:                               ;   in Loop: Header=BB6_33 Depth=1
	s_set_inst_prefetch_distance 0x2
	s_and_b32 s11, s4, 7
	s_delay_alu instid0(SALU_CYCLE_1)
	s_cmp_eq_u32 s11, 0
	s_cbranch_scc0 .LBB6_39
	s_branch .LBB6_32
.LBB6_38:                               ;   in Loop: Header=BB6_33 Depth=1
	s_mov_b32 s10, 0
	s_and_b32 s11, s4, 7
	s_delay_alu instid0(SALU_CYCLE_1)
	s_cmp_eq_u32 s11, 0
	s_cbranch_scc1 .LBB6_32
.LBB6_39:                               ;   in Loop: Header=BB6_33 Depth=1
	v_lshl_add_u32 v4, s10, 5, v1
	s_and_b32 s11, s9, 7
	s_lshl_b32 s10, s10, 2
.LBB6_40:                               ;   Parent Loop BB6_33 Depth=1
                                        ; =>  This Inner Loop Header: Depth=2
	s_delay_alu instid0(SALU_CYCLE_1)
	s_add_i32 s13, s7, s10
	s_add_i32 s11, s11, -1
	v_mov_b32_e32 v6, s13
	s_add_i32 s10, s10, 4
	s_cmp_lg_u32 s11, 0
	ds_load_b32 v7, v4
	ds_load_b32 v6, v6
	v_add_nc_u32_e32 v4, 32, v4
	s_waitcnt lgkmcnt(0)
	v_fma_f32 v3, -v7, v6, v3
	s_cbranch_scc1 .LBB6_40
	s_branch .LBB6_32
.LBB6_41:
	s_mov_b32 s5, 0
.LBB6_42:
	s_delay_alu instid0(SALU_CYCLE_1)
	s_and_b32 vcc_lo, exec_lo, s5
	s_cbranch_vccz .LBB6_66
; %bb.43:
	s_cmp_gt_i32 s6, 7
	s_cbranch_scc0 .LBB6_45
; %bb.44:
	s_lshl_b32 s4, s12, 3
	s_lshl_b32 s5, s15, 3
	s_sub_i32 s8, s4, 32
	s_add_i32 s7, s4, -16
	v_or_b32_e32 v3, s8, v0
	v_or_b32_e32 v1, s5, v0
	;; [unrolled: 1-line block ×3, first 2 shown]
	s_sub_i32 s7, s4, 24
	s_sub_i32 s9, s4, 40
	;; [unrolled: 1-line block ×5, first 2 shown]
	v_lshlrev_b32_e32 v6, 2, v3
	v_or_b32_e32 v3, s4, v0
	s_mul_i32 s4, s15, 36
	v_or_b32_e32 v4, s10, v0
	s_sub_i32 s14, s4, 36
	v_lshlrev_b32_e32 v17, 2, v1
	v_lshlrev_b32_e32 v1, 2, v2
	s_add_i32 s10, s12, -2
	v_or_b32_e32 v2, s7, v0
	v_dual_mov_b32 v4, s14 :: v_dual_lshlrev_b32 v7, 2, v4
	ds_load_b32 v8, v17 offset:256
	ds_load_b32 v9, v1 offset:256
	v_or_b32_e32 v1, s9, v0
	s_add_i32 s11, s10, s5
	s_lshl_b32 s10, s10, 3
	s_lshl_b32 s11, s11, 2
	v_lshlrev_b32_e32 v18, 2, v2
	v_or_b32_e32 v2, s8, v0
	v_lshlrev_b32_e32 v19, 2, v1
	v_mov_b32_e32 v1, s11
	s_add_i32 s11, s12, -4
	s_delay_alu instid0(VALU_DEP_3) | instskip(SKIP_3) | instid1(SALU_CYCLE_1)
	v_lshlrev_b32_e32 v20, 2, v2
	s_add_i32 s13, s11, s5
	ds_load_2addr_b32 v[1:2], v1 offset1:1
	s_lshl_b32 s13, s13, 2
	v_mov_b32_e32 v10, s13
	s_add_i32 s13, s11, s10
	s_delay_alu instid0(SALU_CYCLE_1) | instskip(SKIP_2) | instid1(VALU_DEP_1)
	s_lshl_b32 s13, s13, 2
	s_waitcnt lgkmcnt(0)
	v_mul_f32_e32 v23, v8, v2
	v_fma_f32 v8, -v23, v1, v9
	v_lshlrev_b32_e32 v11, 2, v3
	ds_load_b32 v12, v4
	ds_load_2addr_b32 v[3:4], v10 offset1:1
	v_mov_b32_e32 v10, s13
	s_add_i32 s13, s11, s7
	s_lshl_b32 s11, s11, 3
	s_lshl_b32 s13, s13, 2
	s_delay_alu instid0(SALU_CYCLE_1) | instskip(SKIP_1) | instid1(SALU_CYCLE_1)
	v_mov_b32_e32 v2, s13
	s_add_i32 s13, s12, -6
	s_add_i32 s14, s13, s5
	s_add_i32 s16, s13, s10
	s_lshl_b32 s14, s14, 2
	s_waitcnt lgkmcnt(1)
	v_mul_f32_e32 v24, v8, v12
	ds_load_b32 v13, v18 offset:256
	ds_load_b32 v14, v6 offset:256
	;; [unrolled: 1-line block ×6, first 2 shown]
	ds_load_2addr_b32 v[6:7], v10 offset1:1
	ds_load_2addr_b32 v[1:2], v2 offset1:1
	v_mov_b32_e32 v8, s14
	s_add_i32 s14, s4, 0xffffff94
	ds_load_2addr_b32 v[8:9], v8 offset1:1
	v_mov_b32_e32 v10, s14
	s_lshl_b32 s14, s16, 2
	s_add_i32 s16, s13, s11
	v_mov_b32_e32 v11, s14
	s_add_i32 s14, s13, s7
	ds_load_b32 v10, v10
	s_waitcnt lgkmcnt(9)
	v_fma_f32 v4, -v23, v4, v13
	s_waitcnt lgkmcnt(8)
	v_fma_f32 v12, -v23, v3, v14
	s_lshl_b32 s14, s14, 2
	s_waitcnt lgkmcnt(3)
	v_fma_f32 v7, -v24, v7, v4
	ds_load_2addr_b32 v[3:4], v11 offset1:1
	s_waitcnt lgkmcnt(3)
	v_mul_f32_e32 v25, v7, v2
	v_fma_f32 v2, -v24, v6, v12
	v_mov_b32_e32 v6, s14
	s_lshl_b32 s14, s16, 2
	s_waitcnt lgkmcnt(2)
	v_fma_f32 v9, -v23, v9, v15
	v_mov_b32_e32 v11, s14
	v_fma_f32 v7, -v25, v1, v2
	ds_load_2addr_b32 v[1:2], v6 offset1:1
	s_add_i32 s14, s13, s9
	s_add_i32 s16, s4, 0xffffff4c
	s_lshl_b32 s14, s14, 2
	s_waitcnt lgkmcnt(2)
	v_mul_f32_e32 v26, v7, v10
	v_mov_b32_e32 v10, s14
	ds_load_2addr_b32 v[6:7], v11 offset1:1
	s_add_i32 s14, s12, -8
	s_waitcnt lgkmcnt(2)
	v_fma_f32 v4, -v24, v4, v9
	ds_load_2addr_b32 v[9:10], v10 offset1:1
	v_mov_b32_e32 v11, s16
	s_add_i32 s5, s14, s5
	s_add_i32 s16, s14, s10
	s_lshl_b32 s5, s5, 2
	ds_load_b32 v27, v11
	v_mov_b32_e32 v12, s5
	s_lshl_b32 s5, s16, 2
	s_waitcnt lgkmcnt(3)
	v_fma_f32 v2, -v25, v2, v4
	v_fma_f32 v4, -v23, v8, v16
	v_mov_b32_e32 v13, s5
	s_add_i32 s5, s14, s7
	s_lshl_b32 s7, s13, 3
	s_lshl_b32 s5, s5, 2
	v_fma_f32 v4, -v24, v3, v4
	v_mov_b32_e32 v8, s5
	s_waitcnt lgkmcnt(2)
	v_fma_f32 v7, -v26, v7, v2
	s_add_i32 s5, s14, s11
	ds_load_2addr_b32 v[13:14], v13 offset1:1
	v_fma_f32 v1, -v25, v1, v4
	ds_load_2addr_b32 v[2:3], v8 offset1:1
	s_waitcnt lgkmcnt(3)
	v_mul_f32_e32 v28, v7, v10
	s_lshl_b32 s5, s5, 2
	v_fma_f32 v1, -v26, v6, v1
	v_mov_b32_e32 v7, s5
	s_add_i32 s5, s14, s9
	s_delay_alu instid0(SALU_CYCLE_1) | instskip(NEXT) | instid1(VALU_DEP_2)
	s_lshl_b32 s5, s5, 2
	v_fma_f32 v1, -v28, v9, v1
	ds_load_2addr_b32 v[7:8], v7 offset1:1
	v_mov_b32_e32 v4, s5
	s_add_i32 s5, s14, s7
	v_or_b32_e32 v9, s11, v0
	s_waitcnt lgkmcnt(3)
	v_mul_f32_e32 v1, v1, v27
	ds_load_2addr_b32 v[11:12], v12 offset1:1
	ds_load_2addr_b32 v[15:16], v4 offset1:1
	s_lshl_b32 s5, s5, 2
	s_delay_alu instid0(SALU_CYCLE_1)
	v_mov_b32_e32 v6, s5
	s_add_i32 s5, s4, 0xffffff28
	s_addk_i32 s4, 0xff04
	s_waitcnt lgkmcnt(1)
	v_fma_f32 v10, -v23, v12, v21
	v_fma_f32 v12, -v23, v11, v22
	s_delay_alu instid0(VALU_DEP_2) | instskip(SKIP_3) | instid1(SALU_CYCLE_1)
	v_fma_f32 v4, -v24, v14, v10
	ds_load_2addr_b32 v[10:11], v6 offset1:1
	v_mov_b32_e32 v6, s5
	s_add_i32 s5, s14, s8
	s_lshl_b32 s5, s5, 2
	v_fma_f32 v3, -v25, v3, v4
	v_fma_f32 v4, -v24, v13, v12
	ds_load_b32 v6, v6
	v_mov_b32_e32 v12, s5
	v_fma_f32 v3, -v26, v8, v3
	v_fma_f32 v2, -v25, v2, v4
	v_mov_b32_e32 v8, s4
	ds_load_b32 v4, v12
	s_add_i32 s4, s12, -9
	s_waitcnt lgkmcnt(3)
	v_fma_f32 v3, -v28, v16, v3
	v_fma_f32 v2, -v26, v7, v2
	ds_load_b32 v7, v8
	v_or_b32_e32 v8, s10, v0
	ds_store_b32 v17, v23 offset:256
	ds_store_b32 v18, v25 offset:256
	;; [unrolled: 1-line block ×3, first 2 shown]
	s_waitcnt lgkmcnt(6)
	v_fma_f32 v3, -v1, v11, v3
	v_fma_f32 v2, -v28, v15, v2
	s_delay_alu instid0(VALU_DEP_1) | instskip(SKIP_1) | instid1(VALU_DEP_3)
	v_fma_f32 v2, -v1, v10, v2
	s_waitcnt lgkmcnt(5)
	v_dual_mul_f32 v3, v3, v6 :: v_dual_lshlrev_b32 v6, 2, v8
	v_lshlrev_b32_e32 v8, 2, v9
	v_or_b32_e32 v9, s7, v0
	ds_store_b32 v20, v3 offset:256
	s_waitcnt lgkmcnt(5)
	v_fma_f32 v2, -v3, v4, v2
	v_lshl_or_b32 v3, s14, 5, v5
	v_lshlrev_b32_e32 v4, 2, v9
	s_waitcnt lgkmcnt(4)
	s_delay_alu instid0(VALU_DEP_3)
	v_mul_f32_e32 v2, v2, v7
	ds_store_b32 v6, v24 offset:256
	ds_store_b32 v8, v26 offset:256
	;; [unrolled: 1-line block ×4, first 2 shown]
	s_cmp_gt_i32 s4, -1
	s_cbranch_scc1 .LBB6_46
	s_branch .LBB6_66
.LBB6_45:
	s_mov_b32 s4, s15
	s_delay_alu instid0(SALU_CYCLE_1)
	s_cmp_gt_i32 s4, -1
	s_cbranch_scc0 .LBB6_66
.LBB6_46:
	s_cmp_lt_u32 s4, 3
	s_cbranch_scc1 .LBB6_52
; %bb.47:
	s_lshl_b32 s5, s12, 5
	s_lshl_b32 s7, s4, 2
	v_lshl_or_b32 v1, v0, 2, s5
	s_add_i32 s5, s5, s7
	s_delay_alu instid0(SALU_CYCLE_1) | instskip(NEXT) | instid1(VALU_DEP_1)
	s_sub_i32 s5, s5, 44
	v_add_nc_u32_e32 v6, 0xe0, v1
.LBB6_48:                               ; =>This Loop Header: Depth=1
                                        ;     Child Loop BB6_49 Depth 2
	s_lshl_b32 s7, s4, 3
	s_cmp_le_i32 s15, s4
	v_or_b32_e32 v1, s7, v0
	s_mov_b32 s8, s5
	s_mov_b32 s9, s15
	s_delay_alu instid0(VALU_DEP_1)
	v_lshlrev_b32_e32 v8, 2, v1
	ds_load_2addr_b32 v[1:2], v8 offset0:56 offset1:64
	ds_load_2addr_b32 v[3:4], v8 offset0:40 offset1:48
	s_waitcnt lgkmcnt(0)
	v_dual_mov_b32 v7, v2 :: v_dual_mov_b32 v2, v4
	v_mov_b32_e32 v4, v6
	s_cbranch_scc1 .LBB6_50
	.p2align	6
.LBB6_49:                               ;   Parent Loop BB6_48 Depth=1
                                        ; =>  This Inner Loop Header: Depth=2
	v_mov_b32_e32 v11, s8
	s_add_i32 s9, s9, -1
	s_sub_i32 s8, s8, 32
	s_cmp_gt_i32 s9, s4
	ds_load_b32 v13, v4
	ds_load_2addr_b32 v[9:10], v11 offset0:2 offset1:3
	ds_load_2addr_b32 v[11:12], v11 offset1:1
	v_subrev_nc_u32_e32 v4, 32, v4
	s_waitcnt lgkmcnt(1)
	v_fma_f32 v7, -v13, v10, v7
	v_fma_f32 v1, -v13, v9, v1
	s_waitcnt lgkmcnt(0)
	v_fma_f32 v2, -v13, v12, v2
	v_fma_f32 v3, -v13, v11, v3
	s_cbranch_scc1 .LBB6_49
.LBB6_50:                               ;   in Loop: Header=BB6_48 Depth=1
	s_add_i32 s8, s4, -1
	s_add_i32 s10, s4, -3
	s_add_i32 s9, s8, s7
	s_add_i32 s11, s7, -16
	s_lshl_b32 s9, s9, 2
	s_add_i32 s7, s10, s7
	s_lshl_b32 s8, s8, 3
	s_lshl_b32 s7, s7, 2
	s_delay_alu instid0(SALU_CYCLE_1)
	v_dual_mov_b32 v11, s7 :: v_dual_add_nc_u32 v4, 0x100, v8
	v_mov_b32_e32 v8, s9
	s_mul_i32 s9, s4, 36
	s_add_i32 s7, s10, s8
	s_sub_i32 s13, s9, 36
	s_lshl_b32 s7, s7, 2
	ds_load_2addr_b32 v[8:9], v8 offset1:1
	v_mov_b32_e32 v10, s13
	s_add_i32 s13, s10, s11
	s_add_i32 s5, s5, -16
	s_waitcnt lgkmcnt(0)
	v_mul_f32_e32 v7, v7, v9
	s_delay_alu instid0(VALU_DEP_1) | instskip(SKIP_2) | instid1(SALU_CYCLE_1)
	v_fma_f32 v1, -v7, v8, v1
	v_mov_b32_e32 v12, s7
	s_lshl_b32 s7, s13, 2
	v_mov_b32_e32 v14, s7
	s_add_i32 s7, s9, 0xffffff94
	s_delay_alu instid0(SALU_CYCLE_1)
	v_mov_b32_e32 v9, s7
	ds_load_b32 v16, v10
	ds_load_2addr_b32 v[10:11], v11 offset1:1
	s_add_i32 s7, s4, -4
	s_cmp_gt_i32 s4, 6
	ds_store_b32 v4, v7
	ds_load_2addr_b32 v[14:15], v14 offset1:1
	ds_load_b32 v8, v9
	v_or_b32_e32 v9, s11, v0
	s_delay_alu instid0(VALU_DEP_1)
	v_lshlrev_b32_e32 v9, 2, v9
	s_waitcnt lgkmcnt(4)
	v_mul_f32_e32 v1, v1, v16
	ds_load_2addr_b32 v[12:13], v12 offset1:1
	s_waitcnt lgkmcnt(4)
	v_fma_f32 v2, -v7, v11, v2
	v_fma_f32 v3, -v7, v10, v3
	v_or_b32_e32 v10, s8, v0
	v_lshl_or_b32 v11, s10, 5, v5
	s_delay_alu instid0(VALU_DEP_2) | instskip(SKIP_3) | instid1(VALU_DEP_2)
	v_lshlrev_b32_e32 v10, 2, v10
	s_waitcnt lgkmcnt(0)
	v_fma_f32 v2, -v1, v13, v2
	v_fma_f32 v3, -v1, v12, v3
	v_mul_f32_e32 v2, v2, v15
	s_delay_alu instid0(VALU_DEP_1) | instskip(NEXT) | instid1(VALU_DEP_1)
	v_fma_f32 v3, -v2, v14, v3
	v_mul_f32_e32 v3, v3, v8
	ds_store_b32 v10, v1 offset:256
	ds_store_b32 v9, v2 offset:256
	;; [unrolled: 1-line block ×3, first 2 shown]
	s_cbranch_scc0 .LBB6_53
; %bb.51:                               ;   in Loop: Header=BB6_48 Depth=1
	s_mov_b32 s4, s7
	s_branch .LBB6_48
.LBB6_52:
	s_mov_b32 s7, s4
.LBB6_53:
	s_delay_alu instid0(SALU_CYCLE_1)
	s_cmp_lt_i32 s7, 0
	s_cbranch_scc1 .LBB6_66
; %bb.54:
	s_bitcmp1_b32 s7, 0
	s_cselect_b32 s4, -1, 0
	s_delay_alu instid0(SALU_CYCLE_1)
	s_and_b32 vcc_lo, exec_lo, s4
	s_mov_b32 s4, s7
	s_cbranch_vccnz .LBB6_59
; %bb.55:
	v_lshl_or_b32 v2, s7, 5, v5
	s_cmp_le_i32 s15, s7
	ds_load_b32 v1, v2 offset:256
	s_cbranch_scc1 .LBB6_58
; %bb.56:
	s_lshl_b32 s4, s12, 5
	s_lshl_b32 s5, s7, 2
	v_lshl_or_b32 v3, v0, 2, s4
	s_add_i32 s4, s4, s5
	s_mov_b32 s5, s15
	s_sub_i32 s4, s4, 32
	s_delay_alu instid0(VALU_DEP_1)
	v_add_nc_u32_e32 v3, 0xe0, v3
.LBB6_57:                               ; =>This Inner Loop Header: Depth=1
	v_mov_b32_e32 v4, s4
	s_add_i32 s5, s5, -1
	s_sub_i32 s4, s4, 32
	s_cmp_gt_i32 s5, s7
	ds_load_b32 v6, v3
	ds_load_b32 v4, v4
	v_subrev_nc_u32_e32 v3, 32, v3
	s_waitcnt lgkmcnt(0)
	v_fma_f32 v1, -v6, v4, v1
	s_cbranch_scc1 .LBB6_57
.LBB6_58:
	s_mul_i32 s4, s7, 36
	s_delay_alu instid0(SALU_CYCLE_1)
	v_dual_mov_b32 v3, s4 :: v_dual_add_nc_u32 v2, 0x100, v2
	s_add_i32 s4, s7, -1
	ds_load_b32 v3, v3
	s_waitcnt lgkmcnt(0)
	v_mul_f32_e32 v1, v1, v3
	ds_store_b32 v2, v1
.LBB6_59:
	s_cmp_eq_u32 s7, 0
	s_cbranch_scc1 .LBB6_66
; %bb.60:
	s_lshl_b32 s5, s12, 5
	s_lshl_b32 s7, s4, 2
	v_lshl_or_b32 v1, v0, 2, s5
	s_add_i32 s7, s5, s7
	s_delay_alu instid0(SALU_CYCLE_1) | instskip(SKIP_1) | instid1(VALU_DEP_1)
	s_sub_i32 s5, s7, 32
	s_sub_i32 s7, s7, 36
	v_add_nc_u32_e32 v1, 0xe0, v1
	s_branch .LBB6_62
.LBB6_61:                               ;   in Loop: Header=BB6_62 Depth=1
	s_sub_i32 s8, s8, 36
	v_add_nc_u32_e32 v2, 0x100, v4
	v_mov_b32_e32 v4, s8
	s_add_i32 s8, s4, -2
	s_add_i32 s5, s5, -8
	;; [unrolled: 1-line block ×3, first 2 shown]
	s_cmp_lt_i32 s4, 2
	ds_load_b32 v4, v4
	s_mov_b32 s4, s8
	s_waitcnt lgkmcnt(0)
	v_mul_f32_e32 v3, v3, v4
	ds_store_b32 v2, v3
	s_cbranch_scc1 .LBB6_66
.LBB6_62:                               ; =>This Loop Header: Depth=1
                                        ;     Child Loop BB6_63 Depth 2
                                        ;     Child Loop BB6_65 Depth 2
	v_lshl_or_b32 v3, s4, 5, v5
	s_delay_alu instid0(VALU_DEP_2)
	v_mov_b32_e32 v4, v1
	s_cmp_le_i32 s15, s4
	s_mov_b32 s8, s5
	s_mov_b32 s9, s15
	ds_load_b32 v2, v3 offset:256
	s_cbranch_scc1 .LBB6_64
.LBB6_63:                               ;   Parent Loop BB6_62 Depth=1
                                        ; =>  This Inner Loop Header: Depth=2
	v_mov_b32_e32 v6, s8
	s_add_i32 s9, s9, -1
	s_sub_i32 s8, s8, 32
	s_cmp_gt_i32 s9, s4
	ds_load_b32 v7, v4
	ds_load_b32 v6, v6
	v_subrev_nc_u32_e32 v4, 32, v4
	s_waitcnt lgkmcnt(0)
	v_fma_f32 v2, -v7, v6, v2
	s_cbranch_scc1 .LBB6_63
.LBB6_64:                               ;   in Loop: Header=BB6_62 Depth=1
	s_mul_i32 s8, s4, 36
	s_delay_alu instid0(SALU_CYCLE_1)
	v_dual_mov_b32 v3, s8 :: v_dual_add_nc_u32 v6, 0x100, v3
	s_lshl_b32 s9, s4, 5
	s_mov_b32 s10, s12
	s_sub_i32 s9, s9, 32
	s_cmp_lt_i32 s15, s4
	ds_load_b32 v7, v3
	v_lshl_or_b32 v4, v0, 2, s9
	s_mov_b32 s9, s7
	ds_load_b32 v3, v4 offset:256
	s_waitcnt lgkmcnt(1)
	v_dual_mul_f32 v7, v2, v7 :: v_dual_mov_b32 v2, v1
	ds_store_b32 v6, v7
	s_cbranch_scc1 .LBB6_61
.LBB6_65:                               ;   Parent Loop BB6_62 Depth=1
                                        ; =>  This Inner Loop Header: Depth=2
	v_mov_b32_e32 v6, s9
	s_add_i32 s10, s10, -1
	s_sub_i32 s9, s9, 32
	s_cmp_gt_i32 s10, s4
	ds_load_b32 v7, v2
	ds_load_b32 v6, v6
	v_subrev_nc_u32_e32 v2, 32, v2
	s_waitcnt lgkmcnt(0)
	v_fma_f32 v3, -v7, v6, v3
	s_cbranch_scc1 .LBB6_65
	s_branch .LBB6_61
.LBB6_66:
	s_waitcnt vmcnt(0) lgkmcnt(0)
	s_waitcnt_vscnt null, 0x0
	; wave barrier
	s_waitcnt lgkmcnt(0)
	buffer_gl0_inv
	s_and_saveexec_b32 s4, s3
	s_cbranch_execz .LBB6_75
; %bb.67:
	v_mad_i64_i32 v[1:2], null, s0, v0, 0
	ds_load_b32 v3, v5 offset:256
	s_cmp_eq_u32 s6, 1
	v_lshlrev_b64 v[0:1], 2, v[1:2]
	s_delay_alu instid0(VALU_DEP_1) | instskip(NEXT) | instid1(VALU_DEP_2)
	v_add_co_u32 v0, vcc_lo, s1, v0
	v_add_co_ci_u32_e32 v1, vcc_lo, s2, v1, vcc_lo
	s_waitcnt lgkmcnt(0)
	global_store_b32 v[0:1], v3, off
	s_cbranch_scc1 .LBB6_75
; %bb.68:
	v_or_b32_e32 v2, 0x100, v5
	s_cmp_eq_u32 s6, 2
	ds_load_b32 v3, v2 offset:32
	s_waitcnt lgkmcnt(0)
	global_store_b32 v[0:1], v3, off offset:4
	s_cbranch_scc1 .LBB6_75
; %bb.69:
	ds_load_b32 v3, v2 offset:64
	s_cmp_eq_u32 s6, 3
	s_waitcnt lgkmcnt(0)
	global_store_b32 v[0:1], v3, off offset:8
	s_cbranch_scc1 .LBB6_75
; %bb.70:
	ds_load_b32 v3, v2 offset:96
	s_cmp_eq_u32 s6, 4
	;; [unrolled: 6-line block ×5, first 2 shown]
	s_waitcnt lgkmcnt(0)
	global_store_b32 v[0:1], v3, off offset:24
	s_cbranch_scc1 .LBB6_75
; %bb.74:
	ds_load_b32 v2, v2 offset:224
	s_waitcnt lgkmcnt(0)
	global_store_b32 v[0:1], v2, off offset:28
.LBB6_75:
	s_nop 0
	s_sendmsg sendmsg(MSG_DEALLOC_VGPRS)
	s_endpgm
	.section	.rodata,"a",@progbits
	.p2align	6, 0x0
	.amdhsa_kernel _ZL38rocblas_trsm_small_left_device_sharedBILi8ELi8ELb0EffPKPKfPKPfEv13rocblas_fill_18rocblas_operation_17rocblas_diagonal_iiT3_T4_lilT5_lili
		.amdhsa_group_segment_fixed_size 512
		.amdhsa_private_segment_fixed_size 0
		.amdhsa_kernarg_size 352
		.amdhsa_user_sgpr_count 14
		.amdhsa_user_sgpr_dispatch_ptr 0
		.amdhsa_user_sgpr_queue_ptr 0
		.amdhsa_user_sgpr_kernarg_segment_ptr 1
		.amdhsa_user_sgpr_dispatch_id 0
		.amdhsa_user_sgpr_private_segment_size 0
		.amdhsa_wavefront_size32 1
		.amdhsa_uses_dynamic_stack 0
		.amdhsa_enable_private_segment 0
		.amdhsa_system_sgpr_workgroup_id_x 1
		.amdhsa_system_sgpr_workgroup_id_y 0
		.amdhsa_system_sgpr_workgroup_id_z 1
		.amdhsa_system_sgpr_workgroup_info 0
		.amdhsa_system_vgpr_workitem_id 0
		.amdhsa_next_free_vgpr 35
		.amdhsa_next_free_sgpr 31
		.amdhsa_reserve_vcc 1
		.amdhsa_float_round_mode_32 0
		.amdhsa_float_round_mode_16_64 0
		.amdhsa_float_denorm_mode_32 3
		.amdhsa_float_denorm_mode_16_64 3
		.amdhsa_dx10_clamp 1
		.amdhsa_ieee_mode 1
		.amdhsa_fp16_overflow 0
		.amdhsa_workgroup_processor_mode 1
		.amdhsa_memory_ordered 1
		.amdhsa_forward_progress 0
		.amdhsa_shared_vgpr_count 0
		.amdhsa_exception_fp_ieee_invalid_op 0
		.amdhsa_exception_fp_denorm_src 0
		.amdhsa_exception_fp_ieee_div_zero 0
		.amdhsa_exception_fp_ieee_overflow 0
		.amdhsa_exception_fp_ieee_underflow 0
		.amdhsa_exception_fp_ieee_inexact 0
		.amdhsa_exception_int_div_zero 0
	.end_amdhsa_kernel
	.section	.text._ZL38rocblas_trsm_small_left_device_sharedBILi8ELi8ELb0EffPKPKfPKPfEv13rocblas_fill_18rocblas_operation_17rocblas_diagonal_iiT3_T4_lilT5_lili,"axG",@progbits,_ZL38rocblas_trsm_small_left_device_sharedBILi8ELi8ELb0EffPKPKfPKPfEv13rocblas_fill_18rocblas_operation_17rocblas_diagonal_iiT3_T4_lilT5_lili,comdat
.Lfunc_end6:
	.size	_ZL38rocblas_trsm_small_left_device_sharedBILi8ELi8ELb0EffPKPKfPKPfEv13rocblas_fill_18rocblas_operation_17rocblas_diagonal_iiT3_T4_lilT5_lili, .Lfunc_end6-_ZL38rocblas_trsm_small_left_device_sharedBILi8ELi8ELb0EffPKPKfPKPfEv13rocblas_fill_18rocblas_operation_17rocblas_diagonal_iiT3_T4_lilT5_lili
                                        ; -- End function
	.section	.AMDGPU.csdata,"",@progbits
; Kernel info:
; codeLenInByte = 5164
; NumSgprs: 33
; NumVgprs: 35
; ScratchSize: 0
; MemoryBound: 0
; FloatMode: 240
; IeeeMode: 1
; LDSByteSize: 512 bytes/workgroup (compile time only)
; SGPRBlocks: 4
; VGPRBlocks: 4
; NumSGPRsForWavesPerEU: 33
; NumVGPRsForWavesPerEU: 35
; Occupancy: 16
; WaveLimiterHint : 1
; COMPUTE_PGM_RSRC2:SCRATCH_EN: 0
; COMPUTE_PGM_RSRC2:USER_SGPR: 14
; COMPUTE_PGM_RSRC2:TRAP_HANDLER: 0
; COMPUTE_PGM_RSRC2:TGID_X_EN: 1
; COMPUTE_PGM_RSRC2:TGID_Y_EN: 0
; COMPUTE_PGM_RSRC2:TGID_Z_EN: 1
; COMPUTE_PGM_RSRC2:TIDIG_COMP_CNT: 0
	.section	.text._ZL30rocblas_trsm_small_left_deviceILi8ELi8ELb0EffPKPKfPKPfEv13rocblas_fill_18rocblas_operation_17rocblas_diagonal_iiT3_T4_lilT5_lili,"axG",@progbits,_ZL30rocblas_trsm_small_left_deviceILi8ELi8ELb0EffPKPKfPKPfEv13rocblas_fill_18rocblas_operation_17rocblas_diagonal_iiT3_T4_lilT5_lili,comdat
	.globl	_ZL30rocblas_trsm_small_left_deviceILi8ELi8ELb0EffPKPKfPKPfEv13rocblas_fill_18rocblas_operation_17rocblas_diagonal_iiT3_T4_lilT5_lili ; -- Begin function _ZL30rocblas_trsm_small_left_deviceILi8ELi8ELb0EffPKPKfPKPfEv13rocblas_fill_18rocblas_operation_17rocblas_diagonal_iiT3_T4_lilT5_lili
	.p2align	8
	.type	_ZL30rocblas_trsm_small_left_deviceILi8ELi8ELb0EffPKPKfPKPfEv13rocblas_fill_18rocblas_operation_17rocblas_diagonal_iiT3_T4_lilT5_lili,@function
_ZL30rocblas_trsm_small_left_deviceILi8ELi8ELb0EffPKPKfPKPfEv13rocblas_fill_18rocblas_operation_17rocblas_diagonal_iiT3_T4_lilT5_lili: ; @_ZL30rocblas_trsm_small_left_deviceILi8ELi8ELb0EffPKPKfPKPfEv13rocblas_fill_18rocblas_operation_17rocblas_diagonal_iiT3_T4_lilT5_lili
; %bb.0:
	s_clause 0x1
	s_load_b128 s[8:11], s[0:1], 0x38
	s_load_b128 s[4:7], s[0:1], 0x4
	s_mov_b32 s2, s15
	s_mov_b32 s3, 0
	s_delay_alu instid0(SALU_CYCLE_1)
	s_lshl_b64 s[22:23], s[2:3], 3
	s_waitcnt lgkmcnt(0)
	s_add_u32 s8, s8, s22
	s_addc_u32 s9, s9, s23
	s_load_b32 s15, s[0:1], 0x14
	s_load_b64 s[12:13], s[8:9], 0x0
	s_min_i32 s2, s6, 8
	s_mov_b32 s9, exec_lo
	s_add_i32 s8, s2, -1
	v_cmpx_gt_i32_e64 s2, v0
	s_cbranch_execz .LBB7_10
; %bb.1:
	s_clause 0x1
	s_load_b32 s20, s[0:1], 0x28
	s_load_b128 s[16:19], s[0:1], 0x18
	v_lshlrev_b32_e32 v3, 2, v0
	s_waitcnt lgkmcnt(0)
	s_ashr_i32 s21, s20, 31
	s_add_u32 s16, s16, s22
	s_addc_u32 s17, s17, s23
	s_cmp_lt_u32 s8, 3
	s_load_b64 s[16:17], s[16:17], 0x0
	s_cbranch_scc1 .LBB7_4
; %bb.2:
	s_lshl_b64 s[22:23], s[18:19], 2
	v_mov_b32_e32 v4, v3
	s_waitcnt lgkmcnt(0)
	s_add_u32 s3, s16, s22
	s_addc_u32 s22, s17, s23
	v_add_co_u32 v1, s3, s3, v3
	s_delay_alu instid0(VALU_DEP_1)
	v_add_co_ci_u32_e64 v2, null, s22, 0, s3
	s_and_b32 s3, s2, -4
	s_mul_hi_i32 s28, s20, 12
	s_mul_i32 s29, s20, 12
	s_lshl_b64 s[22:23], s[20:21], 4
	s_lshl_b64 s[24:25], s[20:21], 3
	;; [unrolled: 1-line block ×3, first 2 shown]
	s_mov_b32 s30, 0
	.p2align	6
.LBB7_3:                                ; =>This Inner Loop Header: Depth=1
	v_add_co_u32 v5, vcc_lo, v1, s26
	v_add_co_ci_u32_e32 v6, vcc_lo, s27, v2, vcc_lo
	v_add_co_u32 v7, vcc_lo, v1, s24
	v_add_co_ci_u32_e32 v8, vcc_lo, s25, v2, vcc_lo
	;; [unrolled: 2-line block ×3, first 2 shown]
	s_clause 0x3
	global_load_b32 v11, v[1:2], off
	global_load_b32 v5, v[5:6], off
	global_load_b32 v6, v[7:8], off
	global_load_b32 v7, v[9:10], off
	v_add_co_u32 v1, vcc_lo, v1, s22
	v_add_co_ci_u32_e32 v2, vcc_lo, s23, v2, vcc_lo
	s_add_i32 s30, s30, 4
	s_waitcnt vmcnt(2)
	ds_store_2addr_b32 v4, v11, v5 offset1:8
	s_waitcnt vmcnt(0)
	ds_store_2addr_b32 v4, v6, v7 offset0:16 offset1:24
	v_add_nc_u32_e32 v4, 0x80, v4
	s_cmp_eq_u32 s3, s30
	s_cbranch_scc0 .LBB7_3
.LBB7_4:
	s_and_b32 s22, s2, 3
	s_delay_alu instid0(SALU_CYCLE_1)
	s_cmp_eq_u32 s22, 0
	s_cbranch_scc1 .LBB7_7
; %bb.5:
	s_mul_i32 s23, s21, s3
	s_mul_hi_u32 s25, s20, s3
	s_mul_i32 s24, s20, s3
	s_add_i32 s25, s25, s23
	s_lshl_b64 s[18:19], s[18:19], 2
	s_lshl_b64 s[24:25], s[24:25], 2
	v_lshl_or_b32 v4, s3, 5, v3
	s_add_u32 s3, s24, s18
	s_addc_u32 s18, s25, s19
	s_waitcnt lgkmcnt(0)
	s_add_u32 s3, s16, s3
	s_addc_u32 s16, s17, s18
	v_add_co_u32 v1, s3, s3, v3
	s_delay_alu instid0(VALU_DEP_1)
	v_add_co_ci_u32_e64 v2, null, s16, 0, s3
	s_lshl_b64 s[16:17], s[20:21], 2
.LBB7_6:                                ; =>This Inner Loop Header: Depth=1
	global_load_b32 v3, v[1:2], off
	v_add_co_u32 v1, vcc_lo, v1, s16
	v_add_co_ci_u32_e32 v2, vcc_lo, s17, v2, vcc_lo
	s_add_i32 s22, s22, -1
	s_delay_alu instid0(SALU_CYCLE_1)
	s_cmp_lg_u32 s22, 0
	s_waitcnt vmcnt(0)
	ds_store_b32 v4, v3
	v_add_nc_u32_e32 v4, 32, v4
	s_cbranch_scc1 .LBB7_6
.LBB7_7:
	v_mul_u32_u24_e32 v1, 9, v0
	s_cmpk_lg_i32 s5, 0x84
	s_delay_alu instid0(VALU_DEP_1)
	v_dual_mov_b32 v2, 1.0 :: v_dual_lshlrev_b32 v1, 2, v1
	s_cbranch_scc0 .LBB7_9
; %bb.8:
	ds_load_b32 v2, v1
	s_waitcnt lgkmcnt(0)
	v_div_scale_f32 v3, null, v2, v2, 1.0
	s_delay_alu instid0(VALU_DEP_1) | instskip(SKIP_2) | instid1(VALU_DEP_1)
	v_rcp_f32_e32 v4, v3
	s_waitcnt_depctr 0xfff
	v_fma_f32 v5, -v3, v4, 1.0
	v_fmac_f32_e32 v4, v5, v4
	v_div_scale_f32 v5, vcc_lo, 1.0, v2, 1.0
	s_delay_alu instid0(VALU_DEP_1) | instskip(NEXT) | instid1(VALU_DEP_1)
	v_mul_f32_e32 v6, v5, v4
	v_fma_f32 v7, -v3, v6, v5
	s_delay_alu instid0(VALU_DEP_1) | instskip(NEXT) | instid1(VALU_DEP_1)
	v_fmac_f32_e32 v6, v7, v4
	v_fma_f32 v3, -v3, v6, v5
	s_delay_alu instid0(VALU_DEP_1) | instskip(NEXT) | instid1(VALU_DEP_1)
	v_div_fmas_f32 v3, v3, v4, v6
	v_div_fixup_f32 v2, v3, v2, 1.0
.LBB7_9:
	ds_store_b32 v1, v2
.LBB7_10:
	s_or_b32 exec_lo, exec_lo, s9
	s_load_b32 s3, s[0:1], 0x60
	s_lshl_b32 s5, s14, 3
	s_waitcnt lgkmcnt(0)
	s_sub_i32 s7, s7, s5
	; wave barrier
	buffer_gl0_inv
	s_add_i32 s3, s3, -1
	s_delay_alu instid0(SALU_CYCLE_1) | instskip(SKIP_1) | instid1(SALU_CYCLE_1)
	s_cmp_ge_u32 s14, s3
	s_cselect_b32 s3, s7, 8
	v_cmp_gt_i32_e32 vcc_lo, s3, v0
	s_mov_b32 s3, -1
	s_and_saveexec_b32 s7, vcc_lo
	s_cbranch_execz .LBB7_62
; %bb.11:
	s_load_b32 s0, s[0:1], 0x48
	v_add_nc_u32_e32 v2, s5, v0
	s_waitcnt lgkmcnt(0)
	s_delay_alu instid0(VALU_DEP_1) | instskip(SKIP_1) | instid1(SALU_CYCLE_1)
	v_mad_i64_i32 v[0:1], null, s0, v2, 0
	s_lshl_b64 s[0:1], s[10:11], 2
	s_add_u32 s5, s12, s0
	s_addc_u32 s7, s13, s1
	s_cmpk_eq_i32 s4, 0x6f
	s_delay_alu instid0(VALU_DEP_1) | instskip(NEXT) | instid1(VALU_DEP_1)
	v_lshlrev_b64 v[2:3], 2, v[0:1]
	v_add_co_u32 v0, vcc_lo, s5, v2
	s_delay_alu instid0(VALU_DEP_2)
	v_add_co_ci_u32_e32 v1, vcc_lo, s7, v3, vcc_lo
	s_cbranch_scc1 .LBB7_34
; %bb.12:
	s_cmp_gt_i32 s6, 7
	s_cbranch_scc0 .LBB7_14
; %bb.13:
	s_clause 0x1
	global_load_b128 v[4:7], v[0:1], off
	global_load_b128 v[8:11], v[0:1], off offset:16
	v_mov_b32_e32 v37, 0
	s_mov_b32 s10, 8
	s_waitcnt vmcnt(1)
	v_mul_f32_e32 v4, s15, v4
	ds_load_b32 v20, v37
	ds_load_b64 v[27:28], v37 offset:32
	ds_load_b96 v[31:33], v37 offset:64
	ds_load_b128 v[12:15], v37 offset:96
	ds_load_b128 v[16:19], v37 offset:128
	ds_load_b32 v38, v37 offset:144
	ds_load_b64 v[35:36], v37 offset:176
	s_waitcnt lgkmcnt(6)
	v_mul_f32_e32 v4, v4, v20
	ds_load_b128 v[20:23], v37 offset:160
	s_waitcnt lgkmcnt(6)
	v_mul_f32_e32 v29, v4, v27
	s_waitcnt lgkmcnt(4)
	v_mul_f32_e32 v12, v4, v12
	ds_load_b128 v[24:27], v37 offset:192
	v_fma_f32 v5, v5, s15, -v29
	v_mul_f32_e32 v30, v4, v31
	v_fma_f32 v7, v7, s15, -v12
	s_delay_alu instid0(VALU_DEP_3) | instskip(NEXT) | instid1(VALU_DEP_3)
	v_mul_f32_e32 v5, v5, v28
	v_fma_f32 v6, v6, s15, -v30
	ds_load_b128 v[28:31], v37 offset:224
	v_fma_f32 v7, -v5, v13, v7
	v_fma_f32 v6, -v5, v32, v6
	s_delay_alu instid0(VALU_DEP_1) | instskip(SKIP_3) | instid1(VALU_DEP_1)
	v_mul_f32_e32 v6, v6, v33
	ds_load_b96 v[32:34], v37 offset:208
	v_fma_f32 v7, -v6, v14, v7
	s_waitcnt lgkmcnt(6)
	v_dual_mul_f32 v7, v7, v15 :: v_dual_mul_f32 v16, v4, v16
	s_waitcnt lgkmcnt(3)
	v_mul_f32_e32 v12, v4, v20
	s_waitcnt lgkmcnt(2)
	v_mul_f32_e32 v13, v4, v24
	s_waitcnt vmcnt(0)
	v_fma_f32 v8, v8, s15, -v16
	v_fma_f32 v9, v9, s15, -v12
	s_delay_alu instid0(VALU_DEP_3)
	v_fma_f32 v10, v10, s15, -v13
	ds_load_b128 v[12:15], v37 offset:240
	s_waitcnt lgkmcnt(2)
	v_mul_f32_e32 v16, v4, v28
	v_fma_f32 v8, -v5, v17, v8
	v_fma_f32 v9, -v5, v21, v9
	v_fma_f32 v10, -v5, v25, v10
	s_delay_alu instid0(VALU_DEP_4) | instskip(NEXT) | instid1(VALU_DEP_4)
	v_fma_f32 v11, v11, s15, -v16
	v_fma_f32 v8, -v6, v18, v8
	s_delay_alu instid0(VALU_DEP_4) | instskip(NEXT) | instid1(VALU_DEP_4)
	v_fma_f32 v9, -v6, v22, v9
	v_fma_f32 v10, -v6, v26, v10
	s_delay_alu instid0(VALU_DEP_4) | instskip(NEXT) | instid1(VALU_DEP_4)
	v_fma_f32 v11, -v5, v29, v11
	;; [unrolled: 3-line block ×4, first 2 shown]
	v_mul_f32_e32 v8, v8, v38
	s_delay_alu instid0(VALU_DEP_2) | instskip(NEXT) | instid1(VALU_DEP_2)
	v_fma_f32 v11, -v7, v31, v11
	v_fma_f32 v9, -v8, v35, v9
	s_delay_alu instid0(VALU_DEP_1) | instskip(SKIP_4) | instid1(VALU_DEP_2)
	v_mul_f32_e32 v9, v9, v36
	s_waitcnt lgkmcnt(1)
	v_fma_f32 v10, -v8, v32, v10
	s_waitcnt lgkmcnt(0)
	v_fma_f32 v11, -v8, v12, v11
	v_fma_f32 v10, -v9, v33, v10
	s_delay_alu instid0(VALU_DEP_2) | instskip(NEXT) | instid1(VALU_DEP_2)
	v_fma_f32 v11, -v9, v13, v11
	v_mul_f32_e32 v10, v10, v34
	s_delay_alu instid0(VALU_DEP_1) | instskip(NEXT) | instid1(VALU_DEP_1)
	v_fma_f32 v11, -v10, v14, v11
	v_mul_f32_e32 v11, v11, v15
	s_clause 0x1
	global_store_b128 v[0:1], v[4:7], off
	global_store_b128 v[0:1], v[8:11], off offset:16
	s_cmp_lt_i32 s10, s2
	s_cbranch_scc1 .LBB7_15
	s_branch .LBB7_33
.LBB7_14:
	s_mov_b32 s10, 0
	s_delay_alu instid0(SALU_CYCLE_1)
	s_cmp_lt_i32 s10, s2
	s_cbranch_scc0 .LBB7_33
.LBB7_15:
	s_or_b32 s3, s10, 3
	s_delay_alu instid0(SALU_CYCLE_1)
	s_cmp_ge_u32 s3, s2
	s_cbranch_scc1 .LBB7_21
; %bb.16:
	s_lshl_b32 s3, s10, 5
	s_add_u32 s4, s12, s0
	s_addc_u32 s5, s13, s1
	v_add_co_u32 v4, vcc_lo, s4, v2
	v_add_co_ci_u32_e32 v5, vcc_lo, s5, v3, vcc_lo
	s_mov_b32 s11, 0
	s_delay_alu instid0(VALU_DEP_2) | instskip(NEXT) | instid1(VALU_DEP_2)
	v_add_co_u32 v4, vcc_lo, v4, 8
	v_add_co_ci_u32_e32 v5, vcc_lo, 0, v5, vcc_lo
.LBB7_17:                               ; =>This Loop Header: Depth=1
                                        ;     Child Loop BB7_18 Depth 2
	s_lshl_b64 s[4:5], s[10:11], 2
	s_delay_alu instid0(VALU_DEP_1)
	v_dual_mov_b32 v9, v5 :: v_dual_mov_b32 v8, v4
	v_add_co_u32 v6, vcc_lo, v0, s4
	v_add_co_ci_u32_e32 v7, vcc_lo, s5, v1, vcc_lo
	s_cmp_eq_u32 s10, 0
	s_mov_b32 s4, s10
	s_mov_b32 s5, s3
	global_load_b128 v[10:13], v[6:7], off
	s_waitcnt vmcnt(0)
	v_dual_mul_f32 v10, s15, v10 :: v_dual_mul_f32 v11, s15, v11
	v_dual_mul_f32 v12, s15, v12 :: v_dual_mul_f32 v13, s15, v13
	s_cbranch_scc1 .LBB7_19
.LBB7_18:                               ;   Parent Loop BB7_17 Depth=1
                                        ; =>  This Inner Loop Header: Depth=2
	global_load_b128 v[14:17], v[8:9], off offset:-8
	v_mov_b32_e32 v30, s5
	v_add_co_u32 v8, vcc_lo, v8, 16
	v_add_co_ci_u32_e32 v9, vcc_lo, 0, v9, vcc_lo
	ds_load_b128 v[18:21], v30
	ds_load_b128 v[22:25], v30 offset:32
	ds_load_b128 v[26:29], v30 offset:64
	;; [unrolled: 1-line block ×3, first 2 shown]
	s_add_i32 s4, s4, -4
	s_add_i32 s5, s5, 16
	s_cmp_lg_u32 s4, 0
	s_waitcnt vmcnt(0) lgkmcnt(3)
	v_fma_f32 v10, -v14, v18, v10
	s_waitcnt lgkmcnt(2)
	v_fma_f32 v11, -v14, v22, v11
	s_waitcnt lgkmcnt(1)
	;; [unrolled: 2-line block ×3, first 2 shown]
	v_fma_f32 v13, -v14, v30, v13
	v_fma_f32 v10, -v15, v19, v10
	;; [unrolled: 1-line block ×4, first 2 shown]
	s_delay_alu instid0(VALU_DEP_4) | instskip(NEXT) | instid1(VALU_DEP_4)
	v_fma_f32 v13, -v15, v31, v13
	v_fma_f32 v10, -v16, v20, v10
	s_delay_alu instid0(VALU_DEP_4) | instskip(NEXT) | instid1(VALU_DEP_4)
	v_fma_f32 v11, -v16, v24, v11
	v_fma_f32 v12, -v16, v28, v12
	;; [unrolled: 3-line block ×4, first 2 shown]
	s_delay_alu instid0(VALU_DEP_4)
	v_fma_f32 v13, -v17, v33, v13
	s_cbranch_scc1 .LBB7_18
.LBB7_19:                               ;   in Loop: Header=BB7_17 Depth=1
	s_mul_i32 s4, s10, 36
	s_lshl_b32 s5, s10, 3
	v_mov_b32_e32 v8, s4
	s_add_i32 s4, s10, s5
	s_add_i32 s5, s10, 7
	s_lshl_b32 s4, s4, 2
	s_addk_i32 s3, 0x80
	v_mov_b32_e32 v9, s4
	s_add_i32 s4, s10, 4
	s_cmp_lt_i32 s5, s2
	ds_load_b32 v8, v8
	ds_load_b64 v[21:22], v9 offset:32
	ds_load_b96 v[18:20], v9 offset:64
	ds_load_b128 v[14:17], v9 offset:96
	s_waitcnt lgkmcnt(3)
	v_mul_f32_e32 v8, v10, v8
	s_waitcnt lgkmcnt(2)
	s_delay_alu instid0(VALU_DEP_1) | instskip(NEXT) | instid1(VALU_DEP_1)
	v_fma_f32 v9, -v8, v21, v11
	v_mul_f32_e32 v9, v9, v22
	s_waitcnt lgkmcnt(1)
	v_fma_f32 v10, -v8, v18, v12
	s_waitcnt lgkmcnt(0)
	v_fma_f32 v11, -v8, v14, v13
	s_delay_alu instid0(VALU_DEP_2) | instskip(NEXT) | instid1(VALU_DEP_2)
	v_fma_f32 v10, -v9, v19, v10
	v_fma_f32 v11, -v9, v15, v11
	s_delay_alu instid0(VALU_DEP_2) | instskip(NEXT) | instid1(VALU_DEP_1)
	v_mul_f32_e32 v10, v10, v20
	v_fma_f32 v11, -v10, v16, v11
	s_delay_alu instid0(VALU_DEP_1)
	v_mul_f32_e32 v11, v11, v17
	global_store_b128 v[6:7], v[8:11], off
	s_cbranch_scc0 .LBB7_22
; %bb.20:                               ;   in Loop: Header=BB7_17 Depth=1
	s_mov_b32 s10, s4
	s_branch .LBB7_17
.LBB7_21:
	s_mov_b32 s4, s10
.LBB7_22:
	s_delay_alu instid0(SALU_CYCLE_1)
	s_cmp_ge_i32 s4, s2
	s_cbranch_scc1 .LBB7_33
; %bb.23:
	s_add_i32 s3, s4, -1
	s_lshl_b32 s7, s4, 5
	s_add_u32 s5, s12, s0
	s_addc_u32 s9, s13, s1
	v_add_co_u32 v10, vcc_lo, s5, v2
	v_add_co_ci_u32_e32 v11, vcc_lo, s9, v3, vcc_lo
	s_mov_b32 s11, 0
	s_delay_alu instid0(VALU_DEP_2) | instskip(NEXT) | instid1(VALU_DEP_2)
	v_add_co_u32 v4, vcc_lo, v10, 28
	v_add_co_ci_u32_e32 v5, vcc_lo, 0, v11, vcc_lo
	s_mov_b32 s14, s4
	s_mov_b32 s9, 0
	s_branch .LBB7_25
.LBB7_24:                               ;   in Loop: Header=BB7_25 Depth=1
	s_mul_i32 s5, s4, 36
	v_add_nc_u16 v9, s14, 1
	v_mov_b32_e32 v8, s5
	s_add_i32 s4, s4, 1
	s_add_i32 s9, s9, 1
	;; [unrolled: 1-line block ×3, first 2 shown]
	v_readfirstlane_b32 s14, v9
	ds_load_b32 v8, v8
	s_cmp_ge_i32 s4, s2
	s_waitcnt lgkmcnt(0)
	v_mul_f32_e32 v8, v12, v8
	global_store_b32 v[6:7], v8, off
	s_cbranch_scc1 .LBB7_33
.LBB7_25:                               ; =>This Loop Header: Depth=1
                                        ;     Child Loop BB7_28 Depth 2
                                        ;     Child Loop BB7_32 Depth 2
	s_ashr_i32 s5, s4, 31
	s_delay_alu instid0(SALU_CYCLE_1)
	s_lshl_b64 s[16:17], s[4:5], 2
	s_cmp_eq_u32 s4, 0
	v_add_co_u32 v6, vcc_lo, v0, s16
	v_add_co_ci_u32_e32 v7, vcc_lo, s17, v1, vcc_lo
	global_load_b32 v8, v[6:7], off
	s_waitcnt vmcnt(0)
	v_mul_f32_e32 v12, s15, v8
	s_cbranch_scc1 .LBB7_24
; %bb.26:                               ;   in Loop: Header=BB7_25 Depth=1
	s_add_i32 s5, s3, s9
	s_delay_alu instid0(SALU_CYCLE_1)
	s_cmp_lt_u32 s5, 7
	s_cbranch_scc1 .LBB7_30
; %bb.27:                               ;   in Loop: Header=BB7_25 Depth=1
	v_dual_mov_b32 v9, v5 :: v_dual_mov_b32 v8, v4
	s_and_b32 s10, s4, -8
	s_mov_b32 s5, 0
	s_mov_b32 s16, s7
	.p2align	6
.LBB7_28:                               ;   Parent Loop BB7_25 Depth=1
                                        ; =>  This Inner Loop Header: Depth=2
	s_clause 0x1
	global_load_b128 v[13:16], v[8:9], off offset:-28
	global_load_b128 v[17:20], v[8:9], off offset:-12
	v_mov_b32_e32 v25, s16
	v_add_co_u32 v8, vcc_lo, v8, 32
	v_add_co_ci_u32_e32 v9, vcc_lo, 0, v9, vcc_lo
	ds_load_b128 v[21:24], v25
	ds_load_b128 v[25:28], v25 offset:16
	s_add_i32 s5, s5, 8
	s_add_i32 s16, s16, 32
	s_cmp_lg_u32 s10, s5
	s_waitcnt vmcnt(1) lgkmcnt(1)
	v_fma_f32 v12, -v13, v21, v12
	s_delay_alu instid0(VALU_DEP_1) | instskip(NEXT) | instid1(VALU_DEP_1)
	v_fma_f32 v12, -v14, v22, v12
	v_fma_f32 v12, -v15, v23, v12
	s_delay_alu instid0(VALU_DEP_1) | instskip(SKIP_1) | instid1(VALU_DEP_1)
	v_fma_f32 v12, -v16, v24, v12
	s_waitcnt vmcnt(0) lgkmcnt(0)
	v_fma_f32 v12, -v17, v25, v12
	s_delay_alu instid0(VALU_DEP_1) | instskip(NEXT) | instid1(VALU_DEP_1)
	v_fma_f32 v12, -v18, v26, v12
	v_fma_f32 v12, -v19, v27, v12
	s_delay_alu instid0(VALU_DEP_1)
	v_fma_f32 v12, -v20, v28, v12
	s_cbranch_scc1 .LBB7_28
; %bb.29:                               ;   in Loop: Header=BB7_25 Depth=1
	s_and_b32 s5, s4, 7
	s_delay_alu instid0(SALU_CYCLE_1)
	s_cmp_eq_u32 s5, 0
	s_cbranch_scc0 .LBB7_31
	s_branch .LBB7_24
.LBB7_30:                               ;   in Loop: Header=BB7_25 Depth=1
	s_mov_b32 s10, 0
	s_and_b32 s5, s4, 7
	s_delay_alu instid0(SALU_CYCLE_1)
	s_cmp_eq_u32 s5, 0
	s_cbranch_scc1 .LBB7_24
.LBB7_31:                               ;   in Loop: Header=BB7_25 Depth=1
	s_lshl_b64 s[16:17], s[10:11], 2
	s_and_b32 s5, s14, 7
	v_add_co_u32 v8, vcc_lo, v10, s16
	v_add_co_ci_u32_e32 v9, vcc_lo, s17, v11, vcc_lo
	s_lshl_b32 s10, s10, 2
.LBB7_32:                               ;   Parent Loop BB7_25 Depth=1
                                        ; =>  This Inner Loop Header: Depth=2
	global_load_b32 v13, v[8:9], off
	s_add_i32 s16, s7, s10
	v_add_co_u32 v8, vcc_lo, v8, 4
	v_mov_b32_e32 v14, s16
	v_add_co_ci_u32_e32 v9, vcc_lo, 0, v9, vcc_lo
	s_add_i32 s5, s5, -1
	s_add_i32 s10, s10, 4
	ds_load_b32 v14, v14
	s_cmp_lg_u32 s5, 0
	s_waitcnt vmcnt(0) lgkmcnt(0)
	v_fma_f32 v12, -v13, v14, v12
	s_cbranch_scc1 .LBB7_32
	s_branch .LBB7_24
.LBB7_33:
	s_mov_b32 s3, 0
.LBB7_34:
	s_delay_alu instid0(SALU_CYCLE_1)
	s_and_b32 vcc_lo, exec_lo, s3
	s_cbranch_vccz .LBB7_62
; %bb.35:
	s_cmp_gt_i32 s6, 7
	s_cbranch_scc0 .LBB7_37
; %bb.36:
	s_ashr_i32 s9, s8, 31
	s_mov_b32 s3, 0
	s_lshl_b64 s[4:5], s[8:9], 2
	s_add_i32 s6, s2, -4
	v_add_co_u32 v11, vcc_lo, v0, s4
	v_add_co_ci_u32_e32 v12, vcc_lo, s5, v1, vcc_lo
	s_lshl_b64 s[4:5], s[2:3], 2
	s_mul_i32 s3, s8, 36
	v_add_co_u32 v4, vcc_lo, v0, s4
	global_load_b32 v17, v[11:12], off
	v_add_co_ci_u32_e32 v5, vcc_lo, s5, v1, vcc_lo
	s_clause 0x1
	global_load_b96 v[8:10], v[4:5], off offset:-16
	global_load_b128 v[4:7], v[4:5], off offset:-32
	s_add_i32 s4, s2, -2
	s_lshl_b32 s5, s8, 3
	s_sub_i32 s14, s3, 36
	s_add_i32 s11, s4, s5
	s_add_i32 s16, s6, s5
	s_lshl_b32 s11, s11, 2
	s_lshl_b32 s4, s4, 3
	v_mov_b32_e32 v13, s11
	s_add_i32 s24, s3, 0xffffff28
	s_delay_alu instid0(SALU_CYCLE_1)
	v_dual_mov_b32 v15, s14 :: v_dual_mov_b32 v34, s24
	s_lshl_b32 s14, s16, 2
	s_add_i32 s16, s6, s4
	s_add_i32 s18, s3, 0xffffff94
	s_lshl_b32 s11, s16, 2
	s_lshl_b32 s7, s2, 3
	v_mov_b32_e32 v18, s11
	ds_load_2addr_b32 v[13:14], v13 offset1:1
	v_dual_mov_b32 v21, s18 :: v_dual_mov_b32 v16, s14
	s_sub_i32 s17, s7, 24
	s_lshl_b32 s20, s6, 3
	s_add_i32 s6, s6, s17
	s_add_i32 s9, s2, -6
	ds_load_b32 v27, v15
	ds_load_2addr_b32 v[15:16], v16 offset1:1
	s_lshl_b32 s6, s6, 2
	s_add_i32 s10, s2, -8
	s_add_i32 s19, s9, s5
	v_mov_b32_e32 v19, s6
	s_sub_i32 s21, s7, 40
	s_add_i32 s22, s3, 0xffffff4c
	s_add_i32 s5, s10, s5
	;; [unrolled: 1-line block ×3, first 2 shown]
	s_lshl_b32 s18, s19, 2
	s_add_i32 s19, s9, s4
	v_dual_mov_b32 v33, s22 :: v_dual_mov_b32 v22, s18
	s_lshl_b32 s5, s5, 2
	s_lshl_b32 s7, s7, 2
	;; [unrolled: 1-line block ×3, first 2 shown]
	s_delay_alu instid0(SALU_CYCLE_1)
	v_dual_mov_b32 v23, s5 :: v_dual_mov_b32 v24, s14
	s_addk_i32 s7, 0xff20
	s_add_i32 s25, s9, s17
	s_add_i32 s17, s10, s17
	s_lshl_b32 s23, s9, 3
	s_lshl_b32 s5, s17, 2
	s_add_i32 s26, s9, s20
	s_add_i32 s9, s9, s21
	s_add_i32 s4, s10, s4
	s_add_i32 s20, s10, s20
	s_add_i32 s21, s10, s21
	s_add_i32 s10, s10, s23
	s_lshl_b32 s16, s25, 2
	s_lshl_b32 s4, s4, 2
	;; [unrolled: 1-line block ×5, first 2 shown]
	v_dual_mov_b32 v25, s16 :: v_dual_mov_b32 v28, s4
	v_dual_mov_b32 v31, s18 :: v_dual_mov_b32 v30, s17
	s_addk_i32 s3, 0xff04
	s_lshl_b32 s9, s9, 2
	s_lshl_b32 s19, s21, 2
	s_delay_alu instid0(SALU_CYCLE_1)
	v_dual_mov_b32 v35, s9 :: v_dual_mov_b32 v38, s19
	v_mov_b32_e32 v40, s7
	s_waitcnt vmcnt(2)
	v_mul_f32_e32 v26, s15, v17
	ds_load_2addr_b32 v[17:18], v18 offset1:1
	ds_load_2addr_b32 v[19:20], v19 offset1:1
	ds_load_b32 v36, v21
	ds_load_2addr_b32 v[21:22], v22 offset1:1
	s_waitcnt lgkmcnt(6)
	v_mul_f32_e32 v37, v26, v14
	v_mov_b32_e32 v29, s5
	s_waitcnt lgkmcnt(4)
	s_delay_alu instid0(VALU_DEP_2)
	v_dual_mov_b32 v39, s10 :: v_dual_mul_f32 v16, v37, v16
	v_mul_f32_e32 v26, v37, v13
	ds_load_2addr_b32 v[13:14], v24 offset1:1
	ds_load_2addr_b32 v[23:24], v23 offset1:1
	v_mul_f32_e32 v32, v37, v15
	s_waitcnt vmcnt(1)
	v_fma_f32 v9, v9, s15, -v16
	v_fma_f32 v10, v10, s15, -v26
	ds_load_2addr_b32 v[25:26], v25 offset1:1
	v_fma_f32 v8, v8, s15, -v32
	s_waitcnt lgkmcnt(3)
	v_dual_mul_f32 v10, v10, v27 :: v_dual_mul_f32 v21, v37, v21
	ds_load_2addr_b32 v[15:16], v28 offset1:1
	ds_load_2addr_b32 v[27:28], v29 offset1:1
	;; [unrolled: 1-line block ×3, first 2 shown]
	v_mul_f32_e32 v22, v37, v22
	ds_load_2addr_b32 v[31:32], v31 offset1:1
	v_fma_f32 v9, -v10, v18, v9
	v_fma_f32 v8, -v10, v17, v8
	ds_load_2addr_b32 v[17:18], v35 offset1:1
	s_waitcnt vmcnt(0)
	v_fma_f32 v7, v7, s15, -v22
	v_fma_f32 v6, v6, s15, -v21
	ds_load_b32 v21, v33
	s_waitcnt lgkmcnt(7)
	v_mul_f32_e32 v22, v37, v23
	global_store_b32 v[11:12], v37, off
	v_fma_f32 v7, -v10, v14, v7
	v_fma_f32 v4, v4, s15, -v22
	s_waitcnt lgkmcnt(5)
	s_delay_alu instid0(VALU_DEP_1) | instskip(SKIP_2) | instid1(SALU_CYCLE_1)
	v_fma_f32 v4, -v10, v15, v4
	v_mov_b32_e32 v15, s3
	s_ashr_i32 s3, s2, 31
	s_lshl_b64 s[4:5], s[2:3], 2
	ds_load_b32 v15, v15
	v_mul_f32_e32 v9, v9, v20
	v_mul_f32_e32 v20, v37, v24
	s_delay_alu instid0(VALU_DEP_2) | instskip(NEXT) | instid1(VALU_DEP_2)
	v_fma_f32 v8, -v9, v19, v8
	v_fma_f32 v19, v5, s15, -v20
	v_fma_f32 v20, -v10, v13, v6
	v_fma_f32 v7, -v9, v26, v7
	ds_load_2addr_b32 v[5:6], v38 offset1:1
	ds_load_2addr_b32 v[13:14], v39 offset1:1
	v_mul_f32_e32 v8, v8, v36
	v_fma_f32 v16, -v10, v16, v19
	v_fma_f32 v19, -v9, v25, v20
	ds_load_b32 v20, v34
	s_waitcnt lgkmcnt(8)
	v_fma_f32 v4, -v9, v27, v4
	s_waitcnt lgkmcnt(6)
	v_fma_f32 v7, -v8, v32, v7
	v_fma_f32 v16, -v9, v28, v16
	;; [unrolled: 1-line block ×4, first 2 shown]
	s_waitcnt lgkmcnt(5)
	v_mul_f32_e32 v7, v7, v18
	ds_load_b32 v18, v40
	v_fma_f32 v16, -v8, v30, v16
	v_fma_f32 v17, -v7, v17, v19
	s_waitcnt lgkmcnt(3)
	s_delay_alu instid0(VALU_DEP_2) | instskip(SKIP_1) | instid1(VALU_DEP_3)
	v_fma_f32 v16, -v7, v6, v16
	v_fma_f32 v4, -v7, v5, v4
	v_mul_f32_e32 v6, v17, v21
	s_waitcnt lgkmcnt(2)
	s_delay_alu instid0(VALU_DEP_1) | instskip(NEXT) | instid1(VALU_DEP_3)
	v_fma_f32 v14, -v6, v14, v16
	v_fma_f32 v4, -v6, v13, v4
	v_add_co_u32 v13, vcc_lo, v0, s4
	s_add_i32 s4, s2, -9
	s_waitcnt lgkmcnt(1)
	v_mul_f32_e32 v5, v14, v20
	v_add_co_ci_u32_e32 v14, vcc_lo, s5, v1, vcc_lo
	s_waitcnt lgkmcnt(0)
	s_delay_alu instid0(VALU_DEP_2) | instskip(NEXT) | instid1(VALU_DEP_1)
	v_fma_f32 v4, -v5, v18, v4
	v_mul_f32_e32 v4, v4, v15
	s_clause 0x1
	global_store_b96 v[13:14], v[8:10], off offset:-16
	global_store_b128 v[13:14], v[4:7], off offset:-32
	s_cmp_gt_i32 s4, -1
	s_cbranch_scc1 .LBB7_38
	s_branch .LBB7_62
.LBB7_37:
	s_mov_b32 s4, s8
	s_delay_alu instid0(SALU_CYCLE_1)
	s_cmp_gt_i32 s4, -1
	s_cbranch_scc0 .LBB7_62
.LBB7_38:
	s_cmp_lt_u32 s4, 3
	s_cbranch_scc1 .LBB7_44
; %bb.39:
	s_lshl_b32 s3, s2, 5
	s_lshl_b32 s5, s4, 2
	s_ashr_i32 s9, s8, 31
	s_add_i32 s3, s3, s5
	s_lshl_b64 s[6:7], s[8:9], 2
	s_sub_i32 s3, s3, 44
	s_add_u32 s5, s12, s6
	s_addc_u32 s6, s13, s7
	s_add_u32 s5, s5, s0
	s_addc_u32 s6, s6, s1
	v_add_co_u32 v4, vcc_lo, s5, v2
	v_add_co_ci_u32_e32 v5, vcc_lo, s6, v3, vcc_lo
	s_mov_b32 s5, 0
.LBB7_40:                               ; =>This Loop Header: Depth=1
                                        ;     Child Loop BB7_41 Depth 2
	s_delay_alu instid0(SALU_CYCLE_1)
	s_lshl_b64 s[6:7], s[4:5], 2
	s_cmp_le_i32 s8, s4
	v_add_co_u32 v6, vcc_lo, v0, s6
	v_add_co_ci_u32_e32 v7, vcc_lo, s7, v1, vcc_lo
	s_mov_b32 s6, s3
	s_mov_b32 s7, s8
	global_load_b128 v[6:9], v[6:7], off offset:-12
	s_waitcnt vmcnt(0)
	v_dual_mul_f32 v11, s15, v9 :: v_dual_mul_f32 v8, s15, v8
	v_dual_mul_f32 v10, s15, v7 :: v_dual_mul_f32 v9, s15, v6
	v_dual_mov_b32 v7, v5 :: v_dual_mov_b32 v6, v4
	s_cbranch_scc1 .LBB7_42
	.p2align	6
.LBB7_41:                               ;   Parent Loop BB7_40 Depth=1
                                        ; =>  This Inner Loop Header: Depth=2
	global_load_b32 v16, v[6:7], off
	v_mov_b32_e32 v14, s6
	v_add_co_u32 v6, vcc_lo, v6, -4
	v_add_co_ci_u32_e32 v7, vcc_lo, -1, v7, vcc_lo
	ds_load_2addr_b32 v[12:13], v14 offset0:2 offset1:3
	ds_load_2addr_b32 v[14:15], v14 offset1:1
	s_add_i32 s7, s7, -1
	s_sub_i32 s6, s6, 32
	s_cmp_gt_i32 s7, s4
	s_waitcnt vmcnt(0) lgkmcnt(1)
	v_fma_f32 v11, -v16, v13, v11
	v_fma_f32 v8, -v16, v12, v8
	s_waitcnt lgkmcnt(0)
	v_fma_f32 v10, -v16, v15, v10
	v_fma_f32 v9, -v16, v14, v9
	s_cbranch_scc1 .LBB7_41
.LBB7_42:                               ;   in Loop: Header=BB7_40 Depth=1
	s_add_i32 s6, s4, -1
	s_lshl_b32 s7, s4, 3
	s_add_i32 s10, s4, -3
	s_add_i32 s9, s6, s7
	s_add_i32 s7, s10, s7
	s_lshl_b32 s9, s9, 2
	s_lshl_b32 s7, s7, 2
	s_delay_alu instid0(SALU_CYCLE_1)
	v_dual_mov_b32 v6, s9 :: v_dual_mov_b32 v13, s7
	s_mul_i32 s9, s4, 36
	s_lshl_b32 s6, s6, 3
	s_sub_i32 s11, s9, 36
	ds_load_2addr_b32 v[6:7], v6 offset1:1
	v_mov_b32_e32 v12, s11
	s_add_i32 s10, s10, s6
	s_add_i32 s3, s3, -16
	s_lshl_b32 s6, s10, 2
	s_delay_alu instid0(SALU_CYCLE_1)
	v_mov_b32_e32 v14, s6
	s_sub_i32 s6, s7, 64
	s_ashr_i32 s7, s4, 31
	v_mov_b32_e32 v16, s6
	s_add_i32 s6, s9, 0xffffff94
	s_waitcnt lgkmcnt(0)
	v_mul_f32_e32 v11, v11, v7
	ds_load_b32 v18, v12
	ds_load_2addr_b32 v[12:13], v13 offset1:1
	v_mov_b32_e32 v7, s6
	ds_load_2addr_b32 v[14:15], v14 offset1:1
	ds_load_2addr_b32 v[16:17], v16 offset1:1
	v_fma_f32 v6, -v11, v6, v8
	s_mov_b32 s6, s4
	s_delay_alu instid0(SALU_CYCLE_1)
	s_lshl_b64 s[6:7], s[6:7], 2
	s_waitcnt lgkmcnt(2)
	v_fma_f32 v8, -v11, v13, v10
	v_mul_f32_e32 v10, v6, v18
	ds_load_b32 v13, v7
	v_fma_f32 v7, -v11, v12, v9
	s_waitcnt lgkmcnt(2)
	v_fma_f32 v6, -v10, v15, v8
	s_waitcnt lgkmcnt(1)
	s_delay_alu instid0(VALU_DEP_1) | instskip(SKIP_1) | instid1(VALU_DEP_1)
	v_mul_f32_e32 v9, v6, v17
	v_fma_f32 v6, -v10, v14, v7
	v_fma_f32 v8, -v9, v16, v6
	v_add_co_u32 v6, vcc_lo, v0, s6
	v_add_co_ci_u32_e32 v7, vcc_lo, s7, v1, vcc_lo
	s_waitcnt lgkmcnt(0)
	s_delay_alu instid0(VALU_DEP_3)
	v_mul_f32_e32 v8, v8, v13
	s_add_i32 s6, s4, -4
	s_cmp_gt_i32 s4, 6
	global_store_b128 v[6:7], v[8:11], off offset:-12
	s_cbranch_scc0 .LBB7_45
; %bb.43:                               ;   in Loop: Header=BB7_40 Depth=1
	s_mov_b32 s4, s6
	s_branch .LBB7_40
.LBB7_44:
	s_mov_b32 s6, s4
.LBB7_45:
	s_delay_alu instid0(SALU_CYCLE_1)
	s_cmp_lt_i32 s6, 0
	s_cbranch_scc1 .LBB7_62
; %bb.46:
	s_add_i32 s3, s6, 1
	s_mov_b32 s4, s6
	s_and_b32 s3, s3, 3
	s_delay_alu instid0(SALU_CYCLE_1)
	s_cmp_eq_u32 s3, 0
	s_cbranch_scc1 .LBB7_51
; %bb.47:
	s_lshl_b32 s4, s2, 5
	s_lshl_b32 s5, s6, 2
	s_ashr_i32 s9, s8, 31
	s_add_i32 s7, s4, s5
	s_lshl_b64 s[4:5], s[8:9], 2
	s_sub_i32 s7, s7, 32
	s_add_u32 s4, s12, s4
	s_addc_u32 s5, s13, s5
	s_add_u32 s4, s4, s0
	s_addc_u32 s5, s5, s1
	v_add_co_u32 v4, vcc_lo, s4, v2
	v_add_co_ci_u32_e32 v5, vcc_lo, s5, v3, vcc_lo
	s_mov_b32 s5, 0
	s_mov_b32 s4, s6
	;; [unrolled: 1-line block ×3, first 2 shown]
	s_set_inst_prefetch_distance 0x1
	s_branch .LBB7_49
	.p2align	6
.LBB7_48:                               ;   in Loop: Header=BB7_49 Depth=1
	s_mul_i32 s10, s4, 36
	s_ashr_i32 s11, s4, 31
	v_mov_b32_e32 v6, s10
	s_mov_b32 s10, s4
	s_add_i32 s9, s9, 1
	s_lshl_b64 s[10:11], s[10:11], 2
	s_add_i32 s4, s4, -1
	ds_load_b32 v9, v6
	v_add_co_u32 v6, vcc_lo, v0, s10
	v_add_co_ci_u32_e32 v7, vcc_lo, s11, v1, vcc_lo
	s_add_i32 s7, s7, -4
	s_cmp_lg_u32 s9, s3
	s_waitcnt lgkmcnt(0)
	v_mul_f32_e32 v8, v8, v9
	global_store_b32 v[6:7], v8, off
	s_cbranch_scc0 .LBB7_51
.LBB7_49:                               ; =>This Loop Header: Depth=1
                                        ;     Child Loop BB7_50 Depth 2
	s_lshl_b64 s[10:11], s[4:5], 2
	s_cmp_le_i32 s8, s4
	v_add_co_u32 v6, vcc_lo, v0, s10
	v_add_co_ci_u32_e32 v7, vcc_lo, s11, v1, vcc_lo
	s_mov_b32 s10, s7
	s_mov_b32 s11, s8
	global_load_b32 v6, v[6:7], off
	s_waitcnt vmcnt(0)
	v_dual_mul_f32 v8, s15, v6 :: v_dual_mov_b32 v7, v5
	v_mov_b32_e32 v6, v4
	s_cbranch_scc1 .LBB7_48
.LBB7_50:                               ;   Parent Loop BB7_49 Depth=1
                                        ; =>  This Inner Loop Header: Depth=2
	global_load_b32 v9, v[6:7], off
	v_mov_b32_e32 v10, s10
	v_add_co_u32 v6, vcc_lo, v6, -4
	v_add_co_ci_u32_e32 v7, vcc_lo, -1, v7, vcc_lo
	ds_load_b32 v10, v10
	s_add_i32 s11, s11, -1
	s_sub_i32 s10, s10, 32
	s_cmp_gt_i32 s11, s4
	s_waitcnt vmcnt(0) lgkmcnt(0)
	v_fma_f32 v8, -v9, v10, v8
	s_cbranch_scc1 .LBB7_50
	s_branch .LBB7_48
.LBB7_51:
	s_set_inst_prefetch_distance 0x2
	s_cmp_lt_u32 s6, 3
	s_cbranch_scc1 .LBB7_62
; %bb.52:
	s_lshl_b32 s3, s2, 5
	s_lshl_b32 s5, s4, 2
	s_ashr_i32 s9, s8, 31
	s_add_i32 s5, s3, s5
	s_lshl_b64 s[6:7], s[8:9], 2
	s_sub_i32 s3, s5, 32
	s_add_u32 s6, s12, s6
	s_addc_u32 s7, s13, s7
	s_add_u32 s0, s6, s0
	s_addc_u32 s1, s7, s1
	v_add_co_u32 v2, vcc_lo, s0, v2
	v_add_co_ci_u32_e32 v3, vcc_lo, s1, v3, vcc_lo
	s_sub_i32 s6, s5, 36
	s_sub_i32 s7, s5, 40
	;; [unrolled: 1-line block ×3, first 2 shown]
	s_mov_b32 s5, 0
	s_branch .LBB7_54
.LBB7_53:                               ;   in Loop: Header=BB7_54 Depth=1
	s_sub_i32 s0, s1, 36
	s_add_i32 s3, s3, -16
	v_mov_b32_e32 v6, s0
	s_add_i32 s0, s4, -4
	s_add_i32 s6, s6, -16
	;; [unrolled: 1-line block ×4, first 2 shown]
	ds_load_b32 v6, v6
	s_cmp_lt_i32 s4, 4
	s_mov_b32 s4, s0
	s_waitcnt lgkmcnt(0)
	v_mul_f32_e32 v6, v8, v6
	global_store_b32 v[4:5], v6, off offset:-12
	s_cbranch_scc1 .LBB7_62
.LBB7_54:                               ; =>This Loop Header: Depth=1
                                        ;     Child Loop BB7_55 Depth 2
                                        ;     Child Loop BB7_57 Depth 2
	;; [unrolled: 1-line block ×4, first 2 shown]
	s_lshl_b64 s[0:1], s[4:5], 2
	s_cmp_le_i32 s8, s4
	v_add_co_u32 v4, vcc_lo, v0, s0
	v_add_co_ci_u32_e32 v5, vcc_lo, s1, v1, vcc_lo
	s_mov_b32 s0, s3
	s_mov_b32 s1, s8
	global_load_b32 v4, v[4:5], off
	s_waitcnt vmcnt(0)
	v_dual_mul_f32 v6, s15, v4 :: v_dual_mov_b32 v5, v3
	v_mov_b32_e32 v4, v2
	s_cbranch_scc1 .LBB7_56
.LBB7_55:                               ;   Parent Loop BB7_54 Depth=1
                                        ; =>  This Inner Loop Header: Depth=2
	global_load_b32 v7, v[4:5], off
	v_mov_b32_e32 v8, s0
	v_add_co_u32 v4, vcc_lo, v4, -4
	v_add_co_ci_u32_e32 v5, vcc_lo, -1, v5, vcc_lo
	ds_load_b32 v8, v8
	s_add_i32 s1, s1, -1
	s_sub_i32 s0, s0, 32
	s_cmp_gt_i32 s1, s4
	s_waitcnt vmcnt(0) lgkmcnt(0)
	v_fma_f32 v6, -v7, v8, v6
	s_cbranch_scc1 .LBB7_55
.LBB7_56:                               ;   in Loop: Header=BB7_54 Depth=1
	s_add_i32 s0, s4, -1
	s_mov_b32 s1, s5
	s_mul_i32 s10, s4, 36
	s_lshl_b64 s[0:1], s[0:1], 2
	s_delay_alu instid0(SALU_CYCLE_1)
	v_add_co_u32 v4, vcc_lo, v0, s0
	v_add_co_ci_u32_e32 v5, vcc_lo, s1, v1, vcc_lo
	s_ashr_i32 s1, s4, 31
	s_mov_b32 s0, s4
	global_load_b32 v7, v[4:5], off
	v_mov_b32_e32 v4, s10
	s_lshl_b64 s[0:1], s[0:1], 2
	s_cmp_lt_i32 s8, s4
	ds_load_b32 v8, v4
	v_add_co_u32 v4, vcc_lo, v0, s0
	v_add_co_ci_u32_e32 v5, vcc_lo, s1, v1, vcc_lo
	s_mov_b32 s0, s6
	s_mov_b32 s1, s2
	s_waitcnt lgkmcnt(0)
	v_mul_f32_e32 v9, v6, v8
	global_store_b32 v[4:5], v9, off
	s_waitcnt vmcnt(0)
	v_dual_mul_f32 v8, s15, v7 :: v_dual_mov_b32 v7, v3
	v_mov_b32_e32 v6, v2
	s_cbranch_scc1 .LBB7_58
.LBB7_57:                               ;   Parent Loop BB7_54 Depth=1
                                        ; =>  This Inner Loop Header: Depth=2
	global_load_b32 v9, v[6:7], off
	v_mov_b32_e32 v10, s0
	v_add_co_u32 v6, vcc_lo, v6, -4
	v_add_co_ci_u32_e32 v7, vcc_lo, -1, v7, vcc_lo
	ds_load_b32 v10, v10
	s_add_i32 s1, s1, -1
	s_sub_i32 s0, s0, 32
	s_cmp_gt_i32 s1, s4
	s_waitcnt vmcnt(0) lgkmcnt(0)
	v_fma_f32 v8, -v9, v10, v8
	s_cbranch_scc1 .LBB7_57
.LBB7_58:                               ;   in Loop: Header=BB7_54 Depth=1
	s_add_i32 s0, s4, -2
	s_mov_b32 s1, s5
	s_sub_i32 s10, s10, 36
	s_lshl_b64 s[12:13], s[0:1], 2
	s_cmp_le_i32 s8, s0
	v_add_co_u32 v6, vcc_lo, v0, s12
	v_add_co_ci_u32_e32 v7, vcc_lo, s13, v1, vcc_lo
	s_mov_b32 s1, s7
	s_mov_b32 s11, s8
	global_load_b32 v6, v[6:7], off
	v_mov_b32_e32 v7, s10
	ds_load_b32 v7, v7
	s_waitcnt vmcnt(0) lgkmcnt(0)
	v_dual_mul_f32 v9, v8, v7 :: v_dual_mul_f32 v8, s15, v6
	v_dual_mov_b32 v7, v3 :: v_dual_mov_b32 v6, v2
	global_store_b32 v[4:5], v9, off offset:-4
	s_cbranch_scc1 .LBB7_60
.LBB7_59:                               ;   Parent Loop BB7_54 Depth=1
                                        ; =>  This Inner Loop Header: Depth=2
	global_load_b32 v9, v[6:7], off
	v_mov_b32_e32 v10, s1
	v_add_co_u32 v6, vcc_lo, v6, -4
	v_add_co_ci_u32_e32 v7, vcc_lo, -1, v7, vcc_lo
	ds_load_b32 v10, v10
	s_add_i32 s11, s11, -1
	s_sub_i32 s1, s1, 32
	s_cmp_gt_i32 s11, s0
	s_waitcnt vmcnt(0) lgkmcnt(0)
	v_fma_f32 v8, -v9, v10, v8
	s_cbranch_scc1 .LBB7_59
.LBB7_60:                               ;   in Loop: Header=BB7_54 Depth=1
	s_add_i32 s0, s4, -3
	s_mov_b32 s1, s5
	s_mov_b32 s11, s8
	s_lshl_b64 s[12:13], s[0:1], 2
	s_sub_i32 s1, s10, 36
	v_add_co_u32 v6, vcc_lo, v0, s12
	v_add_co_ci_u32_e32 v7, vcc_lo, s13, v1, vcc_lo
	s_cmp_le_i32 s8, s0
	s_mov_b32 s10, s9
	global_load_b32 v6, v[6:7], off
	v_mov_b32_e32 v7, s1
	ds_load_b32 v7, v7
	s_waitcnt vmcnt(0) lgkmcnt(0)
	v_dual_mul_f32 v9, v8, v7 :: v_dual_mul_f32 v8, s15, v6
	v_dual_mov_b32 v7, v3 :: v_dual_mov_b32 v6, v2
	global_store_b32 v[4:5], v9, off offset:-8
	s_cbranch_scc1 .LBB7_53
.LBB7_61:                               ;   Parent Loop BB7_54 Depth=1
                                        ; =>  This Inner Loop Header: Depth=2
	global_load_b32 v9, v[6:7], off
	v_mov_b32_e32 v10, s10
	v_add_co_u32 v6, vcc_lo, v6, -4
	v_add_co_ci_u32_e32 v7, vcc_lo, -1, v7, vcc_lo
	ds_load_b32 v10, v10
	s_add_i32 s11, s11, -1
	s_sub_i32 s10, s10, 32
	s_cmp_gt_i32 s11, s0
	s_waitcnt vmcnt(0) lgkmcnt(0)
	v_fma_f32 v8, -v9, v10, v8
	s_cbranch_scc1 .LBB7_61
	s_branch .LBB7_53
.LBB7_62:
	s_nop 0
	s_sendmsg sendmsg(MSG_DEALLOC_VGPRS)
	s_endpgm
	.section	.rodata,"a",@progbits
	.p2align	6, 0x0
	.amdhsa_kernel _ZL30rocblas_trsm_small_left_deviceILi8ELi8ELb0EffPKPKfPKPfEv13rocblas_fill_18rocblas_operation_17rocblas_diagonal_iiT3_T4_lilT5_lili
		.amdhsa_group_segment_fixed_size 256
		.amdhsa_private_segment_fixed_size 0
		.amdhsa_kernarg_size 352
		.amdhsa_user_sgpr_count 14
		.amdhsa_user_sgpr_dispatch_ptr 0
		.amdhsa_user_sgpr_queue_ptr 0
		.amdhsa_user_sgpr_kernarg_segment_ptr 1
		.amdhsa_user_sgpr_dispatch_id 0
		.amdhsa_user_sgpr_private_segment_size 0
		.amdhsa_wavefront_size32 1
		.amdhsa_uses_dynamic_stack 0
		.amdhsa_enable_private_segment 0
		.amdhsa_system_sgpr_workgroup_id_x 1
		.amdhsa_system_sgpr_workgroup_id_y 0
		.amdhsa_system_sgpr_workgroup_id_z 1
		.amdhsa_system_sgpr_workgroup_info 0
		.amdhsa_system_vgpr_workitem_id 0
		.amdhsa_next_free_vgpr 41
		.amdhsa_next_free_sgpr 31
		.amdhsa_reserve_vcc 1
		.amdhsa_float_round_mode_32 0
		.amdhsa_float_round_mode_16_64 0
		.amdhsa_float_denorm_mode_32 3
		.amdhsa_float_denorm_mode_16_64 3
		.amdhsa_dx10_clamp 1
		.amdhsa_ieee_mode 1
		.amdhsa_fp16_overflow 0
		.amdhsa_workgroup_processor_mode 1
		.amdhsa_memory_ordered 1
		.amdhsa_forward_progress 0
		.amdhsa_shared_vgpr_count 0
		.amdhsa_exception_fp_ieee_invalid_op 0
		.amdhsa_exception_fp_denorm_src 0
		.amdhsa_exception_fp_ieee_div_zero 0
		.amdhsa_exception_fp_ieee_overflow 0
		.amdhsa_exception_fp_ieee_underflow 0
		.amdhsa_exception_fp_ieee_inexact 0
		.amdhsa_exception_int_div_zero 0
	.end_amdhsa_kernel
	.section	.text._ZL30rocblas_trsm_small_left_deviceILi8ELi8ELb0EffPKPKfPKPfEv13rocblas_fill_18rocblas_operation_17rocblas_diagonal_iiT3_T4_lilT5_lili,"axG",@progbits,_ZL30rocblas_trsm_small_left_deviceILi8ELi8ELb0EffPKPKfPKPfEv13rocblas_fill_18rocblas_operation_17rocblas_diagonal_iiT3_T4_lilT5_lili,comdat
.Lfunc_end7:
	.size	_ZL30rocblas_trsm_small_left_deviceILi8ELi8ELb0EffPKPKfPKPfEv13rocblas_fill_18rocblas_operation_17rocblas_diagonal_iiT3_T4_lilT5_lili, .Lfunc_end7-_ZL30rocblas_trsm_small_left_deviceILi8ELi8ELb0EffPKPKfPKPfEv13rocblas_fill_18rocblas_operation_17rocblas_diagonal_iiT3_T4_lilT5_lili
                                        ; -- End function
	.section	.AMDGPU.csdata,"",@progbits
; Kernel info:
; codeLenInByte = 5008
; NumSgprs: 33
; NumVgprs: 41
; ScratchSize: 0
; MemoryBound: 0
; FloatMode: 240
; IeeeMode: 1
; LDSByteSize: 256 bytes/workgroup (compile time only)
; SGPRBlocks: 4
; VGPRBlocks: 5
; NumSGPRsForWavesPerEU: 33
; NumVGPRsForWavesPerEU: 41
; Occupancy: 16
; WaveLimiterHint : 1
; COMPUTE_PGM_RSRC2:SCRATCH_EN: 0
; COMPUTE_PGM_RSRC2:USER_SGPR: 14
; COMPUTE_PGM_RSRC2:TRAP_HANDLER: 0
; COMPUTE_PGM_RSRC2:TGID_X_EN: 1
; COMPUTE_PGM_RSRC2:TGID_Y_EN: 0
; COMPUTE_PGM_RSRC2:TGID_Z_EN: 1
; COMPUTE_PGM_RSRC2:TIDIG_COMP_CNT: 0
	.section	.text._ZL38rocblas_trsm_small_left_device_sharedBILi8ELi8ELb1EffPKPKfPKPfEv13rocblas_fill_18rocblas_operation_17rocblas_diagonal_iiT3_T4_lilT5_lili,"axG",@progbits,_ZL38rocblas_trsm_small_left_device_sharedBILi8ELi8ELb1EffPKPKfPKPfEv13rocblas_fill_18rocblas_operation_17rocblas_diagonal_iiT3_T4_lilT5_lili,comdat
	.globl	_ZL38rocblas_trsm_small_left_device_sharedBILi8ELi8ELb1EffPKPKfPKPfEv13rocblas_fill_18rocblas_operation_17rocblas_diagonal_iiT3_T4_lilT5_lili ; -- Begin function _ZL38rocblas_trsm_small_left_device_sharedBILi8ELi8ELb1EffPKPKfPKPfEv13rocblas_fill_18rocblas_operation_17rocblas_diagonal_iiT3_T4_lilT5_lili
	.p2align	8
	.type	_ZL38rocblas_trsm_small_left_device_sharedBILi8ELi8ELb1EffPKPKfPKPfEv13rocblas_fill_18rocblas_operation_17rocblas_diagonal_iiT3_T4_lilT5_lili,@function
_ZL38rocblas_trsm_small_left_device_sharedBILi8ELi8ELb1EffPKPKfPKPfEv13rocblas_fill_18rocblas_operation_17rocblas_diagonal_iiT3_T4_lilT5_lili: ; @_ZL38rocblas_trsm_small_left_device_sharedBILi8ELi8ELb1EffPKPKfPKPfEv13rocblas_fill_18rocblas_operation_17rocblas_diagonal_iiT3_T4_lilT5_lili
; %bb.0:
	s_clause 0x1
	s_load_b128 s[8:11], s[0:1], 0x38
	s_load_b128 s[4:7], s[0:1], 0x4
	s_mov_b32 s12, s15
	s_mov_b32 s13, 0
	s_mov_b32 s27, exec_lo
	s_lshl_b64 s[20:21], s[12:13], 3
	s_waitcnt lgkmcnt(0)
	s_add_u32 s2, s8, s20
	s_addc_u32 s3, s9, s21
	s_load_b32 s26, s[0:1], 0x14
	s_load_b64 s[2:3], s[2:3], 0x0
	s_min_i32 s12, s6, 8
	s_delay_alu instid0(SALU_CYCLE_1)
	s_add_i32 s15, s12, -1
	v_cmpx_gt_i32_e64 s12, v0
	s_cbranch_execz .LBB8_10
; %bb.1:
	s_clause 0x1
	s_load_b32 s8, s[0:1], 0x28
	s_load_b128 s[16:19], s[0:1], 0x18
	s_waitcnt lgkmcnt(0)
	s_ashr_i32 s9, s8, 31
	s_add_u32 s16, s16, s20
	s_addc_u32 s17, s17, s21
	s_cmp_lt_u32 s15, 3
	s_load_b64 s[16:17], s[16:17], 0x0
	s_cbranch_scc1 .LBB8_4
; %bb.2:
	v_lshlrev_b32_e32 v3, 2, v0
	s_lshl_b64 s[20:21], s[18:19], 2
	s_mul_hi_i32 s28, s8, 12
	s_waitcnt lgkmcnt(0)
	s_add_u32 s13, s16, s20
	s_addc_u32 s20, s17, s21
	v_add_co_u32 v1, s13, s13, v3
	s_delay_alu instid0(VALU_DEP_1)
	v_add_co_ci_u32_e64 v2, null, s20, 0, s13
	s_and_b32 s13, s12, -4
	s_mul_i32 s29, s8, 12
	s_lshl_b64 s[20:21], s[8:9], 4
	s_lshl_b64 s[22:23], s[8:9], 3
	;; [unrolled: 1-line block ×3, first 2 shown]
	s_mov_b32 s30, 0
	.p2align	6
.LBB8_3:                                ; =>This Inner Loop Header: Depth=1
	v_add_co_u32 v4, vcc_lo, v1, s24
	v_add_co_ci_u32_e32 v5, vcc_lo, s25, v2, vcc_lo
	v_add_co_u32 v6, vcc_lo, v1, s22
	v_add_co_ci_u32_e32 v7, vcc_lo, s23, v2, vcc_lo
	;; [unrolled: 2-line block ×3, first 2 shown]
	s_clause 0x3
	global_load_b32 v10, v[1:2], off
	global_load_b32 v4, v[4:5], off
	;; [unrolled: 1-line block ×4, first 2 shown]
	v_add_co_u32 v1, vcc_lo, v1, s20
	v_add_co_ci_u32_e32 v2, vcc_lo, s21, v2, vcc_lo
	s_add_i32 s30, s30, 4
	s_waitcnt vmcnt(2)
	ds_store_2addr_b32 v3, v10, v4 offset1:8
	s_waitcnt vmcnt(0)
	ds_store_2addr_b32 v3, v5, v6 offset0:16 offset1:24
	v_add_nc_u32_e32 v3, 0x80, v3
	s_cmp_eq_u32 s13, s30
	s_cbranch_scc0 .LBB8_3
.LBB8_4:
	s_and_b32 s20, s12, 3
	s_delay_alu instid0(SALU_CYCLE_1)
	s_cmp_eq_u32 s20, 0
	s_cbranch_scc1 .LBB8_7
; %bb.5:
	s_mul_i32 s21, s9, s13
	s_mul_hi_u32 s22, s8, s13
	v_lshlrev_b32_e32 v1, 2, v0
	s_add_i32 s23, s22, s21
	s_mul_i32 s22, s8, s13
	s_lshl_b64 s[18:19], s[18:19], 2
	s_lshl_b64 s[22:23], s[22:23], 2
	v_lshl_or_b32 v3, s13, 5, v1
	s_add_u32 s13, s22, s18
	s_addc_u32 s18, s23, s19
	s_waitcnt lgkmcnt(0)
	s_add_u32 s13, s16, s13
	s_addc_u32 s16, s17, s18
	v_add_co_u32 v1, s13, s13, v1
	s_delay_alu instid0(VALU_DEP_1)
	v_add_co_ci_u32_e64 v2, null, s16, 0, s13
	s_lshl_b64 s[8:9], s[8:9], 2
.LBB8_6:                                ; =>This Inner Loop Header: Depth=1
	global_load_b32 v4, v[1:2], off
	v_add_co_u32 v1, vcc_lo, v1, s8
	v_add_co_ci_u32_e32 v2, vcc_lo, s9, v2, vcc_lo
	s_add_i32 s20, s20, -1
	s_delay_alu instid0(SALU_CYCLE_1)
	s_cmp_lg_u32 s20, 0
	s_waitcnt vmcnt(0)
	ds_store_b32 v3, v4
	v_add_nc_u32_e32 v3, 32, v3
	s_cbranch_scc1 .LBB8_6
.LBB8_7:
	v_mul_u32_u24_e32 v1, 9, v0
	s_cmpk_lg_i32 s5, 0x84
	s_delay_alu instid0(VALU_DEP_1)
	v_dual_mov_b32 v2, 1.0 :: v_dual_lshlrev_b32 v1, 2, v1
	s_cbranch_scc0 .LBB8_9
; %bb.8:
	ds_load_b32 v2, v1
	s_waitcnt lgkmcnt(0)
	v_div_scale_f32 v3, null, v2, v2, 1.0
	s_delay_alu instid0(VALU_DEP_1) | instskip(SKIP_2) | instid1(VALU_DEP_1)
	v_rcp_f32_e32 v4, v3
	s_waitcnt_depctr 0xfff
	v_fma_f32 v5, -v3, v4, 1.0
	v_fmac_f32_e32 v4, v5, v4
	v_div_scale_f32 v5, vcc_lo, 1.0, v2, 1.0
	s_delay_alu instid0(VALU_DEP_1) | instskip(NEXT) | instid1(VALU_DEP_1)
	v_mul_f32_e32 v6, v5, v4
	v_fma_f32 v7, -v3, v6, v5
	s_delay_alu instid0(VALU_DEP_1) | instskip(NEXT) | instid1(VALU_DEP_1)
	v_fmac_f32_e32 v6, v7, v4
	v_fma_f32 v3, -v3, v6, v5
	s_delay_alu instid0(VALU_DEP_1) | instskip(NEXT) | instid1(VALU_DEP_1)
	v_div_fmas_f32 v3, v3, v4, v6
	v_div_fixup_f32 v2, v3, v2, 1.0
.LBB8_9:
	ds_store_b32 v1, v2
.LBB8_10:
	s_or_b32 exec_lo, exec_lo, s27
	s_clause 0x1
	s_load_b32 s5, s[0:1], 0x60
	s_load_b32 s0, s[0:1], 0x48
	s_lshl_b64 s[8:9], s[10:11], 2
	v_lshlrev_b32_e32 v5, 2, v0
	s_waitcnt lgkmcnt(0)
	s_add_u32 s1, s2, s8
	s_addc_u32 s8, s3, s9
	s_lshl_b32 s2, s14, 3
	s_delay_alu instid0(SALU_CYCLE_1)
	s_sub_i32 s7, s7, s2
	s_add_i32 s5, s5, -1
	s_mul_hi_i32 s3, s0, s2
	s_cmp_ge_u32 s14, s5
	s_mul_i32 s2, s0, s2
	s_cselect_b32 s5, s7, 8
	s_lshl_b64 s[2:3], s[2:3], 2
	v_cmp_gt_i32_e32 vcc_lo, s5, v0
	s_add_u32 s1, s1, s2
	s_addc_u32 s2, s8, s3
	s_cmp_gt_i32 s6, 0
	s_mov_b32 s5, -1
	s_cselect_b32 s3, -1, 0
	s_delay_alu instid0(SALU_CYCLE_1) | instskip(NEXT) | instid1(SALU_CYCLE_1)
	s_and_b32 s3, vcc_lo, s3
	s_and_saveexec_b32 s7, s3
	s_cbranch_execz .LBB8_19
; %bb.11:
	v_mad_i64_i32 v[1:2], null, s0, v0, 0
	s_cmp_eq_u32 s6, 1
	s_delay_alu instid0(VALU_DEP_1) | instskip(NEXT) | instid1(VALU_DEP_1)
	v_lshlrev_b64 v[1:2], 2, v[1:2]
	v_add_co_u32 v1, vcc_lo, s1, v1
	s_delay_alu instid0(VALU_DEP_2)
	v_add_co_ci_u32_e32 v2, vcc_lo, s2, v2, vcc_lo
	global_load_b32 v3, v[1:2], off
	s_waitcnt vmcnt(0)
	v_mul_f32_e32 v3, s26, v3
	ds_store_b32 v5, v3 offset:256
	s_cbranch_scc1 .LBB8_19
; %bb.12:
	global_load_b32 v4, v[1:2], off offset:4
	v_or_b32_e32 v3, 0x100, v5
	s_cmp_eq_u32 s6, 2
	s_waitcnt vmcnt(0)
	v_mul_f32_e32 v4, s26, v4
	ds_store_b32 v3, v4 offset:32
	s_cbranch_scc1 .LBB8_19
; %bb.13:
	global_load_b32 v4, v[1:2], off offset:8
	s_cmp_eq_u32 s6, 3
	s_waitcnt vmcnt(0)
	v_mul_f32_e32 v4, s26, v4
	ds_store_b32 v3, v4 offset:64
	s_cbranch_scc1 .LBB8_19
; %bb.14:
	global_load_b32 v4, v[1:2], off offset:12
	;; [unrolled: 7-line block ×6, first 2 shown]
	s_waitcnt vmcnt(0)
	v_mul_f32_e32 v1, s26, v1
	ds_store_b32 v3, v1 offset:224
.LBB8_19:
	s_or_b32 exec_lo, exec_lo, s7
	s_cmpk_eq_i32 s4, 0x6f
	s_waitcnt vmcnt(0) lgkmcnt(0)
	s_waitcnt_vscnt null, 0x0
	; wave barrier
	s_waitcnt lgkmcnt(0)
	buffer_gl0_inv
	s_cbranch_scc1 .LBB8_44
; %bb.20:
	s_cmp_gt_i32 s6, 7
	s_cbranch_scc0 .LBB8_22
; %bb.21:
	s_lshl_b32 s4, s12, 3
	s_mul_i32 s11, s15, 36
	s_add_i32 s5, s4, -16
	s_sub_i32 s9, s4, 48
	v_or_b32_e32 v1, s5, v0
	s_sub_i32 s5, s4, 32
	v_lshl_or_b32 v18, s15, 5, v5
	v_or_b32_e32 v3, s5, v0
	s_sub_i32 s7, s4, 24
	v_lshlrev_b32_e32 v7, 2, v1
	v_or_b32_e32 v1, s9, v0
	s_sub_i32 s10, s4, 56
	v_dual_mov_b32 v3, s11 :: v_dual_lshlrev_b32 v20, 2, v3
	v_or_b32_e32 v2, s7, v0
	s_sub_i32 s13, s11, 36
	v_lshlrev_b32_e32 v22, 2, v1
	v_or_b32_e32 v1, s10, v0
	ds_load_b32 v6, v18 offset:256
	ds_load_b32 v9, v7 offset:256
	ds_load_b32 v8, v3
	s_sub_i32 s8, s4, 40
	s_sub_i32 s4, s4, 64
	v_lshlrev_b32_e32 v19, 2, v2
	v_or_b32_e32 v2, s4, v0
	v_lshlrev_b32_e32 v23, 2, v1
	v_mov_b32_e32 v1, s13
	s_add_i32 s7, s7, s15
	s_add_i32 s5, s5, s15
	s_lshl_b32 s7, s7, 2
	v_lshlrev_b32_e32 v24, 2, v2
	ds_load_2addr_b32 v[1:2], v1 offset1:1
	v_mov_b32_e32 v3, s7
	v_or_b32_e32 v4, s8, v0
	s_lshl_b32 s5, s5, 2
	s_add_i32 s7, s11, 0xffffffb8
	s_add_i32 s5, s5, -4
	s_add_i32 s8, s8, s15
	v_mov_b32_e32 v7, s5
	s_add_i32 s5, s11, 0xffffff94
	v_dual_mov_b32 v4, s7 :: v_dual_lshlrev_b32 v21, 2, v4
	s_waitcnt lgkmcnt(1)
	v_mul_f32_e32 v26, v6, v8
	v_mov_b32_e32 v8, s5
	ds_load_b32 v10, v19 offset:256
	ds_load_b32 v11, v20 offset:256
	;; [unrolled: 1-line block ×6, first 2 shown]
	ds_load_b32 v14, v3
	ds_load_2addr_b32 v[3:4], v4 offset1:1
	ds_load_2addr_b32 v[6:7], v7 offset1:1
	s_lshl_b32 s5, s8, 2
	s_add_i32 s9, s9, s15
	s_add_i32 s7, s11, 0xffffff70
	s_add_i32 s10, s10, s15
	s_waitcnt lgkmcnt(9)
	v_fma_f32 v2, -v26, v2, v9
	s_add_i32 s4, s4, s15
	s_delay_alu instid0(SALU_CYCLE_1) | instskip(NEXT) | instid1(VALU_DEP_1)
	s_lshl_b32 s4, s4, 2
	v_mul_f32_e32 v27, v2, v1
	ds_load_2addr_b32 v[1:2], v8 offset1:1
	v_mov_b32_e32 v9, s5
	s_add_i32 s5, s5, -8
	ds_load_b32 v15, v9
	s_waitcnt lgkmcnt(4)
	v_fma_f32 v8, -v26, v14, v10
	v_mov_b32_e32 v9, s5
	s_waitcnt lgkmcnt(2)
	v_fma_f32 v7, -v26, v7, v11
	s_lshl_b32 s5, s9, 2
	v_fma_f32 v4, -v27, v4, v8
	ds_load_2addr_b32 v[8:9], v9 offset1:1
	s_add_i32 s8, s5, -4
	s_add_i32 s5, s5, -12
	v_mul_f32_e32 v28, v4, v3
	v_fma_f32 v3, -v27, v6, v7
	v_mov_b32_e32 v4, s7
	v_mov_b32_e32 v6, s8
	s_lshl_b32 s7, s10, 2
	s_waitcnt lgkmcnt(2)
	v_fma_f32 v2, -v28, v2, v3
	s_add_i32 s8, s7, -4
	s_waitcnt lgkmcnt(1)
	v_fma_f32 v3, -v26, v15, v12
	s_delay_alu instid0(VALU_DEP_2) | instskip(SKIP_1) | instid1(VALU_DEP_2)
	v_mul_f32_e32 v29, v2, v1
	s_waitcnt lgkmcnt(0)
	v_fma_f32 v7, -v27, v9, v3
	ds_load_2addr_b32 v[1:2], v4 offset1:1
	ds_load_2addr_b32 v[3:4], v6 offset1:1
	v_mov_b32_e32 v6, s8
	s_add_i32 s8, s11, 0xffffff4c
	s_delay_alu instid0(SALU_CYCLE_1)
	v_mov_b32_e32 v10, s8
	v_fma_f32 v17, -v28, v8, v7
	v_mov_b32_e32 v8, s5
	ds_load_2addr_b32 v[6:7], v6 offset1:1
	s_add_i32 s5, s7, -12
	ds_load_2addr_b32 v[10:11], v10 offset1:1
	v_mov_b32_e32 v14, s5
	ds_load_2addr_b32 v[8:9], v8 offset1:1
	s_add_i32 s5, s4, -8
	s_delay_alu instid0(SALU_CYCLE_1) | instskip(SKIP_1) | instid1(SALU_CYCLE_1)
	v_dual_mov_b32 v12, s4 :: v_dual_mov_b32 v15, s5
	s_sub_i32 s5, s7, 20
	v_mov_b32_e32 v31, s5
	s_add_i32 s5, s4, -16
	s_waitcnt lgkmcnt(4)
	v_fma_f32 v32, -v29, v2, v17
	s_waitcnt lgkmcnt(3)
	v_fma_f32 v4, -v26, v4, v13
	s_sub_i32 s4, s4, 24
	ds_load_b32 v30, v12
	v_mul_f32_e32 v1, v32, v1
	v_fma_f32 v4, -v27, v3, v4
	ds_load_2addr_b32 v[2:3], v31 offset1:1
	s_waitcnt lgkmcnt(4)
	v_fma_f32 v7, -v26, v7, v16
	s_waitcnt lgkmcnt(2)
	v_fma_f32 v4, -v28, v9, v4
	v_mov_b32_e32 v9, s4
	s_delay_alu instid0(VALU_DEP_3) | instskip(SKIP_1) | instid1(VALU_DEP_3)
	v_fma_f32 v31, -v27, v6, v7
	s_add_i32 s4, s11, 0xffffff28
	v_fma_f32 v4, -v29, v8, v4
	v_mov_b32_e32 v33, s4
	s_add_i32 s4, s11, 0xffffff04
	s_delay_alu instid0(VALU_DEP_2) | instskip(SKIP_3) | instid1(VALU_DEP_3)
	v_fma_f32 v4, -v1, v11, v4
	v_mov_b32_e32 v17, s5
	v_mov_b32_e32 v11, s4
	s_lshl_b32 s4, s12, 5
	v_mul_f32_e32 v4, v4, v10
	ds_load_2addr_b32 v[16:17], v17 offset1:1
	ds_load_2addr_b32 v[6:7], v9 offset1:1
	;; [unrolled: 1-line block ×4, first 2 shown]
	s_waitcnt lgkmcnt(5)
	v_fma_f32 v9, -v26, v30, v25
	s_sub_i32 s4, s4, 64
	s_waitcnt lgkmcnt(1)
	v_fma_f32 v8, -v28, v13, v31
	ds_load_b32 v13, v33
	s_waitcnt lgkmcnt(1)
	v_fma_f32 v9, -v27, v15, v9
	v_fma_f32 v8, -v29, v12, v8
	s_delay_alu instid0(VALU_DEP_2) | instskip(NEXT) | instid1(VALU_DEP_2)
	v_fma_f32 v9, -v28, v14, v9
	v_fma_f32 v3, -v1, v3, v8
	s_delay_alu instid0(VALU_DEP_2) | instskip(SKIP_4) | instid1(VALU_DEP_2)
	v_fma_f32 v8, -v29, v17, v9
	ds_load_b32 v9, v11
	v_fma_f32 v2, -v4, v2, v3
	v_fma_f32 v3, -v1, v16, v8
	s_waitcnt lgkmcnt(1)
	v_mul_f32_e32 v2, v2, v13
	s_delay_alu instid0(VALU_DEP_2)
	v_fma_f32 v3, -v4, v7, v3
	ds_store_b32 v18, v26 offset:256
	ds_store_b32 v19, v28 offset:256
	;; [unrolled: 1-line block ×6, first 2 shown]
	v_fma_f32 v3, -v2, v6, v3
	v_or_b32_e32 v6, s4, v5
	s_add_i32 s4, s12, -9
	s_waitcnt lgkmcnt(6)
	s_delay_alu instid0(VALU_DEP_2)
	v_mul_f32_e32 v3, v3, v9
	ds_store_b32 v6, v27 offset:256
	ds_store_b32 v24, v3 offset:256
	s_cmp_gt_i32 s4, -1
	s_cbranch_scc1 .LBB8_23
	s_branch .LBB8_43
.LBB8_22:
	s_mov_b32 s4, s15
	s_delay_alu instid0(SALU_CYCLE_1)
	s_cmp_gt_i32 s4, -1
	s_cbranch_scc0 .LBB8_43
.LBB8_23:
	s_cmp_lt_u32 s4, 3
	s_cbranch_scc1 .LBB8_29
; %bb.24:
	v_lshl_or_b32 v1, s12, 5, v5
	s_lshl_b32 s5, s4, 5
	s_lshl_b32 s7, s12, 2
	s_delay_alu instid0(SALU_CYCLE_1) | instskip(NEXT) | instid1(VALU_DEP_1)
	s_add_i32 s5, s5, s7
	v_add_nc_u32_e32 v1, 0xe0, v1
	s_addk_i32 s5, 0xff9c
.LBB8_25:                               ; =>This Loop Header: Depth=1
                                        ;     Child Loop BB8_26 Depth 2
	s_lshl_b32 s7, s4, 3
	s_mov_b32 s10, s15
	s_add_i32 s9, s7, -8
	v_or_b32_e32 v2, s7, v0
	s_add_i32 s8, s7, -16
	v_or_b32_e32 v3, s9, v0
	s_sub_i32 s7, s7, 24
	v_or_b32_e32 v4, s8, v0
	v_or_b32_e32 v6, s7, v0
	v_dual_mov_b32 v10, v1 :: v_dual_lshlrev_b32 v9, 2, v2
	v_lshlrev_b32_e32 v7, 2, v3
	s_delay_alu instid0(VALU_DEP_4) | instskip(NEXT) | instid1(VALU_DEP_4)
	v_lshlrev_b32_e32 v3, 2, v4
	v_lshlrev_b32_e32 v2, 2, v6
	ds_load_b32 v8, v9 offset:256
	ds_load_b32 v6, v7 offset:256
	;; [unrolled: 1-line block ×4, first 2 shown]
	s_cmp_le_i32 s15, s4
	s_mov_b32 s9, s5
	s_cbranch_scc1 .LBB8_27
	.p2align	6
.LBB8_26:                               ;   Parent Loop BB8_25 Depth=1
                                        ; =>  This Inner Loop Header: Depth=2
	v_mov_b32_e32 v13, s9
	s_add_i32 s10, s10, -1
	s_add_i32 s9, s9, -4
	s_cmp_gt_i32 s10, s4
	ds_load_b32 v15, v10
	ds_load_2addr_b32 v[11:12], v13 offset0:16 offset1:24
	ds_load_2addr_b32 v[13:14], v13 offset1:8
	v_subrev_nc_u32_e32 v10, 32, v10
	s_waitcnt lgkmcnt(1)
	v_fma_f32 v8, -v15, v12, v8
	v_fma_f32 v6, -v15, v11, v6
	s_waitcnt lgkmcnt(0)
	v_fma_f32 v7, -v15, v14, v7
	v_fma_f32 v4, -v15, v13, v4
	s_cbranch_scc1 .LBB8_26
.LBB8_27:                               ;   in Loop: Header=BB8_25 Depth=1
	s_mul_i32 s9, s4, 36
	s_delay_alu instid0(SALU_CYCLE_1) | instskip(SKIP_3) | instid1(SALU_CYCLE_1)
	v_dual_mov_b32 v10, s9 :: v_dual_add_nc_u32 v9, 0x100, v9
	s_add_i32 s8, s8, s4
	s_sub_i32 s10, s9, 36
	s_lshl_b32 s8, s8, 2
	v_dual_mov_b32 v11, s10 :: v_dual_mov_b32 v12, s8
	ds_load_b32 v16, v10
	s_add_i32 s7, s7, s4
	s_add_i32 s8, s9, 0xffffffb8
	s_lshl_b32 s7, s7, 2
	ds_load_b32 v18, v12
	ds_load_2addr_b32 v[10:11], v11 offset1:1
	s_add_i32 s7, s7, -4
	s_delay_alu instid0(SALU_CYCLE_1)
	v_dual_mov_b32 v14, s8 :: v_dual_mov_b32 v13, s7
	ds_load_2addr_b32 v[12:13], v13 offset1:1
	ds_load_2addr_b32 v[14:15], v14 offset1:1
	s_add_i32 s7, s9, 0xffffff94
	s_addk_i32 s5, 0xff80
	v_mov_b32_e32 v17, s7
	s_lshl_b32 s7, s4, 5
	s_delay_alu instid0(SALU_CYCLE_1)
	s_sub_i32 s7, s7, 32
	s_waitcnt lgkmcnt(4)
	v_mul_f32_e32 v8, v8, v16
	ds_load_2addr_b32 v[16:17], v17 offset1:1
	s_waitcnt lgkmcnt(3)
	v_fma_f32 v6, -v8, v11, v6
	v_fma_f32 v7, -v8, v18, v7
	ds_store_b32 v9, v8
	v_mul_f32_e32 v6, v6, v10
	v_lshl_or_b32 v10, v0, 2, s7
	s_waitcnt lgkmcnt(3)
	v_fma_f32 v4, -v8, v13, v4
	s_add_i32 s7, s4, -4
	s_cmp_gt_i32 s4, 6
	s_waitcnt lgkmcnt(2)
	v_fma_f32 v7, -v6, v15, v7
	v_fma_f32 v4, -v6, v12, v4
	s_delay_alu instid0(VALU_DEP_2) | instskip(SKIP_1) | instid1(VALU_DEP_1)
	v_mul_f32_e32 v7, v7, v14
	s_waitcnt lgkmcnt(1)
	v_fma_f32 v4, -v7, v17, v4
	s_delay_alu instid0(VALU_DEP_1)
	v_mul_f32_e32 v4, v4, v16
	ds_store_b32 v3, v7 offset:256
	ds_store_b32 v10, v6 offset:256
	;; [unrolled: 1-line block ×3, first 2 shown]
	s_cbranch_scc0 .LBB8_30
; %bb.28:                               ;   in Loop: Header=BB8_25 Depth=1
	s_mov_b32 s4, s7
	s_branch .LBB8_25
.LBB8_29:
	s_mov_b32 s7, s4
.LBB8_30:
	s_delay_alu instid0(SALU_CYCLE_1)
	s_cmp_lt_i32 s7, 0
	s_cbranch_scc1 .LBB8_43
; %bb.31:
	s_bitcmp1_b32 s7, 0
	s_cselect_b32 s4, -1, 0
	s_delay_alu instid0(SALU_CYCLE_1)
	s_and_b32 vcc_lo, exec_lo, s4
	s_mov_b32 s4, s7
	s_cbranch_vccnz .LBB8_36
; %bb.32:
	v_lshl_or_b32 v2, s7, 5, v5
	s_cmp_le_i32 s15, s7
	ds_load_b32 v1, v2 offset:256
	s_cbranch_scc1 .LBB8_35
; %bb.33:
	v_lshl_or_b32 v3, s12, 5, v5
	s_lshl_b32 s4, s7, 5
	s_lshl_b32 s5, s12, 2
	s_delay_alu instid0(SALU_CYCLE_1) | instskip(NEXT) | instid1(VALU_DEP_1)
	s_add_i32 s4, s4, s5
	v_add_nc_u32_e32 v3, 0xe0, v3
	s_add_i32 s4, s4, -4
	s_mov_b32 s5, s15
.LBB8_34:                               ; =>This Inner Loop Header: Depth=1
	v_mov_b32_e32 v4, s4
	s_add_i32 s5, s5, -1
	s_add_i32 s4, s4, -4
	s_cmp_gt_i32 s5, s7
	ds_load_b32 v6, v3
	ds_load_b32 v4, v4
	v_subrev_nc_u32_e32 v3, 32, v3
	s_waitcnt lgkmcnt(0)
	v_fma_f32 v1, -v6, v4, v1
	s_cbranch_scc1 .LBB8_34
.LBB8_35:
	s_mul_i32 s4, s7, 36
	s_delay_alu instid0(SALU_CYCLE_1)
	v_dual_mov_b32 v3, s4 :: v_dual_add_nc_u32 v2, 0x100, v2
	s_add_i32 s4, s7, -1
	ds_load_b32 v3, v3
	s_waitcnt lgkmcnt(0)
	v_mul_f32_e32 v1, v1, v3
	ds_store_b32 v2, v1
.LBB8_36:
	s_cmp_eq_u32 s7, 0
	s_cbranch_scc1 .LBB8_43
; %bb.37:
	v_lshl_or_b32 v1, s12, 5, v5
	s_lshl_b32 s5, s4, 5
	s_lshl_b32 s7, s12, 2
	s_delay_alu instid0(SALU_CYCLE_1) | instskip(NEXT) | instid1(VALU_DEP_1)
	s_add_i32 s7, s5, s7
	v_add_nc_u32_e32 v1, 0xe0, v1
	s_add_i32 s5, s7, -4
	s_sub_i32 s7, s7, 36
	s_branch .LBB8_39
.LBB8_38:                               ;   in Loop: Header=BB8_39 Depth=1
	s_sub_i32 s8, s8, 36
	v_add_nc_u32_e32 v2, 0x100, v4
	v_mov_b32_e32 v4, s8
	s_add_i32 s8, s4, -2
	s_sub_i32 s5, s5, 64
	s_sub_i32 s7, s7, 64
	s_cmp_lt_i32 s4, 2
	ds_load_b32 v4, v4
	s_mov_b32 s4, s8
	s_waitcnt lgkmcnt(0)
	v_mul_f32_e32 v3, v3, v4
	ds_store_b32 v2, v3
	s_cbranch_scc1 .LBB8_43
.LBB8_39:                               ; =>This Loop Header: Depth=1
                                        ;     Child Loop BB8_40 Depth 2
                                        ;     Child Loop BB8_42 Depth 2
	v_lshl_or_b32 v3, s4, 5, v5
	v_mov_b32_e32 v4, v1
	s_cmp_le_i32 s15, s4
	s_mov_b32 s8, s5
	s_mov_b32 s9, s15
	ds_load_b32 v2, v3 offset:256
	s_cbranch_scc1 .LBB8_41
.LBB8_40:                               ;   Parent Loop BB8_39 Depth=1
                                        ; =>  This Inner Loop Header: Depth=2
	v_mov_b32_e32 v6, s8
	s_add_i32 s9, s9, -1
	s_add_i32 s8, s8, -4
	s_cmp_gt_i32 s9, s4
	ds_load_b32 v7, v4
	ds_load_b32 v6, v6
	v_subrev_nc_u32_e32 v4, 32, v4
	s_waitcnt lgkmcnt(0)
	v_fma_f32 v2, -v7, v6, v2
	s_cbranch_scc1 .LBB8_40
.LBB8_41:                               ;   in Loop: Header=BB8_39 Depth=1
	s_mul_i32 s8, s4, 36
	s_delay_alu instid0(SALU_CYCLE_1)
	v_dual_mov_b32 v3, s8 :: v_dual_add_nc_u32 v6, 0x100, v3
	s_lshl_b32 s9, s4, 5
	s_mov_b32 s10, s12
	s_sub_i32 s9, s9, 32
	s_cmp_lt_i32 s15, s4
	ds_load_b32 v7, v3
	v_lshl_or_b32 v4, v0, 2, s9
	s_mov_b32 s9, s7
	ds_load_b32 v3, v4 offset:256
	s_waitcnt lgkmcnt(1)
	v_dual_mul_f32 v7, v2, v7 :: v_dual_mov_b32 v2, v1
	ds_store_b32 v6, v7
	s_cbranch_scc1 .LBB8_38
.LBB8_42:                               ;   Parent Loop BB8_39 Depth=1
                                        ; =>  This Inner Loop Header: Depth=2
	v_mov_b32_e32 v6, s9
	s_add_i32 s10, s10, -1
	s_add_i32 s9, s9, -4
	s_cmp_gt_i32 s10, s4
	ds_load_b32 v7, v2
	ds_load_b32 v6, v6
	v_subrev_nc_u32_e32 v2, 32, v2
	s_waitcnt lgkmcnt(0)
	v_fma_f32 v3, -v7, v6, v3
	s_cbranch_scc1 .LBB8_42
	s_branch .LBB8_38
.LBB8_43:
	s_mov_b32 s5, 0
.LBB8_44:
	s_delay_alu instid0(SALU_CYCLE_1)
	s_and_b32 vcc_lo, exec_lo, s5
	s_cbranch_vccz .LBB8_66
; %bb.45:
	s_cmp_gt_i32 s6, 7
	s_cbranch_scc0 .LBB8_47
; %bb.46:
	v_mov_b32_e32 v28, 0
	s_mov_b32 s5, 8
	ds_load_2addr_b32 v[14:15], v5 offset0:64 offset1:72
	ds_load_b128 v[1:4], v28
	ds_load_2addr_b32 v[16:17], v5 offset0:80 offset1:88
	ds_load_2addr_b32 v[18:19], v28 offset0:9 offset1:10
	;; [unrolled: 1-line block ×3, first 2 shown]
	ds_load_2addr_b64 v[6:9], v28 offset0:9 offset1:10
	ds_load_b128 v[10:13], v28 offset:16
	ds_load_2addr_b32 v[22:23], v28 offset0:11 offset1:12
	s_waitcnt lgkmcnt(6)
	v_mul_f32_e32 v29, v14, v1
	s_delay_alu instid0(VALU_DEP_1)
	v_fma_f32 v1, -v29, v2, v15
	ds_load_2addr_b32 v[14:15], v5 offset0:112 offset1:120
	ds_load_2addr_b32 v[24:25], v28 offset0:13 offset1:14
	ds_load_b32 v30, v28 offset:60
	s_waitcnt lgkmcnt(8)
	v_fma_f32 v2, -v29, v3, v16
	ds_load_2addr_b32 v[26:27], v28 offset0:27 offset1:28
	s_waitcnt lgkmcnt(5)
	v_fma_f32 v10, -v29, v10, v20
	v_mul_f32_e32 v31, v1, v18
	v_fma_f32 v1, -v29, v4, v17
	s_delay_alu instid0(VALU_DEP_2)
	v_fma_f32 v2, -v31, v19, v2
	ds_load_2addr_b32 v[16:17], v28 offset0:29 offset1:30
	ds_load_b64 v[18:19], v28 offset:88
	s_waitcnt lgkmcnt(6)
	v_fma_f32 v20, -v31, v22, v1
	v_fma_f32 v10, -v31, v23, v10
	v_mul_f32_e32 v22, v2, v6
	ds_load_b128 v[1:4], v28 offset:144
	v_fma_f32 v6, -v29, v11, v21
	s_waitcnt lgkmcnt(6)
	v_fma_f32 v12, -v29, v12, v14
	v_fma_f32 v7, -v22, v7, v20
	;; [unrolled: 1-line block ×3, first 2 shown]
	s_waitcnt lgkmcnt(5)
	v_fma_f32 v14, -v31, v24, v6
	v_fma_f32 v13, -v29, v13, v15
	;; [unrolled: 1-line block ×3, first 2 shown]
	s_waitcnt lgkmcnt(3)
	v_mul_f32_e32 v20, v7, v26
	ds_load_2addr_b32 v[6:7], v28 offset0:45 offset1:46
	ds_load_2addr_b32 v[10:11], v28 offset0:31 offset1:47
	v_fma_f32 v13, -v31, v30, v13
	v_fma_f32 v8, -v20, v27, v8
	s_waitcnt lgkmcnt(2)
	s_delay_alu instid0(VALU_DEP_1) | instskip(SKIP_3) | instid1(VALU_DEP_3)
	v_mul_f32_e32 v1, v8, v1
	v_fma_f32 v9, -v22, v9, v14
	v_fma_f32 v12, -v22, v18, v12
	;; [unrolled: 1-line block ×4, first 2 shown]
	ds_load_b64 v[8:9], v28 offset:216
	v_fma_f32 v12, -v20, v17, v12
	v_fma_f32 v2, -v1, v2, v14
	ds_load_b32 v14, v28 offset:252
	v_fma_f32 v3, -v1, v3, v12
	s_waitcnt lgkmcnt(3)
	v_mul_f32_e32 v2, v2, v6
	s_waitcnt lgkmcnt(2)
	v_fma_f32 v6, -v20, v10, v13
	s_delay_alu instid0(VALU_DEP_2) | instskip(NEXT) | instid1(VALU_DEP_2)
	v_fma_f32 v3, -v2, v7, v3
	v_fma_f32 v4, -v1, v4, v6
	s_waitcnt lgkmcnt(1)
	s_delay_alu instid0(VALU_DEP_2) | instskip(NEXT) | instid1(VALU_DEP_2)
	v_mul_f32_e32 v3, v3, v8
	v_fma_f32 v4, -v2, v11, v4
	ds_store_2addr_b32 v5, v29, v31 offset0:64 offset1:72
	ds_store_2addr_b32 v5, v22, v20 offset0:80 offset1:88
	;; [unrolled: 1-line block ×3, first 2 shown]
	v_fma_f32 v4, -v3, v9, v4
	s_waitcnt lgkmcnt(3)
	s_delay_alu instid0(VALU_DEP_1)
	v_mul_f32_e32 v4, v4, v14
	ds_store_2addr_b32 v5, v3, v4 offset0:112 offset1:120
	s_cmp_lt_i32 s5, s12
	s_cbranch_scc1 .LBB8_48
	s_branch .LBB8_66
.LBB8_47:
	s_mov_b32 s5, 0
	s_delay_alu instid0(SALU_CYCLE_1)
	s_cmp_lt_i32 s5, s12
	s_cbranch_scc0 .LBB8_66
.LBB8_48:
	s_or_b32 s4, s5, 3
	s_delay_alu instid0(SALU_CYCLE_1)
	s_cmp_ge_u32 s4, s12
	s_cbranch_scc1 .LBB8_54
; %bb.49:
	v_lshl_or_b32 v6, v0, 2, 0x100
	s_lshl_b32 s7, s5, 2
.LBB8_50:                               ; =>This Loop Header: Depth=1
                                        ;     Child Loop BB8_51 Depth 2
	v_lshl_or_b32 v7, s5, 5, v5
	s_delay_alu instid0(VALU_DEP_2)
	v_mov_b32_e32 v8, v6
	s_cmp_eq_u32 s5, 0
	s_mov_b32 s4, s5
	s_mov_b32 s8, s7
	ds_load_2addr_b32 v[1:2], v7 offset0:64 offset1:72
	ds_load_2addr_b32 v[3:4], v7 offset0:80 offset1:88
	s_cbranch_scc1 .LBB8_52
.LBB8_51:                               ;   Parent Loop BB8_50 Depth=1
                                        ; =>  This Inner Loop Header: Depth=2
	v_mov_b32_e32 v21, s8
	s_add_i32 s4, s4, -4
	s_addk_i32 s8, 0x80
	s_cmp_lg_u32 s4, 0
	ds_load_2addr_b32 v[25:26], v8 offset1:8
	ds_load_b128 v[9:12], v21
	ds_load_b128 v[13:16], v21 offset:32
	ds_load_2addr_b32 v[27:28], v8 offset0:16 offset1:24
	ds_load_b128 v[17:20], v21 offset:64
	ds_load_b128 v[21:24], v21 offset:96
	v_add_nc_u32_e32 v8, 0x80, v8
	s_waitcnt lgkmcnt(4)
	v_fma_f32 v1, -v25, v9, v1
	v_fma_f32 v2, -v25, v10, v2
	v_fma_f32 v3, -v25, v11, v3
	v_fma_f32 v4, -v25, v12, v4
	s_waitcnt lgkmcnt(3)
	v_fma_f32 v1, -v26, v13, v1
	v_fma_f32 v2, -v26, v14, v2
	v_fma_f32 v3, -v26, v15, v3
	v_fma_f32 v4, -v26, v16, v4
	;; [unrolled: 5-line block ×4, first 2 shown]
	s_cbranch_scc1 .LBB8_51
.LBB8_52:                               ;   in Loop: Header=BB8_50 Depth=1
	s_mul_i32 s4, s5, 36
	s_delay_alu instid0(SALU_CYCLE_1) | instskip(SKIP_3) | instid1(SALU_CYCLE_1)
	v_dual_mov_b32 v16, s4 :: v_dual_add_nc_u32 v7, 0x100, v7
	s_lshl_b32 s4, s5, 3
	s_add_i32 s7, s7, 16
	s_or_b32 s4, s4, 8
	s_add_i32 s8, s5, s4
	ds_load_b128 v[8:11], v16
	ds_load_2addr_b32 v[12:13], v16 offset0:9 offset1:10
	s_lshl_b32 s8, s8, 2
	s_waitcnt lgkmcnt(1)
	v_mul_f32_e32 v1, v1, v8
	s_delay_alu instid0(VALU_DEP_1)
	v_fma_f32 v2, -v1, v9, v2
	v_mov_b32_e32 v17, s8
	v_fma_f32 v3, -v1, v10, v3
	v_fma_f32 v4, -v1, v11, v4
	v_or_b32_e32 v9, s4, v0
	s_waitcnt lgkmcnt(0)
	v_mul_f32_e32 v2, v2, v12
	ds_load_b64 v[14:15], v16 offset:72
	ds_load_b32 v17, v17 offset:12
	ds_load_b32 v8, v16 offset:108
	s_lshl_b32 s8, s5, 5
	s_add_i32 s4, s5, 4
	v_fma_f32 v3, -v2, v13, v3
	v_lshlrev_b32_e32 v9, 2, v9
	s_add_i32 s5, s5, 7
	v_lshl_or_b32 v10, v0, 2, s8
	s_cmp_lt_i32 s5, s12
	s_waitcnt lgkmcnt(2)
	v_mul_f32_e32 v3, v3, v14
	s_waitcnt lgkmcnt(1)
	v_fma_f32 v4, -v2, v17, v4
	s_delay_alu instid0(VALU_DEP_1) | instskip(SKIP_1) | instid1(VALU_DEP_1)
	v_fma_f32 v4, -v3, v15, v4
	s_waitcnt lgkmcnt(0)
	v_mul_f32_e32 v4, v4, v8
	ds_store_b32 v7, v1
	ds_store_b32 v9, v2 offset:256
	ds_store_2addr_b32 v10, v3, v4 offset0:80 offset1:88
	s_cbranch_scc0 .LBB8_55
; %bb.53:                               ;   in Loop: Header=BB8_50 Depth=1
	s_mov_b32 s5, s4
	s_branch .LBB8_50
.LBB8_54:
	s_mov_b32 s4, s5
.LBB8_55:
	s_delay_alu instid0(SALU_CYCLE_1)
	s_cmp_ge_i32 s4, s12
	s_cbranch_scc1 .LBB8_66
; %bb.56:
	v_lshl_or_b32 v1, v0, 2, 0x100
	s_add_i32 s5, s4, -1
	s_lshl_b32 s7, s4, 2
	s_mov_b32 s8, 0
	s_mov_b32 s9, s4
	s_branch .LBB8_58
.LBB8_57:                               ;   in Loop: Header=BB8_58 Depth=1
	s_mul_i32 s10, s4, 36
	v_add_nc_u16 v6, s9, 1
	v_mov_b32_e32 v4, s10
	s_add_i32 s4, s4, 1
	s_add_i32 s8, s8, 1
	;; [unrolled: 1-line block ×3, first 2 shown]
	v_readfirstlane_b32 s9, v6
	ds_load_b32 v4, v4
	v_add_nc_u32_e32 v2, 0x100, v2
	s_cmp_ge_i32 s4, s12
	s_waitcnt lgkmcnt(0)
	v_mul_f32_e32 v3, v3, v4
	ds_store_b32 v2, v3
	s_cbranch_scc1 .LBB8_66
.LBB8_58:                               ; =>This Loop Header: Depth=1
                                        ;     Child Loop BB8_61 Depth 2
                                        ;     Child Loop BB8_65 Depth 2
	v_lshl_or_b32 v2, s4, 5, v5
	s_cmp_eq_u32 s4, 0
	ds_load_b32 v3, v2 offset:256
	s_cbranch_scc1 .LBB8_57
; %bb.59:                               ;   in Loop: Header=BB8_58 Depth=1
	s_add_i32 s10, s5, s8
	s_delay_alu instid0(SALU_CYCLE_1)
	s_cmp_lt_u32 s10, 7
	s_cbranch_scc1 .LBB8_63
; %bb.60:                               ;   in Loop: Header=BB8_58 Depth=1
	v_mov_b32_e32 v4, v1
	s_and_b32 s10, s4, -8
	s_mov_b32 s11, 0
	s_mov_b32 s13, s7
	s_set_inst_prefetch_distance 0x1
	.p2align	6
.LBB8_61:                               ;   Parent Loop BB8_58 Depth=1
                                        ; =>  This Inner Loop Header: Depth=2
	v_mov_b32_e32 v18, s13
	s_add_i32 s11, s11, 8
	s_addk_i32 s13, 0x100
	s_cmp_lg_u32 s10, s11
	ds_load_2addr_b32 v[6:7], v4 offset1:8
	ds_load_2addr_b32 v[8:9], v18 offset1:8
	ds_load_2addr_b32 v[10:11], v4 offset0:16 offset1:24
	ds_load_2addr_b32 v[12:13], v18 offset0:16 offset1:24
	;; [unrolled: 1-line block ×4, first 2 shown]
	s_waitcnt lgkmcnt(4)
	v_fma_f32 v3, -v6, v8, v3
	s_delay_alu instid0(VALU_DEP_1)
	v_fma_f32 v3, -v7, v9, v3
	ds_load_2addr_b32 v[6:7], v4 offset0:48 offset1:56
	ds_load_2addr_b32 v[8:9], v18 offset0:48 offset1:56
	v_add_nc_u32_e32 v4, 0x100, v4
	s_waitcnt lgkmcnt(4)
	v_fma_f32 v3, -v10, v12, v3
	s_delay_alu instid0(VALU_DEP_1) | instskip(SKIP_1) | instid1(VALU_DEP_1)
	v_fma_f32 v3, -v11, v13, v3
	s_waitcnt lgkmcnt(2)
	v_fma_f32 v3, -v14, v16, v3
	s_delay_alu instid0(VALU_DEP_1) | instskip(SKIP_1) | instid1(VALU_DEP_1)
	v_fma_f32 v3, -v15, v17, v3
	s_waitcnt lgkmcnt(0)
	v_fma_f32 v3, -v6, v8, v3
	s_delay_alu instid0(VALU_DEP_1)
	v_fma_f32 v3, -v7, v9, v3
	s_cbranch_scc1 .LBB8_61
; %bb.62:                               ;   in Loop: Header=BB8_58 Depth=1
	s_set_inst_prefetch_distance 0x2
	s_and_b32 s11, s4, 7
	s_delay_alu instid0(SALU_CYCLE_1)
	s_cmp_eq_u32 s11, 0
	s_cbranch_scc0 .LBB8_64
	s_branch .LBB8_57
.LBB8_63:                               ;   in Loop: Header=BB8_58 Depth=1
	s_mov_b32 s10, 0
	s_and_b32 s11, s4, 7
	s_delay_alu instid0(SALU_CYCLE_1)
	s_cmp_eq_u32 s11, 0
	s_cbranch_scc1 .LBB8_57
.LBB8_64:                               ;   in Loop: Header=BB8_58 Depth=1
	s_and_b32 s11, s9, 7
	s_lshl_b32 s10, s10, 5
.LBB8_65:                               ;   Parent Loop BB8_58 Depth=1
                                        ; =>  This Inner Loop Header: Depth=2
	s_delay_alu instid0(SALU_CYCLE_1)
	s_add_i32 s13, s7, s10
	v_add_nc_u32_e32 v4, s10, v1
	v_mov_b32_e32 v6, s13
	s_add_i32 s11, s11, -1
	s_add_i32 s10, s10, 32
	s_cmp_lg_u32 s11, 0
	ds_load_b32 v4, v4
	ds_load_b32 v6, v6
	s_waitcnt lgkmcnt(0)
	v_fma_f32 v3, -v4, v6, v3
	s_cbranch_scc1 .LBB8_65
	s_branch .LBB8_57
.LBB8_66:
	s_waitcnt vmcnt(0) lgkmcnt(0)
	s_waitcnt_vscnt null, 0x0
	; wave barrier
	s_waitcnt lgkmcnt(0)
	buffer_gl0_inv
	s_and_saveexec_b32 s4, s3
	s_cbranch_execz .LBB8_75
; %bb.67:
	v_mad_i64_i32 v[1:2], null, s0, v0, 0
	ds_load_b32 v3, v5 offset:256
	s_cmp_eq_u32 s6, 1
	v_lshlrev_b64 v[0:1], 2, v[1:2]
	s_delay_alu instid0(VALU_DEP_1) | instskip(NEXT) | instid1(VALU_DEP_2)
	v_add_co_u32 v0, vcc_lo, s1, v0
	v_add_co_ci_u32_e32 v1, vcc_lo, s2, v1, vcc_lo
	s_waitcnt lgkmcnt(0)
	global_store_b32 v[0:1], v3, off
	s_cbranch_scc1 .LBB8_75
; %bb.68:
	v_or_b32_e32 v2, 0x100, v5
	s_cmp_eq_u32 s6, 2
	ds_load_b32 v3, v2 offset:32
	s_waitcnt lgkmcnt(0)
	global_store_b32 v[0:1], v3, off offset:4
	s_cbranch_scc1 .LBB8_75
; %bb.69:
	ds_load_b32 v3, v2 offset:64
	s_cmp_eq_u32 s6, 3
	s_waitcnt lgkmcnt(0)
	global_store_b32 v[0:1], v3, off offset:8
	s_cbranch_scc1 .LBB8_75
; %bb.70:
	ds_load_b32 v3, v2 offset:96
	s_cmp_eq_u32 s6, 4
	;; [unrolled: 6-line block ×5, first 2 shown]
	s_waitcnt lgkmcnt(0)
	global_store_b32 v[0:1], v3, off offset:24
	s_cbranch_scc1 .LBB8_75
; %bb.74:
	ds_load_b32 v2, v2 offset:224
	s_waitcnt lgkmcnt(0)
	global_store_b32 v[0:1], v2, off offset:28
.LBB8_75:
	s_nop 0
	s_sendmsg sendmsg(MSG_DEALLOC_VGPRS)
	s_endpgm
	.section	.rodata,"a",@progbits
	.p2align	6, 0x0
	.amdhsa_kernel _ZL38rocblas_trsm_small_left_device_sharedBILi8ELi8ELb1EffPKPKfPKPfEv13rocblas_fill_18rocblas_operation_17rocblas_diagonal_iiT3_T4_lilT5_lili
		.amdhsa_group_segment_fixed_size 512
		.amdhsa_private_segment_fixed_size 0
		.amdhsa_kernarg_size 352
		.amdhsa_user_sgpr_count 14
		.amdhsa_user_sgpr_dispatch_ptr 0
		.amdhsa_user_sgpr_queue_ptr 0
		.amdhsa_user_sgpr_kernarg_segment_ptr 1
		.amdhsa_user_sgpr_dispatch_id 0
		.amdhsa_user_sgpr_private_segment_size 0
		.amdhsa_wavefront_size32 1
		.amdhsa_uses_dynamic_stack 0
		.amdhsa_enable_private_segment 0
		.amdhsa_system_sgpr_workgroup_id_x 1
		.amdhsa_system_sgpr_workgroup_id_y 0
		.amdhsa_system_sgpr_workgroup_id_z 1
		.amdhsa_system_sgpr_workgroup_info 0
		.amdhsa_system_vgpr_workitem_id 0
		.amdhsa_next_free_vgpr 34
		.amdhsa_next_free_sgpr 31
		.amdhsa_reserve_vcc 1
		.amdhsa_float_round_mode_32 0
		.amdhsa_float_round_mode_16_64 0
		.amdhsa_float_denorm_mode_32 3
		.amdhsa_float_denorm_mode_16_64 3
		.amdhsa_dx10_clamp 1
		.amdhsa_ieee_mode 1
		.amdhsa_fp16_overflow 0
		.amdhsa_workgroup_processor_mode 1
		.amdhsa_memory_ordered 1
		.amdhsa_forward_progress 0
		.amdhsa_shared_vgpr_count 0
		.amdhsa_exception_fp_ieee_invalid_op 0
		.amdhsa_exception_fp_denorm_src 0
		.amdhsa_exception_fp_ieee_div_zero 0
		.amdhsa_exception_fp_ieee_overflow 0
		.amdhsa_exception_fp_ieee_underflow 0
		.amdhsa_exception_fp_ieee_inexact 0
		.amdhsa_exception_int_div_zero 0
	.end_amdhsa_kernel
	.section	.text._ZL38rocblas_trsm_small_left_device_sharedBILi8ELi8ELb1EffPKPKfPKPfEv13rocblas_fill_18rocblas_operation_17rocblas_diagonal_iiT3_T4_lilT5_lili,"axG",@progbits,_ZL38rocblas_trsm_small_left_device_sharedBILi8ELi8ELb1EffPKPKfPKPfEv13rocblas_fill_18rocblas_operation_17rocblas_diagonal_iiT3_T4_lilT5_lili,comdat
.Lfunc_end8:
	.size	_ZL38rocblas_trsm_small_left_device_sharedBILi8ELi8ELb1EffPKPKfPKPfEv13rocblas_fill_18rocblas_operation_17rocblas_diagonal_iiT3_T4_lilT5_lili, .Lfunc_end8-_ZL38rocblas_trsm_small_left_device_sharedBILi8ELi8ELb1EffPKPKfPKPfEv13rocblas_fill_18rocblas_operation_17rocblas_diagonal_iiT3_T4_lilT5_lili
                                        ; -- End function
	.section	.AMDGPU.csdata,"",@progbits
; Kernel info:
; codeLenInByte = 5080
; NumSgprs: 33
; NumVgprs: 34
; ScratchSize: 0
; MemoryBound: 0
; FloatMode: 240
; IeeeMode: 1
; LDSByteSize: 512 bytes/workgroup (compile time only)
; SGPRBlocks: 4
; VGPRBlocks: 4
; NumSGPRsForWavesPerEU: 33
; NumVGPRsForWavesPerEU: 34
; Occupancy: 16
; WaveLimiterHint : 1
; COMPUTE_PGM_RSRC2:SCRATCH_EN: 0
; COMPUTE_PGM_RSRC2:USER_SGPR: 14
; COMPUTE_PGM_RSRC2:TRAP_HANDLER: 0
; COMPUTE_PGM_RSRC2:TGID_X_EN: 1
; COMPUTE_PGM_RSRC2:TGID_Y_EN: 0
; COMPUTE_PGM_RSRC2:TGID_Z_EN: 1
; COMPUTE_PGM_RSRC2:TIDIG_COMP_CNT: 0
	.section	.text._ZL30rocblas_trsm_small_left_deviceILi8ELi8ELb1EffPKPKfPKPfEv13rocblas_fill_18rocblas_operation_17rocblas_diagonal_iiT3_T4_lilT5_lili,"axG",@progbits,_ZL30rocblas_trsm_small_left_deviceILi8ELi8ELb1EffPKPKfPKPfEv13rocblas_fill_18rocblas_operation_17rocblas_diagonal_iiT3_T4_lilT5_lili,comdat
	.globl	_ZL30rocblas_trsm_small_left_deviceILi8ELi8ELb1EffPKPKfPKPfEv13rocblas_fill_18rocblas_operation_17rocblas_diagonal_iiT3_T4_lilT5_lili ; -- Begin function _ZL30rocblas_trsm_small_left_deviceILi8ELi8ELb1EffPKPKfPKPfEv13rocblas_fill_18rocblas_operation_17rocblas_diagonal_iiT3_T4_lilT5_lili
	.p2align	8
	.type	_ZL30rocblas_trsm_small_left_deviceILi8ELi8ELb1EffPKPKfPKPfEv13rocblas_fill_18rocblas_operation_17rocblas_diagonal_iiT3_T4_lilT5_lili,@function
_ZL30rocblas_trsm_small_left_deviceILi8ELi8ELb1EffPKPKfPKPfEv13rocblas_fill_18rocblas_operation_17rocblas_diagonal_iiT3_T4_lilT5_lili: ; @_ZL30rocblas_trsm_small_left_deviceILi8ELi8ELb1EffPKPKfPKPfEv13rocblas_fill_18rocblas_operation_17rocblas_diagonal_iiT3_T4_lilT5_lili
; %bb.0:
	s_clause 0x1
	s_load_b128 s[8:11], s[0:1], 0x38
	s_load_b128 s[4:7], s[0:1], 0x4
	s_mov_b32 s2, s15
	s_mov_b32 s3, 0
	s_mov_b32 s13, exec_lo
	s_lshl_b64 s[22:23], s[2:3], 3
	s_waitcnt lgkmcnt(0)
	s_add_u32 s8, s8, s22
	s_addc_u32 s9, s9, s23
	s_load_b32 s15, s[0:1], 0x14
	s_load_b64 s[8:9], s[8:9], 0x0
	s_min_i32 s2, s6, 8
	s_delay_alu instid0(SALU_CYCLE_1)
	s_add_i32 s12, s2, -1
	v_cmpx_gt_i32_e64 s2, v0
	s_cbranch_execz .LBB9_10
; %bb.1:
	s_clause 0x1
	s_load_b32 s20, s[0:1], 0x28
	s_load_b128 s[16:19], s[0:1], 0x18
	v_lshlrev_b32_e32 v3, 2, v0
	s_waitcnt lgkmcnt(0)
	s_ashr_i32 s21, s20, 31
	s_add_u32 s16, s16, s22
	s_addc_u32 s17, s17, s23
	s_cmp_lt_u32 s12, 3
	s_load_b64 s[16:17], s[16:17], 0x0
	s_cbranch_scc1 .LBB9_4
; %bb.2:
	s_lshl_b64 s[22:23], s[18:19], 2
	v_mov_b32_e32 v4, v3
	s_waitcnt lgkmcnt(0)
	s_add_u32 s3, s16, s22
	s_addc_u32 s22, s17, s23
	v_add_co_u32 v1, s3, s3, v3
	s_delay_alu instid0(VALU_DEP_1)
	v_add_co_ci_u32_e64 v2, null, s22, 0, s3
	s_and_b32 s3, s2, -4
	s_mul_hi_i32 s28, s20, 12
	s_mul_i32 s29, s20, 12
	s_lshl_b64 s[22:23], s[20:21], 4
	s_lshl_b64 s[24:25], s[20:21], 3
	s_lshl_b64 s[26:27], s[20:21], 2
	s_mov_b32 s30, 0
	.p2align	6
.LBB9_3:                                ; =>This Inner Loop Header: Depth=1
	v_add_co_u32 v5, vcc_lo, v1, s26
	v_add_co_ci_u32_e32 v6, vcc_lo, s27, v2, vcc_lo
	v_add_co_u32 v7, vcc_lo, v1, s24
	v_add_co_ci_u32_e32 v8, vcc_lo, s25, v2, vcc_lo
	;; [unrolled: 2-line block ×3, first 2 shown]
	s_clause 0x3
	global_load_b32 v11, v[1:2], off
	global_load_b32 v5, v[5:6], off
	;; [unrolled: 1-line block ×4, first 2 shown]
	v_add_co_u32 v1, vcc_lo, v1, s22
	v_add_co_ci_u32_e32 v2, vcc_lo, s23, v2, vcc_lo
	s_add_i32 s30, s30, 4
	s_waitcnt vmcnt(2)
	ds_store_2addr_b32 v4, v11, v5 offset1:8
	s_waitcnt vmcnt(0)
	ds_store_2addr_b32 v4, v6, v7 offset0:16 offset1:24
	v_add_nc_u32_e32 v4, 0x80, v4
	s_cmp_eq_u32 s3, s30
	s_cbranch_scc0 .LBB9_3
.LBB9_4:
	s_and_b32 s22, s2, 3
	s_delay_alu instid0(SALU_CYCLE_1)
	s_cmp_eq_u32 s22, 0
	s_cbranch_scc1 .LBB9_7
; %bb.5:
	s_mul_i32 s23, s21, s3
	s_mul_hi_u32 s25, s20, s3
	s_mul_i32 s24, s20, s3
	s_add_i32 s25, s25, s23
	s_lshl_b64 s[18:19], s[18:19], 2
	s_lshl_b64 s[24:25], s[24:25], 2
	v_lshl_or_b32 v4, s3, 5, v3
	s_add_u32 s3, s24, s18
	s_addc_u32 s18, s25, s19
	s_waitcnt lgkmcnt(0)
	s_add_u32 s3, s16, s3
	s_addc_u32 s16, s17, s18
	v_add_co_u32 v1, s3, s3, v3
	s_delay_alu instid0(VALU_DEP_1)
	v_add_co_ci_u32_e64 v2, null, s16, 0, s3
	s_lshl_b64 s[16:17], s[20:21], 2
.LBB9_6:                                ; =>This Inner Loop Header: Depth=1
	global_load_b32 v3, v[1:2], off
	v_add_co_u32 v1, vcc_lo, v1, s16
	v_add_co_ci_u32_e32 v2, vcc_lo, s17, v2, vcc_lo
	s_add_i32 s22, s22, -1
	s_delay_alu instid0(SALU_CYCLE_1)
	s_cmp_lg_u32 s22, 0
	s_waitcnt vmcnt(0)
	ds_store_b32 v4, v3
	v_add_nc_u32_e32 v4, 32, v4
	s_cbranch_scc1 .LBB9_6
.LBB9_7:
	v_mul_u32_u24_e32 v1, 9, v0
	s_cmpk_lg_i32 s5, 0x84
	s_delay_alu instid0(VALU_DEP_1)
	v_dual_mov_b32 v2, 1.0 :: v_dual_lshlrev_b32 v1, 2, v1
	s_cbranch_scc0 .LBB9_9
; %bb.8:
	ds_load_b32 v2, v1
	s_waitcnt lgkmcnt(0)
	v_div_scale_f32 v3, null, v2, v2, 1.0
	s_delay_alu instid0(VALU_DEP_1) | instskip(SKIP_2) | instid1(VALU_DEP_1)
	v_rcp_f32_e32 v4, v3
	s_waitcnt_depctr 0xfff
	v_fma_f32 v5, -v3, v4, 1.0
	v_fmac_f32_e32 v4, v5, v4
	v_div_scale_f32 v5, vcc_lo, 1.0, v2, 1.0
	s_delay_alu instid0(VALU_DEP_1) | instskip(NEXT) | instid1(VALU_DEP_1)
	v_mul_f32_e32 v6, v5, v4
	v_fma_f32 v7, -v3, v6, v5
	s_delay_alu instid0(VALU_DEP_1) | instskip(NEXT) | instid1(VALU_DEP_1)
	v_fmac_f32_e32 v6, v7, v4
	v_fma_f32 v3, -v3, v6, v5
	s_delay_alu instid0(VALU_DEP_1) | instskip(NEXT) | instid1(VALU_DEP_1)
	v_div_fmas_f32 v3, v3, v4, v6
	v_div_fixup_f32 v2, v3, v2, 1.0
.LBB9_9:
	ds_store_b32 v1, v2
.LBB9_10:
	s_or_b32 exec_lo, exec_lo, s13
	s_load_b32 s3, s[0:1], 0x60
	s_lshl_b32 s5, s14, 3
	s_waitcnt lgkmcnt(0)
	s_sub_i32 s7, s7, s5
	; wave barrier
	buffer_gl0_inv
	s_add_i32 s3, s3, -1
	s_delay_alu instid0(SALU_CYCLE_1) | instskip(SKIP_1) | instid1(SALU_CYCLE_1)
	s_cmp_ge_u32 s14, s3
	s_cselect_b32 s3, s7, 8
	v_cmp_gt_i32_e32 vcc_lo, s3, v0
	s_mov_b32 s3, -1
	s_and_saveexec_b32 s7, vcc_lo
	s_cbranch_execz .LBB9_62
; %bb.11:
	s_load_b32 s0, s[0:1], 0x48
	v_add_nc_u32_e32 v2, s5, v0
	s_waitcnt lgkmcnt(0)
	s_delay_alu instid0(VALU_DEP_1) | instskip(SKIP_1) | instid1(SALU_CYCLE_1)
	v_mad_i64_i32 v[0:1], null, s0, v2, 0
	s_lshl_b64 s[0:1], s[10:11], 2
	s_add_u32 s5, s8, s0
	s_addc_u32 s7, s9, s1
	s_cmpk_eq_i32 s4, 0x6f
	s_delay_alu instid0(VALU_DEP_1) | instskip(NEXT) | instid1(VALU_DEP_1)
	v_lshlrev_b64 v[2:3], 2, v[0:1]
	v_add_co_u32 v0, vcc_lo, s5, v2
	s_delay_alu instid0(VALU_DEP_2)
	v_add_co_ci_u32_e32 v1, vcc_lo, s7, v3, vcc_lo
	s_cbranch_scc1 .LBB9_40
; %bb.12:
	s_cmp_gt_i32 s6, 7
	s_cbranch_scc0 .LBB9_14
; %bb.13:
	s_ashr_i32 s13, s12, 31
	s_mov_b32 s3, 0
	s_lshl_b64 s[4:5], s[12:13], 2
	s_delay_alu instid0(SALU_CYCLE_1)
	v_add_co_u32 v11, vcc_lo, v0, s4
	v_add_co_ci_u32_e32 v12, vcc_lo, s5, v1, vcc_lo
	s_lshl_b64 s[4:5], s[2:3], 2
	s_mul_i32 s3, s12, 36
	v_add_co_u32 v4, vcc_lo, v0, s4
	global_load_b32 v17, v[11:12], off
	v_add_co_ci_u32_e32 v5, vcc_lo, s5, v1, vcc_lo
	s_clause 0x1
	global_load_b96 v[8:10], v[4:5], off offset:-16
	global_load_b128 v[4:7], v[4:5], off offset:-32
	s_lshl_b32 s4, s2, 3
	s_sub_i32 s5, s3, 36
	s_add_i32 s4, s4, s12
	v_dual_mov_b32 v13, s3 :: v_dual_mov_b32 v14, s5
	s_lshl_b32 s4, s4, 2
	s_add_i32 s7, s3, 0xffffffb8
	s_add_i32 s5, s4, 0xffffffa0
	;; [unrolled: 1-line block ×3, first 2 shown]
	ds_load_b32 v22, v13
	v_dual_mov_b32 v15, s5 :: v_dual_mov_b32 v30, s16
	s_add_i32 s10, s3, 0xffffff94
	s_add_i32 s11, s3, 0xffffff70
	v_dual_mov_b32 v19, s7 :: v_dual_mov_b32 v18, s10
	ds_load_b32 v29, v15
	ds_load_2addr_b32 v[13:14], v14 offset1:1
	s_add_i32 s7, s4, 0xffffff7c
	s_delay_alu instid0(SALU_CYCLE_1) | instskip(SKIP_2) | instid1(SALU_CYCLE_1)
	v_dual_mov_b32 v21, s11 :: v_dual_mov_b32 v16, s7
	s_add_i32 s13, s3, 0xffffff4c
	s_add_i32 s10, s4, 0xffffff60
	v_dual_mov_b32 v31, s13 :: v_dual_mov_b32 v20, s10
	s_add_i32 s13, s4, 0xffffff3c
	ds_load_2addr_b32 v[15:16], v16 offset1:1
	v_mov_b32_e32 v23, s13
	s_add_i32 s11, s4, 0xffffff58
	s_add_i32 s17, s4, 0xffffff1c
	;; [unrolled: 1-line block ×7, first 2 shown]
	s_addk_i32 s4, 0xfee8
	v_dual_mov_b32 v25, s11 :: v_dual_mov_b32 v34, s19
	v_dual_mov_b32 v27, s17 :: v_dual_mov_b32 v36, s20
	s_add_i32 s14, s3, 0xffffff28
	s_addk_i32 s3, 0xff04
	v_dual_mov_b32 v33, s18 :: v_dual_mov_b32 v38, s21
	v_mov_b32_e32 v40, s4
	s_waitcnt vmcnt(2)
	v_mul_f32_e32 v24, s15, v17
	ds_load_2addr_b32 v[17:18], v18 offset1:1
	ds_load_b32 v35, v20
	ds_load_2addr_b32 v[19:20], v19 offset1:1
	s_waitcnt lgkmcnt(6)
	v_mul_f32_e32 v37, v24, v22
	v_mov_b32_e32 v39, s22
	ds_load_2addr_b32 v[21:22], v21 offset1:1
	ds_load_2addr_b32 v[23:24], v23 offset1:1
	;; [unrolled: 1-line block ×4, first 2 shown]
	s_waitcnt lgkmcnt(8)
	v_mul_f32_e32 v14, v37, v14
	v_mul_f32_e32 v41, v37, v29
	s_waitcnt lgkmcnt(7)
	v_mul_f32_e32 v16, v37, v16
	ds_load_2addr_b32 v[29:30], v30 offset1:1
	ds_load_2addr_b32 v[31:32], v31 offset1:1
	ds_load_b32 v42, v36
	s_waitcnt vmcnt(1)
	v_fma_f32 v10, v10, s15, -v14
	v_fma_f32 v9, v9, s15, -v41
	;; [unrolled: 1-line block ×3, first 2 shown]
	s_waitcnt lgkmcnt(8)
	s_delay_alu instid0(VALU_DEP_3)
	v_dual_mul_f32 v10, v10, v13 :: v_dual_mul_f32 v35, v37, v35
	ds_load_2addr_b32 v[13:14], v33 offset1:1
	ds_load_2addr_b32 v[33:34], v34 offset1:1
	s_waitcnt lgkmcnt(9)
	v_fma_f32 v9, -v10, v20, v9
	s_waitcnt vmcnt(0)
	v_fma_f32 v7, v7, s15, -v35
	v_fma_f32 v8, -v10, v15, v8
	ds_load_2addr_b32 v[35:36], v38 offset1:1
	s_waitcnt lgkmcnt(6)
	v_mul_f32_e32 v28, v37, v28
	v_mul_f32_e32 v9, v9, v19
	v_fma_f32 v7, -v10, v26, v7
	ds_load_2addr_b32 v[15:16], v39 offset1:1
	ds_load_2addr_b32 v[19:20], v40 offset1:1
	global_store_b32 v[11:12], v37, off
	v_fma_f32 v5, v5, s15, -v28
	v_fma_f32 v8, -v9, v18, v8
	s_waitcnt lgkmcnt(5)
	v_mul_f32_e32 v18, v37, v42
	s_delay_alu instid0(VALU_DEP_3) | instskip(NEXT) | instid1(VALU_DEP_3)
	v_fma_f32 v5, -v10, v27, v5
	v_mul_f32_e32 v8, v8, v17
	v_fma_f32 v7, -v9, v25, v7
	v_mov_b32_e32 v17, s14
	v_fma_f32 v4, v4, s15, -v18
	s_waitcnt lgkmcnt(4)
	v_fma_f32 v5, -v9, v14, v5
	v_mov_b32_e32 v14, s3
	v_fma_f32 v7, -v8, v22, v7
	v_mul_f32_e32 v24, v37, v24
	ds_load_b32 v17, v17
	s_waitcnt lgkmcnt(3)
	v_fma_f32 v4, -v10, v36, v4
	v_fma_f32 v5, -v8, v13, v5
	v_mul_f32_e32 v7, v7, v21
	v_fma_f32 v6, v6, s15, -v24
	ds_load_b32 v18, v14
	v_fma_f32 v4, -v9, v35, v4
	s_ashr_i32 s3, s2, 31
	v_fma_f32 v5, -v7, v34, v5
	v_fma_f32 v6, -v10, v23, v6
	s_lshl_b64 s[4:5], s[2:3], 2
	s_waitcnt lgkmcnt(3)
	v_fma_f32 v4, -v8, v16, v4
	v_add_co_u32 v13, vcc_lo, v0, s4
	v_fma_f32 v6, -v9, v30, v6
	v_add_co_ci_u32_e32 v14, vcc_lo, s5, v1, vcc_lo
	s_delay_alu instid0(VALU_DEP_4) | instskip(SKIP_1) | instid1(VALU_DEP_3)
	v_fma_f32 v4, -v7, v15, v4
	s_add_i32 s4, s2, -9
	v_fma_f32 v6, -v8, v29, v6
	s_delay_alu instid0(VALU_DEP_1) | instskip(NEXT) | instid1(VALU_DEP_1)
	v_fma_f32 v6, -v7, v32, v6
	v_mul_f32_e32 v6, v6, v31
	s_delay_alu instid0(VALU_DEP_1) | instskip(SKIP_1) | instid1(VALU_DEP_1)
	v_fma_f32 v5, -v6, v33, v5
	s_waitcnt lgkmcnt(1)
	v_mul_f32_e32 v5, v5, v17
	v_fma_f32 v4, -v6, v20, v4
	s_delay_alu instid0(VALU_DEP_1) | instskip(SKIP_1) | instid1(VALU_DEP_1)
	v_fma_f32 v4, -v5, v19, v4
	s_waitcnt lgkmcnt(0)
	v_mul_f32_e32 v4, v4, v18
	s_clause 0x1
	global_store_b96 v[13:14], v[8:10], off offset:-16
	global_store_b128 v[13:14], v[4:7], off offset:-32
	s_cmp_gt_i32 s4, -1
	s_cbranch_scc1 .LBB9_15
	s_branch .LBB9_39
.LBB9_14:
	s_mov_b32 s4, s12
	s_delay_alu instid0(SALU_CYCLE_1)
	s_cmp_gt_i32 s4, -1
	s_cbranch_scc0 .LBB9_39
.LBB9_15:
	s_cmp_lt_u32 s4, 3
	s_cbranch_scc1 .LBB9_21
; %bb.16:
	s_lshl_b32 s3, s4, 5
	s_lshl_b32 s5, s2, 2
	s_ashr_i32 s13, s12, 31
	s_add_i32 s3, s3, s5
	s_lshl_b64 s[10:11], s[12:13], 2
	s_addk_i32 s3, 0xff9c
	s_add_u32 s5, s8, s10
	s_addc_u32 s7, s9, s11
	s_add_u32 s5, s5, s0
	s_addc_u32 s7, s7, s1
	v_add_co_u32 v4, vcc_lo, s5, v2
	v_add_co_ci_u32_e32 v5, vcc_lo, s7, v3, vcc_lo
	s_mov_b32 s5, 0
.LBB9_17:                               ; =>This Loop Header: Depth=1
                                        ;     Child Loop BB9_18 Depth 2
	s_delay_alu instid0(SALU_CYCLE_1)
	s_lshl_b64 s[10:11], s[4:5], 2
	s_cmp_le_i32 s12, s4
	v_add_co_u32 v6, vcc_lo, v0, s10
	v_add_co_ci_u32_e32 v7, vcc_lo, s11, v1, vcc_lo
	s_mov_b32 s7, s3
	s_mov_b32 s10, s12
	global_load_b128 v[11:14], v[6:7], off offset:-12
	v_dual_mov_b32 v7, v5 :: v_dual_mov_b32 v6, v4
	s_waitcnt vmcnt(0)
	v_dual_mul_f32 v8, s15, v14 :: v_dual_mul_f32 v9, s15, v13
	v_dual_mul_f32 v10, s15, v12 :: v_dual_mul_f32 v11, s15, v11
	s_cbranch_scc1 .LBB9_19
	.p2align	6
.LBB9_18:                               ;   Parent Loop BB9_17 Depth=1
                                        ; =>  This Inner Loop Header: Depth=2
	global_load_b32 v16, v[6:7], off
	v_mov_b32_e32 v14, s7
	v_add_co_u32 v6, vcc_lo, v6, -4
	v_add_co_ci_u32_e32 v7, vcc_lo, -1, v7, vcc_lo
	ds_load_2addr_b32 v[12:13], v14 offset0:16 offset1:24
	ds_load_2addr_b32 v[14:15], v14 offset1:8
	s_add_i32 s10, s10, -1
	s_add_i32 s7, s7, -4
	s_cmp_gt_i32 s10, s4
	s_waitcnt vmcnt(0) lgkmcnt(1)
	v_fma_f32 v8, -v16, v13, v8
	v_fma_f32 v9, -v16, v12, v9
	s_waitcnt lgkmcnt(0)
	v_fma_f32 v10, -v16, v15, v10
	v_fma_f32 v11, -v16, v14, v11
	s_cbranch_scc1 .LBB9_18
.LBB9_19:                               ;   in Loop: Header=BB9_17 Depth=1
	s_lshl_b32 s10, s4, 3
	s_mul_i32 s7, s4, 36
	s_add_i32 s10, s10, s4
	s_sub_i32 s11, s7, 36
	s_delay_alu instid0(SALU_CYCLE_1)
	v_dual_mov_b32 v6, s7 :: v_dual_mov_b32 v7, s11
	s_lshl_b32 s10, s10, 2
	s_addk_i32 s3, 0xff80
	s_sub_i32 s11, s10, 64
	ds_load_b32 v12, v6
	s_addk_i32 s10, 0xff9c
	s_delay_alu instid0(SALU_CYCLE_1)
	v_dual_mov_b32 v13, s11 :: v_dual_mov_b32 v16, s10
	s_add_i32 s11, s7, 0xffffffb8
	s_addk_i32 s7, 0xff94
	s_mov_b32 s10, s4
	ds_load_b32 v18, v13
	ds_load_2addr_b32 v[6:7], v7 offset1:1
	v_mov_b32_e32 v13, s11
	ds_load_2addr_b32 v[14:15], v13 offset1:1
	ds_load_2addr_b32 v[16:17], v16 offset1:1
	s_ashr_i32 s11, s4, 31
	s_delay_alu instid0(SALU_CYCLE_1)
	s_lshl_b64 s[10:11], s[10:11], 2
	s_waitcnt lgkmcnt(4)
	v_dual_mul_f32 v13, v8, v12 :: v_dual_mov_b32 v8, s7
	s_add_i32 s7, s4, -4
	s_cmp_gt_i32 s4, 6
	s_waitcnt lgkmcnt(2)
	s_delay_alu instid0(VALU_DEP_1)
	v_fma_f32 v9, -v13, v7, v9
	ds_load_2addr_b32 v[7:8], v8 offset1:1
	v_mul_f32_e32 v12, v9, v6
	v_fma_f32 v10, -v13, v18, v10
	s_waitcnt lgkmcnt(1)
	v_fma_f32 v9, -v13, v17, v11
	s_delay_alu instid0(VALU_DEP_2) | instskip(NEXT) | instid1(VALU_DEP_1)
	v_fma_f32 v6, -v12, v15, v10
	v_mul_f32_e32 v11, v6, v14
	s_delay_alu instid0(VALU_DEP_3) | instskip(SKIP_1) | instid1(VALU_DEP_1)
	v_fma_f32 v6, -v12, v16, v9
	s_waitcnt lgkmcnt(0)
	v_fma_f32 v6, -v11, v8, v6
	v_add_co_u32 v8, vcc_lo, v0, s10
	v_add_co_ci_u32_e32 v9, vcc_lo, s11, v1, vcc_lo
	s_delay_alu instid0(VALU_DEP_3)
	v_mul_f32_e32 v10, v6, v7
	global_store_b128 v[8:9], v[10:13], off offset:-12
	s_cbranch_scc0 .LBB9_22
; %bb.20:                               ;   in Loop: Header=BB9_17 Depth=1
	s_mov_b32 s4, s7
	s_branch .LBB9_17
.LBB9_21:
	s_mov_b32 s7, s4
.LBB9_22:
	s_delay_alu instid0(SALU_CYCLE_1)
	s_cmp_lt_i32 s7, 0
	s_cbranch_scc1 .LBB9_39
; %bb.23:
	s_add_i32 s3, s7, 1
	s_mov_b32 s4, s7
	s_and_b32 s3, s3, 3
	s_delay_alu instid0(SALU_CYCLE_1)
	s_cmp_eq_u32 s3, 0
	s_cbranch_scc1 .LBB9_28
; %bb.24:
	s_lshl_b32 s4, s7, 5
	s_lshl_b32 s5, s2, 2
	s_ashr_i32 s13, s12, 31
	s_add_i32 s10, s4, s5
	s_lshl_b64 s[4:5], s[12:13], 2
	s_add_i32 s10, s10, -4
	s_add_u32 s4, s8, s4
	s_addc_u32 s5, s9, s5
	s_add_u32 s4, s4, s0
	s_addc_u32 s5, s5, s1
	v_add_co_u32 v4, vcc_lo, s4, v2
	v_add_co_ci_u32_e32 v5, vcc_lo, s5, v3, vcc_lo
	s_mov_b32 s5, 0
	s_mov_b32 s4, s7
	;; [unrolled: 1-line block ×3, first 2 shown]
	s_set_inst_prefetch_distance 0x1
	s_branch .LBB9_26
	.p2align	6
.LBB9_25:                               ;   in Loop: Header=BB9_26 Depth=1
	s_mul_i32 s13, s4, 36
	s_ashr_i32 s17, s4, 31
	v_mov_b32_e32 v6, s13
	s_mov_b32 s16, s4
	s_add_i32 s11, s11, 1
	s_lshl_b64 s[16:17], s[16:17], 2
	s_add_i32 s4, s4, -1
	ds_load_b32 v9, v6
	v_add_co_u32 v6, vcc_lo, v0, s16
	v_add_co_ci_u32_e32 v7, vcc_lo, s17, v1, vcc_lo
	s_sub_i32 s10, s10, 32
	s_cmp_lg_u32 s11, s3
	s_waitcnt lgkmcnt(0)
	v_mul_f32_e32 v8, v8, v9
	global_store_b32 v[6:7], v8, off
	s_cbranch_scc0 .LBB9_28
.LBB9_26:                               ; =>This Loop Header: Depth=1
                                        ;     Child Loop BB9_27 Depth 2
	s_lshl_b64 s[16:17], s[4:5], 2
	s_cmp_le_i32 s12, s4
	v_add_co_u32 v6, vcc_lo, v0, s16
	v_add_co_ci_u32_e32 v7, vcc_lo, s17, v1, vcc_lo
	s_mov_b32 s13, s10
	s_mov_b32 s14, s12
	global_load_b32 v6, v[6:7], off
	s_waitcnt vmcnt(0)
	v_dual_mul_f32 v8, s15, v6 :: v_dual_mov_b32 v7, v5
	v_mov_b32_e32 v6, v4
	s_cbranch_scc1 .LBB9_25
.LBB9_27:                               ;   Parent Loop BB9_26 Depth=1
                                        ; =>  This Inner Loop Header: Depth=2
	global_load_b32 v9, v[6:7], off
	v_mov_b32_e32 v10, s13
	v_add_co_u32 v6, vcc_lo, v6, -4
	v_add_co_ci_u32_e32 v7, vcc_lo, -1, v7, vcc_lo
	ds_load_b32 v10, v10
	s_add_i32 s14, s14, -1
	s_add_i32 s13, s13, -4
	s_cmp_gt_i32 s14, s4
	s_waitcnt vmcnt(0) lgkmcnt(0)
	v_fma_f32 v8, -v9, v10, v8
	s_cbranch_scc1 .LBB9_27
	s_branch .LBB9_25
.LBB9_28:
	s_set_inst_prefetch_distance 0x2
	s_cmp_lt_u32 s7, 3
	s_cbranch_scc1 .LBB9_39
; %bb.29:
	s_lshl_b32 s3, s4, 5
	s_lshl_b32 s5, s2, 2
	s_ashr_i32 s13, s12, 31
	s_add_i32 s5, s3, s5
	s_lshl_b64 s[10:11], s[12:13], 2
	s_add_i32 s3, s5, -4
	s_add_u32 s7, s8, s10
	s_addc_u32 s10, s9, s11
	s_add_u32 s7, s7, s0
	s_addc_u32 s10, s10, s1
	v_add_co_u32 v4, vcc_lo, s7, v2
	v_add_co_ci_u32_e32 v5, vcc_lo, s10, v3, vcc_lo
	s_sub_i32 s7, s5, 36
	s_add_i32 s13, s5, 0xffffffbc
	s_add_i32 s14, s5, 0xffffff9c
	s_mov_b32 s5, 0
	s_branch .LBB9_31
.LBB9_30:                               ;   in Loop: Header=BB9_31 Depth=1
	s_sub_i32 s10, s11, 36
	s_addk_i32 s3, 0xff80
	v_mov_b32_e32 v8, s10
	s_add_i32 s10, s4, -4
	s_addk_i32 s7, 0xff80
	s_addk_i32 s13, 0xff80
	;; [unrolled: 1-line block ×3, first 2 shown]
	ds_load_b32 v8, v8
	s_cmp_lt_i32 s4, 4
	s_mov_b32 s4, s10
	s_waitcnt lgkmcnt(0)
	v_mul_f32_e32 v8, v10, v8
	global_store_b32 v[6:7], v8, off offset:-12
	s_cbranch_scc1 .LBB9_39
.LBB9_31:                               ; =>This Loop Header: Depth=1
                                        ;     Child Loop BB9_32 Depth 2
                                        ;     Child Loop BB9_34 Depth 2
	;; [unrolled: 1-line block ×4, first 2 shown]
	s_lshl_b64 s[10:11], s[4:5], 2
	s_cmp_le_i32 s12, s4
	v_add_co_u32 v6, vcc_lo, v0, s10
	v_add_co_ci_u32_e32 v7, vcc_lo, s11, v1, vcc_lo
	s_mov_b32 s10, s3
	s_mov_b32 s11, s12
	global_load_b32 v6, v[6:7], off
	s_waitcnt vmcnt(0)
	v_dual_mul_f32 v8, s15, v6 :: v_dual_mov_b32 v7, v5
	v_mov_b32_e32 v6, v4
	s_cbranch_scc1 .LBB9_33
.LBB9_32:                               ;   Parent Loop BB9_31 Depth=1
                                        ; =>  This Inner Loop Header: Depth=2
	global_load_b32 v9, v[6:7], off
	v_mov_b32_e32 v10, s10
	v_add_co_u32 v6, vcc_lo, v6, -4
	v_add_co_ci_u32_e32 v7, vcc_lo, -1, v7, vcc_lo
	ds_load_b32 v10, v10
	s_add_i32 s11, s11, -1
	s_add_i32 s10, s10, -4
	s_cmp_gt_i32 s11, s4
	s_waitcnt vmcnt(0) lgkmcnt(0)
	v_fma_f32 v8, -v9, v10, v8
	s_cbranch_scc1 .LBB9_32
.LBB9_33:                               ;   in Loop: Header=BB9_31 Depth=1
	s_add_i32 s10, s4, -1
	s_mov_b32 s11, s5
	s_mul_i32 s16, s4, 36
	s_lshl_b64 s[10:11], s[10:11], 2
	s_delay_alu instid0(SALU_CYCLE_1)
	v_add_co_u32 v6, vcc_lo, v0, s10
	v_add_co_ci_u32_e32 v7, vcc_lo, s11, v1, vcc_lo
	s_ashr_i32 s11, s4, 31
	s_mov_b32 s10, s4
	global_load_b32 v9, v[6:7], off
	v_mov_b32_e32 v6, s16
	s_lshl_b64 s[10:11], s[10:11], 2
	s_cmp_lt_i32 s12, s4
	ds_load_b32 v10, v6
	v_add_co_u32 v6, vcc_lo, v0, s10
	v_add_co_ci_u32_e32 v7, vcc_lo, s11, v1, vcc_lo
	s_mov_b32 s10, s7
	s_mov_b32 s11, s2
	s_waitcnt lgkmcnt(0)
	v_mul_f32_e32 v11, v8, v10
	global_store_b32 v[6:7], v11, off
	s_waitcnt vmcnt(0)
	v_dual_mul_f32 v10, s15, v9 :: v_dual_mov_b32 v9, v5
	v_mov_b32_e32 v8, v4
	s_cbranch_scc1 .LBB9_35
.LBB9_34:                               ;   Parent Loop BB9_31 Depth=1
                                        ; =>  This Inner Loop Header: Depth=2
	global_load_b32 v11, v[8:9], off
	v_mov_b32_e32 v12, s10
	v_add_co_u32 v8, vcc_lo, v8, -4
	v_add_co_ci_u32_e32 v9, vcc_lo, -1, v9, vcc_lo
	ds_load_b32 v12, v12
	s_add_i32 s11, s11, -1
	s_add_i32 s10, s10, -4
	s_cmp_gt_i32 s11, s4
	s_waitcnt vmcnt(0) lgkmcnt(0)
	v_fma_f32 v10, -v11, v12, v10
	s_cbranch_scc1 .LBB9_34
.LBB9_35:                               ;   in Loop: Header=BB9_31 Depth=1
	s_add_i32 s10, s4, -2
	s_mov_b32 s11, s5
	s_sub_i32 s16, s16, 36
	s_lshl_b64 s[18:19], s[10:11], 2
	s_cmp_le_i32 s12, s10
	v_add_co_u32 v8, vcc_lo, v0, s18
	v_add_co_ci_u32_e32 v9, vcc_lo, s19, v1, vcc_lo
	s_mov_b32 s11, s13
	s_mov_b32 s17, s12
	global_load_b32 v8, v[8:9], off
	v_mov_b32_e32 v9, s16
	ds_load_b32 v9, v9
	s_waitcnt vmcnt(0) lgkmcnt(0)
	v_dual_mul_f32 v11, v10, v9 :: v_dual_mul_f32 v10, s15, v8
	v_dual_mov_b32 v9, v5 :: v_dual_mov_b32 v8, v4
	global_store_b32 v[6:7], v11, off offset:-4
	s_cbranch_scc1 .LBB9_37
.LBB9_36:                               ;   Parent Loop BB9_31 Depth=1
                                        ; =>  This Inner Loop Header: Depth=2
	global_load_b32 v11, v[8:9], off
	v_mov_b32_e32 v12, s11
	v_add_co_u32 v8, vcc_lo, v8, -4
	v_add_co_ci_u32_e32 v9, vcc_lo, -1, v9, vcc_lo
	ds_load_b32 v12, v12
	s_add_i32 s17, s17, -1
	s_add_i32 s11, s11, -4
	s_cmp_gt_i32 s17, s10
	s_waitcnt vmcnt(0) lgkmcnt(0)
	v_fma_f32 v10, -v11, v12, v10
	s_cbranch_scc1 .LBB9_36
.LBB9_37:                               ;   in Loop: Header=BB9_31 Depth=1
	s_add_i32 s10, s4, -3
	s_mov_b32 s11, s5
	s_mov_b32 s17, s12
	s_lshl_b64 s[18:19], s[10:11], 2
	s_sub_i32 s11, s16, 36
	v_add_co_u32 v8, vcc_lo, v0, s18
	v_add_co_ci_u32_e32 v9, vcc_lo, s19, v1, vcc_lo
	s_cmp_le_i32 s12, s10
	s_mov_b32 s16, s14
	global_load_b32 v8, v[8:9], off
	v_mov_b32_e32 v9, s11
	ds_load_b32 v9, v9
	s_waitcnt vmcnt(0) lgkmcnt(0)
	v_dual_mul_f32 v11, v10, v9 :: v_dual_mul_f32 v10, s15, v8
	v_dual_mov_b32 v9, v5 :: v_dual_mov_b32 v8, v4
	global_store_b32 v[6:7], v11, off offset:-8
	s_cbranch_scc1 .LBB9_30
.LBB9_38:                               ;   Parent Loop BB9_31 Depth=1
                                        ; =>  This Inner Loop Header: Depth=2
	global_load_b32 v11, v[8:9], off
	v_mov_b32_e32 v12, s16
	v_add_co_u32 v8, vcc_lo, v8, -4
	v_add_co_ci_u32_e32 v9, vcc_lo, -1, v9, vcc_lo
	ds_load_b32 v12, v12
	s_add_i32 s17, s17, -1
	s_add_i32 s16, s16, -4
	s_cmp_gt_i32 s17, s10
	s_waitcnt vmcnt(0) lgkmcnt(0)
	v_fma_f32 v10, -v11, v12, v10
	s_cbranch_scc1 .LBB9_38
	s_branch .LBB9_30
.LBB9_39:
	s_mov_b32 s3, 0
.LBB9_40:
	s_delay_alu instid0(SALU_CYCLE_1)
	s_and_b32 vcc_lo, exec_lo, s3
	s_cbranch_vccz .LBB9_62
; %bb.41:
	s_cmp_gt_i32 s6, 7
	s_cbranch_scc0 .LBB9_43
; %bb.42:
	s_clause 0x1
	global_load_b128 v[4:7], v[0:1], off
	global_load_b128 v[8:11], v[0:1], off offset:16
	v_mov_b32_e32 v34, 0
	s_mov_b32 s6, 8
	ds_load_b128 v[12:15], v34
	ds_load_2addr_b32 v[24:25], v34 offset0:9 offset1:10
	s_waitcnt vmcnt(1)
	v_mul_f32_e32 v4, s15, v4
	s_waitcnt lgkmcnt(1)
	s_delay_alu instid0(VALU_DEP_1) | instskip(NEXT) | instid1(VALU_DEP_1)
	v_mul_f32_e32 v4, v4, v12
	v_mul_f32_e32 v12, v4, v13
	;; [unrolled: 1-line block ×3, first 2 shown]
	ds_load_b128 v[16:19], v34 offset:16
	ds_load_2addr_b64 v[20:23], v34 offset0:9 offset1:10
	ds_load_2addr_b32 v[26:27], v34 offset0:11 offset1:12
	ds_load_2addr_b32 v[28:29], v34 offset0:13 offset1:14
	v_fma_f32 v5, v5, s15, -v12
	v_mul_f32_e32 v12, v4, v15
	v_fma_f32 v6, v6, s15, -v13
	ds_load_2addr_b32 v[30:31], v34 offset0:27 offset1:28
	ds_load_2addr_b32 v[32:33], v34 offset0:29 offset1:30
	s_waitcnt lgkmcnt(6)
	v_mul_f32_e32 v5, v5, v24
	v_fma_f32 v7, v7, s15, -v12
	s_delay_alu instid0(VALU_DEP_2)
	v_fma_f32 v6, -v5, v25, v6
	ds_load_b64 v[24:25], v34 offset:88
	s_waitcnt lgkmcnt(6)
	v_mul_f32_e32 v13, v4, v16
	v_mul_f32_e32 v16, v4, v17
	s_waitcnt lgkmcnt(4)
	v_fma_f32 v7, -v5, v26, v7
	v_mul_f32_e32 v6, v6, v20
	v_mul_f32_e32 v18, v4, v18
	s_waitcnt vmcnt(0)
	v_fma_f32 v8, v8, s15, -v13
	ds_load_b128 v[12:15], v34 offset:144
	ds_load_b32 v26, v34 offset:60
	v_fma_f32 v9, v9, s15, -v16
	v_fma_f32 v7, -v6, v21, v7
	ds_load_2addr_b32 v[16:17], v34 offset0:45 offset1:46
	v_fma_f32 v8, -v5, v27, v8
	v_fma_f32 v10, v10, s15, -v18
	s_waitcnt lgkmcnt(6)
	v_fma_f32 v9, -v5, v28, v9
	s_waitcnt lgkmcnt(5)
	v_mul_f32_e32 v7, v7, v30
	ds_load_2addr_b32 v[20:21], v34 offset0:31 offset1:47
	v_fma_f32 v8, -v6, v22, v8
	v_mul_f32_e32 v18, v4, v19
	v_fma_f32 v10, -v5, v29, v10
	v_fma_f32 v9, -v6, v23, v9
	s_delay_alu instid0(VALU_DEP_4) | instskip(NEXT) | instid1(VALU_DEP_4)
	v_fma_f32 v8, -v7, v31, v8
	v_fma_f32 v18, v11, s15, -v18
	s_waitcnt lgkmcnt(4)
	v_fma_f32 v19, -v6, v24, v10
	ds_load_b64 v[10:11], v34 offset:216
	v_fma_f32 v9, -v7, v32, v9
	s_waitcnt lgkmcnt(4)
	v_mul_f32_e32 v8, v8, v12
	s_waitcnt lgkmcnt(3)
	v_fma_f32 v12, -v5, v26, v18
	v_fma_f32 v18, -v7, v33, v19
	s_delay_alu instid0(VALU_DEP_3)
	v_fma_f32 v9, -v8, v13, v9
	ds_load_b32 v13, v34 offset:252
	v_fma_f32 v12, -v6, v25, v12
	v_fma_f32 v14, -v8, v14, v18
	s_waitcnt lgkmcnt(3)
	v_mul_f32_e32 v9, v9, v16
	s_waitcnt lgkmcnt(2)
	v_fma_f32 v12, -v7, v20, v12
	s_delay_alu instid0(VALU_DEP_2) | instskip(NEXT) | instid1(VALU_DEP_2)
	v_fma_f32 v14, -v9, v17, v14
	v_fma_f32 v12, -v8, v15, v12
	s_waitcnt lgkmcnt(1)
	s_delay_alu instid0(VALU_DEP_2) | instskip(NEXT) | instid1(VALU_DEP_2)
	v_mul_f32_e32 v10, v14, v10
	v_fma_f32 v12, -v9, v21, v12
	s_delay_alu instid0(VALU_DEP_1) | instskip(SKIP_1) | instid1(VALU_DEP_1)
	v_fma_f32 v11, -v10, v11, v12
	s_waitcnt lgkmcnt(0)
	v_mul_f32_e32 v11, v11, v13
	s_clause 0x1
	global_store_b128 v[0:1], v[4:7], off
	global_store_b128 v[0:1], v[8:11], off offset:16
	s_cmp_lt_i32 s6, s2
	s_cbranch_scc1 .LBB9_44
	s_branch .LBB9_62
.LBB9_43:
	s_mov_b32 s6, 0
	s_delay_alu instid0(SALU_CYCLE_1)
	s_cmp_lt_i32 s6, s2
	s_cbranch_scc0 .LBB9_62
.LBB9_44:
	s_or_b32 s3, s6, 3
	s_delay_alu instid0(SALU_CYCLE_1)
	s_cmp_ge_u32 s3, s2
	s_cbranch_scc1 .LBB9_50
; %bb.45:
	s_lshl_b32 s3, s6, 2
	s_add_u32 s4, s8, s0
	s_addc_u32 s5, s9, s1
	v_add_co_u32 v4, vcc_lo, s4, v2
	v_add_co_ci_u32_e32 v5, vcc_lo, s5, v3, vcc_lo
	s_mov_b32 s7, 0
	s_delay_alu instid0(VALU_DEP_2) | instskip(NEXT) | instid1(VALU_DEP_2)
	v_add_co_u32 v4, vcc_lo, v4, 8
	v_add_co_ci_u32_e32 v5, vcc_lo, 0, v5, vcc_lo
.LBB9_46:                               ; =>This Loop Header: Depth=1
                                        ;     Child Loop BB9_47 Depth 2
	s_lshl_b64 s[4:5], s[6:7], 2
	s_delay_alu instid0(VALU_DEP_1)
	v_dual_mov_b32 v9, v5 :: v_dual_mov_b32 v8, v4
	v_add_co_u32 v6, vcc_lo, v0, s4
	v_add_co_ci_u32_e32 v7, vcc_lo, s5, v1, vcc_lo
	s_cmp_eq_u32 s6, 0
	s_mov_b32 s4, s6
	s_mov_b32 s5, s3
	global_load_b128 v[11:14], v[6:7], off
	s_waitcnt vmcnt(0)
	v_dual_mul_f32 v10, s15, v11 :: v_dual_mul_f32 v11, s15, v13
	v_dual_mul_f32 v12, s15, v12 :: v_dual_mul_f32 v13, s15, v14
	s_cbranch_scc1 .LBB9_48
.LBB9_47:                               ;   Parent Loop BB9_46 Depth=1
                                        ; =>  This Inner Loop Header: Depth=2
	global_load_b128 v[14:17], v[8:9], off offset:-8
	v_mov_b32_e32 v30, s5
	v_add_co_u32 v8, vcc_lo, v8, 16
	v_add_co_ci_u32_e32 v9, vcc_lo, 0, v9, vcc_lo
	ds_load_b128 v[18:21], v30
	ds_load_b128 v[22:25], v30 offset:32
	ds_load_b128 v[26:29], v30 offset:64
	;; [unrolled: 1-line block ×3, first 2 shown]
	s_add_i32 s4, s4, -4
	s_addk_i32 s5, 0x80
	s_cmp_lg_u32 s4, 0
	s_waitcnt vmcnt(0) lgkmcnt(3)
	v_fma_f32 v10, -v14, v18, v10
	v_fma_f32 v12, -v14, v19, v12
	v_fma_f32 v11, -v14, v20, v11
	v_fma_f32 v13, -v14, v21, v13
	s_waitcnt lgkmcnt(2)
	v_fma_f32 v10, -v15, v22, v10
	v_fma_f32 v12, -v15, v23, v12
	v_fma_f32 v11, -v15, v24, v11
	v_fma_f32 v13, -v15, v25, v13
	s_waitcnt lgkmcnt(1)
	;; [unrolled: 5-line block ×3, first 2 shown]
	v_fma_f32 v10, -v17, v30, v10
	v_fma_f32 v12, -v17, v31, v12
	;; [unrolled: 1-line block ×4, first 2 shown]
	s_cbranch_scc1 .LBB9_47
.LBB9_48:                               ;   in Loop: Header=BB9_46 Depth=1
	s_mul_i32 s4, s6, 36
	s_add_i32 s5, s6, 7
	v_mov_b32_e32 v9, s4
	s_lshl_b32 s4, s6, 3
	s_add_i32 s3, s3, 16
	s_add_i32 s4, s6, s4
	s_delay_alu instid0(SALU_CYCLE_1) | instskip(NEXT) | instid1(SALU_CYCLE_1)
	s_lshl_b32 s4, s4, 2
	v_mov_b32_e32 v8, s4
	ds_load_b128 v[14:17], v9
	ds_load_2addr_b32 v[18:19], v9 offset0:9 offset1:10
	ds_load_b64 v[20:21], v9 offset:72
	ds_load_b32 v22, v8 offset:44
	s_add_i32 s4, s6, 4
	s_cmp_lt_i32 s5, s2
	s_waitcnt lgkmcnt(3)
	v_mul_f32_e32 v8, v10, v14
	s_delay_alu instid0(VALU_DEP_1)
	v_fma_f32 v10, -v8, v15, v12
	ds_load_b32 v12, v9 offset:108
	v_fma_f32 v11, -v8, v16, v11
	s_waitcnt lgkmcnt(3)
	v_mul_f32_e32 v9, v10, v18
	v_fma_f32 v10, -v8, v17, v13
	s_delay_alu instid0(VALU_DEP_2) | instskip(SKIP_1) | instid1(VALU_DEP_2)
	v_fma_f32 v11, -v9, v19, v11
	s_waitcnt lgkmcnt(1)
	v_fma_f32 v13, -v9, v22, v10
	s_delay_alu instid0(VALU_DEP_2) | instskip(NEXT) | instid1(VALU_DEP_1)
	v_mul_f32_e32 v10, v11, v20
	v_fma_f32 v11, -v10, v21, v13
	s_waitcnt lgkmcnt(0)
	s_delay_alu instid0(VALU_DEP_1)
	v_mul_f32_e32 v11, v11, v12
	global_store_b128 v[6:7], v[8:11], off
	s_cbranch_scc0 .LBB9_51
; %bb.49:                               ;   in Loop: Header=BB9_46 Depth=1
	s_mov_b32 s6, s4
	s_branch .LBB9_46
.LBB9_50:
	s_mov_b32 s4, s6
.LBB9_51:
	s_delay_alu instid0(SALU_CYCLE_1)
	s_cmp_ge_i32 s4, s2
	s_cbranch_scc1 .LBB9_62
; %bb.52:
	s_add_i32 s3, s4, -1
	s_lshl_b32 s6, s4, 2
	s_add_u32 s0, s8, s0
	s_addc_u32 s1, s9, s1
	v_add_co_u32 v8, vcc_lo, s0, v2
	v_add_co_ci_u32_e32 v9, vcc_lo, s1, v3, vcc_lo
	s_mov_b32 s1, 0
	s_delay_alu instid0(VALU_DEP_2) | instskip(NEXT) | instid1(VALU_DEP_2)
	v_add_co_u32 v2, vcc_lo, v8, 28
	v_add_co_ci_u32_e32 v3, vcc_lo, 0, v9, vcc_lo
	s_mov_b32 s8, s4
	s_mov_b32 s7, 0
	s_branch .LBB9_54
.LBB9_53:                               ;   in Loop: Header=BB9_54 Depth=1
	s_mul_i32 s0, s4, 36
	v_add_nc_u16 v7, s8, 1
	v_mov_b32_e32 v6, s0
	s_add_i32 s4, s4, 1
	s_add_i32 s7, s7, 1
	;; [unrolled: 1-line block ×3, first 2 shown]
	v_readfirstlane_b32 s8, v7
	ds_load_b32 v6, v6
	s_cmp_ge_i32 s4, s2
	s_waitcnt lgkmcnt(0)
	v_mul_f32_e32 v6, v10, v6
	global_store_b32 v[4:5], v6, off
	s_cbranch_scc1 .LBB9_62
.LBB9_54:                               ; =>This Loop Header: Depth=1
                                        ;     Child Loop BB9_57 Depth 2
                                        ;     Child Loop BB9_61 Depth 2
	s_ashr_i32 s5, s4, 31
	s_delay_alu instid0(SALU_CYCLE_1)
	s_lshl_b64 s[10:11], s[4:5], 2
	s_cmp_eq_u32 s4, 0
	v_add_co_u32 v4, vcc_lo, v0, s10
	v_add_co_ci_u32_e32 v5, vcc_lo, s11, v1, vcc_lo
	global_load_b32 v6, v[4:5], off
	s_waitcnt vmcnt(0)
	v_mul_f32_e32 v10, s15, v6
	s_cbranch_scc1 .LBB9_53
; %bb.55:                               ;   in Loop: Header=BB9_54 Depth=1
	s_add_i32 s0, s3, s7
	s_delay_alu instid0(SALU_CYCLE_1)
	s_cmp_lt_u32 s0, 7
	s_cbranch_scc1 .LBB9_59
; %bb.56:                               ;   in Loop: Header=BB9_54 Depth=1
	v_dual_mov_b32 v7, v3 :: v_dual_mov_b32 v6, v2
	s_and_b32 s0, s4, -8
	s_mov_b32 s5, 0
	s_mov_b32 s9, s6
	s_set_inst_prefetch_distance 0x1
	.p2align	6
.LBB9_57:                               ;   Parent Loop BB9_54 Depth=1
                                        ; =>  This Inner Loop Header: Depth=2
	s_clause 0x1
	global_load_b128 v[11:14], v[6:7], off offset:-28
	global_load_b128 v[15:18], v[6:7], off offset:-12
	v_mov_b32_e32 v25, s9
	v_add_co_u32 v6, vcc_lo, v6, 32
	v_add_co_ci_u32_e32 v7, vcc_lo, 0, v7, vcc_lo
	ds_load_2addr_b32 v[19:20], v25 offset1:8
	ds_load_2addr_b32 v[21:22], v25 offset0:16 offset1:24
	ds_load_2addr_b32 v[23:24], v25 offset0:32 offset1:40
	s_add_i32 s5, s5, 8
	s_addk_i32 s9, 0x100
	s_cmp_lg_u32 s0, s5
	s_waitcnt vmcnt(1) lgkmcnt(2)
	v_fma_f32 v10, -v11, v19, v10
	s_delay_alu instid0(VALU_DEP_1) | instskip(SKIP_3) | instid1(VALU_DEP_1)
	v_fma_f32 v12, -v12, v20, v10
	ds_load_2addr_b32 v[10:11], v25 offset0:48 offset1:56
	s_waitcnt lgkmcnt(2)
	v_fma_f32 v12, -v13, v21, v12
	v_fma_f32 v12, -v14, v22, v12
	s_waitcnt vmcnt(0) lgkmcnt(1)
	s_delay_alu instid0(VALU_DEP_1) | instskip(NEXT) | instid1(VALU_DEP_1)
	v_fma_f32 v12, -v15, v23, v12
	v_fma_f32 v12, -v16, v24, v12
	s_waitcnt lgkmcnt(0)
	s_delay_alu instid0(VALU_DEP_1) | instskip(NEXT) | instid1(VALU_DEP_1)
	v_fma_f32 v10, -v17, v10, v12
	v_fma_f32 v10, -v18, v11, v10
	s_cbranch_scc1 .LBB9_57
; %bb.58:                               ;   in Loop: Header=BB9_54 Depth=1
	s_set_inst_prefetch_distance 0x2
	s_and_b32 s5, s4, 7
	s_delay_alu instid0(SALU_CYCLE_1)
	s_cmp_eq_u32 s5, 0
	s_cbranch_scc0 .LBB9_60
	s_branch .LBB9_53
.LBB9_59:                               ;   in Loop: Header=BB9_54 Depth=1
	s_mov_b32 s0, 0
	s_and_b32 s5, s4, 7
	s_delay_alu instid0(SALU_CYCLE_1)
	s_cmp_eq_u32 s5, 0
	s_cbranch_scc1 .LBB9_53
.LBB9_60:                               ;   in Loop: Header=BB9_54 Depth=1
	s_lshl_b64 s[10:11], s[0:1], 2
	s_and_b32 s5, s8, 7
	v_add_co_u32 v6, vcc_lo, v8, s10
	v_add_co_ci_u32_e32 v7, vcc_lo, s11, v9, vcc_lo
	s_lshl_b32 s0, s0, 5
.LBB9_61:                               ;   Parent Loop BB9_54 Depth=1
                                        ; =>  This Inner Loop Header: Depth=2
	global_load_b32 v11, v[6:7], off
	s_add_i32 s9, s6, s0
	v_add_co_u32 v6, vcc_lo, v6, 4
	v_mov_b32_e32 v12, s9
	v_add_co_ci_u32_e32 v7, vcc_lo, 0, v7, vcc_lo
	s_add_i32 s5, s5, -1
	s_add_i32 s0, s0, 32
	ds_load_b32 v12, v12
	s_cmp_lg_u32 s5, 0
	s_waitcnt vmcnt(0) lgkmcnt(0)
	v_fma_f32 v10, -v11, v12, v10
	s_cbranch_scc1 .LBB9_61
	s_branch .LBB9_53
.LBB9_62:
	s_nop 0
	s_sendmsg sendmsg(MSG_DEALLOC_VGPRS)
	s_endpgm
	.section	.rodata,"a",@progbits
	.p2align	6, 0x0
	.amdhsa_kernel _ZL30rocblas_trsm_small_left_deviceILi8ELi8ELb1EffPKPKfPKPfEv13rocblas_fill_18rocblas_operation_17rocblas_diagonal_iiT3_T4_lilT5_lili
		.amdhsa_group_segment_fixed_size 256
		.amdhsa_private_segment_fixed_size 0
		.amdhsa_kernarg_size 352
		.amdhsa_user_sgpr_count 14
		.amdhsa_user_sgpr_dispatch_ptr 0
		.amdhsa_user_sgpr_queue_ptr 0
		.amdhsa_user_sgpr_kernarg_segment_ptr 1
		.amdhsa_user_sgpr_dispatch_id 0
		.amdhsa_user_sgpr_private_segment_size 0
		.amdhsa_wavefront_size32 1
		.amdhsa_uses_dynamic_stack 0
		.amdhsa_enable_private_segment 0
		.amdhsa_system_sgpr_workgroup_id_x 1
		.amdhsa_system_sgpr_workgroup_id_y 0
		.amdhsa_system_sgpr_workgroup_id_z 1
		.amdhsa_system_sgpr_workgroup_info 0
		.amdhsa_system_vgpr_workitem_id 0
		.amdhsa_next_free_vgpr 43
		.amdhsa_next_free_sgpr 31
		.amdhsa_reserve_vcc 1
		.amdhsa_float_round_mode_32 0
		.amdhsa_float_round_mode_16_64 0
		.amdhsa_float_denorm_mode_32 3
		.amdhsa_float_denorm_mode_16_64 3
		.amdhsa_dx10_clamp 1
		.amdhsa_ieee_mode 1
		.amdhsa_fp16_overflow 0
		.amdhsa_workgroup_processor_mode 1
		.amdhsa_memory_ordered 1
		.amdhsa_forward_progress 0
		.amdhsa_shared_vgpr_count 0
		.amdhsa_exception_fp_ieee_invalid_op 0
		.amdhsa_exception_fp_denorm_src 0
		.amdhsa_exception_fp_ieee_div_zero 0
		.amdhsa_exception_fp_ieee_overflow 0
		.amdhsa_exception_fp_ieee_underflow 0
		.amdhsa_exception_fp_ieee_inexact 0
		.amdhsa_exception_int_div_zero 0
	.end_amdhsa_kernel
	.section	.text._ZL30rocblas_trsm_small_left_deviceILi8ELi8ELb1EffPKPKfPKPfEv13rocblas_fill_18rocblas_operation_17rocblas_diagonal_iiT3_T4_lilT5_lili,"axG",@progbits,_ZL30rocblas_trsm_small_left_deviceILi8ELi8ELb1EffPKPKfPKPfEv13rocblas_fill_18rocblas_operation_17rocblas_diagonal_iiT3_T4_lilT5_lili,comdat
.Lfunc_end9:
	.size	_ZL30rocblas_trsm_small_left_deviceILi8ELi8ELb1EffPKPKfPKPfEv13rocblas_fill_18rocblas_operation_17rocblas_diagonal_iiT3_T4_lilT5_lili, .Lfunc_end9-_ZL30rocblas_trsm_small_left_deviceILi8ELi8ELb1EffPKPKfPKPfEv13rocblas_fill_18rocblas_operation_17rocblas_diagonal_iiT3_T4_lilT5_lili
                                        ; -- End function
	.section	.AMDGPU.csdata,"",@progbits
; Kernel info:
; codeLenInByte = 4988
; NumSgprs: 33
; NumVgprs: 43
; ScratchSize: 0
; MemoryBound: 0
; FloatMode: 240
; IeeeMode: 1
; LDSByteSize: 256 bytes/workgroup (compile time only)
; SGPRBlocks: 4
; VGPRBlocks: 5
; NumSGPRsForWavesPerEU: 33
; NumVGPRsForWavesPerEU: 43
; Occupancy: 16
; WaveLimiterHint : 1
; COMPUTE_PGM_RSRC2:SCRATCH_EN: 0
; COMPUTE_PGM_RSRC2:USER_SGPR: 14
; COMPUTE_PGM_RSRC2:TRAP_HANDLER: 0
; COMPUTE_PGM_RSRC2:TGID_X_EN: 1
; COMPUTE_PGM_RSRC2:TGID_Y_EN: 0
; COMPUTE_PGM_RSRC2:TGID_Z_EN: 1
; COMPUTE_PGM_RSRC2:TIDIG_COMP_CNT: 0
	.section	.text._ZL31rocblas_trsm_small_right_deviceIffPKPKfPKPfLi8EEv13rocblas_fill_18rocblas_operation_17rocblas_diagonal_iiT0_T1_lilT2_lili,"axG",@progbits,_ZL31rocblas_trsm_small_right_deviceIffPKPKfPKPfLi8EEv13rocblas_fill_18rocblas_operation_17rocblas_diagonal_iiT0_T1_lilT2_lili,comdat
	.globl	_ZL31rocblas_trsm_small_right_deviceIffPKPKfPKPfLi8EEv13rocblas_fill_18rocblas_operation_17rocblas_diagonal_iiT0_T1_lilT2_lili ; -- Begin function _ZL31rocblas_trsm_small_right_deviceIffPKPKfPKPfLi8EEv13rocblas_fill_18rocblas_operation_17rocblas_diagonal_iiT0_T1_lilT2_lili
	.p2align	8
	.type	_ZL31rocblas_trsm_small_right_deviceIffPKPKfPKPfLi8EEv13rocblas_fill_18rocblas_operation_17rocblas_diagonal_iiT0_T1_lilT2_lili,@function
_ZL31rocblas_trsm_small_right_deviceIffPKPKfPKPfLi8EEv13rocblas_fill_18rocblas_operation_17rocblas_diagonal_iiT0_T1_lilT2_lili: ; @_ZL31rocblas_trsm_small_right_deviceIffPKPKfPKPfLi8EEv13rocblas_fill_18rocblas_operation_17rocblas_diagonal_iiT0_T1_lilT2_lili
; %bb.0:
	s_clause 0x1
	s_load_b128 s[8:11], s[0:1], 0x38
	s_load_b64 s[12:13], s[0:1], 0x10
	s_mov_b32 s20, s15
	s_mov_b32 s21, 0
	s_mov_b32 s15, exec_lo
	s_lshl_b64 s[22:23], s[20:21], 3
	s_waitcnt lgkmcnt(0)
	s_add_u32 s2, s8, s22
	s_addc_u32 s3, s9, s23
	s_load_b128 s[4:7], s[0:1], 0x0
	s_load_b64 s[2:3], s[2:3], 0x0
	s_min_i32 s20, s12, 8
	s_delay_alu instid0(SALU_CYCLE_1)
	s_add_i32 s28, s20, -1
	v_cmpx_gt_i32_e64 s20, v0
	s_cbranch_execz .LBB10_9
; %bb.1:
	s_clause 0x1
	s_load_b32 s8, s[0:1], 0x28
	s_load_b128 s[16:19], s[0:1], 0x18
	s_waitcnt lgkmcnt(0)
	s_ashr_i32 s9, s8, 31
	s_add_u32 s16, s16, s22
	s_addc_u32 s17, s17, s23
	s_cmp_lt_u32 s28, 3
	s_load_b64 s[16:17], s[16:17], 0x0
	s_cbranch_scc1 .LBB10_4
; %bb.2:
	v_lshlrev_b32_e32 v3, 2, v0
	s_lshl_b64 s[22:23], s[18:19], 2
	s_mul_hi_i32 s29, s8, 12
	s_waitcnt lgkmcnt(0)
	s_add_u32 s21, s16, s22
	s_addc_u32 s22, s17, s23
	v_add_co_u32 v1, s21, s21, v3
	s_delay_alu instid0(VALU_DEP_1)
	v_add_co_ci_u32_e64 v2, null, s22, 0, s21
	s_and_b32 s21, s20, -4
	s_mul_i32 s30, s8, 12
	s_lshl_b64 s[22:23], s[8:9], 4
	s_lshl_b64 s[24:25], s[8:9], 3
	;; [unrolled: 1-line block ×3, first 2 shown]
	s_mov_b32 s31, 0
	.p2align	6
.LBB10_3:                               ; =>This Inner Loop Header: Depth=1
	v_add_co_u32 v4, vcc_lo, v1, s26
	v_add_co_ci_u32_e32 v5, vcc_lo, s27, v2, vcc_lo
	v_add_co_u32 v6, vcc_lo, v1, s24
	v_add_co_ci_u32_e32 v7, vcc_lo, s25, v2, vcc_lo
	;; [unrolled: 2-line block ×3, first 2 shown]
	s_clause 0x3
	global_load_b32 v10, v[1:2], off
	global_load_b32 v4, v[4:5], off
	;; [unrolled: 1-line block ×4, first 2 shown]
	v_add_co_u32 v1, vcc_lo, v1, s22
	v_add_co_ci_u32_e32 v2, vcc_lo, s23, v2, vcc_lo
	s_add_i32 s31, s31, 4
	s_waitcnt vmcnt(2)
	ds_store_2addr_b32 v3, v10, v4 offset1:8
	s_waitcnt vmcnt(0)
	ds_store_2addr_b32 v3, v5, v6 offset0:16 offset1:24
	v_add_nc_u32_e32 v3, 0x80, v3
	s_cmp_eq_u32 s21, s31
	s_cbranch_scc0 .LBB10_3
.LBB10_4:
	s_and_b32 s22, s20, 3
	s_delay_alu instid0(SALU_CYCLE_1)
	s_cmp_eq_u32 s22, 0
	s_cbranch_scc1 .LBB10_7
; %bb.5:
	s_mul_i32 s23, s9, s21
	s_mul_hi_u32 s24, s8, s21
	s_lshl_b64 s[18:19], s[18:19], 2
	s_add_i32 s25, s24, s23
	s_mul_i32 s24, s8, s21
	v_lshlrev_b32_e32 v1, 2, v0
	s_lshl_b64 s[24:25], s[24:25], 2
	s_delay_alu instid0(SALU_CYCLE_1)
	s_add_u32 s18, s24, s18
	s_addc_u32 s19, s25, s19
	s_waitcnt lgkmcnt(0)
	s_add_u32 s16, s16, s18
	v_lshl_or_b32 v3, s21, 5, v1
	s_addc_u32 s17, s17, s19
	v_add_co_u32 v1, s16, s16, v1
	s_delay_alu instid0(VALU_DEP_1)
	v_add_co_ci_u32_e64 v2, null, s17, 0, s16
	s_lshl_b64 s[8:9], s[8:9], 2
.LBB10_6:                               ; =>This Inner Loop Header: Depth=1
	global_load_b32 v4, v[1:2], off
	v_add_co_u32 v1, vcc_lo, v1, s8
	v_add_co_ci_u32_e32 v2, vcc_lo, s9, v2, vcc_lo
	s_add_i32 s22, s22, -1
	s_delay_alu instid0(SALU_CYCLE_1)
	s_cmp_lg_u32 s22, 0
	s_waitcnt vmcnt(0)
	ds_store_b32 v3, v4
	v_add_nc_u32_e32 v3, 32, v3
	s_cbranch_scc1 .LBB10_6
.LBB10_7:
	s_cmpk_eq_i32 s6, 0x84
	s_cbranch_scc0 .LBB10_9
; %bb.8:
	v_mul_u32_u24_e32 v1, 9, v0
	s_delay_alu instid0(VALU_DEP_1)
	v_dual_mov_b32 v2, 1.0 :: v_dual_lshlrev_b32 v1, 2, v1
	ds_store_b32 v1, v2
.LBB10_9:
	s_or_b32 exec_lo, exec_lo, s15
	s_waitcnt lgkmcnt(0)
	s_load_b32 s6, s[0:1], 0x60
	s_lshl_b64 s[8:9], s[10:11], 2
	s_load_b32 s0, s[0:1], 0x48
	s_add_u32 s1, s2, s8
	s_addc_u32 s10, s3, s9
	s_lshl_b32 s11, s14, 3
	s_mov_b32 s23, 0
	s_sub_i32 s7, s7, s11
	s_waitcnt lgkmcnt(0)
	s_add_i32 s6, s6, -1
	s_delay_alu instid0(SALU_CYCLE_1) | instskip(SKIP_4) | instid1(SALU_CYCLE_1)
	s_cmp_ge_u32 s14, s6
	s_cselect_b32 s11, s7, 8
	s_ashr_i32 s15, s14, 31
	v_cmp_gt_i32_e32 vcc_lo, s11, v0
	s_lshl_b64 s[6:7], s[14:15], 5
	s_add_u32 s18, s1, s6
	s_addc_u32 s19, s10, s7
	s_cmp_gt_i32 s12, 0
	s_cselect_b32 s1, -1, 0
	s_delay_alu instid0(SALU_CYCLE_1) | instskip(NEXT) | instid1(SALU_CYCLE_1)
	s_and_b32 s21, vcc_lo, s1
	s_and_saveexec_b32 s22, s21
	s_cbranch_execz .LBB10_16
; %bb.10:
	s_ashr_i32 s1, s0, 31
	s_cmp_lt_u32 s12, 4
	s_cbranch_scc1 .LBB10_13
; %bb.11:
	v_lshlrev_b32_e32 v1, 2, v0
	v_lshl_or_b32 v3, v0, 2, 0x100
	s_and_b32 s23, s12, 0x7ffffffc
	s_mul_hi_i32 s24, s0, 12
	s_mul_i32 s25, s0, 12
	v_add_co_u32 v1, s10, s18, v1
	s_delay_alu instid0(VALU_DEP_1)
	v_add_co_ci_u32_e64 v2, null, s19, 0, s10
	s_lshl_b64 s[10:11], s[0:1], 4
	s_lshl_b64 s[14:15], s[0:1], 3
	s_lshl_b64 s[16:17], s[0:1], 2
	s_mov_b32 s26, 0
	s_set_inst_prefetch_distance 0x1
	.p2align	6
.LBB10_12:                              ; =>This Inner Loop Header: Depth=1
	v_add_co_u32 v4, vcc_lo, v1, s16
	v_add_co_ci_u32_e32 v5, vcc_lo, s17, v2, vcc_lo
	v_add_co_u32 v6, vcc_lo, v1, s14
	v_add_co_ci_u32_e32 v7, vcc_lo, s15, v2, vcc_lo
	;; [unrolled: 2-line block ×3, first 2 shown]
	s_clause 0x3
	global_load_b32 v10, v[1:2], off
	global_load_b32 v4, v[4:5], off
	;; [unrolled: 1-line block ×4, first 2 shown]
	v_add_co_u32 v1, vcc_lo, v1, s10
	v_add_co_ci_u32_e32 v2, vcc_lo, s11, v2, vcc_lo
	s_add_i32 s26, s26, 4
	s_delay_alu instid0(SALU_CYCLE_1)
	s_cmp_lg_u32 s23, s26
	s_waitcnt vmcnt(2)
	v_dual_mul_f32 v7, s13, v10 :: v_dual_mul_f32 v4, s13, v4
	s_waitcnt vmcnt(0)
	v_dual_mul_f32 v5, s13, v5 :: v_dual_mul_f32 v6, s13, v6
	ds_store_2addr_b32 v3, v7, v4 offset1:8
	ds_store_2addr_b32 v3, v5, v6 offset0:16 offset1:24
	v_add_nc_u32_e32 v3, 0x80, v3
	s_cbranch_scc1 .LBB10_12
.LBB10_13:
	s_set_inst_prefetch_distance 0x2
	s_and_b32 s14, s12, 3
	s_delay_alu instid0(SALU_CYCLE_1)
	s_cmp_eq_u32 s14, 0
	s_cbranch_scc1 .LBB10_16
; %bb.14:
	s_mul_hi_i32 s11, s0, s23
	s_mul_i32 s10, s0, s23
	v_lshlrev_b32_e32 v1, 2, v0
	s_lshl_b64 s[10:11], s[10:11], 2
	s_delay_alu instid0(SALU_CYCLE_1)
	s_add_u32 s10, s10, s6
	s_addc_u32 s11, s11, s7
	s_add_u32 s10, s10, s8
	v_lshl_or_b32 v2, s23, 5, v1
	s_addc_u32 s11, s11, s9
	s_add_u32 s10, s2, s10
	s_addc_u32 s11, s3, s11
	v_add_co_u32 v1, s10, s10, v1
	v_add_nc_u32_e32 v3, 0x100, v2
	v_add_co_ci_u32_e64 v2, null, s11, 0, s10
	s_lshl_b64 s[10:11], s[0:1], 2
.LBB10_15:                              ; =>This Inner Loop Header: Depth=1
	global_load_b32 v4, v[1:2], off
	v_add_co_u32 v1, vcc_lo, v1, s10
	v_add_co_ci_u32_e32 v2, vcc_lo, s11, v2, vcc_lo
	s_add_i32 s14, s14, -1
	s_delay_alu instid0(SALU_CYCLE_1)
	s_cmp_lg_u32 s14, 0
	s_waitcnt vmcnt(0)
	v_mul_f32_e32 v4, s13, v4
	ds_store_b32 v3, v4
	v_add_nc_u32_e32 v3, 32, v3
	s_cbranch_scc1 .LBB10_15
.LBB10_16:
	s_or_b32 exec_lo, exec_lo, s22
	s_cmpk_eq_i32 s5, 0x6f
	s_waitcnt lgkmcnt(0)
	s_cselect_b32 s1, -1, 0
	s_cmpk_eq_i32 s4, 0x79
	; wave barrier
	buffer_gl0_inv
	s_cselect_b32 s10, -1, 0
	s_cmpk_lg_i32 s4, 0x79
	s_cselect_b32 s5, -1, 0
	s_and_b32 s10, s10, s1
	s_delay_alu instid0(SALU_CYCLE_1)
	s_and_not1_b32 vcc_lo, exec_lo, s10
	s_mov_b32 s10, -1
	s_cbranch_vccz .LBB10_80
; %bb.17:
	s_cmpk_lg_i32 s4, 0x7a
	s_cselect_b32 s4, -1, 0
	s_xor_b32 s1, s1, -1
	s_delay_alu instid0(SALU_CYCLE_1)
	s_or_b32 s4, s4, s1
	s_cmp_gt_i32 s12, 3
	s_cselect_b32 s1, -1, 0
	s_and_b32 vcc_lo, exec_lo, s4
	s_mov_b32 s4, -1
	s_cbranch_vccz .LBB10_59
; %bb.18:
	s_and_not1_b32 vcc_lo, exec_lo, s5
	s_cbranch_vccnz .LBB10_38
; %bb.19:
	s_and_not1_b32 vcc_lo, exec_lo, s1
	s_mov_b32 s10, 0
	s_cbranch_vccnz .LBB10_26
; %bb.20:
	v_lshl_or_b32 v3, v0, 2, 0x100
	s_mov_b32 s4, 0
	s_mov_b32 s5, 0
.LBB10_21:                              ; =>This Loop Header: Depth=1
                                        ;     Child Loop BB10_23 Depth 2
	s_delay_alu instid0(SALU_CYCLE_1) | instskip(NEXT) | instid1(SALU_CYCLE_1)
	s_lshl_b32 s11, s5, 3
	s_or_b32 s10, s11, 8
	v_or_b32_e32 v1, s11, v0
	v_or_b32_e32 v2, s10, v0
	s_lshl_b32 s11, s5, 5
	s_cmp_eq_u32 s5, 0
	v_lshl_or_b32 v7, v0, 2, s11
	v_lshlrev_b32_e32 v4, 2, v1
	v_lshlrev_b32_e32 v5, 2, v2
	ds_load_b32 v9, v4 offset:256
	ds_load_b32 v8, v5 offset:256
	ds_load_2addr_b32 v[1:2], v7 offset0:80 offset1:88
	s_cbranch_scc1 .LBB10_24
; %bb.22:                               ;   in Loop: Header=BB10_21 Depth=1
	v_mov_b32_e32 v6, v3
	s_mov_b32 s11, 0
	s_mov_b32 s13, s4
	.p2align	6
.LBB10_23:                              ;   Parent Loop BB10_21 Depth=1
                                        ; =>  This Inner Loop Header: Depth=2
	s_delay_alu instid0(SALU_CYCLE_1)
	v_mov_b32_e32 v10, s13
	s_add_i32 s11, s11, 1
	s_add_i32 s13, s13, 32
	s_cmp_ge_u32 s11, s5
	ds_load_b32 v14, v6
	ds_load_b128 v[10:13], v10
	v_add_nc_u32_e32 v6, 32, v6
	s_waitcnt lgkmcnt(0)
	v_fma_f32 v9, -v14, v10, v9
	v_fma_f32 v8, -v14, v11, v8
	;; [unrolled: 1-line block ×4, first 2 shown]
	s_cbranch_scc0 .LBB10_23
.LBB10_24:                              ;   in Loop: Header=BB10_21 Depth=1
	s_mul_i32 s11, s5, 36
	s_delay_alu instid0(SALU_CYCLE_1)
	v_dual_mov_b32 v16, s11 :: v_dual_add_nc_u32 v5, 0x100, v5
	s_add_i32 s10, s10, s5
	s_add_i32 s4, s4, 16
	s_lshl_b32 s10, s10, 2
	ds_load_b128 v[10:13], v16
	ds_load_2addr_b32 v[14:15], v16 offset0:9 offset1:10
	s_waitcnt lgkmcnt(1)
	v_div_scale_f32 v17, null, v10, v10, v9
	v_div_scale_f32 v20, vcc_lo, v9, v10, v9
	s_delay_alu instid0(VALU_DEP_2) | instskip(SKIP_2) | instid1(VALU_DEP_1)
	v_rcp_f32_e32 v18, v17
	s_waitcnt_depctr 0xfff
	v_fma_f32 v19, -v17, v18, 1.0
	v_fmac_f32_e32 v18, v19, v18
	s_delay_alu instid0(VALU_DEP_1) | instskip(NEXT) | instid1(VALU_DEP_1)
	v_dual_mul_f32 v19, v20, v18 :: v_dual_add_nc_u32 v4, 0x100, v4
	v_fma_f32 v21, -v17, v19, v20
	s_delay_alu instid0(VALU_DEP_1) | instskip(NEXT) | instid1(VALU_DEP_1)
	v_dual_fmac_f32 v19, v21, v18 :: v_dual_add_nc_u32 v6, 0x140, v7
	v_fma_f32 v17, -v17, v19, v20
	s_delay_alu instid0(VALU_DEP_1) | instskip(NEXT) | instid1(VALU_DEP_1)
	v_div_fmas_f32 v17, v17, v18, v19
	v_div_fixup_f32 v10, v17, v10, v9
	s_delay_alu instid0(VALU_DEP_1)
	v_fma_f32 v11, -v10, v11, v8
	v_fma_f32 v1, -v10, v12, v1
	;; [unrolled: 1-line block ×3, first 2 shown]
	ds_load_b32 v12, v16 offset:108
	s_waitcnt lgkmcnt(1)
	v_div_scale_f32 v17, null, v14, v14, v11
	v_div_scale_f32 v19, vcc_lo, v11, v14, v11
	s_delay_alu instid0(VALU_DEP_2) | instskip(SKIP_2) | instid1(VALU_DEP_1)
	v_rcp_f32_e32 v18, v17
	s_waitcnt_depctr 0xfff
	v_fma_f32 v8, -v17, v18, 1.0
	v_dual_fmac_f32 v18, v8, v18 :: v_dual_add_nc_u32 v7, 0x160, v7
	s_delay_alu instid0(VALU_DEP_1) | instskip(NEXT) | instid1(VALU_DEP_1)
	v_mul_f32_e32 v20, v19, v18
	v_fma_f32 v8, -v17, v20, v19
	s_delay_alu instid0(VALU_DEP_1) | instskip(SKIP_2) | instid1(VALU_DEP_1)
	v_fmac_f32_e32 v20, v8, v18
	ds_load_b64 v[8:9], v16 offset:72
	v_fma_f32 v17, -v17, v20, v19
	v_div_fmas_f32 v17, v17, v18, v20
	s_delay_alu instid0(VALU_DEP_1) | instskip(NEXT) | instid1(VALU_DEP_1)
	v_div_fixup_f32 v11, v17, v14, v11
	v_fma_f32 v1, -v11, v15, v1
	s_waitcnt lgkmcnt(0)
	s_delay_alu instid0(VALU_DEP_1) | instskip(SKIP_1) | instid1(VALU_DEP_2)
	v_div_scale_f32 v14, null, v8, v8, v1
	v_div_scale_f32 v17, vcc_lo, v1, v8, v1
	v_rcp_f32_e32 v15, v14
	s_waitcnt_depctr 0xfff
	v_fma_f32 v16, -v14, v15, 1.0
	s_delay_alu instid0(VALU_DEP_1) | instskip(SKIP_2) | instid1(SALU_CYCLE_1)
	v_dual_fmac_f32 v15, v16, v15 :: v_dual_mov_b32 v16, s10
	s_add_i32 s10, s5, 4
	s_add_i32 s5, s5, 7
	s_cmp_ge_i32 s5, s20
	s_delay_alu instid0(VALU_DEP_1) | instskip(SKIP_2) | instid1(VALU_DEP_1)
	v_mul_f32_e32 v18, v17, v15
	ds_load_b32 v16, v16 offset:12
	v_fma_f32 v19, -v14, v18, v17
	v_fmac_f32_e32 v18, v19, v15
	s_delay_alu instid0(VALU_DEP_1) | instskip(NEXT) | instid1(VALU_DEP_1)
	v_fma_f32 v14, -v14, v18, v17
	v_div_fmas_f32 v13, v14, v15, v18
	s_waitcnt lgkmcnt(0)
	v_fma_f32 v2, -v11, v16, v2
	s_delay_alu instid0(VALU_DEP_2) | instskip(NEXT) | instid1(VALU_DEP_1)
	v_div_fixup_f32 v1, v13, v8, v1
	v_fma_f32 v2, -v1, v9, v2
	s_delay_alu instid0(VALU_DEP_1) | instskip(SKIP_1) | instid1(VALU_DEP_2)
	v_div_scale_f32 v8, null, v12, v12, v2
	v_div_scale_f32 v14, vcc_lo, v2, v12, v2
	v_rcp_f32_e32 v9, v8
	s_waitcnt_depctr 0xfff
	v_fma_f32 v13, -v8, v9, 1.0
	s_delay_alu instid0(VALU_DEP_1) | instskip(NEXT) | instid1(VALU_DEP_1)
	v_fmac_f32_e32 v9, v13, v9
	v_mul_f32_e32 v13, v14, v9
	s_delay_alu instid0(VALU_DEP_1) | instskip(NEXT) | instid1(VALU_DEP_1)
	v_fma_f32 v15, -v8, v13, v14
	v_fmac_f32_e32 v13, v15, v9
	s_delay_alu instid0(VALU_DEP_1) | instskip(NEXT) | instid1(VALU_DEP_1)
	v_fma_f32 v8, -v8, v13, v14
	v_div_fmas_f32 v8, v8, v9, v13
	s_delay_alu instid0(VALU_DEP_1)
	v_div_fixup_f32 v2, v8, v12, v2
	ds_store_b32 v4, v10
	ds_store_b32 v5, v11
	;; [unrolled: 1-line block ×4, first 2 shown]
	s_cbranch_scc1 .LBB10_26
; %bb.25:                               ;   in Loop: Header=BB10_21 Depth=1
	s_mov_b32 s5, s10
	s_branch .LBB10_21
.LBB10_26:
	s_cmp_ge_i32 s10, s20
	s_cbranch_scc1 .LBB10_37
; %bb.27:
	v_lshl_or_b32 v1, v0, 2, 0x100
	v_lshlrev_b32_e32 v2, 2, v0
	s_add_i32 s4, s10, -1
	s_lshl_b32 s5, s10, 2
	s_mov_b32 s11, 0
	s_mov_b32 s13, s10
	s_branch .LBB10_29
.LBB10_28:                              ;   in Loop: Header=BB10_29 Depth=1
	s_mul_i32 s14, s10, 36
	s_delay_alu instid0(SALU_CYCLE_1)
	v_dual_mov_b32 v5, s14 :: v_dual_add_nc_u32 v4, 0x100, v4
	s_add_i32 s10, s10, 1
	s_add_i32 s11, s11, 1
	;; [unrolled: 1-line block ×3, first 2 shown]
	s_cmp_ge_i32 s10, s20
	ds_load_b32 v5, v5
	s_waitcnt lgkmcnt(0)
	v_div_scale_f32 v6, null, v5, v5, v3
	v_div_scale_f32 v9, vcc_lo, v3, v5, v3
	s_delay_alu instid0(VALU_DEP_2) | instskip(SKIP_2) | instid1(VALU_DEP_1)
	v_rcp_f32_e32 v7, v6
	s_waitcnt_depctr 0xfff
	v_fma_f32 v8, -v6, v7, 1.0
	v_fmac_f32_e32 v7, v8, v7
	s_delay_alu instid0(VALU_DEP_1) | instskip(NEXT) | instid1(VALU_DEP_1)
	v_mul_f32_e32 v8, v9, v7
	v_fma_f32 v10, -v6, v8, v9
	s_delay_alu instid0(VALU_DEP_1) | instskip(NEXT) | instid1(VALU_DEP_1)
	v_fmac_f32_e32 v8, v10, v7
	v_fma_f32 v6, -v6, v8, v9
	s_delay_alu instid0(VALU_DEP_1) | instskip(SKIP_1) | instid1(VALU_DEP_2)
	v_div_fmas_f32 v6, v6, v7, v8
	v_add_nc_u16 v7, s13, 1
	v_div_fixup_f32 v3, v6, v5, v3
	s_delay_alu instid0(VALU_DEP_2)
	v_readfirstlane_b32 s13, v7
	ds_store_b32 v4, v3
	s_cbranch_scc1 .LBB10_37
.LBB10_29:                              ; =>This Loop Header: Depth=1
                                        ;     Child Loop BB10_32 Depth 2
                                        ;     Child Loop BB10_36 Depth 2
	v_lshl_or_b32 v4, s10, 5, v2
	s_cmp_eq_u32 s10, 0
	ds_load_b32 v3, v4 offset:256
	s_cbranch_scc1 .LBB10_28
; %bb.30:                               ;   in Loop: Header=BB10_29 Depth=1
	s_add_i32 s14, s4, s11
	s_delay_alu instid0(SALU_CYCLE_1)
	s_cmp_lt_u32 s14, 7
	s_cbranch_scc1 .LBB10_34
; %bb.31:                               ;   in Loop: Header=BB10_29 Depth=1
	v_mov_b32_e32 v5, v1
	s_and_b32 s14, s10, -8
	s_mov_b32 s15, 0
	s_mov_b32 s16, s5
	s_set_inst_prefetch_distance 0x1
	.p2align	6
.LBB10_32:                              ;   Parent Loop BB10_29 Depth=1
                                        ; =>  This Inner Loop Header: Depth=2
	v_mov_b32_e32 v18, s16
	s_add_i32 s15, s15, 8
	s_addk_i32 s16, 0x100
	s_cmp_eq_u32 s14, s15
	ds_load_2addr_b32 v[6:7], v5 offset1:8
	ds_load_2addr_b32 v[8:9], v18 offset1:8
	ds_load_2addr_b32 v[10:11], v5 offset0:16 offset1:24
	ds_load_2addr_b32 v[12:13], v18 offset0:16 offset1:24
	;; [unrolled: 1-line block ×4, first 2 shown]
	s_waitcnt lgkmcnt(4)
	v_fma_f32 v3, -v6, v8, v3
	s_delay_alu instid0(VALU_DEP_1)
	v_fma_f32 v3, -v7, v9, v3
	ds_load_2addr_b32 v[6:7], v5 offset0:48 offset1:56
	ds_load_2addr_b32 v[8:9], v18 offset0:48 offset1:56
	v_add_nc_u32_e32 v5, 0x100, v5
	s_waitcnt lgkmcnt(4)
	v_fma_f32 v3, -v10, v12, v3
	s_delay_alu instid0(VALU_DEP_1) | instskip(SKIP_1) | instid1(VALU_DEP_1)
	v_fma_f32 v3, -v11, v13, v3
	s_waitcnt lgkmcnt(2)
	v_fma_f32 v3, -v14, v16, v3
	s_delay_alu instid0(VALU_DEP_1) | instskip(SKIP_1) | instid1(VALU_DEP_1)
	v_fma_f32 v3, -v15, v17, v3
	s_waitcnt lgkmcnt(0)
	v_fma_f32 v3, -v6, v8, v3
	s_delay_alu instid0(VALU_DEP_1)
	v_fma_f32 v3, -v7, v9, v3
	s_cbranch_scc0 .LBB10_32
; %bb.33:                               ;   in Loop: Header=BB10_29 Depth=1
	s_set_inst_prefetch_distance 0x2
	s_and_b32 s15, s10, 7
	s_delay_alu instid0(SALU_CYCLE_1)
	s_cmp_eq_u32 s15, 0
	s_cbranch_scc0 .LBB10_35
	s_branch .LBB10_28
.LBB10_34:                              ;   in Loop: Header=BB10_29 Depth=1
	s_mov_b32 s14, 0
	s_and_b32 s15, s10, 7
	s_delay_alu instid0(SALU_CYCLE_1)
	s_cmp_eq_u32 s15, 0
	s_cbranch_scc1 .LBB10_28
.LBB10_35:                              ;   in Loop: Header=BB10_29 Depth=1
	s_and_b32 s15, s13, 7
	s_lshl_b32 s14, s14, 5
.LBB10_36:                              ;   Parent Loop BB10_29 Depth=1
                                        ; =>  This Inner Loop Header: Depth=2
	s_delay_alu instid0(SALU_CYCLE_1) | instskip(NEXT) | instid1(SALU_CYCLE_1)
	s_add_i32 s16, s5, s14
	v_dual_mov_b32 v6, s16 :: v_dual_add_nc_u32 v5, s14, v1
	s_add_i32 s15, s15, -1
	s_add_i32 s14, s14, 32
	s_cmp_lg_u32 s15, 0
	ds_load_b32 v5, v5
	ds_load_b32 v6, v6
	s_waitcnt lgkmcnt(0)
	v_fma_f32 v3, -v5, v6, v3
	s_cbranch_scc1 .LBB10_36
	s_branch .LBB10_28
.LBB10_37:
	s_mov_b32 s4, 0
.LBB10_38:
	s_delay_alu instid0(SALU_CYCLE_1)
	s_and_b32 vcc_lo, exec_lo, s4
	s_cbranch_vccz .LBB10_58
; %bb.39:
	s_and_not1_b32 vcc_lo, exec_lo, s1
	s_mov_b32 s10, s28
	s_cbranch_vccnz .LBB10_45
; %bb.40:
	v_lshlrev_b32_e32 v1, 2, v0
	s_mul_i32 s4, s20, 36
	s_mov_b32 s5, s28
	s_addk_i32 s4, 0xff70
	s_delay_alu instid0(VALU_DEP_1) | instskip(NEXT) | instid1(VALU_DEP_1)
	v_lshl_or_b32 v2, s20, 5, v1
	v_add_nc_u32_e32 v2, 0x80, v2
.LBB10_41:                              ; =>This Loop Header: Depth=1
                                        ;     Child Loop BB10_42 Depth 2
	s_add_i32 s15, s5, -1
	s_lshl_b32 s13, s5, 3
	s_lshl_b32 s14, s15, 3
	v_or_b32_e32 v3, s13, v0
	s_add_i32 s10, s13, -16
	v_or_b32_e32 v4, s14, v0
	v_or_b32_e32 v5, s10, v0
	s_add_i32 s11, s5, -3
	v_lshlrev_b32_e32 v7, 2, v3
	v_lshl_or_b32 v10, s11, 5, v1
	v_dual_mov_b32 v11, v2 :: v_dual_lshlrev_b32 v8, 2, v4
	v_lshlrev_b32_e32 v9, 2, v5
	ds_load_b32 v6, v7 offset:256
	ds_load_b32 v5, v8 offset:256
	;; [unrolled: 1-line block ×4, first 2 shown]
	s_cmp_le_i32 s28, s5
	s_mov_b32 s16, s4
	s_mov_b32 s17, s28
	s_cbranch_scc1 .LBB10_43
.LBB10_42:                              ;   Parent Loop BB10_41 Depth=1
                                        ; =>  This Inner Loop Header: Depth=2
	v_mov_b32_e32 v30, s16
	s_add_i32 s17, s17, -4
	s_addk_i32 s16, 0xff80
	s_cmp_le_i32 s17, s5
	ds_load_2addr_b32 v[12:13], v11 offset0:16 offset1:24
	ds_load_2addr_b32 v[14:15], v30 offset0:26 offset1:27
	;; [unrolled: 1-line block ×5, first 2 shown]
	ds_load_2addr_b32 v[22:23], v11 offset1:8
	ds_load_2addr_b32 v[24:25], v30 offset0:10 offset1:11
	ds_load_2addr_b32 v[26:27], v30 offset0:8 offset1:9
	;; [unrolled: 1-line block ×3, first 2 shown]
	ds_load_2addr_b32 v[30:31], v30 offset1:1
	v_add_nc_u32_e32 v11, 0xffffff80, v11
	s_waitcnt lgkmcnt(8)
	v_fma_f32 v6, -v13, v15, v6
	v_fma_f32 v5, -v13, v14, v5
	s_waitcnt lgkmcnt(7)
	v_fma_f32 v4, -v13, v17, v4
	v_fma_f32 v3, -v13, v16, v3
	;; [unrolled: 3-line block ×8, first 2 shown]
	s_cbranch_scc0 .LBB10_42
.LBB10_43:                              ;   in Loop: Header=BB10_41 Depth=1
	s_add_i32 s15, s13, s15
	s_add_i32 s14, s14, s11
	s_lshl_b32 s15, s15, 2
	s_delay_alu instid0(SALU_CYCLE_1)
	v_dual_mov_b32 v11, s15 :: v_dual_add_nc_u32 v8, 0x100, v8
	s_mul_i32 s15, s5, 36
	s_lshl_b32 s14, s14, 2
	s_add_i32 s13, s13, s11
	s_sub_i32 s16, s15, 36
	ds_load_2addr_b32 v[11:12], v11 offset1:1
	s_lshl_b32 s13, s13, 2
	v_dual_mov_b32 v13, s16 :: v_dual_add_nc_u32 v10, 0x100, v10
	v_dual_mov_b32 v14, s13 :: v_dual_add_nc_u32 v7, 0x100, v7
	s_add_i32 s10, s10, s11
	s_add_i32 s4, s4, -16
	s_lshl_b32 s10, s10, 2
	s_waitcnt lgkmcnt(0)
	v_div_scale_f32 v18, null, v12, v12, v6
	v_div_scale_f32 v21, vcc_lo, v6, v12, v6
	s_delay_alu instid0(VALU_DEP_2) | instskip(SKIP_2) | instid1(VALU_DEP_1)
	v_rcp_f32_e32 v19, v18
	s_waitcnt_depctr 0xfff
	v_fma_f32 v20, -v18, v19, 1.0
	v_fmac_f32_e32 v19, v20, v19
	s_delay_alu instid0(VALU_DEP_1) | instskip(NEXT) | instid1(VALU_DEP_1)
	v_dual_mul_f32 v20, v21, v19 :: v_dual_add_nc_u32 v9, 0x100, v9
	v_fma_f32 v22, -v18, v20, v21
	s_delay_alu instid0(VALU_DEP_1) | instskip(SKIP_4) | instid1(VALU_DEP_1)
	v_dual_mov_b32 v15, s14 :: v_dual_fmac_f32 v20, v22, v19
	ds_load_b32 v17, v13
	ds_load_2addr_b32 v[13:14], v14 offset1:1
	ds_load_2addr_b32 v[15:16], v15 offset1:1
	v_fma_f32 v18, -v18, v20, v21
	v_div_fmas_f32 v18, v18, v19, v20
	s_delay_alu instid0(VALU_DEP_1) | instskip(NEXT) | instid1(VALU_DEP_1)
	v_div_fixup_f32 v12, v18, v12, v6
	v_fma_f32 v11, -v12, v11, v5
	s_waitcnt lgkmcnt(1)
	v_fma_f32 v4, -v12, v14, v4
	v_fma_f32 v3, -v12, v13, v3
	s_delay_alu instid0(VALU_DEP_3) | instskip(SKIP_1) | instid1(VALU_DEP_2)
	v_div_scale_f32 v5, null, v17, v17, v11
	v_div_scale_f32 v19, vcc_lo, v11, v17, v11
	v_rcp_f32_e32 v18, v5
	s_waitcnt_depctr 0xfff
	v_fma_f32 v6, -v5, v18, 1.0
	s_delay_alu instid0(VALU_DEP_1) | instskip(NEXT) | instid1(VALU_DEP_1)
	v_fmac_f32_e32 v18, v6, v18
	v_mul_f32_e32 v20, v19, v18
	s_delay_alu instid0(VALU_DEP_1) | instskip(NEXT) | instid1(VALU_DEP_1)
	v_fma_f32 v6, -v5, v20, v19
	v_fmac_f32_e32 v20, v6, v18
	v_mov_b32_e32 v6, s10
	s_add_i32 s10, s15, 0xffffff94
	s_delay_alu instid0(SALU_CYCLE_1) | instskip(NEXT) | instid1(VALU_DEP_3)
	v_mov_b32_e32 v14, s10
	v_fma_f32 v19, -v5, v20, v19
	ds_load_2addr_b32 v[5:6], v6 offset1:1
	s_add_i32 s10, s5, -4
	s_cmp_lt_i32 s5, 7
	ds_load_b32 v14, v14
	v_div_fmas_f32 v18, v19, v18, v20
	s_delay_alu instid0(VALU_DEP_1) | instskip(SKIP_1) | instid1(VALU_DEP_1)
	v_div_fixup_f32 v11, v18, v17, v11
	s_waitcnt lgkmcnt(2)
	v_fma_f32 v4, -v11, v16, v4
	v_fma_f32 v3, -v11, v15, v3
	s_waitcnt lgkmcnt(1)
	s_delay_alu instid0(VALU_DEP_2) | instskip(SKIP_1) | instid1(VALU_DEP_2)
	v_div_scale_f32 v16, null, v6, v6, v4
	v_div_scale_f32 v19, vcc_lo, v4, v6, v4
	v_rcp_f32_e32 v17, v16
	s_waitcnt_depctr 0xfff
	v_fma_f32 v18, -v16, v17, 1.0
	s_delay_alu instid0(VALU_DEP_1) | instskip(NEXT) | instid1(VALU_DEP_1)
	v_fmac_f32_e32 v17, v18, v17
	v_mul_f32_e32 v18, v19, v17
	s_delay_alu instid0(VALU_DEP_1) | instskip(NEXT) | instid1(VALU_DEP_1)
	v_fma_f32 v20, -v16, v18, v19
	v_fmac_f32_e32 v18, v20, v17
	s_delay_alu instid0(VALU_DEP_1) | instskip(NEXT) | instid1(VALU_DEP_1)
	v_fma_f32 v16, -v16, v18, v19
	v_div_fmas_f32 v13, v16, v17, v18
	s_delay_alu instid0(VALU_DEP_1) | instskip(NEXT) | instid1(VALU_DEP_1)
	v_div_fixup_f32 v4, v13, v6, v4
	v_fma_f32 v3, -v4, v5, v3
	s_waitcnt lgkmcnt(0)
	s_delay_alu instid0(VALU_DEP_1) | instskip(SKIP_1) | instid1(VALU_DEP_2)
	v_div_scale_f32 v5, null, v14, v14, v3
	v_div_scale_f32 v15, vcc_lo, v3, v14, v3
	v_rcp_f32_e32 v6, v5
	s_waitcnt_depctr 0xfff
	v_fma_f32 v13, -v5, v6, 1.0
	s_delay_alu instid0(VALU_DEP_1) | instskip(NEXT) | instid1(VALU_DEP_1)
	v_fmac_f32_e32 v6, v13, v6
	v_mul_f32_e32 v13, v15, v6
	s_delay_alu instid0(VALU_DEP_1) | instskip(NEXT) | instid1(VALU_DEP_1)
	v_fma_f32 v16, -v5, v13, v15
	v_fmac_f32_e32 v13, v16, v6
	s_delay_alu instid0(VALU_DEP_1) | instskip(NEXT) | instid1(VALU_DEP_1)
	v_fma_f32 v5, -v5, v13, v15
	v_div_fmas_f32 v5, v5, v6, v13
	s_delay_alu instid0(VALU_DEP_1)
	v_div_fixup_f32 v3, v5, v14, v3
	ds_store_b32 v7, v12
	ds_store_b32 v8, v11
	;; [unrolled: 1-line block ×4, first 2 shown]
	s_cbranch_scc1 .LBB10_45
; %bb.44:                               ;   in Loop: Header=BB10_41 Depth=1
	s_mov_b32 s5, s10
	s_branch .LBB10_41
.LBB10_45:
	s_cmp_lt_i32 s10, 0
	s_cbranch_scc1 .LBB10_58
; %bb.46:
	s_bitcmp1_b32 s10, 0
	s_cselect_b32 s4, -1, 0
	s_delay_alu instid0(SALU_CYCLE_1)
	s_and_b32 vcc_lo, exec_lo, s4
	s_mov_b32 s4, s10
	s_cbranch_vccnz .LBB10_51
; %bb.47:
	v_lshlrev_b32_e32 v1, 2, v0
	s_cmp_le_i32 s28, s10
	s_delay_alu instid0(VALU_DEP_1)
	v_lshl_or_b32 v2, s10, 5, v1
	ds_load_b32 v1, v2 offset:256
	s_cbranch_scc1 .LBB10_50
; %bb.48:
	s_lshl_b32 s4, s20, 5
	s_lshl_b32 s5, s10, 2
	v_lshl_or_b32 v3, v0, 2, s4
	s_add_i32 s4, s4, s5
	s_mov_b32 s5, s28
	s_sub_i32 s4, s4, 32
	s_delay_alu instid0(VALU_DEP_1)
	v_add_nc_u32_e32 v3, 0xe0, v3
.LBB10_49:                              ; =>This Inner Loop Header: Depth=1
	v_mov_b32_e32 v4, s4
	s_add_i32 s5, s5, -1
	s_sub_i32 s4, s4, 32
	s_cmp_gt_i32 s5, s10
	ds_load_b32 v5, v3
	ds_load_b32 v4, v4
	v_subrev_nc_u32_e32 v3, 32, v3
	s_waitcnt lgkmcnt(0)
	v_fma_f32 v1, -v5, v4, v1
	s_cbranch_scc1 .LBB10_49
.LBB10_50:
	s_mul_i32 s4, s10, 36
	s_delay_alu instid0(SALU_CYCLE_1) | instskip(SKIP_4) | instid1(VALU_DEP_1)
	v_dual_mov_b32 v3, s4 :: v_dual_add_nc_u32 v2, 0x100, v2
	s_add_i32 s4, s10, -1
	ds_load_b32 v3, v3
	s_waitcnt lgkmcnt(0)
	v_div_scale_f32 v4, null, v3, v3, v1
	v_rcp_f32_e32 v5, v4
	s_waitcnt_depctr 0xfff
	v_fma_f32 v6, -v4, v5, 1.0
	s_delay_alu instid0(VALU_DEP_1) | instskip(SKIP_1) | instid1(VALU_DEP_1)
	v_fmac_f32_e32 v5, v6, v5
	v_div_scale_f32 v6, vcc_lo, v1, v3, v1
	v_mul_f32_e32 v7, v6, v5
	s_delay_alu instid0(VALU_DEP_1) | instskip(NEXT) | instid1(VALU_DEP_1)
	v_fma_f32 v8, -v4, v7, v6
	v_fmac_f32_e32 v7, v8, v5
	s_delay_alu instid0(VALU_DEP_1) | instskip(NEXT) | instid1(VALU_DEP_1)
	v_fma_f32 v4, -v4, v7, v6
	v_div_fmas_f32 v4, v4, v5, v7
	s_delay_alu instid0(VALU_DEP_1)
	v_div_fixup_f32 v1, v4, v3, v1
	ds_store_b32 v2, v1
.LBB10_51:
	s_cmp_eq_u32 s10, 0
	s_cbranch_scc1 .LBB10_58
; %bb.52:
	s_lshl_b32 s5, s20, 5
	s_lshl_b32 s10, s4, 2
	v_lshl_or_b32 v1, v0, 2, s5
	v_lshlrev_b32_e32 v2, 2, v0
	s_add_i32 s10, s5, s10
	s_delay_alu instid0(SALU_CYCLE_1) | instskip(NEXT) | instid1(VALU_DEP_2)
	s_sub_i32 s5, s10, 32
	v_add_nc_u32_e32 v1, 0xe0, v1
	s_sub_i32 s10, s10, 36
	s_branch .LBB10_54
.LBB10_53:                              ;   in Loop: Header=BB10_54 Depth=1
	s_sub_i32 s11, s11, 36
	v_add_nc_u32_e32 v3, 0x100, v5
	v_mov_b32_e32 v5, s11
	s_add_i32 s11, s4, -2
	s_add_i32 s5, s5, -8
	;; [unrolled: 1-line block ×3, first 2 shown]
	s_cmp_lt_i32 s4, 2
	ds_load_b32 v5, v5
	s_mov_b32 s4, s11
	s_waitcnt lgkmcnt(0)
	v_div_scale_f32 v6, null, v5, v5, v4
	v_div_scale_f32 v9, vcc_lo, v4, v5, v4
	s_delay_alu instid0(VALU_DEP_2) | instskip(SKIP_2) | instid1(VALU_DEP_1)
	v_rcp_f32_e32 v7, v6
	s_waitcnt_depctr 0xfff
	v_fma_f32 v8, -v6, v7, 1.0
	v_fmac_f32_e32 v7, v8, v7
	s_delay_alu instid0(VALU_DEP_1) | instskip(NEXT) | instid1(VALU_DEP_1)
	v_mul_f32_e32 v8, v9, v7
	v_fma_f32 v10, -v6, v8, v9
	s_delay_alu instid0(VALU_DEP_1) | instskip(NEXT) | instid1(VALU_DEP_1)
	v_fmac_f32_e32 v8, v10, v7
	v_fma_f32 v6, -v6, v8, v9
	s_delay_alu instid0(VALU_DEP_1) | instskip(NEXT) | instid1(VALU_DEP_1)
	v_div_fmas_f32 v6, v6, v7, v8
	v_div_fixup_f32 v4, v6, v5, v4
	ds_store_b32 v3, v4
	s_cbranch_scc1 .LBB10_58
.LBB10_54:                              ; =>This Loop Header: Depth=1
                                        ;     Child Loop BB10_55 Depth 2
                                        ;     Child Loop BB10_57 Depth 2
	v_lshl_or_b32 v4, s4, 5, v2
	s_delay_alu instid0(VALU_DEP_2)
	v_mov_b32_e32 v5, v1
	s_cmp_le_i32 s28, s4
	s_mov_b32 s11, s5
	s_mov_b32 s13, s28
	ds_load_b32 v3, v4 offset:256
	s_cbranch_scc1 .LBB10_56
.LBB10_55:                              ;   Parent Loop BB10_54 Depth=1
                                        ; =>  This Inner Loop Header: Depth=2
	v_mov_b32_e32 v6, s11
	s_add_i32 s13, s13, -1
	s_sub_i32 s11, s11, 32
	s_cmp_le_i32 s13, s4
	ds_load_b32 v7, v5
	ds_load_b32 v6, v6
	v_subrev_nc_u32_e32 v5, 32, v5
	s_waitcnt lgkmcnt(0)
	v_fma_f32 v3, -v7, v6, v3
	s_cbranch_scc0 .LBB10_55
.LBB10_56:                              ;   in Loop: Header=BB10_54 Depth=1
	s_mul_i32 s11, s4, 36
	v_add_nc_u32_e32 v6, 0x100, v4
	v_mov_b32_e32 v4, s11
	s_lshl_b32 s13, s4, 5
	s_mov_b32 s14, s20
	s_sub_i32 s13, s13, 32
	s_cmp_lt_i32 s28, s4
	ds_load_b32 v7, v4
	v_lshl_or_b32 v5, v0, 2, s13
	s_mov_b32 s13, s10
	ds_load_b32 v4, v5 offset:256
	s_waitcnt lgkmcnt(1)
	v_div_scale_f32 v8, null, v7, v7, v3
	s_delay_alu instid0(VALU_DEP_1) | instskip(SKIP_2) | instid1(VALU_DEP_1)
	v_rcp_f32_e32 v9, v8
	s_waitcnt_depctr 0xfff
	v_fma_f32 v10, -v8, v9, 1.0
	v_fmac_f32_e32 v9, v10, v9
	v_div_scale_f32 v10, vcc_lo, v3, v7, v3
	s_delay_alu instid0(VALU_DEP_1) | instskip(NEXT) | instid1(VALU_DEP_1)
	v_mul_f32_e32 v11, v10, v9
	v_fma_f32 v12, -v8, v11, v10
	s_delay_alu instid0(VALU_DEP_1) | instskip(NEXT) | instid1(VALU_DEP_1)
	v_fmac_f32_e32 v11, v12, v9
	v_fma_f32 v8, -v8, v11, v10
	s_delay_alu instid0(VALU_DEP_1) | instskip(NEXT) | instid1(VALU_DEP_1)
	v_div_fmas_f32 v8, v8, v9, v11
	v_div_fixup_f32 v7, v8, v7, v3
	v_mov_b32_e32 v3, v1
	ds_store_b32 v6, v7
	s_cbranch_scc1 .LBB10_53
.LBB10_57:                              ;   Parent Loop BB10_54 Depth=1
                                        ; =>  This Inner Loop Header: Depth=2
	v_mov_b32_e32 v6, s13
	s_add_i32 s14, s14, -1
	s_sub_i32 s13, s13, 32
	s_cmp_gt_i32 s14, s4
	ds_load_b32 v7, v3
	ds_load_b32 v6, v6
	v_subrev_nc_u32_e32 v3, 32, v3
	s_waitcnt lgkmcnt(0)
	v_fma_f32 v4, -v7, v6, v4
	s_cbranch_scc1 .LBB10_57
	s_branch .LBB10_53
.LBB10_58:
	s_mov_b32 s4, 0
.LBB10_59:
	s_delay_alu instid0(SALU_CYCLE_1)
	s_and_not1_b32 vcc_lo, exec_lo, s4
	s_cbranch_vccnz .LBB10_79
; %bb.60:
	s_and_not1_b32 vcc_lo, exec_lo, s1
	s_mov_b32 s5, s28
	s_cbranch_vccnz .LBB10_66
; %bb.61:
	v_lshlrev_b32_e32 v1, 2, v0
	s_mul_i32 s1, s20, 36
	s_mov_b32 s4, s28
	s_addk_i32 s1, 0xff70
	s_delay_alu instid0(VALU_DEP_1) | instskip(NEXT) | instid1(VALU_DEP_1)
	v_lshl_or_b32 v2, s20, 5, v1
	v_add_nc_u32_e32 v2, 0x80, v2
.LBB10_62:                              ; =>This Loop Header: Depth=1
                                        ;     Child Loop BB10_63 Depth 2
	s_lshl_b32 s5, s4, 3
	s_add_i32 s10, s4, -1
	v_or_b32_e32 v3, s5, v0
	s_add_i32 s11, s5, -16
	s_sub_i32 s5, s5, 24
	v_or_b32_e32 v4, s11, v0
	v_or_b32_e32 v5, s5, v0
	v_lshlrev_b32_e32 v7, 2, v3
	v_lshl_or_b32 v8, s10, 5, v1
	v_mov_b32_e32 v11, v2
	v_lshlrev_b32_e32 v9, 2, v4
	v_lshlrev_b32_e32 v10, 2, v5
	ds_load_b32 v6, v7 offset:256
	ds_load_b32 v5, v8 offset:256
	;; [unrolled: 1-line block ×4, first 2 shown]
	s_cmp_le_i32 s28, s4
	s_mov_b32 s13, s1
	s_mov_b32 s14, s28
	s_cbranch_scc1 .LBB10_64
.LBB10_63:                              ;   Parent Loop BB10_62 Depth=1
                                        ; =>  This Inner Loop Header: Depth=2
	v_mov_b32_e32 v30, s13
	s_add_i32 s14, s14, -4
	s_add_i32 s13, s13, -16
	s_cmp_le_i32 s14, s4
	ds_load_2addr_b32 v[12:13], v11 offset0:16 offset1:24
	ds_load_2addr_b32 v[14:15], v30 offset0:26 offset1:27
	ds_load_2addr_b32 v[16:17], v30 offset0:18 offset1:19
	ds_load_2addr_b32 v[18:19], v30 offset0:10 offset1:11
	ds_load_2addr_b32 v[20:21], v30 offset0:2 offset1:3
	ds_load_2addr_b32 v[22:23], v11 offset1:8
	ds_load_2addr_b32 v[24:25], v30 offset0:24 offset1:25
	ds_load_2addr_b32 v[26:27], v30 offset0:16 offset1:17
	;; [unrolled: 1-line block ×3, first 2 shown]
	ds_load_2addr_b32 v[30:31], v30 offset1:1
	v_add_nc_u32_e32 v11, 0xffffff80, v11
	s_waitcnt lgkmcnt(8)
	v_fma_f32 v6, -v13, v15, v6
	s_waitcnt lgkmcnt(7)
	v_fma_f32 v5, -v13, v17, v5
	;; [unrolled: 2-line block ×4, first 2 shown]
	v_fma_f32 v6, -v12, v14, v6
	v_fma_f32 v5, -v12, v16, v5
	;; [unrolled: 1-line block ×3, first 2 shown]
	s_delay_alu instid0(VALU_DEP_4)
	v_fma_f32 v3, -v12, v20, v3
	s_waitcnt lgkmcnt(3)
	v_fma_f32 v6, -v23, v25, v6
	s_waitcnt lgkmcnt(2)
	;; [unrolled: 2-line block ×4, first 2 shown]
	v_fma_f32 v3, -v23, v31, v3
	v_fma_f32 v6, -v22, v24, v6
	;; [unrolled: 1-line block ×4, first 2 shown]
	s_delay_alu instid0(VALU_DEP_4)
	v_fma_f32 v3, -v22, v30, v3
	s_cbranch_scc0 .LBB10_63
.LBB10_64:                              ;   in Loop: Header=BB10_62 Depth=1
	s_mul_i32 s13, s4, 36
	s_delay_alu instid0(SALU_CYCLE_1)
	v_dual_mov_b32 v11, s13 :: v_dual_add_nc_u32 v8, 0x100, v8
	s_add_i32 s11, s11, s4
	s_sub_i32 s14, s13, 36
	s_lshl_b32 s11, s11, 2
	v_add_nc_u32_e32 v10, 0x100, v10
	ds_load_b32 v15, v11
	v_mov_b32_e32 v11, s14
	s_add_i32 s15, s13, 0xffffffb8
	v_mov_b32_e32 v13, s11
	v_dual_mov_b32 v14, s15 :: v_dual_add_nc_u32 v7, 0x100, v7
	ds_load_2addr_b32 v[11:12], v11 offset1:1
	ds_load_b32 v16, v13
	ds_load_2addr_b32 v[13:14], v14 offset1:1
	s_add_i32 s5, s5, s10
	s_addk_i32 s1, 0xff80
	s_lshl_b32 s5, s5, 2
	s_waitcnt lgkmcnt(3)
	v_div_scale_f32 v17, null, v15, v15, v6
	v_div_scale_f32 v20, vcc_lo, v6, v15, v6
	s_delay_alu instid0(VALU_DEP_2) | instskip(SKIP_2) | instid1(VALU_DEP_1)
	v_rcp_f32_e32 v18, v17
	s_waitcnt_depctr 0xfff
	v_fma_f32 v19, -v17, v18, 1.0
	v_dual_fmac_f32 v18, v19, v18 :: v_dual_add_nc_u32 v9, 0x100, v9
	s_delay_alu instid0(VALU_DEP_1) | instskip(NEXT) | instid1(VALU_DEP_1)
	v_mul_f32_e32 v19, v20, v18
	v_fma_f32 v21, -v17, v19, v20
	s_delay_alu instid0(VALU_DEP_1) | instskip(NEXT) | instid1(VALU_DEP_1)
	v_fmac_f32_e32 v19, v21, v18
	v_fma_f32 v17, -v17, v19, v20
	s_delay_alu instid0(VALU_DEP_1) | instskip(NEXT) | instid1(VALU_DEP_1)
	v_div_fmas_f32 v17, v17, v18, v19
	v_div_fixup_f32 v6, v17, v15, v6
	s_waitcnt lgkmcnt(2)
	s_delay_alu instid0(VALU_DEP_1) | instskip(SKIP_2) | instid1(VALU_DEP_2)
	v_fma_f32 v5, -v6, v12, v5
	s_waitcnt lgkmcnt(1)
	v_fma_f32 v4, -v6, v16, v4
	v_div_scale_f32 v12, null, v11, v11, v5
	v_div_scale_f32 v18, vcc_lo, v5, v11, v5
	s_delay_alu instid0(VALU_DEP_2) | instskip(SKIP_2) | instid1(VALU_DEP_1)
	v_rcp_f32_e32 v15, v12
	s_waitcnt_depctr 0xfff
	v_fma_f32 v17, -v12, v15, 1.0
	v_fmac_f32_e32 v15, v17, v15
	s_delay_alu instid0(VALU_DEP_1) | instskip(NEXT) | instid1(VALU_DEP_1)
	v_mul_f32_e32 v17, v18, v15
	v_fma_f32 v19, -v12, v17, v18
	s_delay_alu instid0(VALU_DEP_1) | instskip(NEXT) | instid1(VALU_DEP_1)
	v_fmac_f32_e32 v17, v19, v15
	v_fma_f32 v12, -v12, v17, v18
	s_delay_alu instid0(VALU_DEP_1) | instskip(NEXT) | instid1(VALU_DEP_1)
	v_div_fmas_f32 v12, v12, v15, v17
	v_div_fixup_f32 v15, v12, v11, v5
	v_mov_b32_e32 v5, s5
	s_add_i32 s5, s13, 0xffffff94
	s_delay_alu instid0(SALU_CYCLE_1)
	v_mov_b32_e32 v11, s5
	s_waitcnt lgkmcnt(0)
	v_fma_f32 v14, -v15, v14, v4
	s_add_i32 s5, s4, -4
	s_cmp_lt_i32 s4, 7
	ds_load_2addr_b32 v[11:12], v11 offset1:1
	v_div_scale_f32 v16, null, v13, v13, v14
	v_div_scale_f32 v18, vcc_lo, v14, v13, v14
	s_delay_alu instid0(VALU_DEP_2) | instskip(SKIP_2) | instid1(VALU_DEP_1)
	v_rcp_f32_e32 v17, v16
	s_waitcnt_depctr 0xfff
	v_fma_f32 v4, -v16, v17, 1.0
	v_fmac_f32_e32 v17, v4, v17
	ds_load_2addr_b32 v[4:5], v5 offset1:1
	v_mul_f32_e32 v19, v18, v17
	s_delay_alu instid0(VALU_DEP_1) | instskip(NEXT) | instid1(VALU_DEP_1)
	v_fma_f32 v20, -v16, v19, v18
	v_fmac_f32_e32 v19, v20, v17
	s_delay_alu instid0(VALU_DEP_1) | instskip(SKIP_2) | instid1(VALU_DEP_2)
	v_fma_f32 v16, -v16, v19, v18
	s_waitcnt lgkmcnt(0)
	v_fma_f32 v3, -v6, v5, v3
	v_div_fmas_f32 v5, v16, v17, v19
	s_delay_alu instid0(VALU_DEP_2) | instskip(NEXT) | instid1(VALU_DEP_2)
	v_fma_f32 v3, -v15, v4, v3
	v_div_fixup_f32 v4, v5, v13, v14
	s_delay_alu instid0(VALU_DEP_1) | instskip(NEXT) | instid1(VALU_DEP_1)
	v_fma_f32 v3, -v4, v12, v3
	v_div_scale_f32 v5, null, v11, v11, v3
	v_div_scale_f32 v14, vcc_lo, v3, v11, v3
	s_delay_alu instid0(VALU_DEP_2) | instskip(SKIP_2) | instid1(VALU_DEP_1)
	v_rcp_f32_e32 v12, v5
	s_waitcnt_depctr 0xfff
	v_fma_f32 v13, -v5, v12, 1.0
	v_fmac_f32_e32 v12, v13, v12
	s_delay_alu instid0(VALU_DEP_1) | instskip(NEXT) | instid1(VALU_DEP_1)
	v_mul_f32_e32 v13, v14, v12
	v_fma_f32 v16, -v5, v13, v14
	s_delay_alu instid0(VALU_DEP_1) | instskip(NEXT) | instid1(VALU_DEP_1)
	v_fmac_f32_e32 v13, v16, v12
	v_fma_f32 v5, -v5, v13, v14
	s_delay_alu instid0(VALU_DEP_1) | instskip(NEXT) | instid1(VALU_DEP_1)
	v_div_fmas_f32 v5, v5, v12, v13
	v_div_fixup_f32 v3, v5, v11, v3
	ds_store_b32 v7, v6
	ds_store_b32 v8, v15
	;; [unrolled: 1-line block ×4, first 2 shown]
	s_cbranch_scc1 .LBB10_66
; %bb.65:                               ;   in Loop: Header=BB10_62 Depth=1
	s_mov_b32 s4, s5
	s_branch .LBB10_62
.LBB10_66:
	s_cmp_lt_i32 s5, 0
	s_cbranch_scc1 .LBB10_79
; %bb.67:
	s_bitcmp1_b32 s5, 0
	s_cselect_b32 s1, -1, 0
	s_delay_alu instid0(SALU_CYCLE_1)
	s_and_b32 vcc_lo, exec_lo, s1
	s_mov_b32 s1, s5
	s_cbranch_vccnz .LBB10_72
; %bb.68:
	v_lshlrev_b32_e32 v3, 2, v0
	s_cmp_le_i32 s28, s5
	s_delay_alu instid0(VALU_DEP_1)
	v_lshl_or_b32 v2, s5, 5, v3
	ds_load_b32 v1, v2 offset:256
	s_cbranch_scc1 .LBB10_71
; %bb.69:
	v_lshl_or_b32 v3, s20, 5, v3
	s_lshl_b32 s1, s5, 5
	s_lshl_b32 s4, s20, 2
	s_delay_alu instid0(SALU_CYCLE_1) | instskip(NEXT) | instid1(VALU_DEP_1)
	s_add_i32 s1, s1, s4
	v_add_nc_u32_e32 v3, 0xe0, v3
	s_add_i32 s1, s1, -4
	s_mov_b32 s4, s28
.LBB10_70:                              ; =>This Inner Loop Header: Depth=1
	v_mov_b32_e32 v4, s1
	s_add_i32 s4, s4, -1
	s_add_i32 s1, s1, -4
	s_cmp_gt_i32 s4, s5
	ds_load_b32 v5, v3
	ds_load_b32 v4, v4
	v_subrev_nc_u32_e32 v3, 32, v3
	s_waitcnt lgkmcnt(0)
	v_fma_f32 v1, -v5, v4, v1
	s_cbranch_scc1 .LBB10_70
.LBB10_71:
	s_mul_i32 s1, s5, 36
	s_delay_alu instid0(SALU_CYCLE_1) | instskip(SKIP_4) | instid1(VALU_DEP_1)
	v_dual_mov_b32 v3, s1 :: v_dual_add_nc_u32 v2, 0x100, v2
	s_add_i32 s1, s5, -1
	ds_load_b32 v3, v3
	s_waitcnt lgkmcnt(0)
	v_div_scale_f32 v4, null, v3, v3, v1
	v_rcp_f32_e32 v5, v4
	s_waitcnt_depctr 0xfff
	v_fma_f32 v6, -v4, v5, 1.0
	s_delay_alu instid0(VALU_DEP_1) | instskip(SKIP_1) | instid1(VALU_DEP_1)
	v_fmac_f32_e32 v5, v6, v5
	v_div_scale_f32 v6, vcc_lo, v1, v3, v1
	v_mul_f32_e32 v7, v6, v5
	s_delay_alu instid0(VALU_DEP_1) | instskip(NEXT) | instid1(VALU_DEP_1)
	v_fma_f32 v8, -v4, v7, v6
	v_fmac_f32_e32 v7, v8, v5
	s_delay_alu instid0(VALU_DEP_1) | instskip(NEXT) | instid1(VALU_DEP_1)
	v_fma_f32 v4, -v4, v7, v6
	v_div_fmas_f32 v4, v4, v5, v7
	s_delay_alu instid0(VALU_DEP_1)
	v_div_fixup_f32 v1, v4, v3, v1
	ds_store_b32 v2, v1
.LBB10_72:
	s_cmp_eq_u32 s5, 0
	s_cbranch_scc1 .LBB10_79
; %bb.73:
	v_lshlrev_b32_e32 v1, 2, v0
	s_lshl_b32 s4, s1, 5
	s_lshl_b32 s5, s20, 2
	s_delay_alu instid0(SALU_CYCLE_1) | instskip(NEXT) | instid1(VALU_DEP_1)
	s_add_i32 s5, s4, s5
	v_lshl_or_b32 v2, s20, 5, v1
	s_add_i32 s4, s5, -4
	s_sub_i32 s5, s5, 36
	s_delay_alu instid0(VALU_DEP_1)
	v_add_nc_u32_e32 v2, 0xe0, v2
	s_branch .LBB10_75
.LBB10_74:                              ;   in Loop: Header=BB10_75 Depth=1
	s_sub_i32 s10, s10, 36
	v_add_nc_u32_e32 v3, 0x100, v5
	v_mov_b32_e32 v5, s10
	s_add_i32 s10, s1, -2
	s_sub_i32 s4, s4, 64
	s_sub_i32 s5, s5, 64
	s_cmp_lt_i32 s1, 2
	ds_load_b32 v5, v5
	s_mov_b32 s1, s10
	s_waitcnt lgkmcnt(0)
	v_div_scale_f32 v6, null, v5, v5, v4
	v_div_scale_f32 v9, vcc_lo, v4, v5, v4
	s_delay_alu instid0(VALU_DEP_2) | instskip(SKIP_2) | instid1(VALU_DEP_1)
	v_rcp_f32_e32 v7, v6
	s_waitcnt_depctr 0xfff
	v_fma_f32 v8, -v6, v7, 1.0
	v_fmac_f32_e32 v7, v8, v7
	s_delay_alu instid0(VALU_DEP_1) | instskip(NEXT) | instid1(VALU_DEP_1)
	v_mul_f32_e32 v8, v9, v7
	v_fma_f32 v10, -v6, v8, v9
	s_delay_alu instid0(VALU_DEP_1) | instskip(NEXT) | instid1(VALU_DEP_1)
	v_fmac_f32_e32 v8, v10, v7
	v_fma_f32 v6, -v6, v8, v9
	s_delay_alu instid0(VALU_DEP_1) | instskip(NEXT) | instid1(VALU_DEP_1)
	v_div_fmas_f32 v6, v6, v7, v8
	v_div_fixup_f32 v4, v6, v5, v4
	ds_store_b32 v3, v4
	s_cbranch_scc1 .LBB10_79
.LBB10_75:                              ; =>This Loop Header: Depth=1
                                        ;     Child Loop BB10_76 Depth 2
                                        ;     Child Loop BB10_78 Depth 2
	v_lshl_or_b32 v4, s1, 5, v1
	s_delay_alu instid0(VALU_DEP_2)
	v_mov_b32_e32 v5, v2
	s_cmp_le_i32 s28, s1
	s_mov_b32 s10, s4
	s_mov_b32 s11, s28
	ds_load_b32 v3, v4 offset:256
	s_cbranch_scc1 .LBB10_77
.LBB10_76:                              ;   Parent Loop BB10_75 Depth=1
                                        ; =>  This Inner Loop Header: Depth=2
	v_mov_b32_e32 v6, s10
	s_add_i32 s11, s11, -1
	s_add_i32 s10, s10, -4
	s_cmp_le_i32 s11, s1
	ds_load_b32 v7, v5
	ds_load_b32 v6, v6
	v_subrev_nc_u32_e32 v5, 32, v5
	s_waitcnt lgkmcnt(0)
	v_fma_f32 v3, -v7, v6, v3
	s_cbranch_scc0 .LBB10_76
.LBB10_77:                              ;   in Loop: Header=BB10_75 Depth=1
	s_mul_i32 s10, s1, 36
	v_add_nc_u32_e32 v6, 0x100, v4
	v_mov_b32_e32 v4, s10
	s_lshl_b32 s11, s1, 5
	s_mov_b32 s13, s20
	s_sub_i32 s11, s11, 32
	s_cmp_lt_i32 s28, s1
	ds_load_b32 v7, v4
	v_lshl_or_b32 v5, v0, 2, s11
	s_mov_b32 s11, s5
	ds_load_b32 v4, v5 offset:256
	s_waitcnt lgkmcnt(1)
	v_div_scale_f32 v8, null, v7, v7, v3
	s_delay_alu instid0(VALU_DEP_1) | instskip(SKIP_2) | instid1(VALU_DEP_1)
	v_rcp_f32_e32 v9, v8
	s_waitcnt_depctr 0xfff
	v_fma_f32 v10, -v8, v9, 1.0
	v_fmac_f32_e32 v9, v10, v9
	v_div_scale_f32 v10, vcc_lo, v3, v7, v3
	s_delay_alu instid0(VALU_DEP_1) | instskip(NEXT) | instid1(VALU_DEP_1)
	v_mul_f32_e32 v11, v10, v9
	v_fma_f32 v12, -v8, v11, v10
	s_delay_alu instid0(VALU_DEP_1) | instskip(NEXT) | instid1(VALU_DEP_1)
	v_fmac_f32_e32 v11, v12, v9
	v_fma_f32 v8, -v8, v11, v10
	s_delay_alu instid0(VALU_DEP_1) | instskip(NEXT) | instid1(VALU_DEP_1)
	v_div_fmas_f32 v8, v8, v9, v11
	v_div_fixup_f32 v7, v8, v7, v3
	v_mov_b32_e32 v3, v2
	ds_store_b32 v6, v7
	s_cbranch_scc1 .LBB10_74
.LBB10_78:                              ;   Parent Loop BB10_75 Depth=1
                                        ; =>  This Inner Loop Header: Depth=2
	v_mov_b32_e32 v6, s11
	s_add_i32 s13, s13, -1
	s_add_i32 s11, s11, -4
	s_cmp_gt_i32 s13, s1
	ds_load_b32 v7, v3
	ds_load_b32 v6, v6
	v_subrev_nc_u32_e32 v3, 32, v3
	s_waitcnt lgkmcnt(0)
	v_fma_f32 v4, -v7, v6, v4
	s_cbranch_scc1 .LBB10_78
	s_branch .LBB10_74
.LBB10_79:
	s_mov_b32 s10, 0
.LBB10_80:
	s_delay_alu instid0(SALU_CYCLE_1)
	s_and_not1_b32 vcc_lo, exec_lo, s10
	s_cbranch_vccnz .LBB10_99
; %bb.81:
	s_cmp_lt_i32 s12, 4
	s_mov_b32 s5, 0
	s_cbranch_scc1 .LBB10_88
; %bb.82:
	v_lshl_or_b32 v1, v0, 2, 0x100
	s_mov_b32 s1, 0
	s_mov_b32 s4, 0
.LBB10_83:                              ; =>This Loop Header: Depth=1
                                        ;     Child Loop BB10_85 Depth 2
	s_delay_alu instid0(SALU_CYCLE_1) | instskip(NEXT) | instid1(SALU_CYCLE_1)
	s_lshl_b32 s5, s4, 3
	s_or_b32 s11, s5, 8
	v_or_b32_e32 v2, s5, v0
	s_or_b32 s10, s5, 16
	v_or_b32_e32 v3, s11, v0
	;; [unrolled: 2-line block ×3, first 2 shown]
	v_or_b32_e32 v7, s5, v0
	v_lshlrev_b32_e32 v4, 2, v2
	v_lshlrev_b32_e32 v5, 2, v3
	s_cmp_eq_u32 s4, 0
	v_lshlrev_b32_e32 v6, 2, v6
	v_lshlrev_b32_e32 v7, 2, v7
	ds_load_b32 v9, v4 offset:256
	ds_load_b32 v8, v5 offset:256
	;; [unrolled: 1-line block ×4, first 2 shown]
	s_cbranch_scc1 .LBB10_86
; %bb.84:                               ;   in Loop: Header=BB10_83 Depth=1
	v_mov_b32_e32 v10, v1
	s_mov_b32 s13, 0
	s_mov_b32 s14, s1
	.p2align	6
.LBB10_85:                              ;   Parent Loop BB10_83 Depth=1
                                        ; =>  This Inner Loop Header: Depth=2
	s_delay_alu instid0(SALU_CYCLE_1)
	v_mov_b32_e32 v13, s14
	s_add_i32 s13, s13, 1
	s_add_i32 s14, s14, 4
	s_cmp_ge_u32 s13, s4
	ds_load_b32 v15, v10
	ds_load_2addr_b32 v[11:12], v13 offset1:8
	ds_load_2addr_b32 v[13:14], v13 offset0:16 offset1:24
	v_add_nc_u32_e32 v10, 32, v10
	s_waitcnt lgkmcnt(1)
	v_fma_f32 v9, -v15, v11, v9
	v_fma_f32 v8, -v15, v12, v8
	s_waitcnt lgkmcnt(0)
	v_fma_f32 v3, -v15, v13, v3
	v_fma_f32 v2, -v15, v14, v2
	s_cbranch_scc0 .LBB10_85
.LBB10_86:                              ;   in Loop: Header=BB10_83 Depth=1
	s_mul_i32 s13, s4, 36
	s_delay_alu instid0(SALU_CYCLE_1)
	v_dual_mov_b32 v10, s13 :: v_dual_add_nc_u32 v5, 0x100, v5
	s_add_i32 s5, s5, s4
	s_add_i32 s11, s11, s4
	s_lshl_b32 s5, s5, 2
	s_add_i32 s10, s10, s4
	ds_load_b32 v15, v10
	s_lshl_b32 s11, s11, 2
	s_lshl_b32 s10, s10, 2
	v_dual_mov_b32 v10, s11 :: v_dual_add_nc_u32 v7, 0x100, v7
	v_dual_mov_b32 v11, s10 :: v_dual_add_nc_u32 v4, 0x100, v4
	ds_load_b64 v[13:14], v10
	ds_load_b96 v[10:12], v11
	s_addk_i32 s1, 0x80
	s_waitcnt lgkmcnt(2)
	v_div_scale_f32 v16, null, v15, v15, v9
	v_div_scale_f32 v19, vcc_lo, v9, v15, v9
	s_delay_alu instid0(VALU_DEP_2) | instskip(SKIP_2) | instid1(VALU_DEP_1)
	v_rcp_f32_e32 v17, v16
	s_waitcnt_depctr 0xfff
	v_fma_f32 v18, -v16, v17, 1.0
	v_dual_fmac_f32 v17, v18, v17 :: v_dual_add_nc_u32 v6, 0x100, v6
	s_delay_alu instid0(VALU_DEP_1) | instskip(NEXT) | instid1(VALU_DEP_1)
	v_mul_f32_e32 v18, v19, v17
	v_fma_f32 v20, -v16, v18, v19
	s_delay_alu instid0(VALU_DEP_1) | instskip(NEXT) | instid1(VALU_DEP_1)
	v_fmac_f32_e32 v18, v20, v17
	v_fma_f32 v16, -v16, v18, v19
	s_delay_alu instid0(VALU_DEP_1) | instskip(NEXT) | instid1(VALU_DEP_1)
	v_div_fmas_f32 v16, v16, v17, v18
	v_div_fixup_f32 v15, v16, v15, v9
	s_waitcnt lgkmcnt(1)
	s_delay_alu instid0(VALU_DEP_1) | instskip(SKIP_2) | instid1(VALU_DEP_2)
	v_fma_f32 v8, -v15, v13, v8
	s_waitcnt lgkmcnt(0)
	v_fma_f32 v3, -v15, v10, v3
	v_div_scale_f32 v9, null, v14, v14, v8
	v_div_scale_f32 v17, vcc_lo, v8, v14, v8
	s_delay_alu instid0(VALU_DEP_2) | instskip(SKIP_2) | instid1(VALU_DEP_1)
	v_rcp_f32_e32 v13, v9
	s_waitcnt_depctr 0xfff
	v_fma_f32 v16, -v9, v13, 1.0
	v_fmac_f32_e32 v13, v16, v13
	s_delay_alu instid0(VALU_DEP_1) | instskip(NEXT) | instid1(VALU_DEP_1)
	v_mul_f32_e32 v16, v17, v13
	v_fma_f32 v18, -v9, v16, v17
	s_delay_alu instid0(VALU_DEP_1) | instskip(NEXT) | instid1(VALU_DEP_1)
	v_fmac_f32_e32 v16, v18, v13
	v_fma_f32 v9, -v9, v16, v17
	s_delay_alu instid0(VALU_DEP_1) | instskip(NEXT) | instid1(VALU_DEP_1)
	v_div_fmas_f32 v9, v9, v13, v16
	v_div_fixup_f32 v13, v9, v14, v8
	v_mov_b32_e32 v9, s5
	s_add_i32 s5, s4, 4
	s_add_i32 s4, s4, 7
	s_delay_alu instid0(SALU_CYCLE_1) | instskip(SKIP_1) | instid1(VALU_DEP_1)
	s_cmp_ge_i32 s4, s20
	v_fma_f32 v3, -v13, v11, v3
	v_div_scale_f32 v14, null, v12, v12, v3
	v_div_scale_f32 v17, vcc_lo, v3, v12, v3
	s_delay_alu instid0(VALU_DEP_2) | instskip(SKIP_2) | instid1(VALU_DEP_1)
	v_rcp_f32_e32 v16, v14
	s_waitcnt_depctr 0xfff
	v_fma_f32 v8, -v14, v16, 1.0
	v_fmac_f32_e32 v16, v8, v16
	ds_load_b128 v[8:11], v9
	v_mul_f32_e32 v18, v17, v16
	s_delay_alu instid0(VALU_DEP_1) | instskip(NEXT) | instid1(VALU_DEP_1)
	v_fma_f32 v19, -v14, v18, v17
	v_fmac_f32_e32 v18, v19, v16
	s_delay_alu instid0(VALU_DEP_1) | instskip(SKIP_2) | instid1(VALU_DEP_2)
	v_fma_f32 v14, -v14, v18, v17
	s_waitcnt lgkmcnt(0)
	v_fma_f32 v2, -v15, v8, v2
	v_div_fmas_f32 v8, v14, v16, v18
	s_delay_alu instid0(VALU_DEP_2) | instskip(NEXT) | instid1(VALU_DEP_2)
	v_fma_f32 v2, -v13, v9, v2
	v_div_fixup_f32 v3, v8, v12, v3
	s_delay_alu instid0(VALU_DEP_1) | instskip(NEXT) | instid1(VALU_DEP_1)
	v_fma_f32 v2, -v3, v10, v2
	v_div_scale_f32 v8, null, v11, v11, v2
	v_div_scale_f32 v12, vcc_lo, v2, v11, v2
	s_delay_alu instid0(VALU_DEP_2) | instskip(SKIP_2) | instid1(VALU_DEP_1)
	v_rcp_f32_e32 v9, v8
	s_waitcnt_depctr 0xfff
	v_fma_f32 v10, -v8, v9, 1.0
	v_fmac_f32_e32 v9, v10, v9
	s_delay_alu instid0(VALU_DEP_1) | instskip(NEXT) | instid1(VALU_DEP_1)
	v_mul_f32_e32 v10, v12, v9
	v_fma_f32 v14, -v8, v10, v12
	s_delay_alu instid0(VALU_DEP_1) | instskip(NEXT) | instid1(VALU_DEP_1)
	v_fmac_f32_e32 v10, v14, v9
	v_fma_f32 v8, -v8, v10, v12
	s_delay_alu instid0(VALU_DEP_1) | instskip(NEXT) | instid1(VALU_DEP_1)
	v_div_fmas_f32 v8, v8, v9, v10
	v_div_fixup_f32 v2, v8, v11, v2
	ds_store_b32 v4, v15
	ds_store_b32 v5, v13
	;; [unrolled: 1-line block ×4, first 2 shown]
	s_cbranch_scc1 .LBB10_88
; %bb.87:                               ;   in Loop: Header=BB10_83 Depth=1
	s_mov_b32 s4, s5
	s_branch .LBB10_83
.LBB10_88:
	s_cmp_ge_i32 s5, s20
	s_cbranch_scc1 .LBB10_99
; %bb.89:
	v_lshl_or_b32 v1, v0, 2, 0x100
	v_lshlrev_b32_e32 v2, 2, v0
	s_add_i32 s1, s5, -1
	s_lshl_b32 s4, s5, 5
	s_mov_b32 s10, 0
	s_mov_b32 s11, s5
	s_branch .LBB10_91
.LBB10_90:                              ;   in Loop: Header=BB10_91 Depth=1
	s_mul_i32 s13, s5, 36
	s_delay_alu instid0(SALU_CYCLE_1)
	v_dual_mov_b32 v5, s13 :: v_dual_add_nc_u32 v4, 0x100, v4
	s_add_i32 s5, s5, 1
	s_add_i32 s10, s10, 1
	;; [unrolled: 1-line block ×3, first 2 shown]
	s_cmp_ge_i32 s5, s20
	ds_load_b32 v5, v5
	s_waitcnt lgkmcnt(0)
	v_div_scale_f32 v6, null, v5, v5, v3
	v_div_scale_f32 v9, vcc_lo, v3, v5, v3
	s_delay_alu instid0(VALU_DEP_2) | instskip(SKIP_2) | instid1(VALU_DEP_1)
	v_rcp_f32_e32 v7, v6
	s_waitcnt_depctr 0xfff
	v_fma_f32 v8, -v6, v7, 1.0
	v_fmac_f32_e32 v7, v8, v7
	s_delay_alu instid0(VALU_DEP_1) | instskip(NEXT) | instid1(VALU_DEP_1)
	v_mul_f32_e32 v8, v9, v7
	v_fma_f32 v10, -v6, v8, v9
	s_delay_alu instid0(VALU_DEP_1) | instskip(NEXT) | instid1(VALU_DEP_1)
	v_fmac_f32_e32 v8, v10, v7
	v_fma_f32 v6, -v6, v8, v9
	s_delay_alu instid0(VALU_DEP_1) | instskip(SKIP_1) | instid1(VALU_DEP_2)
	v_div_fmas_f32 v6, v6, v7, v8
	v_add_nc_u16 v7, s11, 1
	v_div_fixup_f32 v3, v6, v5, v3
	s_delay_alu instid0(VALU_DEP_2)
	v_readfirstlane_b32 s11, v7
	ds_store_b32 v4, v3
	s_cbranch_scc1 .LBB10_99
.LBB10_91:                              ; =>This Loop Header: Depth=1
                                        ;     Child Loop BB10_94 Depth 2
                                        ;     Child Loop BB10_98 Depth 2
	v_lshl_or_b32 v4, s5, 5, v2
	s_cmp_eq_u32 s5, 0
	ds_load_b32 v3, v4 offset:256
	s_cbranch_scc1 .LBB10_90
; %bb.92:                               ;   in Loop: Header=BB10_91 Depth=1
	s_add_i32 s13, s1, s10
	s_delay_alu instid0(SALU_CYCLE_1)
	s_cmp_lt_u32 s13, 7
	s_cbranch_scc1 .LBB10_96
; %bb.93:                               ;   in Loop: Header=BB10_91 Depth=1
	v_mov_b32_e32 v5, v1
	s_and_b32 s13, s5, -8
	s_mov_b32 s14, 0
	s_mov_b32 s15, s4
	s_set_inst_prefetch_distance 0x1
	.p2align	6
.LBB10_94:                              ;   Parent Loop BB10_91 Depth=1
                                        ; =>  This Inner Loop Header: Depth=2
	v_mov_b32_e32 v10, s15
	s_add_i32 s14, s14, 8
	s_add_i32 s15, s15, 32
	s_cmp_eq_u32 s13, s14
	ds_load_2addr_b32 v[14:15], v5 offset1:8
	ds_load_b128 v[6:9], v10
	ds_load_2addr_b32 v[16:17], v5 offset0:16 offset1:24
	ds_load_2addr_b32 v[18:19], v5 offset0:32 offset1:40
	ds_load_b128 v[10:13], v10 offset:16
	s_waitcnt lgkmcnt(3)
	v_fma_f32 v3, -v14, v6, v3
	s_delay_alu instid0(VALU_DEP_1) | instskip(SKIP_4) | instid1(VALU_DEP_1)
	v_fma_f32 v3, -v15, v7, v3
	ds_load_2addr_b32 v[6:7], v5 offset0:48 offset1:56
	v_add_nc_u32_e32 v5, 0x100, v5
	s_waitcnt lgkmcnt(3)
	v_fma_f32 v3, -v16, v8, v3
	v_fma_f32 v3, -v17, v9, v3
	s_waitcnt lgkmcnt(1)
	s_delay_alu instid0(VALU_DEP_1) | instskip(NEXT) | instid1(VALU_DEP_1)
	v_fma_f32 v3, -v18, v10, v3
	v_fma_f32 v3, -v19, v11, v3
	s_waitcnt lgkmcnt(0)
	s_delay_alu instid0(VALU_DEP_1) | instskip(NEXT) | instid1(VALU_DEP_1)
	v_fma_f32 v3, -v6, v12, v3
	v_fma_f32 v3, -v7, v13, v3
	s_cbranch_scc0 .LBB10_94
; %bb.95:                               ;   in Loop: Header=BB10_91 Depth=1
	s_set_inst_prefetch_distance 0x2
	s_and_b32 s14, s5, 7
	s_delay_alu instid0(SALU_CYCLE_1)
	s_cmp_eq_u32 s14, 0
	s_cbranch_scc0 .LBB10_97
	s_branch .LBB10_90
.LBB10_96:                              ;   in Loop: Header=BB10_91 Depth=1
	s_mov_b32 s13, 0
	s_and_b32 s14, s5, 7
	s_delay_alu instid0(SALU_CYCLE_1)
	s_cmp_eq_u32 s14, 0
	s_cbranch_scc1 .LBB10_90
.LBB10_97:                              ;   in Loop: Header=BB10_91 Depth=1
	v_lshl_add_u32 v5, s13, 5, v1
	s_and_b32 s14, s11, 7
	s_lshl_b32 s13, s13, 2
.LBB10_98:                              ;   Parent Loop BB10_91 Depth=1
                                        ; =>  This Inner Loop Header: Depth=2
	s_delay_alu instid0(SALU_CYCLE_1)
	s_add_i32 s15, s4, s13
	s_add_i32 s14, s14, -1
	v_mov_b32_e32 v6, s15
	s_add_i32 s13, s13, 4
	s_cmp_lg_u32 s14, 0
	ds_load_b32 v7, v5
	ds_load_b32 v6, v6
	v_add_nc_u32_e32 v5, 32, v5
	s_waitcnt lgkmcnt(0)
	v_fma_f32 v3, -v7, v6, v3
	s_cbranch_scc1 .LBB10_98
	s_branch .LBB10_90
.LBB10_99:
	s_and_saveexec_b32 s1, s21
	s_cbranch_execz .LBB10_106
; %bb.100:
	v_lshlrev_b32_e32 v3, 2, v0
	s_ashr_i32 s1, s0, 31
	s_cmp_lt_u32 s12, 4
	s_mov_b32 s13, 0
	s_cbranch_scc1 .LBB10_103
; %bb.101:
	v_add_co_u32 v1, s4, s18, v3
	s_delay_alu instid0(VALU_DEP_1)
	v_add_co_ci_u32_e64 v2, null, s19, 0, s4
	v_lshl_or_b32 v0, v0, 2, 0x100
	s_and_b32 s13, s12, 0x7ffffffc
	s_mul_hi_i32 s16, s0, 12
	s_mul_i32 s17, s0, 12
	s_lshl_b64 s[4:5], s[0:1], 4
	s_lshl_b64 s[10:11], s[0:1], 3
	;; [unrolled: 1-line block ×3, first 2 shown]
	s_mov_b32 s18, 0
	.p2align	6
.LBB10_102:                             ; =>This Inner Loop Header: Depth=1
	ds_load_2addr_b32 v[4:5], v0 offset1:8
	ds_load_2addr_b32 v[6:7], v0 offset0:16 offset1:24
	v_add_co_u32 v8, vcc_lo, v1, s14
	v_add_co_ci_u32_e32 v9, vcc_lo, s15, v2, vcc_lo
	v_add_co_u32 v10, vcc_lo, v1, s10
	v_add_co_ci_u32_e32 v11, vcc_lo, s11, v2, vcc_lo
	;; [unrolled: 2-line block ×3, first 2 shown]
	v_add_nc_u32_e32 v0, 0x80, v0
	s_add_i32 s18, s18, 4
	s_delay_alu instid0(SALU_CYCLE_1)
	s_cmp_lg_u32 s13, s18
	s_waitcnt lgkmcnt(1)
	global_store_b32 v[1:2], v4, off
	v_add_co_u32 v1, vcc_lo, v1, s4
	v_add_co_ci_u32_e32 v2, vcc_lo, s5, v2, vcc_lo
	global_store_b32 v[8:9], v5, off
	s_waitcnt lgkmcnt(0)
	s_clause 0x1
	global_store_b32 v[10:11], v6, off
	global_store_b32 v[12:13], v7, off
	s_cbranch_scc1 .LBB10_102
.LBB10_103:
	s_and_b32 s4, s12, 3
	s_delay_alu instid0(SALU_CYCLE_1)
	s_cmp_eq_u32 s4, 0
	s_cbranch_scc1 .LBB10_106
; %bb.104:
	s_mul_hi_i32 s11, s0, s13
	s_mul_i32 s10, s0, s13
	v_lshl_or_b32 v2, s13, 5, v3
	s_lshl_b64 s[10:11], s[10:11], 2
	s_delay_alu instid0(SALU_CYCLE_1)
	s_add_u32 s5, s10, s6
	s_addc_u32 s6, s11, s7
	s_add_u32 s5, s5, s8
	s_addc_u32 s6, s6, s9
	;; [unrolled: 2-line block ×3, first 2 shown]
	v_add_co_u32 v0, s2, s2, v3
	s_delay_alu instid0(VALU_DEP_1)
	v_add_co_ci_u32_e64 v1, null, s3, 0, s2
	v_add_nc_u32_e32 v2, 0x100, v2
	s_lshl_b64 s[0:1], s[0:1], 2
.LBB10_105:                             ; =>This Inner Loop Header: Depth=1
	ds_load_b32 v3, v2
	v_add_nc_u32_e32 v2, 32, v2
	s_add_i32 s4, s4, -1
	s_delay_alu instid0(SALU_CYCLE_1)
	s_cmp_lg_u32 s4, 0
	s_waitcnt lgkmcnt(0)
	global_store_b32 v[0:1], v3, off
	v_add_co_u32 v0, vcc_lo, v0, s0
	v_add_co_ci_u32_e32 v1, vcc_lo, s1, v1, vcc_lo
	s_cbranch_scc1 .LBB10_105
.LBB10_106:
	s_nop 0
	s_sendmsg sendmsg(MSG_DEALLOC_VGPRS)
	s_endpgm
	.section	.rodata,"a",@progbits
	.p2align	6, 0x0
	.amdhsa_kernel _ZL31rocblas_trsm_small_right_deviceIffPKPKfPKPfLi8EEv13rocblas_fill_18rocblas_operation_17rocblas_diagonal_iiT0_T1_lilT2_lili
		.amdhsa_group_segment_fixed_size 512
		.amdhsa_private_segment_fixed_size 0
		.amdhsa_kernarg_size 352
		.amdhsa_user_sgpr_count 14
		.amdhsa_user_sgpr_dispatch_ptr 0
		.amdhsa_user_sgpr_queue_ptr 0
		.amdhsa_user_sgpr_kernarg_segment_ptr 1
		.amdhsa_user_sgpr_dispatch_id 0
		.amdhsa_user_sgpr_private_segment_size 0
		.amdhsa_wavefront_size32 1
		.amdhsa_uses_dynamic_stack 0
		.amdhsa_enable_private_segment 0
		.amdhsa_system_sgpr_workgroup_id_x 1
		.amdhsa_system_sgpr_workgroup_id_y 0
		.amdhsa_system_sgpr_workgroup_id_z 1
		.amdhsa_system_sgpr_workgroup_info 0
		.amdhsa_system_vgpr_workitem_id 0
		.amdhsa_next_free_vgpr 32
		.amdhsa_next_free_sgpr 32
		.amdhsa_reserve_vcc 1
		.amdhsa_float_round_mode_32 0
		.amdhsa_float_round_mode_16_64 0
		.amdhsa_float_denorm_mode_32 3
		.amdhsa_float_denorm_mode_16_64 3
		.amdhsa_dx10_clamp 1
		.amdhsa_ieee_mode 1
		.amdhsa_fp16_overflow 0
		.amdhsa_workgroup_processor_mode 1
		.amdhsa_memory_ordered 1
		.amdhsa_forward_progress 0
		.amdhsa_shared_vgpr_count 0
		.amdhsa_exception_fp_ieee_invalid_op 0
		.amdhsa_exception_fp_denorm_src 0
		.amdhsa_exception_fp_ieee_div_zero 0
		.amdhsa_exception_fp_ieee_overflow 0
		.amdhsa_exception_fp_ieee_underflow 0
		.amdhsa_exception_fp_ieee_inexact 0
		.amdhsa_exception_int_div_zero 0
	.end_amdhsa_kernel
	.section	.text._ZL31rocblas_trsm_small_right_deviceIffPKPKfPKPfLi8EEv13rocblas_fill_18rocblas_operation_17rocblas_diagonal_iiT0_T1_lilT2_lili,"axG",@progbits,_ZL31rocblas_trsm_small_right_deviceIffPKPKfPKPfLi8EEv13rocblas_fill_18rocblas_operation_17rocblas_diagonal_iiT0_T1_lilT2_lili,comdat
.Lfunc_end10:
	.size	_ZL31rocblas_trsm_small_right_deviceIffPKPKfPKPfLi8EEv13rocblas_fill_18rocblas_operation_17rocblas_diagonal_iiT0_T1_lilT2_lili, .Lfunc_end10-_ZL31rocblas_trsm_small_right_deviceIffPKPKfPKPfLi8EEv13rocblas_fill_18rocblas_operation_17rocblas_diagonal_iiT0_T1_lilT2_lili
                                        ; -- End function
	.section	.AMDGPU.csdata,"",@progbits
; Kernel info:
; codeLenInByte = 8140
; NumSgprs: 34
; NumVgprs: 32
; ScratchSize: 0
; MemoryBound: 0
; FloatMode: 240
; IeeeMode: 1
; LDSByteSize: 512 bytes/workgroup (compile time only)
; SGPRBlocks: 4
; VGPRBlocks: 3
; NumSGPRsForWavesPerEU: 34
; NumVGPRsForWavesPerEU: 32
; Occupancy: 16
; WaveLimiterHint : 0
; COMPUTE_PGM_RSRC2:SCRATCH_EN: 0
; COMPUTE_PGM_RSRC2:USER_SGPR: 14
; COMPUTE_PGM_RSRC2:TRAP_HANDLER: 0
; COMPUTE_PGM_RSRC2:TGID_X_EN: 1
; COMPUTE_PGM_RSRC2:TGID_Y_EN: 0
; COMPUTE_PGM_RSRC2:TGID_Z_EN: 1
; COMPUTE_PGM_RSRC2:TIDIG_COMP_CNT: 0
	.section	.text._ZL38rocblas_trsm_small_left_device_sharedBILi12ELi12ELb0EffPKPKfPKPfEv13rocblas_fill_18rocblas_operation_17rocblas_diagonal_iiT3_T4_lilT5_lili,"axG",@progbits,_ZL38rocblas_trsm_small_left_device_sharedBILi12ELi12ELb0EffPKPKfPKPfEv13rocblas_fill_18rocblas_operation_17rocblas_diagonal_iiT3_T4_lilT5_lili,comdat
	.globl	_ZL38rocblas_trsm_small_left_device_sharedBILi12ELi12ELb0EffPKPKfPKPfEv13rocblas_fill_18rocblas_operation_17rocblas_diagonal_iiT3_T4_lilT5_lili ; -- Begin function _ZL38rocblas_trsm_small_left_device_sharedBILi12ELi12ELb0EffPKPKfPKPfEv13rocblas_fill_18rocblas_operation_17rocblas_diagonal_iiT3_T4_lilT5_lili
	.p2align	8
	.type	_ZL38rocblas_trsm_small_left_device_sharedBILi12ELi12ELb0EffPKPKfPKPfEv13rocblas_fill_18rocblas_operation_17rocblas_diagonal_iiT3_T4_lilT5_lili,@function
_ZL38rocblas_trsm_small_left_device_sharedBILi12ELi12ELb0EffPKPKfPKPfEv13rocblas_fill_18rocblas_operation_17rocblas_diagonal_iiT3_T4_lilT5_lili: ; @_ZL38rocblas_trsm_small_left_device_sharedBILi12ELi12ELb0EffPKPKfPKPfEv13rocblas_fill_18rocblas_operation_17rocblas_diagonal_iiT3_T4_lilT5_lili
; %bb.0:
	s_clause 0x1
	s_load_b128 s[8:11], s[0:1], 0x38
	s_load_b128 s[4:7], s[0:1], 0x4
	s_mov_b32 s12, s15
	s_mov_b32 s13, 0
	s_mov_b32 s27, exec_lo
	s_lshl_b64 s[20:21], s[12:13], 3
	s_waitcnt lgkmcnt(0)
	s_add_u32 s2, s8, s20
	s_addc_u32 s3, s9, s21
	s_load_b32 s26, s[0:1], 0x14
	s_load_b64 s[2:3], s[2:3], 0x0
	s_min_i32 s12, s6, 12
	s_delay_alu instid0(SALU_CYCLE_1)
	s_add_i32 s15, s12, -1
	v_cmpx_gt_i32_e64 s12, v0
	s_cbranch_execz .LBB11_10
; %bb.1:
	s_clause 0x1
	s_load_b32 s8, s[0:1], 0x28
	s_load_b128 s[16:19], s[0:1], 0x18
	s_waitcnt lgkmcnt(0)
	s_ashr_i32 s9, s8, 31
	s_add_u32 s16, s16, s20
	s_addc_u32 s17, s17, s21
	s_cmp_lt_u32 s15, 3
	s_load_b64 s[16:17], s[16:17], 0x0
	s_cbranch_scc1 .LBB11_4
; %bb.2:
	v_lshlrev_b32_e32 v3, 2, v0
	s_lshl_b64 s[20:21], s[18:19], 2
	s_mul_hi_i32 s28, s8, 12
	s_waitcnt lgkmcnt(0)
	s_add_u32 s13, s16, s20
	s_addc_u32 s20, s17, s21
	v_add_co_u32 v1, s13, s13, v3
	s_delay_alu instid0(VALU_DEP_1)
	v_add_co_ci_u32_e64 v2, null, s20, 0, s13
	s_and_b32 s13, s12, -4
	s_mul_i32 s29, s8, 12
	s_lshl_b64 s[20:21], s[8:9], 4
	s_lshl_b64 s[22:23], s[8:9], 3
	;; [unrolled: 1-line block ×3, first 2 shown]
	s_mov_b32 s30, 0
	.p2align	6
.LBB11_3:                               ; =>This Inner Loop Header: Depth=1
	v_add_co_u32 v4, vcc_lo, v1, s24
	v_add_co_ci_u32_e32 v5, vcc_lo, s25, v2, vcc_lo
	v_add_co_u32 v6, vcc_lo, v1, s22
	v_add_co_ci_u32_e32 v7, vcc_lo, s23, v2, vcc_lo
	;; [unrolled: 2-line block ×3, first 2 shown]
	s_clause 0x3
	global_load_b32 v10, v[1:2], off
	global_load_b32 v4, v[4:5], off
	;; [unrolled: 1-line block ×4, first 2 shown]
	v_add_co_u32 v1, vcc_lo, v1, s20
	v_add_co_ci_u32_e32 v2, vcc_lo, s21, v2, vcc_lo
	s_add_i32 s30, s30, 4
	s_waitcnt vmcnt(2)
	ds_store_2addr_b32 v3, v10, v4 offset1:12
	s_waitcnt vmcnt(0)
	ds_store_2addr_b32 v3, v5, v6 offset0:24 offset1:36
	v_add_nc_u32_e32 v3, 0xc0, v3
	s_cmp_eq_u32 s13, s30
	s_cbranch_scc0 .LBB11_3
.LBB11_4:
	s_and_b32 s20, s12, 3
	s_delay_alu instid0(SALU_CYCLE_1)
	s_cmp_eq_u32 s20, 0
	s_cbranch_scc1 .LBB11_7
; %bb.5:
	s_mul_i32 s21, s9, s13
	s_mul_hi_u32 s22, s8, s13
	s_lshl_b64 s[18:19], s[18:19], 2
	s_add_i32 s23, s22, s21
	s_mul_i32 s22, s8, s13
	s_mul_i32 s13, s13, 48
	s_lshl_b64 s[22:23], s[22:23], 2
	v_lshlrev_b32_e32 v1, 2, v0
	v_lshl_add_u32 v3, v0, 2, s13
	s_add_u32 s13, s22, s18
	s_addc_u32 s18, s23, s19
	s_waitcnt lgkmcnt(0)
	s_add_u32 s13, s16, s13
	s_addc_u32 s16, s17, s18
	v_add_co_u32 v1, s13, s13, v1
	s_delay_alu instid0(VALU_DEP_1)
	v_add_co_ci_u32_e64 v2, null, s16, 0, s13
	s_lshl_b64 s[8:9], s[8:9], 2
.LBB11_6:                               ; =>This Inner Loop Header: Depth=1
	global_load_b32 v4, v[1:2], off
	v_add_co_u32 v1, vcc_lo, v1, s8
	v_add_co_ci_u32_e32 v2, vcc_lo, s9, v2, vcc_lo
	s_add_i32 s20, s20, -1
	s_delay_alu instid0(SALU_CYCLE_1)
	s_cmp_lg_u32 s20, 0
	s_waitcnt vmcnt(0)
	ds_store_b32 v3, v4
	v_add_nc_u32_e32 v3, 48, v3
	s_cbranch_scc1 .LBB11_6
.LBB11_7:
	v_mul_u32_u24_e32 v1, 13, v0
	s_cmpk_lg_i32 s5, 0x84
	s_delay_alu instid0(VALU_DEP_1)
	v_dual_mov_b32 v2, 1.0 :: v_dual_lshlrev_b32 v1, 2, v1
	s_cbranch_scc0 .LBB11_9
; %bb.8:
	ds_load_b32 v2, v1
	s_waitcnt lgkmcnt(0)
	v_div_scale_f32 v3, null, v2, v2, 1.0
	s_delay_alu instid0(VALU_DEP_1) | instskip(SKIP_2) | instid1(VALU_DEP_1)
	v_rcp_f32_e32 v4, v3
	s_waitcnt_depctr 0xfff
	v_fma_f32 v5, -v3, v4, 1.0
	v_fmac_f32_e32 v4, v5, v4
	v_div_scale_f32 v5, vcc_lo, 1.0, v2, 1.0
	s_delay_alu instid0(VALU_DEP_1) | instskip(NEXT) | instid1(VALU_DEP_1)
	v_mul_f32_e32 v6, v5, v4
	v_fma_f32 v7, -v3, v6, v5
	s_delay_alu instid0(VALU_DEP_1) | instskip(NEXT) | instid1(VALU_DEP_1)
	v_fmac_f32_e32 v6, v7, v4
	v_fma_f32 v3, -v3, v6, v5
	s_delay_alu instid0(VALU_DEP_1) | instskip(NEXT) | instid1(VALU_DEP_1)
	v_div_fmas_f32 v3, v3, v4, v6
	v_div_fixup_f32 v2, v3, v2, 1.0
.LBB11_9:
	ds_store_b32 v1, v2
.LBB11_10:
	s_or_b32 exec_lo, exec_lo, s27
	s_clause 0x1
	s_load_b32 s5, s[0:1], 0x60
	s_load_b32 s13, s[0:1], 0x48
	s_lshl_b64 s[0:1], s[10:11], 2
	s_mul_i32 s9, s14, -12
	s_mul_i32 s8, s14, 12
	s_waitcnt lgkmcnt(0)
	s_ashr_i32 s16, s13, 31
	s_add_u32 s17, s2, s0
	s_addc_u32 s18, s3, s1
	s_add_i32 s5, s5, -1
	s_add_i32 s9, s9, s7
	s_mul_hi_i32 s11, s13, s8
	s_cmp_ge_u32 s14, s5
	s_mul_i32 s10, s13, s8
	s_cselect_b32 s14, s9, 12
	s_lshl_b64 s[10:11], s[10:11], 2
	s_ashr_i32 s9, s8, 31
	s_add_u32 s5, s17, s10
	s_addc_u32 s7, s18, s11
	v_cmp_gt_i32_e32 vcc_lo, s14, v0
	s_cmp_gt_i32 s6, 0
	s_mov_b32 s11, 0
	s_cselect_b32 s10, -1, 0
	s_delay_alu instid0(SALU_CYCLE_1) | instskip(NEXT) | instid1(SALU_CYCLE_1)
	s_and_b32 s14, vcc_lo, s10
	s_and_saveexec_b32 s17, s14
	s_cbranch_execz .LBB11_18
; %bb.11:
	s_cmp_lt_i32 s6, 8
	s_cbranch_scc1 .LBB11_15
; %bb.12:
	v_mad_i64_i32 v[1:2], null, s13, v0, 0
	s_lshl_b32 s10, s12, 2
	s_delay_alu instid0(SALU_CYCLE_1) | instskip(SKIP_1) | instid1(VALU_DEP_1)
	s_and_b32 s18, s10, 32
	s_mov_b64 s[10:11], 0
	v_lshlrev_b64 v[2:3], 2, v[1:2]
	v_lshl_or_b32 v1, v0, 2, 0x240
	s_delay_alu instid0(VALU_DEP_2) | instskip(NEXT) | instid1(VALU_DEP_3)
	v_add_co_u32 v2, vcc_lo, s5, v2
	v_add_co_ci_u32_e32 v3, vcc_lo, s7, v3, vcc_lo
	.p2align	6
.LBB11_13:                              ; =>This Inner Loop Header: Depth=1
	s_delay_alu instid0(VALU_DEP_2) | instskip(NEXT) | instid1(VALU_DEP_2)
	v_add_co_u32 v8, vcc_lo, v2, s10
	v_add_co_ci_u32_e32 v9, vcc_lo, s11, v3, vcc_lo
	s_add_u32 s10, s10, 32
	s_addc_u32 s11, s11, 0
	s_cmp_lg_u32 s18, s10
	s_clause 0x1
	global_load_b128 v[4:7], v[8:9], off
	global_load_b128 v[8:11], v[8:9], off offset:16
	s_waitcnt vmcnt(1)
	v_dual_mul_f32 v4, s26, v4 :: v_dual_mul_f32 v5, s26, v5
	v_dual_mul_f32 v6, s26, v6 :: v_dual_mul_f32 v7, s26, v7
	s_waitcnt vmcnt(0)
	v_dual_mul_f32 v8, s26, v8 :: v_dual_mul_f32 v9, s26, v9
	v_dual_mul_f32 v10, s26, v10 :: v_dual_mul_f32 v11, s26, v11
	ds_store_2addr_b32 v1, v4, v5 offset1:12
	ds_store_2addr_b32 v1, v6, v7 offset0:24 offset1:36
	ds_store_2addr_b32 v1, v8, v9 offset0:48 offset1:60
	;; [unrolled: 1-line block ×3, first 2 shown]
	v_add_nc_u32_e32 v1, 0x180, v1
	s_cbranch_scc1 .LBB11_13
; %bb.14:
	s_mov_b32 s11, 8
.LBB11_15:
	s_and_b32 s10, s12, 7
	s_delay_alu instid0(SALU_CYCLE_1)
	s_cmp_eq_u32 s10, 0
	s_cbranch_scc1 .LBB11_18
; %bb.16:
	v_lshlrev_b32_e32 v3, 2, v0
	s_lshl_b64 s[18:19], s[8:9], 2
	s_lshl_b32 s20, s11, 2
	s_mul_i32 s11, s11, 48
	s_delay_alu instid0(VALU_DEP_1) | instskip(NEXT) | instid1(VALU_DEP_1)
	v_add_co_u32 v4, s18, s18, v3
	v_add_co_ci_u32_e64 v5, null, s19, 0, s18
	s_add_u32 s18, s2, s20
	s_addc_u32 s19, s3, 0
	s_add_u32 s18, s18, s0
	s_addc_u32 s19, s19, s1
	v_mul_lo_u32 v5, v5, s13
	v_mad_u64_u32 v[1:2], null, v4, s13, s[18:19]
	v_mul_lo_u32 v4, v4, s16
	v_add3_u32 v3, s11, v3, 0x240
	s_delay_alu instid0(VALU_DEP_2)
	v_add3_u32 v2, v5, v2, v4
.LBB11_17:                              ; =>This Inner Loop Header: Depth=1
	global_load_b32 v4, v[1:2], off
	v_add_co_u32 v1, vcc_lo, v1, 4
	v_add_co_ci_u32_e32 v2, vcc_lo, 0, v2, vcc_lo
	s_add_i32 s10, s10, -1
	s_delay_alu instid0(SALU_CYCLE_1)
	s_cmp_lg_u32 s10, 0
	s_waitcnt vmcnt(0)
	v_mul_f32_e32 v4, s26, v4
	ds_store_b32 v3, v4
	v_add_nc_u32_e32 v3, 48, v3
	s_cbranch_scc1 .LBB11_17
.LBB11_18:
	s_or_b32 exec_lo, exec_lo, s17
	s_cmpk_eq_i32 s4, 0x6f
	s_mov_b32 s4, -1
	s_waitcnt vmcnt(0) lgkmcnt(0)
	s_waitcnt_vscnt null, 0x0
	; wave barrier
	s_waitcnt lgkmcnt(0)
	buffer_gl0_inv
	s_cbranch_scc1 .LBB11_43
; %bb.19:
	s_cmp_gt_i32 s6, 11
	s_cselect_b32 s17, -1, 0
	s_delay_alu instid0(SALU_CYCLE_1)
	s_and_b32 vcc_lo, exec_lo, s17
	s_cbranch_vccz .LBB11_21
; %bb.20:
	v_dual_mov_b32 v76, 0 :: v_dual_lshlrev_b32 v75, 2, v0
	s_mov_b32 s4, 12
	ds_load_2addr_b32 v[28:29], v75 offset0:144 offset1:156
	ds_load_b32 v17, v76
	ds_load_b64 v[40:41], v76 offset:48
	ds_load_2addr_b32 v[44:45], v75 offset0:168 offset1:180
	ds_load_2addr_b32 v[63:64], v75 offset0:192 offset1:204
	ds_load_b96 v[47:49], v76 offset:96
	ds_load_2addr_b32 v[65:66], v75 offset0:216 offset1:228
	ds_load_2addr_b32 v[67:68], v75 offset0:240 offset1:252
	ds_load_b128 v[1:4], v76 offset:144
	ds_load_b128 v[5:8], v76 offset:192
	ds_load_b32 v78, v76 offset:208
	ds_load_b128 v[9:12], v76 offset:240
	ds_load_b64 v[69:70], v76 offset:256
	ds_load_b128 v[13:16], v76 offset:288
	s_waitcnt lgkmcnt(12)
	v_mul_f32_e32 v79, v28, v17
	ds_load_b96 v[57:59], v76 offset:304
	ds_load_b128 v[17:20], v76 offset:336
	ds_load_b128 v[21:24], v76 offset:352
	;; [unrolled: 1-line block ×3, first 2 shown]
	s_waitcnt lgkmcnt(15)
	v_fma_f32 v42, -v79, v40, v29
	ds_load_b128 v[29:32], v76 offset:400
	ds_load_b32 v80, v76 offset:416
	ds_load_b128 v[33:36], v76 offset:432
	ds_load_b128 v[37:40], v76 offset:448
	s_waitcnt lgkmcnt(16)
	v_fma_f32 v46, -v79, v47, v44
	s_waitcnt lgkmcnt(13)
	v_fma_f32 v1, -v79, v1, v45
	;; [unrolled: 2-line block ×3, first 2 shown]
	v_mul_f32_e32 v81, v42, v41
	s_delay_alu instid0(VALU_DEP_1)
	v_fma_f32 v50, -v81, v48, v46
	v_fma_f32 v1, -v81, v2, v1
	s_waitcnt lgkmcnt(10)
	v_fma_f32 v2, -v79, v9, v64
	v_fma_f32 v5, -v81, v6, v5
	v_mul_f32_e32 v63, v50, v49
	s_delay_alu instid0(VALU_DEP_3) | instskip(NEXT) | instid1(VALU_DEP_2)
	v_fma_f32 v2, -v81, v10, v2
	v_fma_f32 v1, -v63, v3, v1
	s_delay_alu instid0(VALU_DEP_4) | instskip(NEXT) | instid1(VALU_DEP_3)
	v_fma_f32 v5, -v63, v7, v5
	v_fma_f32 v2, -v63, v11, v2
	s_waitcnt lgkmcnt(8)
	v_fma_f32 v3, -v79, v13, v65
	v_mul_f32_e32 v7, v1, v4
	s_delay_alu instid0(VALU_DEP_2) | instskip(NEXT) | instid1(VALU_DEP_2)
	v_fma_f32 v3, -v81, v14, v3
	v_fma_f32 v5, -v7, v8, v5
	;; [unrolled: 1-line block ×3, first 2 shown]
	s_delay_alu instid0(VALU_DEP_3) | instskip(NEXT) | instid1(VALU_DEP_3)
	v_fma_f32 v3, -v63, v15, v3
	v_mul_f32_e32 v5, v5, v78
	s_delay_alu instid0(VALU_DEP_2) | instskip(NEXT) | instid1(VALU_DEP_2)
	v_fma_f32 v3, -v7, v16, v3
	v_fma_f32 v2, -v5, v69, v2
	v_add_nc_u32_e32 v77, 0x400, v75
	s_waitcnt lgkmcnt(7)
	s_delay_alu instid0(VALU_DEP_3) | instskip(NEXT) | instid1(VALU_DEP_3)
	v_fma_f32 v3, -v5, v57, v3
	v_mul_f32_e32 v10, v2, v70
	ds_load_b64 v[71:72], v76 offset:464
	ds_load_b128 v[41:44], v76 offset:480
	ds_load_2addr_b32 v[73:74], v77 offset0:8 offset1:20
	ds_load_b128 v[45:48], v76 offset:496
	ds_load_b96 v[60:62], v76 offset:512
	ds_load_b128 v[49:52], v76 offset:528
	ds_load_b128 v[53:56], v76 offset:544
	v_fma_f32 v3, -v10, v58, v3
	s_waitcnt lgkmcnt(4)
	v_fma_f32 v8, -v79, v41, v73
	s_delay_alu instid0(VALU_DEP_1) | instskip(NEXT) | instid1(VALU_DEP_3)
	v_fma_f32 v2, -v81, v42, v8
	v_mul_f32_e32 v8, v3, v59
	v_fma_f32 v6, -v79, v17, v66
	v_fma_f32 v1, -v79, v25, v67
	v_fma_f32 v4, -v79, v33, v68
	s_waitcnt lgkmcnt(1)
	v_fma_f32 v9, -v79, v49, v74
	v_fma_f32 v2, -v63, v43, v2
	;; [unrolled: 1-line block ×4, first 2 shown]
	s_delay_alu instid0(VALU_DEP_3) | instskip(NEXT) | instid1(VALU_DEP_3)
	v_fma_f32 v2, -v7, v44, v2
	v_fma_f32 v6, -v63, v19, v6
	s_delay_alu instid0(VALU_DEP_3) | instskip(NEXT) | instid1(VALU_DEP_2)
	v_fma_f32 v1, -v63, v27, v1
	v_fma_f32 v6, -v7, v20, v6
	s_delay_alu instid0(VALU_DEP_2) | instskip(NEXT) | instid1(VALU_DEP_2)
	v_fma_f32 v1, -v7, v28, v1
	v_fma_f32 v6, -v5, v21, v6
	s_delay_alu instid0(VALU_DEP_1) | instskip(NEXT) | instid1(VALU_DEP_1)
	v_fma_f32 v6, -v10, v22, v6
	v_fma_f32 v6, -v8, v23, v6
	s_delay_alu instid0(VALU_DEP_1) | instskip(SKIP_1) | instid1(VALU_DEP_1)
	v_mul_f32_e32 v6, v6, v24
	v_fma_f32 v1, -v5, v29, v1
	v_fma_f32 v1, -v10, v30, v1
	s_delay_alu instid0(VALU_DEP_1) | instskip(NEXT) | instid1(VALU_DEP_1)
	v_fma_f32 v12, -v8, v31, v1
	v_fma_f32 v12, -v6, v32, v12
	s_delay_alu instid0(VALU_DEP_1) | instskip(SKIP_3) | instid1(VALU_DEP_3)
	v_mul_f32_e32 v12, v12, v80
	v_fma_f32 v4, -v81, v34, v4
	v_fma_f32 v3, -v81, v50, v9
	;; [unrolled: 1-line block ×4, first 2 shown]
	s_delay_alu instid0(VALU_DEP_3) | instskip(NEXT) | instid1(VALU_DEP_3)
	v_fma_f32 v3, -v63, v51, v3
	v_fma_f32 v9, -v10, v46, v9
	s_delay_alu instid0(VALU_DEP_3) | instskip(NEXT) | instid1(VALU_DEP_3)
	v_fma_f32 v4, -v7, v36, v4
	v_fma_f32 v13, -v7, v52, v3
	;; [unrolled: 3-line block ×3, first 2 shown]
	s_waitcnt lgkmcnt(0)
	s_delay_alu instid0(VALU_DEP_3) | instskip(NEXT) | instid1(VALU_DEP_3)
	v_fma_f32 v13, -v5, v53, v13
	v_fma_f32 v9, -v6, v48, v9
	s_delay_alu instid0(VALU_DEP_3)
	v_fma_f32 v11, -v10, v38, v4
	ds_load_b128 v[1:4], v76 offset:560
	v_fma_f32 v13, -v10, v54, v13
	v_fma_f32 v9, -v12, v60, v9
	ds_store_2addr_b32 v75, v79, v81 offset0:144 offset1:156
	ds_store_2addr_b32 v75, v63, v7 offset0:168 offset1:180
	v_fma_f32 v11, -v8, v39, v11
	v_fma_f32 v13, -v8, v55, v13
	s_delay_alu instid0(VALU_DEP_2) | instskip(NEXT) | instid1(VALU_DEP_2)
	v_fma_f32 v11, -v6, v40, v11
	v_fma_f32 v13, -v6, v56, v13
	s_delay_alu instid0(VALU_DEP_2) | instskip(NEXT) | instid1(VALU_DEP_1)
	v_fma_f32 v11, -v12, v71, v11
	v_mul_f32_e32 v11, v11, v72
	s_waitcnt lgkmcnt(2)
	s_delay_alu instid0(VALU_DEP_3)
	v_fma_f32 v1, -v12, v1, v13
	ds_store_2addr_b32 v75, v5, v10 offset0:192 offset1:204
	ds_store_2addr_b32 v75, v8, v6 offset0:216 offset1:228
	ds_store_2addr_b32 v75, v12, v11 offset0:240 offset1:252
	v_fma_f32 v9, -v11, v61, v9
	v_fma_f32 v1, -v11, v2, v1
	s_delay_alu instid0(VALU_DEP_2) | instskip(NEXT) | instid1(VALU_DEP_1)
	v_mul_f32_e32 v9, v9, v62
	v_fma_f32 v1, -v9, v3, v1
	s_delay_alu instid0(VALU_DEP_1)
	v_mul_f32_e32 v1, v1, v4
	ds_store_2addr_b32 v77, v9, v1 offset0:8 offset1:20
	s_cmp_lt_i32 s4, s12
	s_cbranch_scc1 .LBB11_22
	s_branch .LBB11_42
.LBB11_21:
	s_mov_b32 s4, 0
	s_delay_alu instid0(SALU_CYCLE_1)
	s_cmp_lt_i32 s4, s12
	s_cbranch_scc0 .LBB11_42
.LBB11_22:
	s_add_i32 s10, s4, 7
	s_delay_alu instid0(SALU_CYCLE_1)
	s_cmp_ge_u32 s10, s12
	s_cbranch_scc1 .LBB11_31
; %bb.23:
	s_mul_i32 s10, s4, 12
	s_and_not1_b32 vcc_lo, exec_lo, s17
	v_add_lshl_u32 v10, s10, v0, 2
	s_add_i32 s11, s10, 0x54
	s_delay_alu instid0(SALU_CYCLE_1)
	v_add_lshl_u32 v7, s11, v0, 2
	ds_load_2addr_b32 v[5:6], v10 offset0:144 offset1:156
	ds_load_2addr_b32 v[3:4], v10 offset0:168 offset1:180
	;; [unrolled: 1-line block ×3, first 2 shown]
	ds_load_b32 v9, v10 offset:864
	ds_load_b32 v8, v7 offset:576
	s_cbranch_vccnz .LBB11_30
; %bb.24:
	s_max_u32 s18, s4, 1
	s_delay_alu instid0(SALU_CYCLE_1)
	s_cmp_eq_u32 s18, 1
	s_cbranch_scc1 .LBB11_27
; %bb.25:
	v_lshl_or_b32 v11, v0, 2, 0x240
	s_and_b32 s17, s18, 12
	s_mul_i32 s19, s4, 48
	s_mov_b32 s20, 0
.LBB11_26:                              ; =>This Inner Loop Header: Depth=1
	v_mov_b32_e32 v24, s19
	s_add_i32 s20, s20, 2
	s_add_i32 s19, s19, 8
	s_cmp_lg_u32 s17, s20
	ds_load_2addr_b32 v[28:29], v11 offset1:12
	ds_load_2addr_b64 v[12:15], v24 offset1:6
	ds_load_2addr_b64 v[16:19], v24 offset0:12 offset1:18
	ds_load_2addr_b64 v[20:23], v24 offset0:24 offset1:30
	;; [unrolled: 1-line block ×3, first 2 shown]
	v_add_nc_u32_e32 v11, 0x60, v11
	s_waitcnt lgkmcnt(3)
	v_fma_f32 v5, -v28, v12, v5
	v_fma_f32 v6, -v28, v14, v6
	s_waitcnt lgkmcnt(2)
	v_fma_f32 v3, -v28, v16, v3
	v_fma_f32 v4, -v28, v18, v4
	;; [unrolled: 3-line block ×4, first 2 shown]
	v_fma_f32 v5, -v29, v13, v5
	v_fma_f32 v6, -v29, v15, v6
	;; [unrolled: 1-line block ×8, first 2 shown]
	s_cbranch_scc1 .LBB11_26
	s_branch .LBB11_28
.LBB11_27:
	s_mov_b32 s17, 0
.LBB11_28:
	s_bitcmp0_b32 s18, 0
	s_cbranch_scc1 .LBB11_30
; %bb.29:
	s_add_i32 s18, s10, s17
	s_mul_i32 s19, s17, 12
	s_lshl_b32 s18, s18, 2
	s_add_i32 s17, s11, s17
	v_mov_b32_e32 v17, s18
	v_add_lshl_u32 v13, s19, v0, 2
	s_lshl_b32 s17, s17, 2
	ds_load_2addr_b32 v[11:12], v17 offset1:12
	ds_load_b32 v18, v13 offset:576
	v_mov_b32_e32 v19, s17
	ds_load_2addr_b32 v[13:14], v17 offset0:24 offset1:36
	ds_load_2addr_b32 v[15:16], v17 offset0:48 offset1:60
	ds_load_b32 v17, v17 offset:288
	ds_load_b32 v19, v19
	s_waitcnt lgkmcnt(4)
	v_fma_f32 v5, -v18, v11, v5
	v_fma_f32 v6, -v18, v12, v6
	s_waitcnt lgkmcnt(3)
	v_fma_f32 v3, -v18, v13, v3
	v_fma_f32 v4, -v18, v14, v4
	;; [unrolled: 3-line block ×3, first 2 shown]
	s_waitcnt lgkmcnt(1)
	v_fma_f32 v9, -v18, v17, v9
	s_waitcnt lgkmcnt(0)
	v_fma_f32 v8, -v18, v19, v8
.LBB11_30:
	s_mul_i32 s17, s4, 52
	s_add_i32 s18, s10, 12
	v_dual_mov_b32 v35, s17 :: v_dual_add_nc_u32 v10, 0x240, v10
	s_add_i32 s21, s18, s4
	s_add_i32 s17, s10, 24
	s_lshl_b32 s21, s21, 2
	s_add_i32 s19, s10, 36
	ds_load_2addr_b32 v[33:34], v35 offset1:52
	v_mov_b32_e32 v11, s21
	s_add_i32 s21, s17, s4
	s_add_i32 s20, s10, 48
	;; [unrolled: 1-line block ×3, first 2 shown]
	s_lshl_b32 s21, s21, 2
	ds_load_b64 v[26:27], v11
	s_add_i32 s22, s10, 60
	s_or_b32 s24, s20, s4
	v_mov_b32_e32 v11, s21
	s_lshl_b32 s21, s23, 2
	s_lshl_b32 s23, s24, 2
	v_mov_b32_e32 v12, s21
	s_add_i32 s21, s22, s4
	s_addk_i32 s10, 0x48
	s_lshl_b32 s21, s21, 2
	s_add_i32 s11, s11, s4
	s_delay_alu instid0(SALU_CYCLE_1) | instskip(SKIP_4) | instid1(VALU_DEP_2)
	s_lshl_b32 s11, s11, 2
	s_waitcnt lgkmcnt(1)
	v_mul_f32_e32 v33, v5, v33
	v_mov_b32_e32 v5, s21
	s_waitcnt lgkmcnt(0)
	v_fma_f32 v6, -v33, v26, v6
	v_mov_b32_e32 v15, s23
	s_add_i32 s23, s10, s4
	s_add_i32 s4, s4, 8
	s_lshl_b32 s21, s23, 2
	v_mul_f32_e32 v6, v6, v27
	v_mov_b32_e32 v36, s21
	ds_load_b96 v[30:32], v11
	ds_load_b128 v[11:14], v12
	ds_load_b128 v[15:18], v15
	ds_load_b128 v[23:26], v36
	s_waitcnt lgkmcnt(3)
	v_fma_f32 v3, -v33, v30, v3
	s_waitcnt lgkmcnt(2)
	v_fma_f32 v4, -v33, v11, v4
	s_waitcnt lgkmcnt(1)
	v_fma_f32 v1, -v33, v15, v1
	v_fma_f32 v3, -v6, v31, v3
	s_delay_alu instid0(VALU_DEP_3) | instskip(NEXT) | instid1(VALU_DEP_3)
	v_fma_f32 v11, -v6, v12, v4
	v_fma_f32 v1, -v6, v16, v1
	s_delay_alu instid0(VALU_DEP_3) | instskip(NEXT) | instid1(VALU_DEP_1)
	v_mul_f32_e32 v15, v3, v32
	v_fma_f32 v3, -v15, v13, v11
	s_delay_alu instid0(VALU_DEP_3) | instskip(SKIP_4) | instid1(VALU_DEP_2)
	v_fma_f32 v16, -v15, v17, v1
	ds_load_b64 v[11:12], v36 offset:16
	v_mul_f32_e32 v14, v3, v14
	s_waitcnt lgkmcnt(1)
	v_fma_f32 v9, -v33, v23, v9
	v_fma_f32 v16, -v14, v18, v16
	s_delay_alu instid0(VALU_DEP_1)
	v_mul_f32_e32 v16, v16, v34
	ds_load_b128 v[19:22], v5
	ds_load_b64 v[4:5], v5 offset:16
	s_waitcnt lgkmcnt(1)
	v_fma_f32 v2, -v33, v19, v2
	v_fma_f32 v19, -v6, v24, v9
	s_delay_alu instid0(VALU_DEP_2) | instskip(NEXT) | instid1(VALU_DEP_2)
	v_fma_f32 v13, -v6, v20, v2
	v_fma_f32 v18, -v15, v25, v19
	s_delay_alu instid0(VALU_DEP_2) | instskip(NEXT) | instid1(VALU_DEP_2)
	;; [unrolled: 3-line block ×3, first 2 shown]
	v_fma_f32 v13, -v14, v22, v13
	v_fma_f32 v11, -v16, v11, v18
	s_waitcnt lgkmcnt(0)
	s_delay_alu instid0(VALU_DEP_2) | instskip(NEXT) | instid1(VALU_DEP_1)
	v_fma_f32 v4, -v16, v4, v13
	v_dual_mov_b32 v37, s11 :: v_dual_mul_f32 v4, v4, v5
	ds_load_b128 v[27:30], v37
	ds_load_b96 v[1:3], v37 offset:16
	v_fma_f32 v5, -v4, v12, v11
	v_add_lshl_u32 v11, s20, v0, 2
	v_add_lshl_u32 v12, s22, v0, 2
	s_waitcnt lgkmcnt(1)
	v_fma_f32 v17, -v33, v27, v8
	ds_load_2addr_b32 v[8:9], v35 offset0:78 offset1:91
	v_fma_f32 v17, -v6, v28, v17
	s_delay_alu instid0(VALU_DEP_1) | instskip(NEXT) | instid1(VALU_DEP_1)
	v_fma_f32 v17, -v15, v29, v17
	v_fma_f32 v13, -v14, v30, v17
	s_waitcnt lgkmcnt(1)
	s_delay_alu instid0(VALU_DEP_1) | instskip(SKIP_1) | instid1(VALU_DEP_2)
	v_fma_f32 v1, -v16, v1, v13
	v_add_lshl_u32 v13, s10, v0, 2
	v_fma_f32 v1, -v4, v2, v1
	s_waitcnt lgkmcnt(0)
	v_mul_f32_e32 v2, v5, v8
	v_add_lshl_u32 v5, s18, v0, 2
	v_add_lshl_u32 v8, s17, v0, 2
	s_delay_alu instid0(VALU_DEP_3)
	v_fma_f32 v1, -v2, v3, v1
	v_add_lshl_u32 v3, s19, v0, 2
	ds_store_b32 v10, v33
	ds_store_b32 v5, v6 offset:576
	ds_store_b32 v8, v15 offset:576
	;; [unrolled: 1-line block ×6, first 2 shown]
	v_mul_f32_e32 v1, v1, v9
	ds_store_b32 v7, v1 offset:576
.LBB11_31:
	s_cmp_ge_i32 s4, s12
	s_cbranch_scc1 .LBB11_42
; %bb.32:
	v_lshl_or_b32 v1, v0, 2, 0x240
	s_add_i32 s10, s4, -1
	s_mul_i32 s11, s4, 48
	s_mov_b32 s17, 0
	s_mov_b32 s18, s4
	s_branch .LBB11_34
.LBB11_33:                              ;   in Loop: Header=BB11_34 Depth=1
	s_mul_i32 s19, s4, 52
	s_delay_alu instid0(SALU_CYCLE_1)
	v_dual_mov_b32 v3, s19 :: v_dual_add_nc_u32 v2, 0x240, v4
	v_add_nc_u16 v4, s18, 1
	s_add_i32 s4, s4, 1
	s_add_i32 s17, s17, 1
	;; [unrolled: 1-line block ×3, first 2 shown]
	ds_load_b32 v3, v3
	v_readfirstlane_b32 s18, v4
	s_cmp_ge_i32 s4, s12
	s_waitcnt lgkmcnt(0)
	v_mul_f32_e32 v3, v5, v3
	ds_store_b32 v2, v3
	s_cbranch_scc1 .LBB11_42
.LBB11_34:                              ; =>This Loop Header: Depth=1
                                        ;     Child Loop BB11_37 Depth 2
                                        ;     Child Loop BB11_41 Depth 2
	s_mul_i32 s19, s4, 12
	s_cmp_eq_u32 s4, 0
	v_add_lshl_u32 v4, s19, v0, 2
	ds_load_b32 v5, v4 offset:576
	s_cbranch_scc1 .LBB11_33
; %bb.35:                               ;   in Loop: Header=BB11_34 Depth=1
	s_add_i32 s19, s10, s17
	s_delay_alu instid0(SALU_CYCLE_1)
	s_cmp_lt_u32 s19, 7
	s_cbranch_scc1 .LBB11_39
; %bb.36:                               ;   in Loop: Header=BB11_34 Depth=1
	v_mov_b32_e32 v2, v1
	s_and_b32 s19, s4, -8
	s_mov_b32 s20, 0
	s_mov_b32 s21, s11
	s_set_inst_prefetch_distance 0x1
	.p2align	6
.LBB11_37:                              ;   Parent Loop BB11_34 Depth=1
                                        ; =>  This Inner Loop Header: Depth=2
	v_mov_b32_e32 v3, s21
	s_add_i32 s20, s20, 8
	s_add_i32 s21, s21, 32
	s_cmp_lg_u32 s19, s20
	ds_load_2addr_b32 v[14:15], v2 offset1:12
	ds_load_b128 v[6:9], v3
	ds_load_2addr_b32 v[16:17], v2 offset0:24 offset1:36
	ds_load_2addr_b32 v[18:19], v2 offset0:48 offset1:60
	ds_load_b128 v[10:13], v3 offset:16
	s_waitcnt lgkmcnt(3)
	v_fma_f32 v3, -v14, v6, v5
	ds_load_2addr_b32 v[5:6], v2 offset0:72 offset1:84
	v_add_nc_u32_e32 v2, 0x180, v2
	v_fma_f32 v3, -v15, v7, v3
	s_waitcnt lgkmcnt(3)
	s_delay_alu instid0(VALU_DEP_1) | instskip(NEXT) | instid1(VALU_DEP_1)
	v_fma_f32 v3, -v16, v8, v3
	v_fma_f32 v3, -v17, v9, v3
	s_waitcnt lgkmcnt(1)
	s_delay_alu instid0(VALU_DEP_1) | instskip(NEXT) | instid1(VALU_DEP_1)
	v_fma_f32 v3, -v18, v10, v3
	;; [unrolled: 4-line block ×3, first 2 shown]
	v_fma_f32 v5, -v6, v13, v3
	s_cbranch_scc1 .LBB11_37
; %bb.38:                               ;   in Loop: Header=BB11_34 Depth=1
	s_set_inst_prefetch_distance 0x2
	s_and_b32 s20, s4, 7
	s_delay_alu instid0(SALU_CYCLE_1)
	s_cmp_eq_u32 s20, 0
	s_cbranch_scc0 .LBB11_40
	s_branch .LBB11_33
.LBB11_39:                              ;   in Loop: Header=BB11_34 Depth=1
	s_mov_b32 s19, 0
	s_and_b32 s20, s4, 7
	s_delay_alu instid0(SALU_CYCLE_1)
	s_cmp_eq_u32 s20, 0
	s_cbranch_scc1 .LBB11_33
.LBB11_40:                              ;   in Loop: Header=BB11_34 Depth=1
	v_mad_u64_u32 v[2:3], null, s19, 48, v[1:2]
	s_and_b32 s20, s18, 7
	s_lshl_b32 s19, s19, 2
.LBB11_41:                              ;   Parent Loop BB11_34 Depth=1
                                        ; =>  This Inner Loop Header: Depth=2
	s_delay_alu instid0(SALU_CYCLE_1)
	s_add_i32 s21, s11, s19
	s_add_i32 s20, s20, -1
	v_mov_b32_e32 v3, s21
	s_add_i32 s19, s19, 4
	s_cmp_lg_u32 s20, 0
	ds_load_b32 v6, v2
	ds_load_b32 v3, v3
	v_add_nc_u32_e32 v2, 48, v2
	s_waitcnt lgkmcnt(0)
	v_fma_f32 v5, -v6, v3, v5
	s_cbranch_scc1 .LBB11_41
	s_branch .LBB11_33
.LBB11_42:
	s_mov_b32 s4, 0
.LBB11_43:
	s_delay_alu instid0(SALU_CYCLE_1)
	s_and_b32 vcc_lo, exec_lo, s4
	s_cbranch_vccz .LBB11_65
; %bb.44:
	s_cmp_gt_i32 s6, 11
	s_cbranch_scc0 .LBB11_46
; %bb.45:
	s_mul_i32 s4, s15, 12
	s_mul_i32 s26, s12, 12
	v_add_lshl_u32 v1, s4, v0, 2
	s_add_i32 s4, s26, -12
	s_sub_i32 s21, s26, 24
	s_add_i32 s17, s12, s4
	s_mul_i32 s23, s15, 52
	s_sub_i32 s19, s26, 36
	v_add_lshl_u32 v18, s21, v0, 2
	s_lshl_b32 s17, s17, 2
	s_sub_i32 s22, s23, 52
	s_add_i32 s24, s12, -4
	v_add_lshl_u32 v19, s19, v0, 2
	s_add_i32 s17, s17, -8
	v_mov_b32_e32 v3, s22
	s_add_i32 s22, s24, s4
	ds_load_b32 v7, v1 offset:576
	ds_load_b32 v9, v18 offset:576
	;; [unrolled: 1-line block ×3, first 2 shown]
	s_lshl_b32 s22, s22, 2
	s_delay_alu instid0(SALU_CYCLE_1)
	v_dual_mov_b32 v1, s17 :: v_dual_mov_b32 v4, s22
	s_add_i32 s25, s24, s21
	s_add_i32 s24, s24, s19
	s_lshl_b32 s25, s25, 2
	ds_load_2addr_b32 v[1:2], v1 offset1:1
	s_lshl_b32 s22, s24, 2
	s_sub_i32 s11, s26, 48
	v_mov_b32_e32 v8, s22
	ds_load_b32 v11, v3
	s_add_i32 s22, s23, 0xffffff64
	v_mov_b32_e32 v5, s25
	s_sub_i32 s10, s26, 60
	v_add_lshl_u32 v20, s11, v0, 2
	s_add_i32 s20, s26, 0xffffffb8
	v_add_lshl_u32 v21, s10, v0, 2
	s_add_i32 s18, s26, 0xffffffac
	;; [unrolled: 2-line block ×3, first 2 shown]
	v_add_lshl_u32 v23, s18, v0, 2
	v_add_lshl_u32 v24, s17, v0, 2
	s_add_i32 s25, s12, -6
	s_add_i32 s24, s26, 0xffffff94
	s_add_i32 s28, s25, s21
	;; [unrolled: 1-line block ×3, first 2 shown]
	s_waitcnt lgkmcnt(1)
	v_dual_mul_f32 v27, v7, v2 :: v_dual_mov_b32 v2, s22
	ds_load_2addr_b32 v[3:4], v4 offset1:1
	ds_load_2addr_b32 v[5:6], v5 offset1:1
	ds_load_b32 v12, v20 offset:576
	ds_load_b32 v13, v21 offset:576
	;; [unrolled: 1-line block ×5, first 2 shown]
	ds_load_2addr_b32 v[7:8], v8 offset1:1
	v_fma_f32 v1, -v27, v1, v9
	ds_load_b32 v15, v2
	s_lshl_b32 s28, s28, 2
	s_lshl_b32 s27, s27, 2
	s_add_i32 s22, s26, 0xffffff88
	s_waitcnt lgkmcnt(9)
	v_mul_f32_e32 v28, v1, v11
	v_add_lshl_u32 v29, s24, v0, 2
	v_add_lshl_u32 v30, s22, v0, 2
	s_waitcnt lgkmcnt(8)
	v_fma_f32 v1, -v27, v4, v10
	v_mov_b32_e32 v4, s28
	s_add_i32 s28, s25, s11
	s_waitcnt lgkmcnt(6)
	v_fma_f32 v2, -v27, v3, v12
	s_lshl_b32 s28, s28, 2
	v_fma_f32 v1, -v28, v6, v1
	s_delay_alu instid0(VALU_DEP_2) | instskip(SKIP_1) | instid1(VALU_DEP_2)
	v_fma_f32 v3, -v28, v5, v2
	s_waitcnt lgkmcnt(1)
	v_mul_f32_e32 v31, v1, v8
	v_dual_mov_b32 v1, s27 :: v_dual_mov_b32 v8, s28
	s_add_i32 s27, s25, s19
	s_add_i32 s25, s25, s10
	s_lshl_b32 s27, s27, 2
	s_lshl_b32 s25, s25, 2
	v_mov_b32_e32 v5, s27
	s_add_i32 s27, s12, -8
	ds_load_2addr_b32 v[1:2], v1 offset1:1
	s_add_i32 s28, s27, s21
	v_fma_f32 v16, -v31, v7, v3
	s_lshl_b32 s28, s28, 2
	s_delay_alu instid0(SALU_CYCLE_1) | instskip(SKIP_4) | instid1(SALU_CYCLE_1)
	v_dual_mov_b32 v9, s25 :: v_dual_mov_b32 v14, s28
	s_add_i32 s25, s23, 0xfffffefc
	s_waitcnt lgkmcnt(1)
	v_dual_mul_f32 v34, v16, v15 :: v_dual_mov_b32 v11, s25
	s_add_i32 s25, s27, s4
	s_lshl_b32 s25, s25, 2
	s_delay_alu instid0(SALU_CYCLE_1)
	v_mov_b32_e32 v12, s25
	ds_load_2addr_b32 v[3:4], v4 offset1:1
	ds_load_2addr_b32 v[5:6], v5 offset1:1
	ds_load_2addr_b32 v[7:8], v8 offset1:1
	ds_load_2addr_b32 v[9:10], v9 offset1:1
	ds_load_b32 v32, v11
	ds_load_2addr_b32 v[11:12], v12 offset1:1
	s_add_i32 s25, s27, s19
	s_delay_alu instid0(SALU_CYCLE_1)
	s_lshl_b32 s25, s25, 2
	s_waitcnt lgkmcnt(6)
	v_fma_f32 v2, -v27, v2, v13
	ds_load_2addr_b32 v[13:14], v14 offset1:1
	v_mov_b32_e32 v33, s25
	s_add_i32 s25, s27, s11
	v_fma_f32 v17, -v27, v1, v17
	s_lshl_b32 s25, s25, 2
	s_waitcnt lgkmcnt(6)
	v_fma_f32 v2, -v28, v4, v2
	v_mov_b32_e32 v4, s25
	ds_load_2addr_b32 v[15:16], v33 offset1:1
	s_add_i32 s25, s27, s10
	v_fma_f32 v17, -v28, v3, v17
	s_lshl_b32 s25, s25, 2
	s_waitcnt lgkmcnt(6)
	v_fma_f32 v6, -v31, v6, v2
	ds_load_2addr_b32 v[1:2], v4 offset1:1
	v_mov_b32_e32 v4, s25
	s_add_i32 s25, s27, s20
	s_waitcnt lgkmcnt(3)
	v_fma_f32 v12, -v27, v12, v25
	s_lshl_b32 s25, s25, 2
	v_fma_f32 v8, -v34, v8, v6
	v_mov_b32_e32 v25, s25
	ds_load_2addr_b32 v[3:4], v4 offset1:1
	v_fma_f32 v17, -v31, v5, v17
	s_waitcnt lgkmcnt(3)
	v_fma_f32 v12, -v28, v14, v12
	s_add_i32 s25, s26, 0xffffff7c
	ds_load_2addr_b32 v[5:6], v25 offset1:1
	v_mul_f32_e32 v25, v8, v10
	v_fma_f32 v7, -v34, v7, v17
	s_addk_i32 s26, 0xff70
	s_waitcnt lgkmcnt(3)
	v_fma_f32 v8, -v31, v16, v12
	v_add_lshl_u32 v35, s26, v0, 2
	s_add_i32 s26, s23, 0xfffffec8
	v_fma_f32 v7, -v25, v9, v7
	v_add_lshl_u32 v33, s25, v0, 2
	s_waitcnt lgkmcnt(2)
	v_fma_f32 v2, -v34, v2, v8
	v_fma_f32 v8, -v27, v11, v26
	s_add_i32 s27, s27, s18
	v_dual_mul_f32 v32, v7, v32 :: v_dual_mov_b32 v7, s26
	s_add_i32 s26, s12, -10
	ds_load_b32 v12, v29 offset:576
	ds_load_b32 v16, v30 offset:576
	;; [unrolled: 1-line block ×4, first 2 shown]
	s_waitcnt lgkmcnt(5)
	v_fma_f32 v2, -v25, v4, v2
	v_fma_f32 v4, -v28, v13, v8
	s_add_i32 s28, s26, s4
	s_lshl_b32 s27, s27, 2
	s_lshl_b32 s28, s28, 2
	s_waitcnt lgkmcnt(4)
	v_fma_f32 v36, -v32, v6, v2
	v_mov_b32_e32 v6, s28
	v_fma_f32 v2, -v31, v15, v4
	s_add_i32 s28, s26, s21
	ds_load_b32 v4, v7
	s_lshl_b32 s28, s28, 2
	s_delay_alu instid0(SALU_CYCLE_1)
	v_dual_mov_b32 v8, s27 :: v_dual_mov_b32 v7, s28
	s_add_i32 s28, s26, s19
	v_fma_f32 v37, -v34, v1, v2
	ds_load_2addr_b32 v[1:2], v6 offset1:1
	s_lshl_b32 s27, s28, 2
	s_add_i32 s28, s26, s11
	v_mov_b32_e32 v9, s27
	s_lshl_b32 s27, s28, 2
	ds_load_2addr_b32 v[6:7], v7 offset1:1
	ds_load_b32 v38, v8
	v_mov_b32_e32 v10, s27
	s_add_i32 s27, s26, s10
	s_add_i32 s28, s23, 0xfffffe94
	s_lshl_b32 s27, s27, 2
	v_mov_b32_e32 v14, s28
	ds_load_2addr_b32 v[10:11], v10 offset1:1
	ds_load_2addr_b32 v[8:9], v9 offset1:1
	v_mov_b32_e32 v13, s27
	s_add_i32 s27, s26, s20
	s_waitcnt lgkmcnt(5)
	v_mul_f32_e32 v36, v36, v4
	s_lshl_b32 s27, s27, 2
	s_delay_alu instid0(SALU_CYCLE_1)
	v_mov_b32_e32 v15, s27
	s_waitcnt lgkmcnt(4)
	v_fma_f32 v2, -v27, v2, v12
	ds_load_2addr_b32 v[12:13], v13 offset1:1
	ds_load_b32 v39, v14
	s_add_i32 s27, s26, s18
	v_fma_f32 v1, -v27, v1, v16
	s_lshl_b32 s27, s27, 2
	s_waitcnt lgkmcnt(5)
	v_fma_f32 v2, -v28, v7, v2
	ds_load_2addr_b32 v[14:15], v15 offset1:1
	v_mov_b32_e32 v4, s27
	v_fma_f32 v7, -v25, v3, v37
	s_add_i32 s27, s26, s17
	v_fma_f32 v1, -v28, v6, v1
	s_lshl_b32 s27, s27, 2
	s_add_i32 s26, s26, s24
	s_waitcnt lgkmcnt(3)
	v_fma_f32 v9, -v31, v9, v2
	ds_load_2addr_b32 v[2:3], v4 offset1:1
	v_fma_f32 v4, -v32, v5, v7
	v_mov_b32_e32 v5, s27
	s_add_i32 s27, s12, -12
	v_fma_f32 v7, -v34, v11, v9
	v_fma_f32 v1, -v31, v8, v1
	;; [unrolled: 1-line block ×3, first 2 shown]
	s_add_i32 s28, s27, s4
	ds_load_2addr_b32 v[4:5], v5 offset1:1
	s_waitcnt lgkmcnt(4)
	v_fma_f32 v7, -v25, v13, v7
	s_lshl_b32 s28, s28, 2
	s_waitcnt lgkmcnt(3)
	v_dual_mul_f32 v37, v9, v39 :: v_dual_mov_b32 v6, s28
	v_fma_f32 v1, -v34, v10, v1
	s_waitcnt lgkmcnt(2)
	v_fma_f32 v7, -v32, v15, v7
	s_add_i32 s21, s27, s21
	s_add_i32 s19, s27, s19
	s_lshl_b32 s21, s21, 2
	v_fma_f32 v1, -v25, v12, v1
	v_mov_b32_e32 v9, s21
	s_waitcnt lgkmcnt(1)
	v_fma_f32 v3, -v36, v3, v7
	ds_load_2addr_b32 v[6:7], v6 offset1:1
	s_lshl_b32 s19, s19, 2
	s_add_i32 s10, s27, s10
	ds_load_2addr_b32 v[8:9], v9 offset1:1
	v_fma_f32 v1, -v32, v14, v1
	s_lshl_b32 s10, s10, 2
	v_mov_b32_e32 v11, s19
	s_add_i32 s11, s27, s11
	s_add_i32 s21, s23, 0xfffffe60
	v_fma_f32 v40, -v36, v2, v1
	v_mov_b32_e32 v2, s10
	ds_load_2addr_b32 v[10:11], v11 offset1:1
	s_lshl_b32 s11, s11, 2
	s_waitcnt lgkmcnt(3)
	v_fma_f32 v38, -v37, v5, v3
	v_mov_b32_e32 v3, s21
	v_mov_b32_e32 v5, s11
	ds_load_b32 v39, v3
	ds_load_2addr_b32 v[12:13], v5 offset1:1
	s_waitcnt lgkmcnt(4)
	v_fma_f32 v3, -v27, v7, v17
	s_lshl_b32 s11, s26, 2
	s_add_i32 s10, s27, s20
	v_mov_b32_e32 v14, s11
	s_add_i32 s11, s23, 0xfffffe2c
	s_waitcnt lgkmcnt(3)
	v_fma_f32 v1, -v28, v9, v3
	s_lshl_b32 s10, s10, 2
	v_mov_b32_e32 v3, s11
	v_mov_b32_e32 v7, s10
	s_add_i32 s11, s27, s18
	ds_load_b32 v41, v14
	s_waitcnt lgkmcnt(3)
	v_fma_f32 v5, -v31, v11, v1
	ds_load_2addr_b32 v[1:2], v2 offset1:1
	s_lshl_b32 s10, s11, 2
	s_add_i32 s11, s27, s17
	v_mov_b32_e32 v9, s10
	s_lshl_b32 s10, s11, 2
	ds_load_2addr_b32 v[14:15], v7 offset1:1
	ds_load_b32 v11, v3
	v_fma_f32 v3, -v27, v6, v26
	v_mov_b32_e32 v7, s10
	s_waitcnt lgkmcnt(4)
	v_fma_f32 v13, -v34, v13, v5
	ds_load_2addr_b32 v[5:6], v9 offset1:1
	ds_load_2addr_b32 v[16:17], v7 offset1:1
	v_fma_f32 v3, -v28, v8, v3
	s_add_i32 s10, s27, s24
	s_add_i32 s11, s27, s22
	s_lshl_b32 s10, s10, 2
	v_fma_f32 v4, -v37, v4, v40
	v_mov_b32_e32 v7, s10
	v_fma_f32 v8, -v31, v10, v3
	s_lshl_b32 s10, s11, 2
	s_waitcnt lgkmcnt(4)
	v_fma_f32 v9, -v25, v2, v13
	v_mov_b32_e32 v10, s10
	ds_load_2addr_b32 v[2:3], v7 offset1:1
	v_fma_f32 v12, -v34, v12, v8
	s_add_i32 s10, s27, s25
	s_waitcnt lgkmcnt(4)
	v_fma_f32 v9, -v32, v15, v9
	s_lshl_b32 s10, s10, 2
	ds_load_2addr_b32 v[7:8], v10 offset1:1
	v_mov_b32_e32 v13, s10
	v_fma_f32 v1, -v25, v1, v12
	v_mul_f32_e32 v12, v38, v39
	s_waitcnt lgkmcnt(3)
	v_fma_f32 v6, -v36, v6, v9
	s_mul_i32 s10, s27, 52
	ds_load_2addr_b32 v[9:10], v13 offset1:1
	v_fma_f32 v1, -v32, v14, v1
	v_fma_f32 v4, -v12, v41, v4
	v_mov_b32_e32 v13, s10
	s_waitcnt lgkmcnt(3)
	v_fma_f32 v6, -v37, v17, v6
	v_fma_f32 v1, -v36, v5, v1
	v_mul_f32_e32 v4, v4, v11
	ds_load_b32 v5, v13
	s_waitcnt lgkmcnt(3)
	v_fma_f32 v3, -v12, v3, v6
	v_fma_f32 v1, -v37, v16, v1
	s_waitcnt lgkmcnt(2)
	s_delay_alu instid0(VALU_DEP_2) | instskip(NEXT) | instid1(VALU_DEP_2)
	v_fma_f32 v3, -v4, v8, v3
	v_fma_f32 v1, -v12, v2, v1
	v_add_lshl_u32 v2, s4, v0, 2
	s_add_i32 s4, s12, -13
	s_waitcnt lgkmcnt(1)
	v_mul_f32_e32 v3, v3, v10
	v_fma_f32 v1, -v4, v7, v1
	ds_store_b32 v2, v27 offset:576
	ds_store_b32 v18, v28 offset:576
	;; [unrolled: 1-line block ×10, first 2 shown]
	v_fma_f32 v1, -v3, v9, v1
	s_waitcnt lgkmcnt(10)
	s_delay_alu instid0(VALU_DEP_1)
	v_mul_f32_e32 v1, v1, v5
	ds_store_b32 v33, v3 offset:576
	ds_store_b32 v35, v1 offset:576
	s_cmp_gt_i32 s4, -1
	s_cbranch_scc1 .LBB11_47
	s_branch .LBB11_65
.LBB11_46:
	s_mov_b32 s4, s15
	s_delay_alu instid0(SALU_CYCLE_1)
	s_cmp_gt_i32 s4, -1
	s_cbranch_scc0 .LBB11_65
.LBB11_47:
	s_cmp_lt_u32 s4, 7
	s_cbranch_scc1 .LBB11_52
; %bb.48:
	s_mul_i32 s11, s4, 12
	s_delay_alu instid0(SALU_CYCLE_1)
	v_add_lshl_u32 v11, s11, v0, 2
	s_add_i32 s10, s11, -12
	s_cmp_le_i32 s15, s4
	v_add_lshl_u32 v12, s10, v0, 2
	ds_load_2addr_b32 v[5:6], v11 offset0:108 offset1:120
	ds_load_2addr_b32 v[3:4], v11 offset0:84 offset1:96
	;; [unrolled: 1-line block ×3, first 2 shown]
	ds_load_b32 v10, v11 offset:576
	ds_load_b32 v9, v12 offset:576
	s_waitcnt lgkmcnt(3)
	v_dual_mov_b32 v8, v6 :: v_dual_mov_b32 v7, v4
	s_cbranch_scc1 .LBB11_51
; %bb.49:
	v_lshlrev_b32_e32 v4, 2, v0
	s_mul_i32 s17, s12, 48
	s_lshl_b32 s18, s4, 2
	s_delay_alu instid0(SALU_CYCLE_1) | instskip(NEXT) | instid1(VALU_DEP_1)
	s_add_i32 s18, s17, s18
	v_add3_u32 v4, s17, v4, 0x210
	s_add_i32 s17, s18, 0xffffffb4
	s_mov_b32 s18, s15
	.p2align	6
.LBB11_50:                              ; =>This Inner Loop Header: Depth=1
	v_mov_b32_e32 v6, s17
	s_add_i32 s18, s18, -1
	s_sub_i32 s17, s17, 48
	s_cmp_gt_i32 s18, s4
	ds_load_b32 v21, v4
	ds_load_2addr_b32 v[13:14], v6 offset0:6 offset1:7
	ds_load_2addr_b32 v[15:16], v6 offset0:4 offset1:5
	;; [unrolled: 1-line block ×3, first 2 shown]
	ds_load_2addr_b32 v[19:20], v6 offset1:1
	v_subrev_nc_u32_e32 v4, 48, v4
	s_waitcnt lgkmcnt(3)
	v_fma_f32 v10, -v21, v14, v10
	v_fma_f32 v9, -v21, v13, v9
	s_waitcnt lgkmcnt(2)
	v_fma_f32 v8, -v21, v16, v8
	v_fma_f32 v5, -v21, v15, v5
	;; [unrolled: 3-line block ×4, first 2 shown]
	s_cbranch_scc1 .LBB11_50
.LBB11_51:
	s_mul_i32 s17, s4, 52
	s_add_i32 s18, s4, -3
	s_add_i32 s19, s17, -4
	s_delay_alu instid0(SALU_CYCLE_1) | instskip(SKIP_1) | instid1(SALU_CYCLE_1)
	v_dual_mov_b32 v11, s19 :: v_dual_add_nc_u32 v4, 0x240, v11
	s_sub_i32 s21, s17, 52
	v_dual_mov_b32 v13, s21 :: v_dual_add_nc_u32 v6, 0x240, v12
	s_add_i32 s22, s18, s11
	ds_load_2addr_b32 v[11:12], v11 offset1:1
	s_lshl_b32 s22, s22, 2
	s_add_i32 s23, s18, s10
	v_mov_b32_e32 v14, s22
	s_lshl_b32 s22, s23, 2
	s_add_i32 s19, s4, -5
	v_mov_b32_e32 v15, s22
	ds_load_b32 v23, v13
	ds_load_2addr_b32 v[13:14], v14 offset1:1
	s_add_i32 s24, s19, s11
	s_add_i32 s20, s10, -12
	s_lshl_b32 s22, s24, 2
	ds_load_2addr_b32 v[15:16], v15 offset1:1
	v_mov_b32_e32 v17, s22
	s_add_i32 s18, s18, s20
	s_add_i32 s23, s19, s20
	s_lshl_b32 s18, s18, 2
	s_lshl_b32 s23, s23, 2
	v_mov_b32_e32 v19, s18
	s_add_i32 s18, s17, 0xffffff64
	s_add_i32 s21, s19, s10
	s_waitcnt lgkmcnt(3)
	v_mul_f32_e32 v24, v10, v12
	v_mov_b32_e32 v10, s18
	s_lshl_b32 s21, s21, 2
	ds_load_2addr_b32 v[17:18], v17 offset1:1
	ds_load_2addr_b32 v[19:20], v19 offset1:1
	v_fma_f32 v9, -v24, v11, v9
	ds_load_b32 v25, v10
	s_waitcnt lgkmcnt(4)
	v_fma_f32 v8, -v24, v14, v8
	s_sub_i32 s18, s10, 24
	s_add_i32 s22, s4, -7
	v_mul_f32_e32 v23, v9, v23
	s_add_i32 s24, s19, s18
	v_fma_f32 v5, -v24, v13, v5
	s_add_i32 s11, s22, s11
	s_lshl_b32 s24, s24, 2
	s_waitcnt lgkmcnt(3)
	v_fma_f32 v8, -v23, v16, v8
	v_mov_b32_e32 v21, s21
	s_sub_i32 s21, s10, 36
	s_lshl_b32 s11, s11, 2
	s_add_i32 s19, s19, s21
	v_mov_b32_e32 v13, s11
	ds_load_2addr_b32 v[21:22], v21 offset1:1
	s_lshl_b32 s19, s19, 2
	s_waitcnt lgkmcnt(3)
	v_fma_f32 v7, -v24, v18, v7
	s_waitcnt lgkmcnt(2)
	v_mul_f32_e32 v26, v8, v20
	v_dual_mov_b32 v8, s23 :: v_dual_mov_b32 v11, s19
	s_add_i32 s19, s22, s10
	v_fma_f32 v5, -v23, v15, v5
	s_lshl_b32 s11, s19, 2
	s_add_i32 s19, s22, s20
	v_mov_b32_e32 v15, s11
	s_add_i32 s11, s17, 0xfffffefc
	v_fma_f32 v5, -v26, v19, v5
	v_mov_b32_e32 v19, s11
	s_lshl_b32 s11, s19, 2
	s_delay_alu instid0(SALU_CYCLE_1)
	v_dual_mov_b32 v9, s24 :: v_dual_mov_b32 v20, s11
	v_fma_f32 v3, -v24, v17, v3
	s_add_i32 s11, s22, s18
	s_sub_i32 s19, s10, 48
	s_waitcnt lgkmcnt(0)
	v_fma_f32 v18, -v23, v22, v7
	ds_load_2addr_b32 v[7:8], v8 offset1:1
	ds_load_2addr_b32 v[9:10], v9 offset1:1
	;; [unrolled: 1-line block ×5, first 2 shown]
	ds_load_b32 v22, v19
	s_lshl_b32 s11, s11, 2
	v_mul_f32_e32 v5, v5, v25
	v_mov_b32_e32 v17, s11
	v_fma_f32 v3, -v23, v21, v3
	s_add_i32 s11, s22, s21
	s_sub_i32 s10, s10, 60
	s_lshl_b32 s11, s11, 2
	s_add_i32 s4, s4, -8
	s_waitcnt lgkmcnt(5)
	v_fma_f32 v8, -v26, v8, v18
	ds_load_2addr_b32 v[18:19], v20 offset1:1
	s_waitcnt lgkmcnt(3)
	v_fma_f32 v2, -v24, v14, v2
	ds_load_2addr_b32 v[20:21], v17 offset1:1
	v_fma_f32 v3, -v26, v7, v3
	v_fma_f32 v8, -v5, v10, v8
	v_mov_b32_e32 v7, s11
	s_waitcnt lgkmcnt(3)
	v_fma_f32 v2, -v23, v16, v2
	s_add_i32 s11, s22, s19
	v_fma_f32 v9, -v5, v9, v3
	s_lshl_b32 s11, s11, 2
	v_mul_f32_e32 v10, v8, v12
	v_fma_f32 v1, -v24, v13, v1
	s_add_i32 s22, s22, s10
	s_delay_alu instid0(VALU_DEP_2) | instskip(NEXT) | instid1(VALU_DEP_2)
	v_fma_f32 v9, -v10, v11, v9
	v_fma_f32 v1, -v23, v15, v1
	s_waitcnt lgkmcnt(1)
	v_fma_f32 v12, -v26, v19, v2
	ds_load_2addr_b32 v[2:3], v7 offset1:1
	v_mov_b32_e32 v7, s11
	s_add_i32 s11, s17, 0xfffffec8
	v_fma_f32 v1, -v26, v18, v1
	v_mov_b32_e32 v13, s11
	s_lshl_b32 s11, s22, 2
	ds_load_2addr_b32 v[7:8], v7 offset1:1
	v_mov_b32_e32 v14, s11
	s_add_i32 s11, s17, 0xfffffe94
	ds_load_b32 v13, v13
	s_waitcnt lgkmcnt(3)
	v_fma_f32 v11, -v5, v21, v12
	v_mul_f32_e32 v9, v9, v22
	ds_load_b32 v12, v14
	v_mov_b32_e32 v14, s11
	v_fma_f32 v1, -v5, v20, v1
	s_waitcnt lgkmcnt(3)
	v_fma_f32 v3, -v10, v3, v11
	ds_load_b32 v11, v14
	v_fma_f32 v1, -v10, v2, v1
	s_waitcnt lgkmcnt(3)
	v_fma_f32 v3, -v9, v8, v3
	s_delay_alu instid0(VALU_DEP_2)
	v_fma_f32 v1, -v9, v7, v1
	v_add_lshl_u32 v7, s18, v0, 2
	v_add_lshl_u32 v8, s21, v0, 2
	s_waitcnt lgkmcnt(2)
	v_mul_f32_e32 v2, v3, v13
	v_add_lshl_u32 v13, s10, v0, 2
	v_add_lshl_u32 v3, s20, v0, 2
	s_waitcnt lgkmcnt(1)
	s_delay_alu instid0(VALU_DEP_3)
	v_fma_f32 v1, -v2, v12, v1
	v_add_lshl_u32 v12, s19, v0, 2
	ds_store_b32 v4, v24
	ds_store_b32 v6, v23
	ds_store_b32 v3, v26 offset:576
	ds_store_b32 v7, v5 offset:576
	;; [unrolled: 1-line block ×4, first 2 shown]
	s_waitcnt lgkmcnt(6)
	v_mul_f32_e32 v1, v1, v11
	ds_store_2addr_b32 v13, v1, v2 offset0:132 offset1:144
.LBB11_52:
	s_cmp_lt_i32 s4, 0
	s_cbranch_scc1 .LBB11_65
; %bb.53:
	s_bitcmp1_b32 s4, 0
	s_cselect_b32 s10, -1, 0
	s_delay_alu instid0(SALU_CYCLE_1)
	s_and_b32 vcc_lo, exec_lo, s10
	s_mov_b32 s10, s4
	s_cbranch_vccnz .LBB11_58
; %bb.54:
	s_mul_i32 s10, s4, 12
	s_cmp_le_i32 s15, s4
	v_add_lshl_u32 v2, s10, v0, 2
	ds_load_b32 v1, v2 offset:576
	s_cbranch_scc1 .LBB11_57
; %bb.55:
	v_lshlrev_b32_e32 v3, 2, v0
	s_mul_i32 s10, s12, 48
	s_lshl_b32 s11, s4, 2
	s_delay_alu instid0(SALU_CYCLE_1) | instskip(NEXT) | instid1(VALU_DEP_1)
	s_add_i32 s11, s10, s11
	v_add3_u32 v3, s10, v3, 0x210
	s_sub_i32 s10, s11, 48
	s_mov_b32 s11, s15
.LBB11_56:                              ; =>This Inner Loop Header: Depth=1
	v_mov_b32_e32 v4, s10
	s_add_i32 s11, s11, -1
	s_sub_i32 s10, s10, 48
	s_cmp_gt_i32 s11, s4
	ds_load_b32 v5, v3
	ds_load_b32 v4, v4
	v_subrev_nc_u32_e32 v3, 48, v3
	s_waitcnt lgkmcnt(0)
	v_fma_f32 v1, -v5, v4, v1
	s_cbranch_scc1 .LBB11_56
.LBB11_57:
	s_mul_i32 s10, s4, 52
	s_delay_alu instid0(SALU_CYCLE_1)
	v_dual_mov_b32 v3, s10 :: v_dual_add_nc_u32 v2, 0x240, v2
	s_add_i32 s10, s4, -1
	ds_load_b32 v3, v3
	s_waitcnt lgkmcnt(0)
	v_mul_f32_e32 v1, v1, v3
	ds_store_b32 v2, v1
.LBB11_58:
	s_cmp_eq_u32 s4, 0
	s_cbranch_scc1 .LBB11_65
; %bb.59:
	v_lshlrev_b32_e32 v1, 2, v0
	s_mul_i32 s4, s12, 48
	s_lshl_b32 s11, s10, 2
	s_delay_alu instid0(SALU_CYCLE_1) | instskip(NEXT) | instid1(VALU_DEP_1)
	s_add_i32 s11, s4, s11
	v_add3_u32 v1, s4, v1, 0x210
	s_sub_i32 s4, s11, 48
	s_sub_i32 s11, s11, 52
	s_branch .LBB11_61
.LBB11_60:                              ;   in Loop: Header=BB11_61 Depth=1
	s_sub_i32 s17, s17, 52
	s_add_i32 s4, s4, -8
	v_mov_b32_e32 v3, s17
	s_add_i32 s17, s10, -2
	s_add_i32 s11, s11, -8
	s_cmp_lt_i32 s10, 2
	s_mov_b32 s10, s17
	ds_load_b32 v3, v3
	s_waitcnt lgkmcnt(0)
	v_mul_f32_e32 v3, v4, v3
	ds_store_b32 v2, v3
	s_cbranch_scc1 .LBB11_65
.LBB11_61:                              ; =>This Loop Header: Depth=1
                                        ;     Child Loop BB11_62 Depth 2
                                        ;     Child Loop BB11_64 Depth 2
	s_mul_i32 s17, s10, 12
	v_mov_b32_e32 v4, v1
	v_add_lshl_u32 v2, s17, v0, 2
	s_cmp_le_i32 s15, s10
	s_mov_b32 s17, s4
	s_mov_b32 s18, s15
	ds_load_b32 v3, v2 offset:576
	s_cbranch_scc1 .LBB11_63
.LBB11_62:                              ;   Parent Loop BB11_61 Depth=1
                                        ; =>  This Inner Loop Header: Depth=2
	v_mov_b32_e32 v5, s17
	s_add_i32 s18, s18, -1
	s_sub_i32 s17, s17, 48
	s_cmp_gt_i32 s18, s10
	ds_load_b32 v6, v4
	ds_load_b32 v5, v5
	v_subrev_nc_u32_e32 v4, 48, v4
	s_waitcnt lgkmcnt(0)
	v_fma_f32 v3, -v6, v5, v3
	s_cbranch_scc1 .LBB11_62
.LBB11_63:                              ;   in Loop: Header=BB11_61 Depth=1
	s_mul_i32 s17, s10, 52
	s_delay_alu instid0(SALU_CYCLE_1)
	v_dual_mov_b32 v2, s17 :: v_dual_add_nc_u32 v5, 0x240, v2
	s_cmp_lt_i32 s15, s10
	s_mov_b32 s18, s11
	s_mov_b32 s19, s12
	ds_load_b32 v6, v2
	v_subrev_nc_u32_e32 v2, 48, v5
	ds_load_b32 v4, v2
	s_waitcnt lgkmcnt(1)
	v_dual_mul_f32 v6, v3, v6 :: v_dual_mov_b32 v3, v1
	ds_store_b32 v5, v6
	s_cbranch_scc1 .LBB11_60
.LBB11_64:                              ;   Parent Loop BB11_61 Depth=1
                                        ; =>  This Inner Loop Header: Depth=2
	v_mov_b32_e32 v5, s18
	s_add_i32 s19, s19, -1
	s_sub_i32 s18, s18, 48
	s_cmp_gt_i32 s19, s10
	ds_load_b32 v6, v3
	ds_load_b32 v5, v5
	v_subrev_nc_u32_e32 v3, 48, v3
	s_waitcnt lgkmcnt(0)
	v_fma_f32 v4, -v6, v5, v4
	s_cbranch_scc1 .LBB11_64
	s_branch .LBB11_60
.LBB11_65:
	s_waitcnt vmcnt(0) lgkmcnt(0)
	s_waitcnt_vscnt null, 0x0
	; wave barrier
	s_waitcnt lgkmcnt(0)
	buffer_gl0_inv
	s_and_saveexec_b32 s4, s14
	s_cbranch_execz .LBB11_73
; %bb.66:
	s_cmp_lt_i32 s6, 8
	s_mov_b32 s6, 0
	s_cbranch_scc1 .LBB11_70
; %bb.67:
	v_mad_i64_i32 v[1:2], null, s13, v0, 0
	s_lshl_b32 s4, s12, 2
	s_delay_alu instid0(SALU_CYCLE_1) | instskip(NEXT) | instid1(VALU_DEP_1)
	s_and_b32 s6, s4, 32
	v_lshlrev_b64 v[2:3], 2, v[1:2]
	v_lshl_or_b32 v1, v0, 2, 0x240
	s_delay_alu instid0(VALU_DEP_2) | instskip(NEXT) | instid1(VALU_DEP_3)
	v_add_co_u32 v2, vcc_lo, s5, v2
	v_add_co_ci_u32_e32 v3, vcc_lo, s7, v3, vcc_lo
	s_mov_b64 s[4:5], 0
	.p2align	6
.LBB11_68:                              ; =>This Inner Loop Header: Depth=1
	ds_load_2addr_b32 v[4:5], v1 offset1:12
	ds_load_2addr_b32 v[6:7], v1 offset0:24 offset1:36
	ds_load_2addr_b32 v[8:9], v1 offset0:48 offset1:60
	;; [unrolled: 1-line block ×3, first 2 shown]
	v_add_co_u32 v12, vcc_lo, v2, s4
	v_add_co_ci_u32_e32 v13, vcc_lo, s5, v3, vcc_lo
	v_add_nc_u32_e32 v1, 0x180, v1
	s_add_u32 s4, s4, 32
	s_addc_u32 s5, s5, 0
	s_cmp_lg_u32 s6, s4
	s_waitcnt lgkmcnt(2)
	global_store_b128 v[12:13], v[4:7], off
	s_waitcnt lgkmcnt(0)
	global_store_b128 v[12:13], v[8:11], off offset:16
	s_cbranch_scc1 .LBB11_68
; %bb.69:
	s_mov_b32 s6, 8
.LBB11_70:
	s_and_b32 s4, s12, 7
	s_delay_alu instid0(SALU_CYCLE_1)
	s_cmp_eq_u32 s4, 0
	s_cbranch_scc1 .LBB11_73
; %bb.71:
	v_lshlrev_b32_e32 v2, 2, v0
	s_lshl_b64 s[8:9], s[8:9], 2
	s_lshl_b32 s5, s6, 2
	s_delay_alu instid0(SALU_CYCLE_1) | instskip(NEXT) | instid1(VALU_DEP_1)
	s_add_u32 s2, s2, s5
	v_add_co_u32 v3, s7, s8, v2
	s_delay_alu instid0(VALU_DEP_1) | instskip(SKIP_3) | instid1(VALU_DEP_1)
	v_add_co_ci_u32_e64 v4, null, s9, 0, s7
	s_addc_u32 s3, s3, 0
	s_add_u32 s0, s2, s0
	s_addc_u32 s1, s3, s1
	v_mul_lo_u32 v4, v4, s13
	v_mad_u64_u32 v[0:1], null, v3, s13, s[0:1]
	v_mul_lo_u32 v3, v3, s16
	s_mul_i32 s0, s6, 48
	s_delay_alu instid0(SALU_CYCLE_1) | instskip(NEXT) | instid1(VALU_DEP_2)
	v_add3_u32 v2, s0, v2, 0x240
	v_add3_u32 v1, v4, v1, v3
.LBB11_72:                              ; =>This Inner Loop Header: Depth=1
	ds_load_b32 v3, v2
	v_add_nc_u32_e32 v2, 48, v2
	s_add_i32 s4, s4, -1
	s_delay_alu instid0(SALU_CYCLE_1)
	s_cmp_lg_u32 s4, 0
	s_waitcnt lgkmcnt(0)
	global_store_b32 v[0:1], v3, off
	v_add_co_u32 v0, vcc_lo, v0, 4
	v_add_co_ci_u32_e32 v1, vcc_lo, 0, v1, vcc_lo
	s_cbranch_scc1 .LBB11_72
.LBB11_73:
	s_nop 0
	s_sendmsg sendmsg(MSG_DEALLOC_VGPRS)
	s_endpgm
	.section	.rodata,"a",@progbits
	.p2align	6, 0x0
	.amdhsa_kernel _ZL38rocblas_trsm_small_left_device_sharedBILi12ELi12ELb0EffPKPKfPKPfEv13rocblas_fill_18rocblas_operation_17rocblas_diagonal_iiT3_T4_lilT5_lili
		.amdhsa_group_segment_fixed_size 1152
		.amdhsa_private_segment_fixed_size 0
		.amdhsa_kernarg_size 352
		.amdhsa_user_sgpr_count 14
		.amdhsa_user_sgpr_dispatch_ptr 0
		.amdhsa_user_sgpr_queue_ptr 0
		.amdhsa_user_sgpr_kernarg_segment_ptr 1
		.amdhsa_user_sgpr_dispatch_id 0
		.amdhsa_user_sgpr_private_segment_size 0
		.amdhsa_wavefront_size32 1
		.amdhsa_uses_dynamic_stack 0
		.amdhsa_enable_private_segment 0
		.amdhsa_system_sgpr_workgroup_id_x 1
		.amdhsa_system_sgpr_workgroup_id_y 0
		.amdhsa_system_sgpr_workgroup_id_z 1
		.amdhsa_system_sgpr_workgroup_info 0
		.amdhsa_system_vgpr_workitem_id 0
		.amdhsa_next_free_vgpr 82
		.amdhsa_next_free_sgpr 31
		.amdhsa_reserve_vcc 1
		.amdhsa_float_round_mode_32 0
		.amdhsa_float_round_mode_16_64 0
		.amdhsa_float_denorm_mode_32 3
		.amdhsa_float_denorm_mode_16_64 3
		.amdhsa_dx10_clamp 1
		.amdhsa_ieee_mode 1
		.amdhsa_fp16_overflow 0
		.amdhsa_workgroup_processor_mode 1
		.amdhsa_memory_ordered 1
		.amdhsa_forward_progress 0
		.amdhsa_shared_vgpr_count 0
		.amdhsa_exception_fp_ieee_invalid_op 0
		.amdhsa_exception_fp_denorm_src 0
		.amdhsa_exception_fp_ieee_div_zero 0
		.amdhsa_exception_fp_ieee_overflow 0
		.amdhsa_exception_fp_ieee_underflow 0
		.amdhsa_exception_fp_ieee_inexact 0
		.amdhsa_exception_int_div_zero 0
	.end_amdhsa_kernel
	.section	.text._ZL38rocblas_trsm_small_left_device_sharedBILi12ELi12ELb0EffPKPKfPKPfEv13rocblas_fill_18rocblas_operation_17rocblas_diagonal_iiT3_T4_lilT5_lili,"axG",@progbits,_ZL38rocblas_trsm_small_left_device_sharedBILi12ELi12ELb0EffPKPKfPKPfEv13rocblas_fill_18rocblas_operation_17rocblas_diagonal_iiT3_T4_lilT5_lili,comdat
.Lfunc_end11:
	.size	_ZL38rocblas_trsm_small_left_device_sharedBILi12ELi12ELb0EffPKPKfPKPfEv13rocblas_fill_18rocblas_operation_17rocblas_diagonal_iiT3_T4_lilT5_lili, .Lfunc_end11-_ZL38rocblas_trsm_small_left_device_sharedBILi12ELi12ELb0EffPKPKfPKPfEv13rocblas_fill_18rocblas_operation_17rocblas_diagonal_iiT3_T4_lilT5_lili
                                        ; -- End function
	.section	.AMDGPU.csdata,"",@progbits
; Kernel info:
; codeLenInByte = 8116
; NumSgprs: 33
; NumVgprs: 82
; ScratchSize: 0
; MemoryBound: 0
; FloatMode: 240
; IeeeMode: 1
; LDSByteSize: 1152 bytes/workgroup (compile time only)
; SGPRBlocks: 4
; VGPRBlocks: 10
; NumSGPRsForWavesPerEU: 33
; NumVGPRsForWavesPerEU: 82
; Occupancy: 16
; WaveLimiterHint : 1
; COMPUTE_PGM_RSRC2:SCRATCH_EN: 0
; COMPUTE_PGM_RSRC2:USER_SGPR: 14
; COMPUTE_PGM_RSRC2:TRAP_HANDLER: 0
; COMPUTE_PGM_RSRC2:TGID_X_EN: 1
; COMPUTE_PGM_RSRC2:TGID_Y_EN: 0
; COMPUTE_PGM_RSRC2:TGID_Z_EN: 1
; COMPUTE_PGM_RSRC2:TIDIG_COMP_CNT: 0
	.section	.text._ZL30rocblas_trsm_small_left_deviceILi12ELi12ELb0EffPKPKfPKPfEv13rocblas_fill_18rocblas_operation_17rocblas_diagonal_iiT3_T4_lilT5_lili,"axG",@progbits,_ZL30rocblas_trsm_small_left_deviceILi12ELi12ELb0EffPKPKfPKPfEv13rocblas_fill_18rocblas_operation_17rocblas_diagonal_iiT3_T4_lilT5_lili,comdat
	.globl	_ZL30rocblas_trsm_small_left_deviceILi12ELi12ELb0EffPKPKfPKPfEv13rocblas_fill_18rocblas_operation_17rocblas_diagonal_iiT3_T4_lilT5_lili ; -- Begin function _ZL30rocblas_trsm_small_left_deviceILi12ELi12ELb0EffPKPKfPKPfEv13rocblas_fill_18rocblas_operation_17rocblas_diagonal_iiT3_T4_lilT5_lili
	.p2align	8
	.type	_ZL30rocblas_trsm_small_left_deviceILi12ELi12ELb0EffPKPKfPKPfEv13rocblas_fill_18rocblas_operation_17rocblas_diagonal_iiT3_T4_lilT5_lili,@function
_ZL30rocblas_trsm_small_left_deviceILi12ELi12ELb0EffPKPKfPKPfEv13rocblas_fill_18rocblas_operation_17rocblas_diagonal_iiT3_T4_lilT5_lili: ; @_ZL30rocblas_trsm_small_left_deviceILi12ELi12ELb0EffPKPKfPKPfEv13rocblas_fill_18rocblas_operation_17rocblas_diagonal_iiT3_T4_lilT5_lili
; %bb.0:
	s_clause 0x1
	s_load_b128 s[8:11], s[0:1], 0x38
	s_load_b128 s[4:7], s[0:1], 0x4
	s_mov_b32 s2, s15
	s_mov_b32 s3, 0
	s_delay_alu instid0(SALU_CYCLE_1)
	s_lshl_b64 s[22:23], s[2:3], 3
	s_waitcnt lgkmcnt(0)
	s_add_u32 s8, s8, s22
	s_addc_u32 s9, s9, s23
	s_load_b32 s15, s[0:1], 0x14
	s_load_b64 s[12:13], s[8:9], 0x0
	s_min_i32 s2, s6, 12
	s_mov_b32 s9, exec_lo
	s_add_i32 s8, s2, -1
	v_cmpx_gt_i32_e64 s2, v0
	s_cbranch_execz .LBB12_10
; %bb.1:
	s_clause 0x1
	s_load_b32 s20, s[0:1], 0x28
	s_load_b128 s[16:19], s[0:1], 0x18
	v_lshlrev_b32_e32 v3, 2, v0
	s_waitcnt lgkmcnt(0)
	s_ashr_i32 s21, s20, 31
	s_add_u32 s16, s16, s22
	s_addc_u32 s17, s17, s23
	s_cmp_lt_u32 s8, 3
	s_load_b64 s[16:17], s[16:17], 0x0
	s_cbranch_scc1 .LBB12_4
; %bb.2:
	s_lshl_b64 s[22:23], s[18:19], 2
	v_mov_b32_e32 v4, v3
	s_waitcnt lgkmcnt(0)
	s_add_u32 s3, s16, s22
	s_addc_u32 s22, s17, s23
	v_add_co_u32 v1, s3, s3, v3
	s_delay_alu instid0(VALU_DEP_1)
	v_add_co_ci_u32_e64 v2, null, s22, 0, s3
	s_and_b32 s3, s2, -4
	s_mul_hi_i32 s28, s20, 12
	s_mul_i32 s29, s20, 12
	s_lshl_b64 s[22:23], s[20:21], 4
	s_lshl_b64 s[24:25], s[20:21], 3
	s_lshl_b64 s[26:27], s[20:21], 2
	s_mov_b32 s30, 0
	.p2align	6
.LBB12_3:                               ; =>This Inner Loop Header: Depth=1
	v_add_co_u32 v5, vcc_lo, v1, s26
	v_add_co_ci_u32_e32 v6, vcc_lo, s27, v2, vcc_lo
	v_add_co_u32 v7, vcc_lo, v1, s24
	v_add_co_ci_u32_e32 v8, vcc_lo, s25, v2, vcc_lo
	;; [unrolled: 2-line block ×3, first 2 shown]
	s_clause 0x3
	global_load_b32 v11, v[1:2], off
	global_load_b32 v5, v[5:6], off
	;; [unrolled: 1-line block ×4, first 2 shown]
	v_add_co_u32 v1, vcc_lo, v1, s22
	v_add_co_ci_u32_e32 v2, vcc_lo, s23, v2, vcc_lo
	s_add_i32 s30, s30, 4
	s_waitcnt vmcnt(2)
	ds_store_2addr_b32 v4, v11, v5 offset1:12
	s_waitcnt vmcnt(0)
	ds_store_2addr_b32 v4, v6, v7 offset0:24 offset1:36
	v_add_nc_u32_e32 v4, 0xc0, v4
	s_cmp_eq_u32 s3, s30
	s_cbranch_scc0 .LBB12_3
.LBB12_4:
	s_and_b32 s22, s2, 3
	s_delay_alu instid0(SALU_CYCLE_1)
	s_cmp_eq_u32 s22, 0
	s_cbranch_scc1 .LBB12_7
; %bb.5:
	s_mul_i32 s23, s21, s3
	s_mul_hi_u32 s24, s20, s3
	s_lshl_b64 s[18:19], s[18:19], 2
	s_add_i32 s25, s24, s23
	s_mul_i32 s24, s20, s3
	s_mul_i32 s3, s3, 48
	s_lshl_b64 s[24:25], s[24:25], 2
	v_lshl_add_u32 v4, v0, 2, s3
	s_add_u32 s3, s24, s18
	s_addc_u32 s18, s25, s19
	s_waitcnt lgkmcnt(0)
	s_add_u32 s3, s16, s3
	s_addc_u32 s16, s17, s18
	v_add_co_u32 v1, s3, s3, v3
	s_delay_alu instid0(VALU_DEP_1)
	v_add_co_ci_u32_e64 v2, null, s16, 0, s3
	s_lshl_b64 s[16:17], s[20:21], 2
.LBB12_6:                               ; =>This Inner Loop Header: Depth=1
	global_load_b32 v3, v[1:2], off
	v_add_co_u32 v1, vcc_lo, v1, s16
	v_add_co_ci_u32_e32 v2, vcc_lo, s17, v2, vcc_lo
	s_add_i32 s22, s22, -1
	s_delay_alu instid0(SALU_CYCLE_1)
	s_cmp_lg_u32 s22, 0
	s_waitcnt vmcnt(0)
	ds_store_b32 v4, v3
	v_add_nc_u32_e32 v4, 48, v4
	s_cbranch_scc1 .LBB12_6
.LBB12_7:
	v_mul_u32_u24_e32 v1, 13, v0
	s_cmpk_lg_i32 s5, 0x84
	s_delay_alu instid0(VALU_DEP_1)
	v_dual_mov_b32 v2, 1.0 :: v_dual_lshlrev_b32 v1, 2, v1
	s_cbranch_scc0 .LBB12_9
; %bb.8:
	ds_load_b32 v2, v1
	s_waitcnt lgkmcnt(0)
	v_div_scale_f32 v3, null, v2, v2, 1.0
	s_delay_alu instid0(VALU_DEP_1) | instskip(SKIP_2) | instid1(VALU_DEP_1)
	v_rcp_f32_e32 v4, v3
	s_waitcnt_depctr 0xfff
	v_fma_f32 v5, -v3, v4, 1.0
	v_fmac_f32_e32 v4, v5, v4
	v_div_scale_f32 v5, vcc_lo, 1.0, v2, 1.0
	s_delay_alu instid0(VALU_DEP_1) | instskip(NEXT) | instid1(VALU_DEP_1)
	v_mul_f32_e32 v6, v5, v4
	v_fma_f32 v7, -v3, v6, v5
	s_delay_alu instid0(VALU_DEP_1) | instskip(NEXT) | instid1(VALU_DEP_1)
	v_fmac_f32_e32 v6, v7, v4
	v_fma_f32 v3, -v3, v6, v5
	s_delay_alu instid0(VALU_DEP_1) | instskip(NEXT) | instid1(VALU_DEP_1)
	v_div_fmas_f32 v3, v3, v4, v6
	v_div_fixup_f32 v2, v3, v2, 1.0
.LBB12_9:
	ds_store_b32 v1, v2
.LBB12_10:
	s_or_b32 exec_lo, exec_lo, s9
	s_load_b32 s3, s[0:1], 0x60
	s_mul_i32 s5, s14, -12
	s_waitcnt lgkmcnt(0)
	s_add_i32 s5, s5, s7
	; wave barrier
	buffer_gl0_inv
	s_add_i32 s3, s3, -1
	s_delay_alu instid0(SALU_CYCLE_1) | instskip(SKIP_1) | instid1(SALU_CYCLE_1)
	s_cmp_ge_u32 s14, s3
	s_cselect_b32 s3, s5, 12
	v_cmp_gt_i32_e32 vcc_lo, s3, v0
	s_mov_b32 s3, -1
	s_and_saveexec_b32 s5, vcc_lo
	s_cbranch_execz .LBB12_56
; %bb.11:
	s_load_b32 s0, s[0:1], 0x48
	v_mad_u64_u32 v[1:2], null, s14, 12, v[0:1]
	s_waitcnt lgkmcnt(0)
	s_delay_alu instid0(VALU_DEP_1) | instskip(SKIP_1) | instid1(SALU_CYCLE_1)
	v_mad_i64_i32 v[2:3], null, s0, v1, 0
	s_lshl_b64 s[0:1], s[10:11], 2
	s_add_u32 s5, s12, s0
	s_addc_u32 s7, s13, s1
	s_cmpk_eq_i32 s4, 0x6f
	s_delay_alu instid0(VALU_DEP_1) | instskip(NEXT) | instid1(VALU_DEP_1)
	v_lshlrev_b64 v[2:3], 2, v[2:3]
	v_add_co_u32 v0, vcc_lo, s5, v2
	s_delay_alu instid0(VALU_DEP_2)
	v_add_co_ci_u32_e32 v1, vcc_lo, s7, v3, vcc_lo
	s_cbranch_scc1 .LBB12_34
; %bb.12:
	s_cmp_gt_i32 s6, 11
	s_cselect_b32 s3, -1, 0
	s_delay_alu instid0(SALU_CYCLE_1)
	s_and_b32 vcc_lo, exec_lo, s3
	s_cbranch_vccz .LBB12_14
; %bb.13:
	s_clause 0x2
	global_load_b128 v[4:7], v[0:1], off
	global_load_b128 v[8:11], v[0:1], off offset:16
	global_load_b128 v[12:15], v[0:1], off offset:32
	v_mov_b32_e32 v84, 0
	s_mov_b32 s4, 12
	ds_load_b32 v36, v84
	ds_load_b64 v[63:64], v84 offset:48
	ds_load_b96 v[71:73], v84 offset:96
	ds_load_b128 v[16:19], v84 offset:144
	ds_load_b128 v[20:23], v84 offset:192
	ds_load_b32 v85, v84 offset:208
	ds_load_b128 v[24:27], v84 offset:240
	s_waitcnt vmcnt(2)
	v_mul_f32_e32 v4, s15, v4
	s_waitcnt lgkmcnt(6)
	s_delay_alu instid0(VALU_DEP_1) | instskip(SKIP_1) | instid1(VALU_DEP_1)
	v_mul_f32_e32 v4, v4, v36
	s_waitcnt lgkmcnt(5)
	v_mul_f32_e32 v56, v4, v63
	s_waitcnt lgkmcnt(4)
	v_mul_f32_e32 v65, v4, v71
	ds_load_b64 v[80:81], v84 offset:256
	ds_load_b128 v[28:31], v84 offset:288
	ds_load_b96 v[74:76], v84 offset:304
	ds_load_b128 v[32:35], v84 offset:336
	ds_load_b128 v[36:39], v84 offset:352
	;; [unrolled: 1-line block ×4, first 2 shown]
	ds_load_b32 v86, v84 offset:416
	s_waitcnt lgkmcnt(11)
	v_mul_f32_e32 v16, v4, v16
	v_fma_f32 v5, v5, s15, -v56
	v_fma_f32 v6, v6, s15, -v65
	ds_load_b128 v[48:51], v84 offset:432
	ds_load_b64 v[82:83], v84 offset:464
	ds_load_b128 v[52:55], v84 offset:480
	ds_load_b128 v[56:59], v84 offset:528
	;; [unrolled: 1-line block ×3, first 2 shown]
	v_fma_f32 v7, v7, s15, -v16
	v_mul_f32_e32 v5, v5, v64
	s_waitcnt lgkmcnt(15)
	v_mul_f32_e32 v16, v4, v20
	s_waitcnt lgkmcnt(13)
	v_mul_f32_e32 v20, v4, v24
	ds_load_b128 v[64:67], v84 offset:496
	ds_load_b96 v[77:79], v84 offset:512
	ds_load_b128 v[68:71], v84 offset:544
	v_fma_f32 v6, -v5, v72, v6
	s_waitcnt vmcnt(1)
	v_fma_f32 v8, v8, s15, -v16
	v_fma_f32 v7, -v5, v17, v7
	v_fma_f32 v9, v9, s15, -v20
	v_mul_f32_e32 v6, v6, v73
	s_delay_alu instid0(VALU_DEP_4) | instskip(NEXT) | instid1(VALU_DEP_3)
	v_fma_f32 v8, -v5, v21, v8
	v_fma_f32 v9, -v5, v25, v9
	s_delay_alu instid0(VALU_DEP_3) | instskip(NEXT) | instid1(VALU_DEP_3)
	v_fma_f32 v7, -v6, v18, v7
	v_fma_f32 v8, -v6, v22, v8
	s_delay_alu instid0(VALU_DEP_3) | instskip(NEXT) | instid1(VALU_DEP_3)
	v_fma_f32 v9, -v6, v26, v9
	v_mul_f32_e32 v7, v7, v19
	s_delay_alu instid0(VALU_DEP_1) | instskip(NEXT) | instid1(VALU_DEP_3)
	v_fma_f32 v8, -v7, v23, v8
	v_fma_f32 v9, -v7, v27, v9
	s_delay_alu instid0(VALU_DEP_2) | instskip(SKIP_1) | instid1(VALU_DEP_1)
	v_mul_f32_e32 v8, v8, v85
	s_waitcnt lgkmcnt(15)
	v_fma_f32 v9, -v8, v80, v9
	s_delay_alu instid0(VALU_DEP_1)
	v_mul_f32_e32 v9, v9, v81
	s_waitcnt lgkmcnt(4)
	v_mul_f32_e32 v17, v4, v56
	v_mul_f32_e32 v24, v4, v28
	;; [unrolled: 1-line block ×6, first 2 shown]
	v_fma_f32 v10, v10, s15, -v24
	v_fma_f32 v11, v11, s15, -v28
	s_waitcnt vmcnt(0)
	v_fma_f32 v12, v12, s15, -v32
	v_fma_f32 v13, v13, s15, -v40
	;; [unrolled: 1-line block ×3, first 2 shown]
	v_fma_f32 v10, -v5, v29, v10
	v_fma_f32 v11, -v5, v33, v11
	v_fma_f32 v12, -v5, v41, v12
	v_fma_f32 v13, -v5, v49, v13
	v_fma_f32 v15, v15, s15, -v17
	v_fma_f32 v10, -v6, v30, v10
	v_fma_f32 v11, -v6, v34, v11
	;; [unrolled: 1-line block ×17, first 2 shown]
	s_waitcnt lgkmcnt(3)
	v_fma_f32 v13, -v8, v60, v13
	v_fma_f32 v12, -v9, v45, v12
	;; [unrolled: 1-line block ×3, first 2 shown]
	v_mul_f32_e32 v10, v10, v76
	s_waitcnt lgkmcnt(2)
	v_fma_f32 v16, -v8, v64, v14
	v_fma_f32 v17, -v9, v61, v13
	;; [unrolled: 1-line block ×5, first 2 shown]
	ds_load_b128 v[12:15], v84 offset:560
	v_fma_f32 v16, -v9, v65, v16
	v_fma_f32 v17, -v10, v62, v17
	v_mul_f32_e32 v11, v11, v39
	s_waitcnt lgkmcnt(1)
	v_fma_f32 v19, -v8, v68, v19
	v_fma_f32 v20, -v10, v66, v16
	s_delay_alu instid0(VALU_DEP_3) | instskip(SKIP_1) | instid1(VALU_DEP_2)
	v_fma_f32 v18, -v11, v47, v18
	v_fma_f32 v17, -v11, v63, v17
	v_mul_f32_e32 v16, v18, v86
	v_fma_f32 v18, -v9, v69, v19
	v_fma_f32 v19, -v11, v67, v20
	s_delay_alu instid0(VALU_DEP_3) | instskip(NEXT) | instid1(VALU_DEP_3)
	v_fma_f32 v17, -v16, v82, v17
	v_fma_f32 v18, -v10, v70, v18
	s_delay_alu instid0(VALU_DEP_3) | instskip(NEXT) | instid1(VALU_DEP_3)
	v_fma_f32 v19, -v16, v77, v19
	v_mul_f32_e32 v17, v17, v83
	s_delay_alu instid0(VALU_DEP_3) | instskip(NEXT) | instid1(VALU_DEP_2)
	v_fma_f32 v18, -v11, v71, v18
	v_fma_f32 v19, -v17, v78, v19
	s_waitcnt lgkmcnt(0)
	s_delay_alu instid0(VALU_DEP_2) | instskip(NEXT) | instid1(VALU_DEP_2)
	v_fma_f32 v12, -v16, v12, v18
	v_mul_f32_e32 v18, v19, v79
	s_delay_alu instid0(VALU_DEP_2) | instskip(NEXT) | instid1(VALU_DEP_1)
	v_fma_f32 v12, -v17, v13, v12
	v_fma_f32 v12, -v18, v14, v12
	s_delay_alu instid0(VALU_DEP_1)
	v_mul_f32_e32 v19, v12, v15
	s_clause 0x2
	global_store_b128 v[0:1], v[4:7], off
	global_store_b128 v[0:1], v[8:11], off offset:16
	global_store_b128 v[0:1], v[16:19], off offset:32
	s_cmp_lt_i32 s4, s2
	s_cbranch_scc1 .LBB12_15
	s_branch .LBB12_33
.LBB12_14:
	s_mov_b32 s4, 0
	s_delay_alu instid0(SALU_CYCLE_1)
	s_cmp_lt_i32 s4, s2
	s_cbranch_scc0 .LBB12_33
.LBB12_15:
	s_add_i32 s5, s4, 7
	s_delay_alu instid0(SALU_CYCLE_1)
	s_cmp_ge_u32 s5, s2
	s_cbranch_scc1 .LBB12_22
; %bb.16:
	s_lshl_b32 s5, s4, 2
	s_delay_alu instid0(SALU_CYCLE_1)
	v_add_co_u32 v4, vcc_lo, v0, s5
	v_add_co_ci_u32_e32 v5, vcc_lo, 0, v1, vcc_lo
	s_and_not1_b32 vcc_lo, exec_lo, s3
	s_clause 0x1
	global_load_b128 v[6:9], v[4:5], off
	global_load_b128 v[16:19], v[4:5], off offset:16
	s_waitcnt vmcnt(1)
	v_dual_mul_f32 v15, s15, v6 :: v_dual_mul_f32 v14, s15, v7
	v_dual_mul_f32 v13, s15, v8 :: v_dual_mul_f32 v12, s15, v9
	s_waitcnt vmcnt(0)
	v_dual_mul_f32 v11, s15, v16 :: v_dual_mul_f32 v10, s15, v17
	v_dual_mul_f32 v9, s15, v18 :: v_dual_mul_f32 v8, s15, v19
	s_cbranch_vccnz .LBB12_21
; %bb.17:
	v_dual_mov_b32 v7, v1 :: v_dual_mov_b32 v6, v0
	s_max_u32 s5, s4, 1
	s_mul_i32 s3, s4, 48
	s_and_b32 s7, s5, 12
.LBB12_18:                              ; =>This Inner Loop Header: Depth=1
	global_load_b128 v[16:19], v[6:7], off
	v_mov_b32_e32 v48, s3
	v_add_co_u32 v6, vcc_lo, v6, 16
	v_add_co_ci_u32_e32 v7, vcc_lo, 0, v7, vcc_lo
	ds_load_b128 v[20:23], v48
	ds_load_b128 v[24:27], v48 offset:48
	ds_load_b128 v[28:31], v48 offset:96
	;; [unrolled: 1-line block ×7, first 2 shown]
	s_add_i32 s7, s7, -4
	s_add_i32 s3, s3, 16
	s_cmp_lg_u32 s7, 0
	s_waitcnt vmcnt(0) lgkmcnt(7)
	v_fma_f32 v15, -v16, v20, v15
	s_waitcnt lgkmcnt(6)
	v_fma_f32 v14, -v16, v24, v14
	s_waitcnt lgkmcnt(5)
	;; [unrolled: 2-line block ×7, first 2 shown]
	v_fma_f32 v8, -v16, v48, v8
	v_fma_f32 v15, -v17, v21, v15
	;; [unrolled: 1-line block ×25, first 2 shown]
	s_cbranch_scc1 .LBB12_18
; %bb.19:
	s_and_b32 s5, s5, 1
	s_delay_alu instid0(SALU_CYCLE_1)
	s_cmp_eq_u32 s5, 0
	s_cbranch_scc1 .LBB12_21
	.p2align	6
.LBB12_20:                              ; =>This Inner Loop Header: Depth=1
	global_load_b32 v24, v[6:7], off
	v_mov_b32_e32 v22, s3
	v_add_co_u32 v6, vcc_lo, v6, 4
	v_add_co_ci_u32_e32 v7, vcc_lo, 0, v7, vcc_lo
	ds_load_2addr_b32 v[16:17], v22 offset1:12
	ds_load_2addr_b32 v[18:19], v22 offset0:24 offset1:36
	ds_load_2addr_b32 v[20:21], v22 offset0:48 offset1:60
	;; [unrolled: 1-line block ×3, first 2 shown]
	s_add_i32 s5, s5, -1
	s_add_i32 s3, s3, 4
	s_cmp_lg_u32 s5, 0
	s_waitcnt vmcnt(0) lgkmcnt(3)
	v_fma_f32 v15, -v24, v16, v15
	v_fma_f32 v14, -v24, v17, v14
	s_waitcnt lgkmcnt(2)
	v_fma_f32 v13, -v24, v18, v13
	v_fma_f32 v12, -v24, v19, v12
	s_waitcnt lgkmcnt(1)
	;; [unrolled: 3-line block ×3, first 2 shown]
	v_fma_f32 v9, -v24, v22, v9
	v_fma_f32 v8, -v24, v23, v8
	s_cbranch_scc1 .LBB12_20
.LBB12_21:
	s_mul_i32 s3, s4, 52
	s_or_b32 s5, s4, 1
	v_mov_b32_e32 v39, s3
	s_mul_i32 s3, s5, 12
	s_delay_alu instid0(SALU_CYCLE_1) | instskip(SKIP_2) | instid1(SALU_CYCLE_1)
	s_add_i32 s5, s3, s4
	s_add_i32 s3, s3, 36
	s_lshl_b32 s5, s5, 2
	v_mov_b32_e32 v16, s5
	ds_load_2addr_b32 v[6:7], v39 offset1:52
	s_or_b32 s5, s3, s4
	s_add_i32 s3, s3, s4
	s_lshl_b32 s5, s5, 2
	ds_load_b64 v[25:26], v16
	ds_load_b96 v[35:37], v16 offset:48
	ds_load_b128 v[16:19], v16 offset:96
	s_lshl_b32 s3, s3, 2
	s_add_i32 s4, s4, 8
	s_waitcnt lgkmcnt(3)
	v_mul_f32_e32 v24, v15, v6
	s_waitcnt lgkmcnt(2)
	s_delay_alu instid0(VALU_DEP_1) | instskip(SKIP_3) | instid1(VALU_DEP_3)
	v_fma_f32 v6, -v24, v25, v14
	v_mov_b32_e32 v20, s5
	s_waitcnt lgkmcnt(1)
	v_fma_f32 v13, -v24, v35, v13
	v_mul_f32_e32 v25, v6, v26
	ds_load_b128 v[20:23], v20
	s_waitcnt lgkmcnt(1)
	v_fma_f32 v6, -v24, v16, v12
	v_fma_f32 v16, -v25, v36, v13
	s_delay_alu instid0(VALU_DEP_2) | instskip(NEXT) | instid1(VALU_DEP_2)
	v_fma_f32 v6, -v25, v17, v6
	v_mul_f32_e32 v26, v16, v37
	s_delay_alu instid0(VALU_DEP_1)
	v_fma_f32 v6, -v26, v18, v6
	v_mov_b32_e32 v40, s3
	ds_load_b128 v[27:30], v40 offset:48
	ds_load_b128 v[31:34], v40 offset:96
	s_waitcnt lgkmcnt(2)
	v_fma_f32 v11, -v24, v20, v11
	s_delay_alu instid0(VALU_DEP_1) | instskip(NEXT) | instid1(VALU_DEP_1)
	v_fma_f32 v11, -v25, v21, v11
	v_fma_f32 v18, -v26, v22, v11
	s_waitcnt lgkmcnt(1)
	v_fma_f32 v10, -v24, v27, v10
	v_mul_f32_e32 v27, v6, v19
	ds_load_b128 v[12:15], v40 offset:144
	ds_load_2addr_b64 v[35:38], v40 offset0:8 offset1:14
	s_waitcnt lgkmcnt(2)
	v_fma_f32 v16, -v24, v31, v9
	v_fma_f32 v17, -v25, v28, v10
	ds_load_b96 v[9:11], v40 offset:160
	v_fma_f32 v18, -v27, v23, v18
	v_fma_f32 v6, -v25, v32, v16
	;; [unrolled: 1-line block ×3, first 2 shown]
	ds_load_2addr_b32 v[16:17], v39 offset0:78 offset1:91
	v_fma_f32 v19, -v27, v30, v19
	s_waitcnt lgkmcnt(3)
	v_fma_f32 v8, -v24, v12, v8
	v_fma_f32 v12, -v26, v33, v6
	v_mul_f32_e32 v6, v18, v7
	s_delay_alu instid0(VALU_DEP_3) | instskip(NEXT) | instid1(VALU_DEP_3)
	v_fma_f32 v7, -v25, v13, v8
	v_fma_f32 v8, -v27, v34, v12
	s_waitcnt lgkmcnt(2)
	s_delay_alu instid0(VALU_DEP_3) | instskip(NEXT) | instid1(VALU_DEP_3)
	v_fma_f32 v12, -v6, v35, v19
	v_fma_f32 v13, -v26, v14, v7
	s_delay_alu instid0(VALU_DEP_3) | instskip(NEXT) | instid1(VALU_DEP_3)
	v_fma_f32 v8, -v6, v37, v8
	v_mul_f32_e32 v7, v12, v36
	s_delay_alu instid0(VALU_DEP_3) | instskip(NEXT) | instid1(VALU_DEP_2)
	v_fma_f32 v12, -v27, v15, v13
	v_fma_f32 v8, -v7, v38, v8
	s_waitcnt lgkmcnt(1)
	s_delay_alu instid0(VALU_DEP_2) | instskip(SKIP_1) | instid1(VALU_DEP_2)
	v_fma_f32 v9, -v6, v9, v12
	s_waitcnt lgkmcnt(0)
	v_mul_f32_e32 v8, v8, v16
	s_delay_alu instid0(VALU_DEP_2) | instskip(NEXT) | instid1(VALU_DEP_1)
	v_fma_f32 v9, -v7, v10, v9
	v_fma_f32 v9, -v8, v11, v9
	s_delay_alu instid0(VALU_DEP_1)
	v_mul_f32_e32 v9, v9, v17
	s_clause 0x1
	global_store_b128 v[4:5], v[24:27], off
	global_store_b128 v[4:5], v[6:9], off offset:16
.LBB12_22:
	s_cmp_ge_i32 s4, s2
	s_cbranch_scc1 .LBB12_33
; %bb.23:
	s_add_i32 s3, s4, -1
	s_add_u32 s5, s12, s0
	s_addc_u32 s7, s13, s1
	v_add_co_u32 v10, vcc_lo, s5, v2
	v_add_co_ci_u32_e32 v11, vcc_lo, s7, v3, vcc_lo
	s_mul_i32 s7, s4, 48
	s_delay_alu instid0(VALU_DEP_2) | instskip(NEXT) | instid1(VALU_DEP_2)
	v_add_co_u32 v4, vcc_lo, v10, 28
	v_add_co_ci_u32_e32 v5, vcc_lo, 0, v11, vcc_lo
	s_mov_b32 s11, 0
	s_mov_b32 s14, s4
	s_mov_b32 s9, 0
	s_branch .LBB12_25
.LBB12_24:                              ;   in Loop: Header=BB12_25 Depth=1
	s_mul_i32 s5, s4, 52
	v_add_nc_u16 v9, s14, 1
	v_mov_b32_e32 v8, s5
	s_add_i32 s4, s4, 1
	s_add_i32 s9, s9, 1
	;; [unrolled: 1-line block ×3, first 2 shown]
	v_readfirstlane_b32 s14, v9
	ds_load_b32 v8, v8
	s_cmp_ge_i32 s4, s2
	s_waitcnt lgkmcnt(0)
	v_mul_f32_e32 v8, v12, v8
	global_store_b32 v[6:7], v8, off
	s_cbranch_scc1 .LBB12_33
.LBB12_25:                              ; =>This Loop Header: Depth=1
                                        ;     Child Loop BB12_28 Depth 2
                                        ;     Child Loop BB12_32 Depth 2
	s_ashr_i32 s5, s4, 31
	s_delay_alu instid0(SALU_CYCLE_1)
	s_lshl_b64 s[16:17], s[4:5], 2
	s_cmp_eq_u32 s4, 0
	v_add_co_u32 v6, vcc_lo, v0, s16
	v_add_co_ci_u32_e32 v7, vcc_lo, s17, v1, vcc_lo
	global_load_b32 v8, v[6:7], off
	s_waitcnt vmcnt(0)
	v_mul_f32_e32 v12, s15, v8
	s_cbranch_scc1 .LBB12_24
; %bb.26:                               ;   in Loop: Header=BB12_25 Depth=1
	s_add_i32 s5, s3, s9
	s_delay_alu instid0(SALU_CYCLE_1)
	s_cmp_lt_u32 s5, 7
	s_cbranch_scc1 .LBB12_30
; %bb.27:                               ;   in Loop: Header=BB12_25 Depth=1
	v_dual_mov_b32 v9, v5 :: v_dual_mov_b32 v8, v4
	s_and_b32 s10, s4, -8
	s_mov_b32 s5, 0
	s_mov_b32 s16, s7
	.p2align	6
.LBB12_28:                              ;   Parent Loop BB12_25 Depth=1
                                        ; =>  This Inner Loop Header: Depth=2
	s_clause 0x1
	global_load_b128 v[13:16], v[8:9], off offset:-28
	global_load_b128 v[17:20], v[8:9], off offset:-12
	v_mov_b32_e32 v25, s16
	v_add_co_u32 v8, vcc_lo, v8, 32
	v_add_co_ci_u32_e32 v9, vcc_lo, 0, v9, vcc_lo
	ds_load_b128 v[21:24], v25
	ds_load_b128 v[25:28], v25 offset:16
	s_add_i32 s5, s5, 8
	s_add_i32 s16, s16, 32
	s_cmp_lg_u32 s10, s5
	s_waitcnt vmcnt(1) lgkmcnt(1)
	v_fma_f32 v12, -v13, v21, v12
	s_delay_alu instid0(VALU_DEP_1) | instskip(NEXT) | instid1(VALU_DEP_1)
	v_fma_f32 v12, -v14, v22, v12
	v_fma_f32 v12, -v15, v23, v12
	s_delay_alu instid0(VALU_DEP_1) | instskip(SKIP_1) | instid1(VALU_DEP_1)
	v_fma_f32 v12, -v16, v24, v12
	s_waitcnt vmcnt(0) lgkmcnt(0)
	v_fma_f32 v12, -v17, v25, v12
	s_delay_alu instid0(VALU_DEP_1) | instskip(NEXT) | instid1(VALU_DEP_1)
	v_fma_f32 v12, -v18, v26, v12
	v_fma_f32 v12, -v19, v27, v12
	s_delay_alu instid0(VALU_DEP_1)
	v_fma_f32 v12, -v20, v28, v12
	s_cbranch_scc1 .LBB12_28
; %bb.29:                               ;   in Loop: Header=BB12_25 Depth=1
	s_and_b32 s5, s4, 7
	s_delay_alu instid0(SALU_CYCLE_1)
	s_cmp_eq_u32 s5, 0
	s_cbranch_scc0 .LBB12_31
	s_branch .LBB12_24
.LBB12_30:                              ;   in Loop: Header=BB12_25 Depth=1
	s_mov_b32 s10, 0
	s_and_b32 s5, s4, 7
	s_delay_alu instid0(SALU_CYCLE_1)
	s_cmp_eq_u32 s5, 0
	s_cbranch_scc1 .LBB12_24
.LBB12_31:                              ;   in Loop: Header=BB12_25 Depth=1
	s_lshl_b64 s[16:17], s[10:11], 2
	s_and_b32 s5, s14, 7
	v_add_co_u32 v8, vcc_lo, v10, s16
	v_add_co_ci_u32_e32 v9, vcc_lo, s17, v11, vcc_lo
	s_lshl_b32 s10, s10, 2
.LBB12_32:                              ;   Parent Loop BB12_25 Depth=1
                                        ; =>  This Inner Loop Header: Depth=2
	global_load_b32 v13, v[8:9], off
	s_add_i32 s16, s7, s10
	v_add_co_u32 v8, vcc_lo, v8, 4
	v_mov_b32_e32 v14, s16
	v_add_co_ci_u32_e32 v9, vcc_lo, 0, v9, vcc_lo
	s_add_i32 s5, s5, -1
	s_add_i32 s10, s10, 4
	ds_load_b32 v14, v14
	s_cmp_lg_u32 s5, 0
	s_waitcnt vmcnt(0) lgkmcnt(0)
	v_fma_f32 v12, -v13, v14, v12
	s_cbranch_scc1 .LBB12_32
	s_branch .LBB12_24
.LBB12_33:
	s_mov_b32 s3, 0
.LBB12_34:
	s_delay_alu instid0(SALU_CYCLE_1)
	s_and_b32 vcc_lo, exec_lo, s3
	s_cbranch_vccz .LBB12_56
; %bb.35:
	s_cmp_gt_i32 s6, 11
	s_cbranch_scc0 .LBB12_37
; %bb.36:
	s_ashr_i32 s9, s8, 31
	s_mov_b32 s3, 0
	s_lshl_b64 s[4:5], s[8:9], 2
	s_add_i32 s6, s2, -4
	v_add_co_u32 v15, vcc_lo, v0, s4
	v_add_co_ci_u32_e32 v16, vcc_lo, s5, v1, vcc_lo
	s_lshl_b64 s[4:5], s[2:3], 2
	s_add_i32 s7, s2, -6
	v_add_co_u32 v8, vcc_lo, v0, s4
	global_load_b32 v63, v[15:16], off
	v_add_co_ci_u32_e32 v9, vcc_lo, s5, v1, vcc_lo
	s_clause 0x2
	global_load_b96 v[12:14], v[8:9], off offset:-16
	global_load_b128 v[4:7], v[8:9], off offset:-32
	global_load_b128 v[8:11], v[8:9], off offset:-48
	s_mul_i32 s4, s8, 52
	s_mul_i32 s5, s8, 12
	s_sub_i32 s17, s4, 52
	s_add_i32 s16, s2, s5
	s_add_i32 s18, s6, s5
	s_add_i32 s19, s5, -12
	s_sub_i32 s20, s5, 24
	s_add_i32 s9, s2, -9
	s_add_i32 s10, s2, -10
	;; [unrolled: 1-line block ×4, first 2 shown]
	s_add_i32 s21, s4, 0xffffff64
	s_add_i32 s22, s7, s5
	;; [unrolled: 1-line block ×3, first 2 shown]
	s_sub_i32 s24, s5, 60
	s_addk_i32 s4, 0xfec8
	s_add_i32 s25, s5, 0xffffffac
	s_addk_i32 s5, 0xff94
	s_lshl_b32 s16, s16, 2
	v_mov_b32_e32 v19, s17
	s_lshl_b32 s17, s18, 2
	s_add_i32 s18, s6, s19
	v_mov_b32_e32 v20, s17
	s_add_i32 s6, s6, s20
	s_add_i32 s19, s7, s19
	s_add_i32 s7, s7, s20
	s_add_i32 s20, s2, s24
	s_lshl_b32 s6, s6, 2
	s_lshl_b32 s7, s7, 2
	s_delay_alu instid0(SALU_CYCLE_1)
	v_dual_mov_b32 v17, s4 :: v_dual_mov_b32 v64, s7
	s_add_i32 s4, s24, s9
	s_add_i32 s9, s9, s25
	;; [unrolled: 1-line block ×7, first 2 shown]
	s_add_i32 s14, s16, -8
	s_mul_i32 s3, s2, 52
	v_dual_mov_b32 v69, s23 :: v_dual_mov_b32 v18, s14
	v_mov_b32_e32 v23, s6
	s_lshl_b32 s16, s18, 2
	s_lshl_b32 s18, s20, 2
	;; [unrolled: 1-line block ×4, first 2 shown]
	s_add_i32 s27, s3, 0xfffffdc4
	v_mov_b32_e32 v25, s21
	s_lshl_b32 s21, s22, 2
	s_lshl_b32 s17, s19, 2
	v_mov_b32_e32 v26, s21
	s_lshl_b32 s10, s10, 2
	s_lshl_b32 s11, s11, 2
	;; [unrolled: 1-line block ×4, first 2 shown]
	v_mov_b32_e32 v21, s16
	v_mov_b32_e32 v73, s9
	s_sub_i32 s9, s20, 48
	s_add_i32 s16, s20, 0xffffff70
	v_dual_mov_b32 v49, s27 :: v_dual_mov_b32 v80, s9
	v_mov_b32_e32 v27, s17
	v_mov_b32_e32 v37, s18
	;; [unrolled: 1-line block ×4, first 2 shown]
	s_add_i32 s26, s3, 0xfffffe2c
	v_mov_b32_e32 v77, s19
	v_mov_b32_e32 v83, s5
	ds_load_b32 v84, v17
	v_mov_b32_e32 v82, s16
	s_addk_i32 s3, 0xfd90
	s_sub_i32 s6, s7, 48
	s_addk_i32 s7, 0xffa0
	s_sub_i32 s14, s18, 32
	v_mov_b32_e32 v67, s7
	v_dual_mov_b32 v79, s26 :: v_dual_mov_b32 v70, s14
	s_lshl_b32 s4, s4, 2
	s_add_i32 s10, s20, 0xffffffa0
	s_sub_i32 s4, s4, 48
	s_sub_i32 s5, s5, 48
	v_mov_b32_e32 v71, s4
	s_waitcnt vmcnt(3)
	v_dual_mov_b32 v81, s10 :: v_dual_mul_f32 v72, s15, v63
	ds_load_2addr_b32 v[17:18], v18 offset1:1
	ds_load_b32 v85, v19
	ds_load_2addr_b32 v[19:20], v20 offset1:1
	ds_load_2addr_b32 v[21:22], v21 offset1:1
	;; [unrolled: 1-line block ×3, first 2 shown]
	ds_load_b32 v86, v25
	ds_load_2addr_b32 v[25:26], v26 offset1:1
	ds_load_2addr_b32 v[27:28], v27 offset1:1
	ds_load_2addr_b32 v[29:30], v37 offset0:52 offset1:53
	ds_load_2addr_b32 v[31:32], v37 offset0:40 offset1:41
	;; [unrolled: 1-line block ×5, first 2 shown]
	ds_load_2addr_b32 v[39:40], v39 offset1:1
	ds_load_2addr_b32 v[41:42], v77 offset0:84 offset1:85
	ds_load_2addr_b32 v[43:44], v77 offset0:72 offset1:73
	;; [unrolled: 1-line block ×3, first 2 shown]
	ds_load_2addr_b32 v[47:48], v47 offset1:1
	ds_load_b32 v87, v49
	ds_load_2addr_b32 v[49:50], v83 offset0:108 offset1:109
	ds_load_2addr_b32 v[51:52], v83 offset0:96 offset1:97
	;; [unrolled: 1-line block ×7, first 2 shown]
	s_waitcnt lgkmcnt(25)
	v_mul_f32_e32 v89, v72, v18
	s_delay_alu instid0(VALU_DEP_1)
	v_mul_f32_e32 v90, v89, v17
	s_waitcnt lgkmcnt(23)
	v_mul_f32_e32 v20, v89, v20
	v_mul_f32_e32 v19, v89, v19
	s_waitcnt lgkmcnt(19)
	v_mul_f32_e32 v26, v89, v26
	v_mul_f32_e32 v25, v89, v25
	s_waitcnt vmcnt(2)
	v_fma_f32 v14, v14, s15, -v90
	v_fma_f32 v13, v13, s15, -v20
	;; [unrolled: 1-line block ×3, first 2 shown]
	s_waitcnt vmcnt(1)
	v_fma_f32 v7, v7, s15, -v26
	s_waitcnt lgkmcnt(17)
	v_mul_f32_e32 v20, v89, v30
	v_mul_f32_e32 v14, v14, v85
	v_fma_f32 v6, v6, s15, -v25
	s_delay_alu instid0(VALU_DEP_3) | instskip(NEXT) | instid1(VALU_DEP_3)
	v_fma_f32 v5, v5, s15, -v20
	v_fma_f32 v13, -v14, v22, v13
	v_fma_f32 v12, -v14, v21, v12
	;; [unrolled: 1-line block ×3, first 2 shown]
	s_waitcnt lgkmcnt(6)
	v_mul_f32_e32 v22, v89, v50
	v_fma_f32 v6, -v14, v27, v6
	v_mul_f32_e32 v13, v13, v24
	v_fma_f32 v5, -v14, v32, v5
	s_waitcnt vmcnt(0)
	v_fma_f32 v9, v9, s15, -v22
	s_delay_alu instid0(VALU_DEP_3)
	v_fma_f32 v12, -v13, v23, v12
	v_mov_b32_e32 v65, s6
	v_fma_f32 v5, -v13, v34, v5
	s_waitcnt lgkmcnt(5)
	v_fma_f32 v9, -v14, v52, v9
	v_mul_f32_e32 v12, v12, v86
	ds_load_2addr_b32 v[63:64], v64 offset1:1
	ds_load_2addr_b32 v[65:66], v65 offset1:1
	;; [unrolled: 1-line block ×3, first 2 shown]
	ds_load_b32 v88, v69
	ds_load_2addr_b32 v[69:70], v70 offset1:1
	ds_load_2addr_b32 v[71:72], v71 offset1:1
	;; [unrolled: 1-line block ×3, first 2 shown]
	ds_load_2addr_b32 v[75:76], v77 offset0:48 offset1:49
	ds_load_2addr_b32 v[77:78], v77 offset0:36 offset1:37
	s_waitcnt lgkmcnt(13)
	v_fma_f32 v9, -v13, v54, v9
	ds_load_b32 v91, v79
	ds_load_2addr_b32 v[17:18], v80 offset1:1
	ds_load_2addr_b32 v[79:80], v81 offset1:1
	;; [unrolled: 1-line block ×3, first 2 shown]
	v_fma_f32 v5, -v12, v36, v5
	s_waitcnt lgkmcnt(16)
	v_fma_f32 v9, -v12, v56, v9
	s_waitcnt lgkmcnt(12)
	v_fma_f32 v7, -v13, v64, v7
	v_fma_f32 v6, -v13, v63, v6
	s_waitcnt lgkmcnt(11)
	s_delay_alu instid0(VALU_DEP_2) | instskip(NEXT) | instid1(VALU_DEP_2)
	v_fma_f32 v7, -v12, v66, v7
	v_fma_f32 v6, -v12, v65, v6
	s_waitcnt lgkmcnt(10)
	s_delay_alu instid0(VALU_DEP_2) | instskip(NEXT) | instid1(VALU_DEP_1)
	v_mul_f32_e32 v7, v7, v68
	v_fma_f32 v6, -v7, v67, v6
	v_fma_f32 v5, -v7, v38, v5
	;; [unrolled: 1-line block ×3, first 2 shown]
	s_waitcnt lgkmcnt(9)
	s_delay_alu instid0(VALU_DEP_3) | instskip(SKIP_1) | instid1(VALU_DEP_1)
	v_mul_f32_e32 v6, v6, v88
	s_waitcnt lgkmcnt(8)
	v_fma_f32 v5, -v6, v70, v5
	v_fma_f32 v20, -v6, v60, v20
	s_delay_alu instid0(VALU_DEP_2) | instskip(SKIP_1) | instid1(VALU_DEP_1)
	v_mul_f32_e32 v5, v5, v84
	s_waitcnt lgkmcnt(2)
	v_fma_f32 v17, -v5, v17, v20
	v_dual_mov_b32 v20, s3 :: v_dual_mul_f32 v29, v89, v29
	v_mul_f32_e32 v30, v89, v42
	v_mul_f32_e32 v19, v89, v41
	v_mul_f32_e32 v21, v89, v49
	ds_load_b32 v20, v20
	v_fma_f32 v4, v4, s15, -v29
	v_fma_f32 v11, v11, s15, -v30
	v_fma_f32 v10, v10, s15, -v19
	v_fma_f32 v8, v8, s15, -v21
	s_ashr_i32 s3, s2, 31
	v_fma_f32 v4, -v14, v31, v4
	v_fma_f32 v11, -v14, v44, v11
	;; [unrolled: 1-line block ×4, first 2 shown]
	s_delay_alu instid0(VALU_DEP_4) | instskip(NEXT) | instid1(VALU_DEP_4)
	v_fma_f32 v4, -v13, v33, v4
	v_fma_f32 v11, -v13, v46, v11
	s_delay_alu instid0(VALU_DEP_4) | instskip(NEXT) | instid1(VALU_DEP_4)
	v_fma_f32 v10, -v13, v45, v10
	v_fma_f32 v8, -v13, v53, v8
	;; [unrolled: 3-line block ×4, first 2 shown]
	ds_load_2addr_b32 v[8:9], v83 offset1:12
	v_fma_f32 v4, -v7, v37, v4
	v_fma_f32 v11, -v7, v78, v11
	;; [unrolled: 1-line block ×4, first 2 shown]
	s_delay_alu instid0(VALU_DEP_4) | instskip(NEXT) | instid1(VALU_DEP_4)
	v_fma_f32 v4, -v6, v69, v4
	v_fma_f32 v11, -v6, v40, v11
	s_delay_alu instid0(VALU_DEP_4) | instskip(NEXT) | instid1(VALU_DEP_4)
	v_fma_f32 v10, -v6, v39, v10
	v_fma_f32 v19, -v6, v59, v19
	;; [unrolled: 3-line block ×3, first 2 shown]
	s_delay_alu instid0(VALU_DEP_4)
	v_fma_f32 v10, -v5, v18, v10
	v_mov_b32_e32 v18, s5
	v_fma_f32 v19, -v5, v62, v19
	v_mul_f32_e32 v4, v4, v74
	s_lshl_b64 s[4:5], s[2:3], 2
	ds_load_b32 v18, v18
	v_fma_f32 v11, -v4, v73, v11
	s_waitcnt lgkmcnt(4)
	v_fma_f32 v10, -v4, v80, v10
	v_fma_f32 v17, -v4, v79, v17
	;; [unrolled: 1-line block ×3, first 2 shown]
	v_mul_f32_e32 v11, v11, v91
	s_waitcnt lgkmcnt(3)
	s_delay_alu instid0(VALU_DEP_1) | instskip(SKIP_3) | instid1(VALU_DEP_3)
	v_fma_f32 v10, -v11, v82, v10
	v_fma_f32 v17, -v11, v81, v17
	s_waitcnt lgkmcnt(1)
	v_fma_f32 v9, -v11, v9, v19
	v_mul_f32_e32 v10, v10, v48
	s_delay_alu instid0(VALU_DEP_1) | instskip(NEXT) | instid1(VALU_DEP_3)
	v_fma_f32 v17, -v10, v47, v17
	v_fma_f32 v8, -v10, v8, v9
	s_delay_alu instid0(VALU_DEP_2) | instskip(SKIP_3) | instid1(VALU_DEP_2)
	v_mul_f32_e32 v9, v17, v87
	v_add_co_u32 v17, vcc_lo, v0, s4
	s_add_i32 s4, s2, -13
	s_waitcnt lgkmcnt(0)
	v_fma_f32 v8, -v9, v18, v8
	v_add_co_ci_u32_e32 v18, vcc_lo, s5, v1, vcc_lo
	s_clause 0x1
	global_store_b32 v[15:16], v89, off
	global_store_b96 v[17:18], v[12:14], off offset:-16
	v_mul_f32_e32 v8, v8, v20
	s_clause 0x1
	global_store_b128 v[17:18], v[4:7], off offset:-32
	global_store_b128 v[17:18], v[8:11], off offset:-48
	s_cmp_gt_i32 s4, -1
	s_cbranch_scc1 .LBB12_38
	s_branch .LBB12_56
.LBB12_37:
	s_mov_b32 s4, s8
	s_delay_alu instid0(SALU_CYCLE_1)
	s_cmp_gt_i32 s4, -1
	s_cbranch_scc0 .LBB12_56
.LBB12_38:
	s_cmp_lt_u32 s4, 7
	s_cbranch_scc1 .LBB12_43
; %bb.39:
	s_mov_b32 s5, 0
	s_delay_alu instid0(SALU_CYCLE_1)
	s_lshl_b64 s[6:7], s[4:5], 2
	s_cmp_le_i32 s8, s4
	v_add_co_u32 v4, vcc_lo, v0, s6
	v_add_co_ci_u32_e32 v5, vcc_lo, s7, v1, vcc_lo
	s_clause 0x1
	global_load_b128 v[6:9], v[4:5], off offset:-12
	global_load_b128 v[16:19], v[4:5], off offset:-28
	s_waitcnt vmcnt(1)
	v_dual_mul_f32 v15, s15, v9 :: v_dual_mul_f32 v14, s15, v7
	v_dual_mul_f32 v13, s15, v8 :: v_dual_mul_f32 v12, s15, v6
	s_waitcnt vmcnt(0)
	v_dual_mul_f32 v11, s15, v19 :: v_dual_mul_f32 v10, s15, v18
	v_dual_mul_f32 v9, s15, v17 :: v_dual_mul_f32 v8, s15, v16
	s_cbranch_scc1 .LBB12_42
; %bb.40:
	s_mul_i32 s3, s2, 48
	s_lshl_b32 s5, s4, 2
	s_ashr_i32 s9, s8, 31
	s_add_i32 s3, s3, s5
	s_lshl_b64 s[6:7], s[8:9], 2
	s_addk_i32 s3, 0xffb4
	s_add_u32 s5, s12, s6
	s_addc_u32 s6, s13, s7
	s_add_u32 s5, s5, s0
	s_addc_u32 s6, s6, s1
	v_add_co_u32 v6, vcc_lo, s5, v2
	v_add_co_ci_u32_e32 v7, vcc_lo, s6, v3, vcc_lo
	s_mov_b32 s5, s8
	s_set_inst_prefetch_distance 0x1
	.p2align	6
.LBB12_41:                              ; =>This Inner Loop Header: Depth=1
	global_load_b32 v24, v[6:7], off
	v_mov_b32_e32 v22, s3
	v_add_co_u32 v6, vcc_lo, v6, -4
	v_add_co_ci_u32_e32 v7, vcc_lo, -1, v7, vcc_lo
	ds_load_2addr_b32 v[16:17], v22 offset0:6 offset1:7
	ds_load_2addr_b32 v[18:19], v22 offset0:4 offset1:5
	;; [unrolled: 1-line block ×3, first 2 shown]
	ds_load_2addr_b32 v[22:23], v22 offset1:1
	s_add_i32 s5, s5, -1
	s_sub_i32 s3, s3, 48
	s_cmp_gt_i32 s5, s4
	s_waitcnt vmcnt(0) lgkmcnt(3)
	v_fma_f32 v15, -v24, v17, v15
	v_fma_f32 v13, -v24, v16, v13
	s_waitcnt lgkmcnt(2)
	v_fma_f32 v14, -v24, v19, v14
	v_fma_f32 v12, -v24, v18, v12
	s_waitcnt lgkmcnt(1)
	;; [unrolled: 3-line block ×3, first 2 shown]
	v_fma_f32 v9, -v24, v23, v9
	v_fma_f32 v8, -v24, v22, v8
	s_cbranch_scc1 .LBB12_41
.LBB12_42:
	s_set_inst_prefetch_distance 0x2
	s_mul_i32 s3, s4, 52
	s_mul_i32 s6, s4, 12
	s_add_i32 s5, s3, -4
	s_sub_i32 s9, s3, 52
	v_mov_b32_e32 v6, s5
	s_add_i32 s5, s4, -3
	s_add_i32 s14, s3, 0xffffff64
	s_add_i32 s10, s5, s6
	v_mov_b32_e32 v16, s9
	s_lshl_b32 s10, s10, 2
	s_add_i32 s9, s6, -12
	v_mov_b32_e32 v17, s10
	ds_load_2addr_b32 v[6:7], v6 offset1:1
	s_sub_i32 s10, s6, 24
	s_add_i32 s11, s5, s9
	s_add_i32 s5, s5, s10
	s_add_i32 s7, s4, -5
	s_lshl_b32 s5, s5, 2
	s_lshl_b32 s11, s11, 2
	s_sub_i32 s16, s6, 36
	s_sub_i32 s17, s6, 48
	s_waitcnt lgkmcnt(0)
	v_dual_mul_f32 v26, v15, v7 :: v_dual_mov_b32 v7, s14
	ds_load_b32 v22, v16
	ds_load_2addr_b32 v[16:17], v17 offset1:1
	s_add_i32 s14, s7, s10
	v_fma_f32 v13, -v26, v6, v13
	v_mov_b32_e32 v20, s5
	s_add_i32 s5, s7, s6
	s_lshl_b32 s14, s14, 2
	s_lshl_b32 s5, s5, 2
	s_delay_alu instid0(SALU_CYCLE_1)
	v_dual_mov_b32 v18, s11 :: v_dual_mov_b32 v15, s5
	s_add_i32 s5, s7, s9
	s_add_i32 s11, s4, -7
	s_lshl_b32 s5, s5, 2
	ds_load_2addr_b32 v[18:19], v18 offset1:1
	s_add_i32 s6, s11, s6
	s_delay_alu instid0(SALU_CYCLE_1)
	s_lshl_b32 s6, s6, 2
	s_waitcnt lgkmcnt(2)
	v_mul_f32_e32 v13, v13, v22
	ds_load_2addr_b32 v[20:21], v20 offset1:1
	ds_load_b32 v23, v7
	ds_load_2addr_b32 v[6:7], v15 offset1:1
	v_mov_b32_e32 v15, s5
	s_waitcnt lgkmcnt(4)
	v_fma_f32 v14, -v26, v17, v14
	v_fma_f32 v12, -v26, v16, v12
	s_add_i32 s5, s7, s16
	s_add_i32 s7, s7, s17
	s_lshl_b32 s5, s5, 2
	s_lshl_b32 s7, s7, 2
	s_waitcnt lgkmcnt(3)
	v_fma_f32 v16, -v13, v19, v14
	v_fma_f32 v17, -v13, v18, v12
	ds_load_2addr_b32 v[14:15], v15 offset1:1
	v_mov_b32_e32 v19, s5
	s_add_i32 s5, s3, 0xfffffefc
	s_delay_alu instid0(SALU_CYCLE_1)
	v_mov_b32_e32 v24, s5
	s_waitcnt lgkmcnt(3)
	v_mul_f32_e32 v12, v16, v21
	s_add_i32 s5, s11, s9
	s_waitcnt lgkmcnt(1)
	v_fma_f32 v7, -v26, v7, v11
	s_lshl_b32 s5, s5, 2
	s_delay_alu instid0(SALU_CYCLE_1)
	v_dual_mov_b32 v22, s7 :: v_dual_mov_b32 v25, s5
	v_fma_f32 v18, -v12, v20, v17
	v_mov_b32_e32 v16, s14
	s_add_i32 s5, s11, s10
	v_fma_f32 v10, -v26, v6, v10
	s_lshl_b32 s5, s5, 2
	v_mul_f32_e32 v11, v18, v23
	ds_load_2addr_b32 v[16:17], v16 offset1:1
	v_mov_b32_e32 v20, s6
	ds_load_2addr_b32 v[18:19], v19 offset1:1
	ds_load_2addr_b32 v[22:23], v22 offset1:1
	ds_load_b32 v27, v24
	ds_load_2addr_b32 v[24:25], v25 offset1:1
	ds_load_2addr_b32 v[20:21], v20 offset1:1
	s_waitcnt lgkmcnt(6)
	v_fma_f32 v7, -v13, v15, v7
	v_mov_b32_e32 v15, s5
	s_add_i32 s5, s11, s16
	s_add_i32 s11, s11, s17
	s_lshl_b32 s5, s5, 2
	s_delay_alu instid0(SALU_CYCLE_1) | instskip(SKIP_1) | instid1(SALU_CYCLE_1)
	v_mov_b32_e32 v28, s5
	s_lshl_b32 s5, s11, 2
	s_sub_i32 s6, s5, 48
	s_waitcnt lgkmcnt(5)
	v_fma_f32 v17, -v12, v17, v7
	ds_load_2addr_b32 v[6:7], v15 offset1:1
	s_waitcnt lgkmcnt(5)
	v_fma_f32 v17, -v11, v19, v17
	v_fma_f32 v19, -v13, v14, v10
	s_waitcnt lgkmcnt(1)
	v_fma_f32 v9, -v26, v21, v9
	v_fma_f32 v8, -v26, v20, v8
	s_delay_alu instid0(VALU_DEP_3) | instskip(SKIP_3) | instid1(SALU_CYCLE_1)
	v_fma_f32 v21, -v12, v16, v19
	v_mov_b32_e32 v19, s6
	ds_load_2addr_b32 v[14:15], v28 offset1:1
	s_add_i32 s6, s3, 0xfffffec8
	v_dual_mul_f32 v10, v17, v23 :: v_dual_mov_b32 v23, s6
	v_mov_b32_e32 v17, s5
	v_fma_f32 v9, -v13, v25, v9
	ds_load_2addr_b32 v[19:20], v19 offset1:1
	s_addk_i32 s5, 0xffa0
	v_fma_f32 v18, -v11, v18, v21
	ds_load_2addr_b32 v[16:17], v17 offset1:1
	s_waitcnt lgkmcnt(3)
	v_fma_f32 v7, -v12, v7, v9
	v_fma_f32 v8, -v13, v24, v8
	ds_load_b32 v21, v23
	s_addk_i32 s3, 0xfe94
	v_mov_b32_e32 v9, s5
	v_fma_f32 v18, -v10, v22, v18
	v_fma_f32 v6, -v12, v6, v8
	v_mov_b32_e32 v8, s3
	s_ashr_i32 s5, s4, 31
	s_waitcnt lgkmcnt(3)
	v_fma_f32 v7, -v11, v15, v7
	ds_load_b32 v15, v9
	v_fma_f32 v6, -v11, v14, v6
	s_lshl_b64 s[6:7], s[4:5], 2
	s_add_i32 s4, s4, -8
	v_add_co_u32 v14, vcc_lo, v0, s6
	s_waitcnt lgkmcnt(2)
	v_fma_f32 v7, -v10, v17, v7
	ds_load_b32 v17, v8
	v_mul_f32_e32 v9, v18, v27
	v_fma_f32 v6, -v10, v16, v6
	s_delay_alu instid0(VALU_DEP_2) | instskip(SKIP_1) | instid1(VALU_DEP_1)
	v_fma_f32 v7, -v9, v20, v7
	s_waitcnt lgkmcnt(2)
	v_mul_f32_e32 v8, v7, v21
	s_delay_alu instid0(VALU_DEP_3) | instskip(SKIP_1) | instid1(VALU_DEP_1)
	v_fma_f32 v6, -v9, v19, v6
	s_waitcnt lgkmcnt(1)
	v_fma_f32 v6, -v8, v15, v6
	v_add_co_ci_u32_e32 v15, vcc_lo, s7, v1, vcc_lo
	s_waitcnt lgkmcnt(0)
	s_delay_alu instid0(VALU_DEP_2)
	v_mul_f32_e32 v7, v6, v17
	s_clause 0x2
	global_store_b96 v[14:15], v[11:13], off offset:-12
	global_store_b32 v[4:5], v26, off
	global_store_b128 v[14:15], v[7:10], off offset:-28
.LBB12_43:
	s_cmp_lt_i32 s4, 0
	s_cbranch_scc1 .LBB12_56
; %bb.44:
	s_bitcmp1_b32 s4, 0
	s_mov_b32 s6, s4
	s_cselect_b32 s3, -1, 0
	s_delay_alu instid0(SALU_CYCLE_1)
	s_and_b32 vcc_lo, exec_lo, s3
	s_cbranch_vccnz .LBB12_49
; %bb.45:
	s_mov_b32 s5, 0
	s_delay_alu instid0(SALU_CYCLE_1)
	s_lshl_b64 s[6:7], s[4:5], 2
	s_cmp_le_i32 s8, s4
	v_add_co_u32 v4, vcc_lo, v0, s6
	v_add_co_ci_u32_e32 v5, vcc_lo, s7, v1, vcc_lo
	global_load_b32 v6, v[4:5], off
	s_waitcnt vmcnt(0)
	v_mul_f32_e32 v8, s15, v6
	s_cbranch_scc1 .LBB12_48
; %bb.46:
	s_mul_i32 s3, s2, 48
	s_lshl_b32 s5, s4, 2
	s_ashr_i32 s9, s8, 31
	s_add_i32 s3, s3, s5
	s_lshl_b64 s[6:7], s[8:9], 2
	s_sub_i32 s3, s3, 48
	s_add_u32 s5, s12, s6
	s_addc_u32 s6, s13, s7
	s_add_u32 s5, s5, s0
	s_addc_u32 s6, s6, s1
	v_add_co_u32 v6, vcc_lo, s5, v2
	v_add_co_ci_u32_e32 v7, vcc_lo, s6, v3, vcc_lo
	s_mov_b32 s5, s8
.LBB12_47:                              ; =>This Inner Loop Header: Depth=1
	global_load_b32 v9, v[6:7], off
	v_mov_b32_e32 v10, s3
	v_add_co_u32 v6, vcc_lo, v6, -4
	v_add_co_ci_u32_e32 v7, vcc_lo, -1, v7, vcc_lo
	ds_load_b32 v10, v10
	s_add_i32 s5, s5, -1
	s_sub_i32 s3, s3, 48
	s_cmp_gt_i32 s5, s4
	s_waitcnt vmcnt(0) lgkmcnt(0)
	v_fma_f32 v8, -v9, v10, v8
	s_cbranch_scc1 .LBB12_47
.LBB12_48:
	s_mul_i32 s3, s4, 52
	s_add_i32 s6, s4, -1
	v_mov_b32_e32 v6, s3
	ds_load_b32 v6, v6
	s_waitcnt lgkmcnt(0)
	v_mul_f32_e32 v6, v8, v6
	global_store_b32 v[4:5], v6, off
.LBB12_49:
	s_cmp_eq_u32 s4, 0
	s_mov_b32 s7, 0
	s_cbranch_scc1 .LBB12_56
; %bb.50:
	s_mul_i32 s3, s2, 48
	s_lshl_b32 s4, s6, 2
	s_ashr_i32 s9, s8, 31
	s_add_i32 s10, s3, s4
	s_lshl_b64 s[4:5], s[8:9], 2
	s_sub_i32 s3, s10, 48
	s_add_u32 s4, s12, s4
	s_addc_u32 s5, s13, s5
	s_add_u32 s0, s4, s0
	s_addc_u32 s1, s5, s1
	v_add_co_u32 v2, vcc_lo, s0, v2
	v_add_co_ci_u32_e32 v3, vcc_lo, s1, v3, vcc_lo
	s_sub_i32 s0, s10, 52
	s_branch .LBB12_52
.LBB12_51:                              ;   in Loop: Header=BB12_52 Depth=1
	s_sub_i32 s1, s1, 52
	s_add_i32 s3, s3, -8
	v_mov_b32_e32 v6, s1
	s_add_i32 s1, s6, -2
	s_add_i32 s0, s0, -8
	s_cmp_lt_i32 s6, 2
	s_mov_b32 s6, s1
	ds_load_b32 v6, v6
	s_waitcnt lgkmcnt(0)
	v_mul_f32_e32 v6, v8, v6
	global_store_b32 v[4:5], v6, off offset:-4
	s_cbranch_scc1 .LBB12_56
.LBB12_52:                              ; =>This Loop Header: Depth=1
                                        ;     Child Loop BB12_53 Depth 2
                                        ;     Child Loop BB12_55 Depth 2
	s_lshl_b64 s[4:5], s[6:7], 2
	s_cmp_le_i32 s8, s6
	v_add_co_u32 v4, vcc_lo, v0, s4
	v_add_co_ci_u32_e32 v5, vcc_lo, s5, v1, vcc_lo
	s_mov_b32 s1, s3
	s_mov_b32 s4, s8
	global_load_b32 v4, v[4:5], off
	s_waitcnt vmcnt(0)
	v_dual_mul_f32 v6, s15, v4 :: v_dual_mov_b32 v5, v3
	v_mov_b32_e32 v4, v2
	s_cbranch_scc1 .LBB12_54
.LBB12_53:                              ;   Parent Loop BB12_52 Depth=1
                                        ; =>  This Inner Loop Header: Depth=2
	global_load_b32 v7, v[4:5], off
	v_mov_b32_e32 v8, s1
	v_add_co_u32 v4, vcc_lo, v4, -4
	v_add_co_ci_u32_e32 v5, vcc_lo, -1, v5, vcc_lo
	ds_load_b32 v8, v8
	s_add_i32 s4, s4, -1
	s_sub_i32 s1, s1, 48
	s_cmp_gt_i32 s4, s6
	s_waitcnt vmcnt(0) lgkmcnt(0)
	v_fma_f32 v6, -v7, v8, v6
	s_cbranch_scc1 .LBB12_53
.LBB12_54:                              ;   in Loop: Header=BB12_52 Depth=1
	s_add_i32 s4, s6, -1
	s_mov_b32 s5, s7
	s_mul_i32 s1, s6, 52
	s_lshl_b64 s[4:5], s[4:5], 2
	s_delay_alu instid0(SALU_CYCLE_1)
	v_add_co_u32 v4, vcc_lo, v0, s4
	v_add_co_ci_u32_e32 v5, vcc_lo, s5, v1, vcc_lo
	s_ashr_i32 s5, s6, 31
	s_mov_b32 s4, s6
	global_load_b32 v7, v[4:5], off
	v_mov_b32_e32 v4, s1
	s_lshl_b64 s[4:5], s[4:5], 2
	s_cmp_lt_i32 s8, s6
	ds_load_b32 v8, v4
	v_add_co_u32 v4, vcc_lo, v0, s4
	v_add_co_ci_u32_e32 v5, vcc_lo, s5, v1, vcc_lo
	s_mov_b32 s4, s0
	s_mov_b32 s5, s2
	s_waitcnt lgkmcnt(0)
	v_mul_f32_e32 v9, v6, v8
	global_store_b32 v[4:5], v9, off
	s_waitcnt vmcnt(0)
	v_dual_mul_f32 v8, s15, v7 :: v_dual_mov_b32 v7, v3
	v_mov_b32_e32 v6, v2
	s_cbranch_scc1 .LBB12_51
.LBB12_55:                              ;   Parent Loop BB12_52 Depth=1
                                        ; =>  This Inner Loop Header: Depth=2
	global_load_b32 v9, v[6:7], off
	v_mov_b32_e32 v10, s4
	v_add_co_u32 v6, vcc_lo, v6, -4
	v_add_co_ci_u32_e32 v7, vcc_lo, -1, v7, vcc_lo
	ds_load_b32 v10, v10
	s_add_i32 s5, s5, -1
	s_sub_i32 s4, s4, 48
	s_cmp_gt_i32 s5, s6
	s_waitcnt vmcnt(0) lgkmcnt(0)
	v_fma_f32 v8, -v9, v10, v8
	s_cbranch_scc1 .LBB12_55
	s_branch .LBB12_51
.LBB12_56:
	s_nop 0
	s_sendmsg sendmsg(MSG_DEALLOC_VGPRS)
	s_endpgm
	.section	.rodata,"a",@progbits
	.p2align	6, 0x0
	.amdhsa_kernel _ZL30rocblas_trsm_small_left_deviceILi12ELi12ELb0EffPKPKfPKPfEv13rocblas_fill_18rocblas_operation_17rocblas_diagonal_iiT3_T4_lilT5_lili
		.amdhsa_group_segment_fixed_size 576
		.amdhsa_private_segment_fixed_size 0
		.amdhsa_kernarg_size 352
		.amdhsa_user_sgpr_count 14
		.amdhsa_user_sgpr_dispatch_ptr 0
		.amdhsa_user_sgpr_queue_ptr 0
		.amdhsa_user_sgpr_kernarg_segment_ptr 1
		.amdhsa_user_sgpr_dispatch_id 0
		.amdhsa_user_sgpr_private_segment_size 0
		.amdhsa_wavefront_size32 1
		.amdhsa_uses_dynamic_stack 0
		.amdhsa_enable_private_segment 0
		.amdhsa_system_sgpr_workgroup_id_x 1
		.amdhsa_system_sgpr_workgroup_id_y 0
		.amdhsa_system_sgpr_workgroup_id_z 1
		.amdhsa_system_sgpr_workgroup_info 0
		.amdhsa_system_vgpr_workitem_id 0
		.amdhsa_next_free_vgpr 92
		.amdhsa_next_free_sgpr 31
		.amdhsa_reserve_vcc 1
		.amdhsa_float_round_mode_32 0
		.amdhsa_float_round_mode_16_64 0
		.amdhsa_float_denorm_mode_32 3
		.amdhsa_float_denorm_mode_16_64 3
		.amdhsa_dx10_clamp 1
		.amdhsa_ieee_mode 1
		.amdhsa_fp16_overflow 0
		.amdhsa_workgroup_processor_mode 1
		.amdhsa_memory_ordered 1
		.amdhsa_forward_progress 0
		.amdhsa_shared_vgpr_count 0
		.amdhsa_exception_fp_ieee_invalid_op 0
		.amdhsa_exception_fp_denorm_src 0
		.amdhsa_exception_fp_ieee_div_zero 0
		.amdhsa_exception_fp_ieee_overflow 0
		.amdhsa_exception_fp_ieee_underflow 0
		.amdhsa_exception_fp_ieee_inexact 0
		.amdhsa_exception_int_div_zero 0
	.end_amdhsa_kernel
	.section	.text._ZL30rocblas_trsm_small_left_deviceILi12ELi12ELb0EffPKPKfPKPfEv13rocblas_fill_18rocblas_operation_17rocblas_diagonal_iiT3_T4_lilT5_lili,"axG",@progbits,_ZL30rocblas_trsm_small_left_deviceILi12ELi12ELb0EffPKPKfPKPfEv13rocblas_fill_18rocblas_operation_17rocblas_diagonal_iiT3_T4_lilT5_lili,comdat
.Lfunc_end12:
	.size	_ZL30rocblas_trsm_small_left_deviceILi12ELi12ELb0EffPKPKfPKPfEv13rocblas_fill_18rocblas_operation_17rocblas_diagonal_iiT3_T4_lilT5_lili, .Lfunc_end12-_ZL30rocblas_trsm_small_left_deviceILi12ELi12ELb0EffPKPKfPKPfEv13rocblas_fill_18rocblas_operation_17rocblas_diagonal_iiT3_T4_lilT5_lili
                                        ; -- End function
	.section	.AMDGPU.csdata,"",@progbits
; Kernel info:
; codeLenInByte = 7056
; NumSgprs: 33
; NumVgprs: 92
; ScratchSize: 0
; MemoryBound: 0
; FloatMode: 240
; IeeeMode: 1
; LDSByteSize: 576 bytes/workgroup (compile time only)
; SGPRBlocks: 4
; VGPRBlocks: 11
; NumSGPRsForWavesPerEU: 33
; NumVGPRsForWavesPerEU: 92
; Occupancy: 16
; WaveLimiterHint : 1
; COMPUTE_PGM_RSRC2:SCRATCH_EN: 0
; COMPUTE_PGM_RSRC2:USER_SGPR: 14
; COMPUTE_PGM_RSRC2:TRAP_HANDLER: 0
; COMPUTE_PGM_RSRC2:TGID_X_EN: 1
; COMPUTE_PGM_RSRC2:TGID_Y_EN: 0
; COMPUTE_PGM_RSRC2:TGID_Z_EN: 1
; COMPUTE_PGM_RSRC2:TIDIG_COMP_CNT: 0
	.section	.text._ZL38rocblas_trsm_small_left_device_sharedBILi12ELi12ELb1EffPKPKfPKPfEv13rocblas_fill_18rocblas_operation_17rocblas_diagonal_iiT3_T4_lilT5_lili,"axG",@progbits,_ZL38rocblas_trsm_small_left_device_sharedBILi12ELi12ELb1EffPKPKfPKPfEv13rocblas_fill_18rocblas_operation_17rocblas_diagonal_iiT3_T4_lilT5_lili,comdat
	.globl	_ZL38rocblas_trsm_small_left_device_sharedBILi12ELi12ELb1EffPKPKfPKPfEv13rocblas_fill_18rocblas_operation_17rocblas_diagonal_iiT3_T4_lilT5_lili ; -- Begin function _ZL38rocblas_trsm_small_left_device_sharedBILi12ELi12ELb1EffPKPKfPKPfEv13rocblas_fill_18rocblas_operation_17rocblas_diagonal_iiT3_T4_lilT5_lili
	.p2align	8
	.type	_ZL38rocblas_trsm_small_left_device_sharedBILi12ELi12ELb1EffPKPKfPKPfEv13rocblas_fill_18rocblas_operation_17rocblas_diagonal_iiT3_T4_lilT5_lili,@function
_ZL38rocblas_trsm_small_left_device_sharedBILi12ELi12ELb1EffPKPKfPKPfEv13rocblas_fill_18rocblas_operation_17rocblas_diagonal_iiT3_T4_lilT5_lili: ; @_ZL38rocblas_trsm_small_left_device_sharedBILi12ELi12ELb1EffPKPKfPKPfEv13rocblas_fill_18rocblas_operation_17rocblas_diagonal_iiT3_T4_lilT5_lili
; %bb.0:
	s_clause 0x1
	s_load_b128 s[8:11], s[0:1], 0x38
	s_load_b128 s[4:7], s[0:1], 0x4
	s_mov_b32 s12, s15
	s_mov_b32 s13, 0
	s_mov_b32 s15, exec_lo
	s_lshl_b64 s[20:21], s[12:13], 3
	s_waitcnt lgkmcnt(0)
	s_add_u32 s2, s8, s20
	s_addc_u32 s3, s9, s21
	s_load_b32 s27, s[0:1], 0x14
	s_load_b64 s[2:3], s[2:3], 0x0
	s_min_i32 s12, s6, 12
	s_delay_alu instid0(SALU_CYCLE_1)
	s_add_i32 s26, s12, -1
	v_cmpx_gt_i32_e64 s12, v0
	s_cbranch_execz .LBB13_10
; %bb.1:
	s_clause 0x1
	s_load_b32 s8, s[0:1], 0x28
	s_load_b128 s[16:19], s[0:1], 0x18
	s_waitcnt lgkmcnt(0)
	s_ashr_i32 s9, s8, 31
	s_add_u32 s16, s16, s20
	s_addc_u32 s17, s17, s21
	s_cmp_lt_u32 s26, 3
	s_load_b64 s[16:17], s[16:17], 0x0
	s_cbranch_scc1 .LBB13_4
; %bb.2:
	v_lshlrev_b32_e32 v3, 2, v0
	s_lshl_b64 s[20:21], s[18:19], 2
	s_mul_hi_i32 s28, s8, 12
	s_waitcnt lgkmcnt(0)
	s_add_u32 s13, s16, s20
	s_addc_u32 s20, s17, s21
	v_add_co_u32 v1, s13, s13, v3
	s_delay_alu instid0(VALU_DEP_1)
	v_add_co_ci_u32_e64 v2, null, s20, 0, s13
	s_and_b32 s13, s12, -4
	s_mul_i32 s29, s8, 12
	s_lshl_b64 s[20:21], s[8:9], 4
	s_lshl_b64 s[22:23], s[8:9], 3
	;; [unrolled: 1-line block ×3, first 2 shown]
	s_mov_b32 s30, 0
	.p2align	6
.LBB13_3:                               ; =>This Inner Loop Header: Depth=1
	v_add_co_u32 v4, vcc_lo, v1, s24
	v_add_co_ci_u32_e32 v5, vcc_lo, s25, v2, vcc_lo
	v_add_co_u32 v6, vcc_lo, v1, s22
	v_add_co_ci_u32_e32 v7, vcc_lo, s23, v2, vcc_lo
	;; [unrolled: 2-line block ×3, first 2 shown]
	s_clause 0x3
	global_load_b32 v10, v[1:2], off
	global_load_b32 v4, v[4:5], off
	;; [unrolled: 1-line block ×4, first 2 shown]
	v_add_co_u32 v1, vcc_lo, v1, s20
	v_add_co_ci_u32_e32 v2, vcc_lo, s21, v2, vcc_lo
	s_add_i32 s30, s30, 4
	s_waitcnt vmcnt(2)
	ds_store_2addr_b32 v3, v10, v4 offset1:12
	s_waitcnt vmcnt(0)
	ds_store_2addr_b32 v3, v5, v6 offset0:24 offset1:36
	v_add_nc_u32_e32 v3, 0xc0, v3
	s_cmp_eq_u32 s13, s30
	s_cbranch_scc0 .LBB13_3
.LBB13_4:
	s_and_b32 s20, s12, 3
	s_delay_alu instid0(SALU_CYCLE_1)
	s_cmp_eq_u32 s20, 0
	s_cbranch_scc1 .LBB13_7
; %bb.5:
	s_mul_i32 s21, s9, s13
	s_mul_hi_u32 s22, s8, s13
	s_lshl_b64 s[18:19], s[18:19], 2
	s_add_i32 s23, s22, s21
	s_mul_i32 s22, s8, s13
	s_mul_i32 s13, s13, 48
	s_lshl_b64 s[22:23], s[22:23], 2
	v_lshlrev_b32_e32 v1, 2, v0
	v_lshl_add_u32 v3, v0, 2, s13
	s_add_u32 s13, s22, s18
	s_addc_u32 s18, s23, s19
	s_waitcnt lgkmcnt(0)
	s_add_u32 s13, s16, s13
	s_addc_u32 s16, s17, s18
	v_add_co_u32 v1, s13, s13, v1
	s_delay_alu instid0(VALU_DEP_1)
	v_add_co_ci_u32_e64 v2, null, s16, 0, s13
	s_lshl_b64 s[8:9], s[8:9], 2
.LBB13_6:                               ; =>This Inner Loop Header: Depth=1
	global_load_b32 v4, v[1:2], off
	v_add_co_u32 v1, vcc_lo, v1, s8
	v_add_co_ci_u32_e32 v2, vcc_lo, s9, v2, vcc_lo
	s_add_i32 s20, s20, -1
	s_delay_alu instid0(SALU_CYCLE_1)
	s_cmp_lg_u32 s20, 0
	s_waitcnt vmcnt(0)
	ds_store_b32 v3, v4
	v_add_nc_u32_e32 v3, 48, v3
	s_cbranch_scc1 .LBB13_6
.LBB13_7:
	v_mul_u32_u24_e32 v1, 13, v0
	s_cmpk_lg_i32 s5, 0x84
	s_delay_alu instid0(VALU_DEP_1)
	v_dual_mov_b32 v2, 1.0 :: v_dual_lshlrev_b32 v1, 2, v1
	s_cbranch_scc0 .LBB13_9
; %bb.8:
	ds_load_b32 v2, v1
	s_waitcnt lgkmcnt(0)
	v_div_scale_f32 v3, null, v2, v2, 1.0
	s_delay_alu instid0(VALU_DEP_1) | instskip(SKIP_2) | instid1(VALU_DEP_1)
	v_rcp_f32_e32 v4, v3
	s_waitcnt_depctr 0xfff
	v_fma_f32 v5, -v3, v4, 1.0
	v_fmac_f32_e32 v4, v5, v4
	v_div_scale_f32 v5, vcc_lo, 1.0, v2, 1.0
	s_delay_alu instid0(VALU_DEP_1) | instskip(NEXT) | instid1(VALU_DEP_1)
	v_mul_f32_e32 v6, v5, v4
	v_fma_f32 v7, -v3, v6, v5
	s_delay_alu instid0(VALU_DEP_1) | instskip(NEXT) | instid1(VALU_DEP_1)
	v_fmac_f32_e32 v6, v7, v4
	v_fma_f32 v3, -v3, v6, v5
	s_delay_alu instid0(VALU_DEP_1) | instskip(NEXT) | instid1(VALU_DEP_1)
	v_div_fmas_f32 v3, v3, v4, v6
	v_div_fixup_f32 v2, v3, v2, 1.0
.LBB13_9:
	ds_store_b32 v1, v2
.LBB13_10:
	s_or_b32 exec_lo, exec_lo, s15
	s_clause 0x1
	s_load_b32 s5, s[0:1], 0x60
	s_load_b32 s13, s[0:1], 0x48
	s_lshl_b64 s[0:1], s[10:11], 2
	s_mul_i32 s9, s14, -12
	s_mul_i32 s8, s14, 12
	s_waitcnt lgkmcnt(0)
	s_ashr_i32 s15, s13, 31
	s_add_u32 s16, s2, s0
	s_addc_u32 s17, s3, s1
	s_add_i32 s5, s5, -1
	s_add_i32 s9, s9, s7
	s_mul_hi_i32 s11, s13, s8
	s_cmp_ge_u32 s14, s5
	s_mul_i32 s10, s13, s8
	s_cselect_b32 s14, s9, 12
	s_lshl_b64 s[10:11], s[10:11], 2
	s_ashr_i32 s9, s8, 31
	s_add_u32 s5, s16, s10
	s_addc_u32 s7, s17, s11
	v_cmp_gt_i32_e32 vcc_lo, s14, v0
	s_cmp_gt_i32 s6, 0
	s_mov_b32 s11, 0
	s_cselect_b32 s10, -1, 0
	s_delay_alu instid0(SALU_CYCLE_1) | instskip(NEXT) | instid1(SALU_CYCLE_1)
	s_and_b32 s14, vcc_lo, s10
	s_and_saveexec_b32 s16, s14
	s_cbranch_execz .LBB13_18
; %bb.11:
	s_cmp_lt_i32 s6, 8
	s_cbranch_scc1 .LBB13_15
; %bb.12:
	v_mad_i64_i32 v[1:2], null, s13, v0, 0
	s_lshl_b32 s10, s12, 2
	s_delay_alu instid0(SALU_CYCLE_1) | instskip(SKIP_1) | instid1(VALU_DEP_1)
	s_and_b32 s17, s10, 32
	s_mov_b64 s[10:11], 0
	v_lshlrev_b64 v[2:3], 2, v[1:2]
	v_lshl_or_b32 v1, v0, 2, 0x240
	s_delay_alu instid0(VALU_DEP_2) | instskip(NEXT) | instid1(VALU_DEP_3)
	v_add_co_u32 v2, vcc_lo, s5, v2
	v_add_co_ci_u32_e32 v3, vcc_lo, s7, v3, vcc_lo
	.p2align	6
.LBB13_13:                              ; =>This Inner Loop Header: Depth=1
	s_delay_alu instid0(VALU_DEP_2) | instskip(NEXT) | instid1(VALU_DEP_2)
	v_add_co_u32 v8, vcc_lo, v2, s10
	v_add_co_ci_u32_e32 v9, vcc_lo, s11, v3, vcc_lo
	s_add_u32 s10, s10, 32
	s_addc_u32 s11, s11, 0
	s_cmp_lg_u32 s17, s10
	s_clause 0x1
	global_load_b128 v[4:7], v[8:9], off
	global_load_b128 v[8:11], v[8:9], off offset:16
	s_waitcnt vmcnt(1)
	v_dual_mul_f32 v4, s27, v4 :: v_dual_mul_f32 v5, s27, v5
	v_dual_mul_f32 v6, s27, v6 :: v_dual_mul_f32 v7, s27, v7
	s_waitcnt vmcnt(0)
	v_dual_mul_f32 v8, s27, v8 :: v_dual_mul_f32 v9, s27, v9
	v_dual_mul_f32 v10, s27, v10 :: v_dual_mul_f32 v11, s27, v11
	ds_store_2addr_b32 v1, v4, v5 offset1:12
	ds_store_2addr_b32 v1, v6, v7 offset0:24 offset1:36
	ds_store_2addr_b32 v1, v8, v9 offset0:48 offset1:60
	;; [unrolled: 1-line block ×3, first 2 shown]
	v_add_nc_u32_e32 v1, 0x180, v1
	s_cbranch_scc1 .LBB13_13
; %bb.14:
	s_mov_b32 s11, 8
.LBB13_15:
	s_and_b32 s10, s12, 7
	s_delay_alu instid0(SALU_CYCLE_1)
	s_cmp_eq_u32 s10, 0
	s_cbranch_scc1 .LBB13_18
; %bb.16:
	v_lshlrev_b32_e32 v3, 2, v0
	s_lshl_b64 s[18:19], s[8:9], 2
	s_lshl_b32 s17, s11, 2
	s_mul_i32 s11, s11, 48
	s_add_u32 s17, s2, s17
	v_add_co_u32 v4, s18, s18, v3
	s_delay_alu instid0(VALU_DEP_1) | instskip(SKIP_3) | instid1(VALU_DEP_1)
	v_add_co_ci_u32_e64 v5, null, s19, 0, s18
	s_addc_u32 s19, s3, 0
	s_add_u32 s18, s17, s0
	s_addc_u32 s19, s19, s1
	v_mul_lo_u32 v5, v5, s13
	v_mad_u64_u32 v[1:2], null, v4, s13, s[18:19]
	v_mul_lo_u32 v4, v4, s15
	v_add3_u32 v3, s11, v3, 0x240
	s_delay_alu instid0(VALU_DEP_2)
	v_add3_u32 v2, v5, v2, v4
.LBB13_17:                              ; =>This Inner Loop Header: Depth=1
	global_load_b32 v4, v[1:2], off
	v_add_co_u32 v1, vcc_lo, v1, 4
	v_add_co_ci_u32_e32 v2, vcc_lo, 0, v2, vcc_lo
	s_add_i32 s10, s10, -1
	s_delay_alu instid0(SALU_CYCLE_1)
	s_cmp_lg_u32 s10, 0
	s_waitcnt vmcnt(0)
	v_mul_f32_e32 v4, s27, v4
	ds_store_b32 v3, v4
	v_add_nc_u32_e32 v3, 48, v3
	s_cbranch_scc1 .LBB13_17
.LBB13_18:
	s_or_b32 exec_lo, exec_lo, s16
	s_cmpk_eq_i32 s4, 0x6f
	s_mov_b32 s4, -1
	s_waitcnt vmcnt(0) lgkmcnt(0)
	s_waitcnt_vscnt null, 0x0
	; wave barrier
	s_waitcnt lgkmcnt(0)
	buffer_gl0_inv
	s_cbranch_scc1 .LBB13_41
; %bb.19:
	s_cmp_gt_i32 s6, 11
	s_cbranch_scc0 .LBB13_21
; %bb.20:
	s_mul_i32 s4, s12, 12
	s_mul_i32 s10, s26, 12
	s_sub_i32 s11, s4, 24
	v_add_lshl_u32 v1, s10, v0, 2
	v_add_lshl_u32 v21, s11, v0, 2
	s_mul_i32 s10, s26, 52
	s_sub_i32 s11, s4, 36
	s_sub_i32 s18, s10, 52
	ds_load_b32 v3, v1 offset:576
	ds_load_b32 v5, v21 offset:576
	v_dual_mov_b32 v1, s10 :: v_dual_mov_b32 v2, s18
	v_add_lshl_u32 v22, s11, v0, 2
	s_add_i32 s11, s11, s26
	s_add_i32 s20, s10, 0xffffff98
	ds_load_b32 v4, v1
	s_lshl_b32 s11, s11, 2
	ds_load_2addr_b32 v[1:2], v2 offset1:1
	v_dual_mov_b32 v6, s11 :: v_dual_mov_b32 v9, s20
	s_sub_i32 s16, s4, 48
	s_sub_i32 s17, s4, 60
	v_add_lshl_u32 v23, s16, v0, 2
	s_add_i32 s18, s4, 0xffffffb8
	ds_load_b32 v6, v6
	ds_load_b32 v7, v22 offset:576
	v_add_lshl_u32 v24, s17, v0, 2
	s_add_i32 s11, s4, 0xffffffac
	v_add_lshl_u32 v25, s18, v0, 2
	s_add_i32 s19, s4, 0xffffffa0
	v_add_lshl_u32 v26, s11, v0, 2
	v_add_lshl_u32 v27, s19, v0, 2
	ds_load_b32 v8, v23 offset:576
	ds_load_b32 v11, v24 offset:576
	;; [unrolled: 1-line block ×5, first 2 shown]
	s_add_i32 s17, s17, s26
	s_add_i32 s16, s16, s26
	s_lshl_b32 s17, s17, 2
	s_waitcnt lgkmcnt(8)
	v_mul_f32_e32 v28, v3, v4
	ds_load_2addr_b32 v[3:4], v9 offset1:1
	v_mov_b32_e32 v9, s17
	s_add_i32 s17, s17, -8
	s_add_i32 s18, s18, s26
	s_waitcnt lgkmcnt(8)
	v_fma_f32 v2, -v28, v2, v5
	s_lshl_b32 s16, s16, 2
	s_add_i32 s11, s11, s26
	s_add_i32 s16, s16, -4
	s_lshl_b32 s11, s11, 2
	v_mul_f32_e32 v29, v2, v1
	s_waitcnt lgkmcnt(6)
	v_fma_f32 v7, -v28, v6, v7
	s_add_i32 s19, s19, s26
	s_add_i32 s20, s4, 0xffffff88
	s_delay_alu instid0(SALU_CYCLE_1) | instskip(SKIP_3) | instid1(VALU_DEP_1)
	v_add_lshl_u32 v32, s20, v0, 2
	s_add_i32 s20, s20, s26
	s_waitcnt lgkmcnt(0)
	v_fma_f32 v4, -v29, v4, v7
	v_mul_f32_e32 v31, v4, v3
	v_mov_b32_e32 v3, s17
	s_lshl_b32 s17, s18, 2
	s_add_i32 s18, s10, 0xffffff30
	s_add_i32 s21, s17, -4
	s_add_i32 s17, s17, -12
	v_mov_b32_e32 v7, s18
	v_mov_b32_e32 v13, s17
	s_add_i32 s17, s10, 0xfffffefc
	s_delay_alu instid0(SALU_CYCLE_1) | instskip(SKIP_2) | instid1(SALU_CYCLE_1)
	v_dual_mov_b32 v1, s16 :: v_dual_mov_b32 v14, s17
	s_add_i32 s16, s10, 0xffffff64
	s_add_i32 s18, s11, -4
	v_dual_mov_b32 v5, s16 :: v_dual_mov_b32 v18, s18
	ds_load_2addr_b32 v[1:2], v1 offset1:1
	ds_load_2addr_b32 v[5:6], v5 offset1:1
	ds_load_b32 v12, v9
	ds_load_2addr_b32 v[3:4], v3 offset1:1
	v_mov_b32_e32 v9, s21
	s_add_i32 s18, s11, -12
	s_sub_i32 s11, s11, 20
	s_add_i32 s16, s4, 0xffffff94
	s_add_i32 s17, s4, 0xffffff7c
	v_add_lshl_u32 v30, s16, v0, 2
	s_add_i32 s16, s16, s26
	v_add_lshl_u32 v33, s17, v0, 2
	s_lshl_b32 s16, s16, 2
	s_add_i32 s17, s17, s26
	s_delay_alu instid0(SALU_CYCLE_1) | instskip(NEXT) | instid1(SALU_CYCLE_1)
	s_lshl_b32 s17, s17, 2
	s_sub_i32 s21, s17, 32
	s_waitcnt lgkmcnt(3)
	v_fma_f32 v2, -v28, v2, v8
	ds_load_2addr_b32 v[7:8], v7 offset1:1
	ds_load_2addr_b32 v[9:10], v9 offset1:1
	s_waitcnt lgkmcnt(3)
	v_fma_f32 v20, -v28, v12, v11
	v_fma_f32 v19, -v29, v1, v2
	ds_load_2addr_b32 v[1:2], v13 offset1:1
	ds_load_2addr_b32 v[11:12], v14 offset1:1
	;; [unrolled: 1-line block ×3, first 2 shown]
	s_waitcnt lgkmcnt(5)
	v_fma_f32 v4, -v29, v4, v20
	v_mov_b32_e32 v18, s18
	s_lshl_b32 s18, s19, 2
	v_fma_f32 v6, -v31, v6, v19
	s_add_i32 s19, s18, -8
	s_delay_alu instid0(VALU_DEP_1)
	v_mul_f32_e32 v34, v6, v5
	v_fma_f32 v5, -v31, v3, v4
	ds_load_2addr_b32 v[3:4], v18 offset1:1
	s_waitcnt lgkmcnt(4)
	v_fma_f32 v10, -v28, v10, v15
	v_fma_f32 v8, -v34, v8, v5
	s_delay_alu instid0(VALU_DEP_2) | instskip(NEXT) | instid1(VALU_DEP_2)
	v_fma_f32 v6, -v29, v9, v10
	v_dual_mov_b32 v9, s11 :: v_dual_mul_f32 v36, v8, v7
	v_mov_b32_e32 v7, s18
	s_add_i32 s11, s4, 0xffffff70
	s_waitcnt lgkmcnt(3)
	v_fma_f32 v2, -v31, v2, v6
	ds_load_2addr_b32 v[5:6], v9 offset1:1
	s_waitcnt lgkmcnt(2)
	v_fma_f32 v9, -v28, v14, v16
	v_add_lshl_u32 v35, s11, v0, 2
	ds_load_b32 v18, v30 offset:576
	ds_load_b32 v19, v32 offset:576
	;; [unrolled: 1-line block ×4, first 2 shown]
	v_fma_f32 v1, -v34, v1, v2
	v_fma_f32 v2, -v29, v13, v9
	s_add_i32 s11, s11, s26
	s_add_i32 s4, s4, -12
	s_lshl_b32 s11, s11, 2
	v_fma_f32 v1, -v36, v12, v1
	s_waitcnt lgkmcnt(5)
	v_fma_f32 v2, -v31, v4, v2
	v_mov_b32_e32 v4, s19
	s_add_i32 s19, s16, -4
	ds_load_b32 v12, v7
	v_mul_f32_e32 v38, v1, v11
	v_fma_f32 v13, -v34, v3, v2
	ds_load_2addr_b32 v[1:2], v4 offset1:1
	v_mov_b32_e32 v7, s19
	s_add_i32 s19, s18, -16
	s_sub_i32 s18, s18, 24
	s_waitcnt lgkmcnt(6)
	v_fma_f32 v6, -v36, v6, v13
	v_mov_b32_e32 v9, s18
	ds_load_2addr_b32 v[3:4], v7 offset1:1
	s_add_i32 s18, s16, -12
	s_add_i32 s22, s11, -4
	v_mov_b32_e32 v11, s18
	s_sub_i32 s18, s16, 20
	s_sub_i32 s16, s16, 28
	v_mov_b32_e32 v16, s18
	s_waitcnt lgkmcnt(2)
	v_fma_f32 v15, -v28, v12, v17
	v_mov_b32_e32 v17, s16
	s_add_i32 s16, s10, 0xfffffe94
	s_waitcnt lgkmcnt(1)
	s_delay_alu instid0(VALU_DEP_2) | instskip(SKIP_2) | instid1(VALU_DEP_2)
	v_fma_f32 v2, -v29, v2, v15
	s_waitcnt lgkmcnt(0)
	v_fma_f32 v4, -v28, v4, v18
	v_fma_f32 v1, -v31, v1, v2
	;; [unrolled: 1-line block ×3, first 2 shown]
	s_delay_alu instid0(VALU_DEP_3) | instskip(SKIP_4) | instid1(SALU_CYCLE_1)
	v_fma_f32 v3, -v29, v3, v4
	v_mov_b32_e32 v4, s16
	s_lshl_b32 s16, s20, 2
	s_add_i32 s20, s17, -16
	s_add_i32 s18, s16, -8
	v_dual_mov_b32 v5, s16 :: v_dual_mov_b32 v6, s18
	s_add_i32 s18, s16, -16
	v_mov_b32_e32 v7, s19
	ds_load_2addr_b32 v[7:8], v7 offset1:1
	ds_load_2addr_b32 v[9:10], v9 offset1:1
	s_add_i32 s19, s10, 0xfffffec8
	ds_load_2addr_b32 v[11:12], v11 offset1:1
	v_mov_b32_e32 v14, s19
	s_sub_i32 s19, s16, 24
	s_sub_i32 s16, s16, 32
	ds_load_b32 v39, v14
	ds_load_2addr_b32 v[13:14], v16 offset1:1
	ds_load_2addr_b32 v[15:16], v17 offset1:1
	ds_load_b32 v4, v4
	s_waitcnt lgkmcnt(6)
	v_fma_f32 v1, -v34, v8, v1
	v_mov_b32_e32 v8, s19
	s_mul_i32 s19, s12, 52
	s_waitcnt lgkmcnt(4)
	v_fma_f32 v3, -v31, v12, v3
	v_fma_f32 v1, -v36, v7, v1
	ds_load_b32 v7, v5
	v_fma_f32 v3, -v34, v11, v3
	s_waitcnt lgkmcnt(4)
	v_mul_f32_e32 v39, v2, v39
	v_fma_f32 v5, -v38, v10, v1
	ds_load_2addr_b32 v[1:2], v6 offset1:1
	v_mov_b32_e32 v6, s18
	s_waitcnt lgkmcnt(4)
	v_fma_f32 v3, -v36, v14, v3
	s_add_i32 s18, s17, -8
	v_fma_f32 v5, -v39, v9, v5
	v_mov_b32_e32 v11, s22
	s_delay_alu instid0(VALU_DEP_3) | instskip(SKIP_1) | instid1(VALU_DEP_3)
	v_fma_f32 v3, -v38, v13, v3
	s_waitcnt lgkmcnt(2)
	v_dual_mov_b32 v13, s20 :: v_dual_mul_f32 v40, v5, v4
	s_delay_alu instid0(VALU_DEP_2)
	v_fma_f32 v9, -v39, v16, v3
	ds_load_2addr_b32 v[3:4], v6 offset1:1
	ds_load_2addr_b32 v[5:6], v8 offset1:1
	v_mov_b32_e32 v8, s18
	s_waitcnt lgkmcnt(3)
	v_fma_f32 v7, -v28, v7, v19
	s_add_i32 s18, s10, 0xfffffe60
	v_fma_f32 v41, -v40, v15, v9
	v_mov_b32_e32 v19, s18
	s_addk_i32 s10, 0xfe2c
	s_waitcnt lgkmcnt(2)
	v_fma_f32 v2, -v29, v2, v7
	v_mov_b32_e32 v7, s17
	s_sub_i32 s17, s17, 24
	s_delay_alu instid0(SALU_CYCLE_1) | instskip(NEXT) | instid1(VALU_DEP_3)
	v_mov_b32_e32 v16, s17
	v_fma_f32 v15, -v31, v1, v2
	ds_load_b32 v17, v7
	ds_load_2addr_b32 v[1:2], v8 offset1:1
	v_mov_b32_e32 v7, s21
	s_add_i32 s21, s19, 0xfffffdc4
	s_add_i32 s17, s11, -12
	v_mov_b32_e32 v9, s21
	ds_load_2addr_b32 v[7:8], v7 offset1:1
	ds_load_2addr_b32 v[9:10], v9 offset1:1
	;; [unrolled: 1-line block ×4, first 2 shown]
	v_mov_b32_e32 v18, s17
	s_waitcnt lgkmcnt(7)
	v_fma_f32 v4, -v34, v4, v15
	ds_load_2addr_b32 v[15:16], v16 offset1:1
	v_fma_f32 v4, -v36, v3, v4
	s_waitcnt lgkmcnt(6)
	v_fma_f32 v20, -v28, v17, v20
	ds_load_2addr_b32 v[17:18], v18 offset1:1
	ds_load_b32 v42, v19
	v_mov_b32_e32 v19, s16
	s_sub_i32 s16, s11, 20
	v_fma_f32 v4, -v38, v6, v4
	s_waitcnt lgkmcnt(7)
	v_fma_f32 v20, -v29, v2, v20
	v_mov_b32_e32 v43, s16
	ds_load_2addr_b32 v[2:3], v19 offset1:1
	s_waitcnt lgkmcnt(5)
	v_fma_f32 v12, -v28, v12, v37
	v_fma_f32 v1, -v31, v1, v20
	v_mov_b32_e32 v37, s10
	s_sub_i32 s10, s11, 28
	s_delay_alu instid0(VALU_DEP_3)
	v_fma_f32 v11, -v29, v11, v12
	s_waitcnt lgkmcnt(4)
	v_fma_f32 v1, -v34, v14, v1
	v_mov_b32_e32 v12, s10
	s_sub_i32 s10, s11, 36
	ds_load_b32 v6, v37
	s_add_i32 s11, s19, 0xfffffd90
	v_fma_f32 v1, -v36, v13, v1
	s_waitcnt lgkmcnt(3)
	v_fma_f32 v13, -v31, v18, v11
	ds_load_2addr_b32 v[11:12], v12 offset1:1
	ds_load_2addr_b32 v[19:20], v43 offset1:1
	v_mov_b32_e32 v14, s10
	v_mov_b32_e32 v18, s11
	v_fma_f32 v17, -v34, v17, v13
	v_fma_f32 v37, -v39, v5, v4
	;; [unrolled: 1-line block ×3, first 2 shown]
	ds_load_2addr_b32 v[4:5], v14 offset1:1
	ds_load_2addr_b32 v[13:14], v18 offset1:1
	s_waitcnt lgkmcnt(5)
	v_fma_f32 v3, -v40, v3, v37
	v_fma_f32 v1, -v39, v15, v1
	s_delay_alu instid0(VALU_DEP_1) | instskip(SKIP_3) | instid1(VALU_DEP_2)
	v_fma_f32 v1, -v40, v8, v1
	s_waitcnt lgkmcnt(2)
	v_fma_f32 v16, -v36, v20, v17
	v_mul_f32_e32 v17, v41, v42
	v_fma_f32 v15, -v38, v19, v16
	s_delay_alu instid0(VALU_DEP_2) | instskip(SKIP_1) | instid1(VALU_DEP_3)
	v_fma_f32 v2, -v17, v2, v3
	v_fma_f32 v1, -v17, v7, v1
	;; [unrolled: 1-line block ×3, first 2 shown]
	s_delay_alu instid0(VALU_DEP_3) | instskip(NEXT) | instid1(VALU_DEP_2)
	v_mul_f32_e32 v2, v2, v6
	v_fma_f32 v3, -v40, v11, v3
	s_delay_alu instid0(VALU_DEP_2) | instskip(SKIP_1) | instid1(VALU_DEP_2)
	v_fma_f32 v1, -v2, v10, v1
	s_waitcnt lgkmcnt(1)
	v_fma_f32 v3, -v17, v5, v3
	s_delay_alu instid0(VALU_DEP_2) | instskip(SKIP_2) | instid1(VALU_DEP_3)
	v_mul_f32_e32 v1, v1, v9
	v_add_lshl_u32 v5, s4, v0, 2
	s_add_i32 s4, s12, -13
	v_fma_f32 v3, -v2, v4, v3
	ds_store_b32 v5, v28 offset:576
	ds_store_b32 v21, v29 offset:576
	;; [unrolled: 1-line block ×11, first 2 shown]
	s_waitcnt lgkmcnt(11)
	v_fma_f32 v3, -v1, v14, v3
	s_delay_alu instid0(VALU_DEP_1)
	v_mul_f32_e32 v3, v3, v13
	ds_store_b32 v35, v3 offset:576
	s_cmp_gt_i32 s4, -1
	s_cbranch_scc1 .LBB13_22
	s_branch .LBB13_40
.LBB13_21:
	s_mov_b32 s4, s26
	s_delay_alu instid0(SALU_CYCLE_1)
	s_cmp_gt_i32 s4, -1
	s_cbranch_scc0 .LBB13_40
.LBB13_22:
	s_cmp_lt_u32 s4, 7
	s_cbranch_scc1 .LBB13_27
; %bb.23:
	s_mul_i32 s11, s4, 12
	s_delay_alu instid0(SALU_CYCLE_1)
	s_add_i32 s10, s11, -12
	s_sub_i32 s16, s11, 24
	v_add_lshl_u32 v4, s11, v0, 2
	v_add_lshl_u32 v5, s10, v0, 2
	s_sub_i32 s17, s11, 36
	v_add_lshl_u32 v1, s16, v0, 2
	s_sub_i32 s16, s11, 48
	;; [unrolled: 2-line block ×3, first 2 shown]
	v_add_lshl_u32 v3, s16, v0, 2
	s_add_i32 s16, s11, 0xffffffb8
	s_addk_i32 s11, 0xffac
	v_add_lshl_u32 v11, s17, v0, 2
	v_add_lshl_u32 v12, s16, v0, 2
	;; [unrolled: 1-line block ×3, first 2 shown]
	ds_load_b32 v10, v4 offset:576
	ds_load_b32 v9, v5 offset:576
	;; [unrolled: 1-line block ×8, first 2 shown]
	s_cmp_le_i32 s26, s4
	s_cbranch_scc1 .LBB13_26
; %bb.24:
	v_lshlrev_b32_e32 v11, 2, v0
	s_mul_i32 s17, s12, 48
	s_mul_i32 s11, s4, 48
	s_lshl_b32 s16, s12, 2
	s_delay_alu instid0(SALU_CYCLE_1)
	s_add_i32 s11, s11, s16
	v_add3_u32 v11, s17, v11, 0x210
	s_addk_i32 s11, 0xfeac
	s_mov_b32 s16, s26
	.p2align	6
.LBB13_25:                              ; =>This Inner Loop Header: Depth=1
	v_mov_b32_e32 v18, s11
	s_add_i32 s16, s16, -1
	s_add_i32 s11, s11, -4
	s_cmp_gt_i32 s16, s4
	ds_load_b32 v20, v11
	ds_load_2addr_b32 v[12:13], v18 offset0:72 offset1:84
	ds_load_2addr_b32 v[14:15], v18 offset0:48 offset1:60
	ds_load_2addr_b32 v[16:17], v18 offset0:24 offset1:36
	ds_load_2addr_b32 v[18:19], v18 offset1:12
	v_subrev_nc_u32_e32 v11, 48, v11
	s_waitcnt lgkmcnt(3)
	v_fma_f32 v10, -v20, v13, v10
	v_fma_f32 v9, -v20, v12, v9
	s_waitcnt lgkmcnt(2)
	v_fma_f32 v8, -v20, v15, v8
	v_fma_f32 v7, -v20, v14, v7
	;; [unrolled: 3-line block ×4, first 2 shown]
	s_cbranch_scc1 .LBB13_25
.LBB13_26:
	s_mul_i32 s11, s4, 52
	s_add_i32 s16, s10, -12
	s_sub_i32 s17, s11, 52
	s_delay_alu instid0(SALU_CYCLE_1)
	v_dual_mov_b32 v12, s17 :: v_dual_add_nc_u32 v5, 0x240, v5
	s_add_i32 s17, s16, s4
	s_sub_i32 s18, s10, 24
	s_lshl_b32 s17, s17, 2
	s_add_i32 s19, s18, s4
	v_mov_b32_e32 v13, s17
	s_lshl_b32 s17, s19, 2
	v_dual_mov_b32 v11, s11 :: v_dual_add_nc_u32 v4, 0x240, v4
	s_add_i32 s17, s17, -4
	s_sub_i32 s20, s10, 36
	s_add_i32 s19, s11, 0xffffff98
	v_mov_b32_e32 v14, s17
	s_add_i32 s17, s20, s4
	ds_load_b32 v17, v11
	ds_load_b32 v21, v13
	s_lshl_b32 s17, s17, 2
	s_delay_alu instid0(SALU_CYCLE_1) | instskip(SKIP_2) | instid1(SALU_CYCLE_1)
	v_dual_mov_b32 v15, s19 :: v_dual_mov_b32 v18, s17
	s_add_i32 s19, s11, 0xffffff64
	s_add_i32 s17, s17, -8
	v_dual_mov_b32 v19, s19 :: v_dual_mov_b32 v20, s17
	ds_load_2addr_b32 v[15:16], v15 offset1:1
	ds_load_2addr_b32 v[11:12], v12 offset1:1
	;; [unrolled: 1-line block ×3, first 2 shown]
	ds_load_b32 v22, v18
	s_sub_i32 s17, s10, 48
	s_add_i32 s21, s11, 0xffffff30
	s_add_i32 s22, s17, s4
	s_sub_i32 s19, s10, 60
	s_lshl_b32 s22, s22, 2
	s_add_i32 s23, s19, s4
	s_addk_i32 s10, 0xffb8
	s_waitcnt lgkmcnt(5)
	v_mul_f32_e32 v23, v10, v17
	ds_load_2addr_b32 v[17:18], v19 offset1:1
	ds_load_2addr_b32 v[19:20], v20 offset1:1
	s_lshl_b32 s23, s23, 2
	s_waitcnt lgkmcnt(6)
	v_fma_f32 v8, -v23, v21, v8
	s_waitcnt lgkmcnt(4)
	v_fma_f32 v9, -v23, v12, v9
	;; [unrolled: 2-line block ×3, first 2 shown]
	s_delay_alu instid0(VALU_DEP_2) | instskip(SKIP_2) | instid1(VALU_DEP_2)
	v_mul_f32_e32 v21, v9, v11
	v_mov_b32_e32 v9, s21
	s_add_i32 s21, s22, -4
	v_fma_f32 v8, -v21, v16, v8
	s_delay_alu instid0(VALU_DEP_1)
	v_mul_f32_e32 v22, v8, v15
	v_fma_f32 v7, -v23, v14, v7
	v_mov_b32_e32 v8, s21
	s_waitcnt lgkmcnt(0)
	v_fma_f32 v10, -v21, v20, v6
	s_add_i32 s21, s22, -12
	s_add_i32 s22, s23, -4
	v_fma_f32 v7, -v21, v13, v7
	s_delay_alu instid0(VALU_DEP_2) | instskip(SKIP_2) | instid1(VALU_DEP_3)
	v_fma_f32 v20, -v22, v19, v10
	v_mov_b32_e32 v10, s22
	s_add_i32 s22, s23, -12
	v_fma_f32 v11, -v22, v18, v7
	v_mov_b32_e32 v12, s21
	s_add_i32 s21, s11, 0xfffffefc
	s_delay_alu instid0(SALU_CYCLE_1) | instskip(NEXT) | instid1(VALU_DEP_3)
	v_mov_b32_e32 v14, s21
	v_mul_f32_e32 v24, v11, v17
	ds_load_2addr_b32 v[6:7], v9 offset1:1
	ds_load_2addr_b32 v[8:9], v8 offset1:1
	s_add_i32 s21, s10, s4
	v_mov_b32_e32 v17, s22
	s_lshl_b32 s21, s21, 2
	s_add_i32 s4, s4, -8
	s_add_i32 s22, s21, -8
	v_mov_b32_e32 v16, s21
	v_mov_b32_e32 v18, s22
	s_sub_i32 s22, s23, 20
	ds_load_2addr_b32 v[12:13], v12 offset1:1
	ds_load_2addr_b32 v[18:19], v18 offset1:1
	s_waitcnt lgkmcnt(3)
	v_fma_f32 v20, -v24, v7, v20
	s_waitcnt lgkmcnt(2)
	v_fma_f32 v3, -v23, v9, v3
	v_mov_b32_e32 v9, s22
	ds_load_2addr_b32 v[10:11], v10 offset1:1
	s_add_i32 s22, s21, -16
	s_sub_i32 s21, s21, 24
	v_fma_f32 v3, -v21, v8, v3
	v_mov_b32_e32 v26, s21
	s_add_i32 s21, s11, 0xfffffec8
	s_delay_alu instid0(SALU_CYCLE_1)
	v_dual_mul_f32 v6, v20, v6 :: v_dual_mov_b32 v27, s21
	ds_load_b32 v25, v16
	ds_load_2addr_b32 v[16:17], v17 offset1:1
	ds_load_2addr_b32 v[7:8], v9 offset1:1
	v_mov_b32_e32 v9, s22
	ds_load_2addr_b32 v[14:15], v14 offset1:1
	s_waitcnt lgkmcnt(6)
	v_fma_f32 v13, -v22, v13, v3
	s_addk_i32 s11, 0xfe94
	s_delay_alu instid0(VALU_DEP_1)
	v_fma_f32 v12, -v24, v12, v13
	ds_load_b32 v13, v27
	s_waitcnt lgkmcnt(5)
	v_fma_f32 v11, -v23, v11, v2
	ds_load_2addr_b32 v[2:3], v9 offset1:1
	v_fma_f32 v11, -v21, v10, v11
	ds_load_2addr_b32 v[9:10], v26 offset1:1
	s_waitcnt lgkmcnt(6)
	v_fma_f32 v1, -v23, v25, v1
	s_waitcnt lgkmcnt(5)
	v_fma_f32 v11, -v22, v17, v11
	;; [unrolled: 2-line block ×3, first 2 shown]
	v_fma_f32 v1, -v21, v19, v1
	v_mov_b32_e32 v15, s11
	v_fma_f32 v11, -v24, v16, v11
	s_delay_alu instid0(VALU_DEP_4) | instskip(NEXT) | instid1(VALU_DEP_4)
	v_mul_f32_e32 v12, v12, v14
	v_fma_f32 v1, -v22, v18, v1
	s_delay_alu instid0(VALU_DEP_3) | instskip(SKIP_2) | instid1(VALU_DEP_3)
	v_fma_f32 v8, -v6, v8, v11
	v_add_lshl_u32 v11, s19, v0, 2
	s_waitcnt lgkmcnt(1)
	v_fma_f32 v1, -v24, v3, v1
	ds_load_b32 v3, v15
	v_fma_f32 v7, -v12, v7, v8
	v_add_lshl_u32 v8, s18, v0, 2
	v_fma_f32 v1, -v6, v2, v1
	s_delay_alu instid0(VALU_DEP_3) | instskip(SKIP_2) | instid1(VALU_DEP_3)
	v_mul_f32_e32 v2, v7, v13
	v_add_lshl_u32 v7, s16, v0, 2
	s_waitcnt lgkmcnt(1)
	v_fma_f32 v1, -v12, v10, v1
	v_add_lshl_u32 v10, s17, v0, 2
	s_delay_alu instid0(VALU_DEP_2)
	v_fma_f32 v1, -v2, v9, v1
	v_add_lshl_u32 v9, s20, v0, 2
	ds_store_b32 v4, v23
	ds_store_b32 v5, v21
	ds_store_b32 v7, v22 offset:576
	ds_store_b32 v8, v24 offset:576
	;; [unrolled: 1-line block ×5, first 2 shown]
	s_waitcnt lgkmcnt(7)
	v_mul_f32_e32 v1, v1, v3
	v_add_lshl_u32 v3, s10, v0, 2
	ds_store_b32 v3, v1 offset:576
.LBB13_27:
	s_cmp_lt_i32 s4, 0
	s_cbranch_scc1 .LBB13_40
; %bb.28:
	s_bitcmp1_b32 s4, 0
	s_cselect_b32 s10, -1, 0
	s_delay_alu instid0(SALU_CYCLE_1)
	s_and_b32 vcc_lo, exec_lo, s10
	s_mov_b32 s10, s4
	s_cbranch_vccnz .LBB13_33
; %bb.29:
	s_mul_i32 s10, s4, 12
	s_cmp_le_i32 s26, s4
	v_add_lshl_u32 v2, s10, v0, 2
	ds_load_b32 v1, v2 offset:576
	s_cbranch_scc1 .LBB13_32
; %bb.30:
	v_lshlrev_b32_e32 v3, 2, v0
	s_mul_i32 s16, s12, 48
	s_mul_i32 s10, s4, 48
	s_lshl_b32 s11, s12, 2
	s_delay_alu instid0(SALU_CYCLE_1)
	s_add_i32 s10, s10, s11
	v_add3_u32 v3, s16, v3, 0x210
	s_add_i32 s10, s10, -4
	s_mov_b32 s11, s26
.LBB13_31:                              ; =>This Inner Loop Header: Depth=1
	v_mov_b32_e32 v4, s10
	s_add_i32 s11, s11, -1
	s_add_i32 s10, s10, -4
	s_cmp_gt_i32 s11, s4
	ds_load_b32 v5, v3
	ds_load_b32 v4, v4
	v_subrev_nc_u32_e32 v3, 48, v3
	s_waitcnt lgkmcnt(0)
	v_fma_f32 v1, -v5, v4, v1
	s_cbranch_scc1 .LBB13_31
.LBB13_32:
	s_mul_i32 s10, s4, 52
	s_delay_alu instid0(SALU_CYCLE_1)
	v_dual_mov_b32 v3, s10 :: v_dual_add_nc_u32 v2, 0x240, v2
	s_add_i32 s10, s4, -1
	ds_load_b32 v3, v3
	s_waitcnt lgkmcnt(0)
	v_mul_f32_e32 v1, v1, v3
	ds_store_b32 v2, v1
.LBB13_33:
	s_cmp_eq_u32 s4, 0
	s_cbranch_scc1 .LBB13_40
; %bb.34:
	v_lshlrev_b32_e32 v1, 2, v0
	s_mul_i32 s16, s12, 48
	s_mul_i32 s4, s10, 48
	s_lshl_b32 s11, s12, 2
	s_delay_alu instid0(SALU_CYCLE_1)
	s_add_i32 s11, s4, s11
	v_add3_u32 v1, s16, v1, 0x210
	s_add_i32 s4, s11, -4
	s_sub_i32 s11, s11, 52
	s_branch .LBB13_36
.LBB13_35:                              ;   in Loop: Header=BB13_36 Depth=1
	s_sub_i32 s16, s16, 52
	v_add_nc_u32_e32 v2, 0x240, v4
	v_mov_b32_e32 v4, s16
	s_add_i32 s16, s10, -2
	s_addk_i32 s4, 0xffa0
	s_addk_i32 s11, 0xffa0
	s_cmp_lt_i32 s10, 2
	ds_load_b32 v4, v4
	s_mov_b32 s10, s16
	s_waitcnt lgkmcnt(0)
	v_mul_f32_e32 v3, v3, v4
	ds_store_b32 v2, v3
	s_cbranch_scc1 .LBB13_40
.LBB13_36:                              ; =>This Loop Header: Depth=1
                                        ;     Child Loop BB13_37 Depth 2
                                        ;     Child Loop BB13_39 Depth 2
	s_mul_i32 s17, s10, 12
	v_mov_b32_e32 v4, v1
	v_add_lshl_u32 v3, s17, v0, 2
	s_cmp_le_i32 s26, s10
	s_mov_b32 s16, s4
	s_mov_b32 s18, s26
	ds_load_b32 v2, v3 offset:576
	s_cbranch_scc1 .LBB13_38
.LBB13_37:                              ;   Parent Loop BB13_36 Depth=1
                                        ; =>  This Inner Loop Header: Depth=2
	v_mov_b32_e32 v5, s16
	s_add_i32 s18, s18, -1
	s_add_i32 s16, s16, -4
	s_cmp_gt_i32 s18, s10
	ds_load_b32 v6, v4
	ds_load_b32 v5, v5
	v_subrev_nc_u32_e32 v4, 48, v4
	s_waitcnt lgkmcnt(0)
	v_fma_f32 v2, -v6, v5, v2
	s_cbranch_scc1 .LBB13_37
.LBB13_38:                              ;   in Loop: Header=BB13_36 Depth=1
	s_mul_i32 s16, s10, 52
	v_add_nc_u32_e32 v5, 0x240, v3
	v_mov_b32_e32 v3, s16
	s_add_i32 s17, s17, -12
	s_cmp_lt_i32 s26, s10
	v_add_lshl_u32 v4, s17, v0, 2
	s_mov_b32 s17, s11
	ds_load_b32 v6, v3
	s_mov_b32 s18, s12
	ds_load_b32 v3, v4 offset:576
	s_waitcnt lgkmcnt(1)
	v_mul_f32_e32 v6, v2, v6
	v_mov_b32_e32 v2, v1
	ds_store_b32 v5, v6
	s_cbranch_scc1 .LBB13_35
.LBB13_39:                              ;   Parent Loop BB13_36 Depth=1
                                        ; =>  This Inner Loop Header: Depth=2
	v_mov_b32_e32 v5, s17
	s_add_i32 s18, s18, -1
	s_add_i32 s17, s17, -4
	s_cmp_gt_i32 s18, s10
	ds_load_b32 v6, v2
	ds_load_b32 v5, v5
	v_subrev_nc_u32_e32 v2, 48, v2
	s_waitcnt lgkmcnt(0)
	v_fma_f32 v3, -v6, v5, v3
	s_cbranch_scc1 .LBB13_39
	s_branch .LBB13_35
.LBB13_40:
	s_mov_b32 s4, 0
.LBB13_41:
	s_delay_alu instid0(SALU_CYCLE_1)
	s_and_b32 vcc_lo, exec_lo, s4
	s_cbranch_vccz .LBB13_66
; %bb.42:
	s_cmp_gt_i32 s6, 11
	s_cselect_b32 s11, -1, 0
	s_delay_alu instid0(SALU_CYCLE_1)
	s_and_b32 vcc_lo, exec_lo, s11
	s_cbranch_vccz .LBB13_44
; %bb.43:
	v_dual_mov_b32 v75, 0 :: v_dual_lshlrev_b32 v74, 2, v0
	s_mov_b32 s4, 12
	ds_load_2addr_b32 v[25:26], v74 offset0:144 offset1:156
	ds_load_b128 v[1:4], v75
	ds_load_2addr_b32 v[32:33], v74 offset0:168 offset1:180
	ds_load_2addr_b32 v[34:35], v74 offset0:192 offset1:204
	;; [unrolled: 1-line block ×4, first 2 shown]
	ds_load_2addr_b64 v[5:8], v75 offset0:13 offset1:14
	ds_load_b128 v[9:12], v75 offset:16
	ds_load_2addr_b32 v[40:41], v75 offset0:13 offset1:14
	ds_load_b128 v[13:16], v75 offset:32
	ds_load_b128 v[17:20], v75 offset:208
	;; [unrolled: 1-line block ×3, first 2 shown]
	ds_load_2addr_b32 v[42:43], v75 offset0:15 offset1:16
	ds_load_2addr_b32 v[44:45], v75 offset0:17 offset1:18
	;; [unrolled: 1-line block ×4, first 2 shown]
	v_add_nc_u32_e32 v76, 0x400, v74
	ds_load_2addr_b32 v[50:51], v75 offset0:39 offset1:40
	ds_load_2addr_b32 v[52:53], v75 offset0:41 offset1:42
	;; [unrolled: 1-line block ×9, first 2 shown]
	s_waitcnt lgkmcnt(23)
	v_mul_f32_e32 v77, v25, v1
	s_delay_alu instid0(VALU_DEP_1)
	v_fma_f32 v1, -v77, v2, v26
	s_waitcnt lgkmcnt(22)
	v_fma_f32 v2, -v77, v3, v32
	s_waitcnt lgkmcnt(17)
	v_fma_f32 v9, -v77, v9, v34
	ds_load_b128 v[25:28], v75 offset:416
	ds_load_2addr_b32 v[68:69], v75 offset0:117 offset1:118
	ds_load_2addr_b64 v[29:32], v75 offset0:15 offset1:16
	ds_load_b64 v[70:71], v75 offset:136
	v_fma_f32 v10, -v77, v10, v35
	s_waitcnt lgkmcnt(20)
	v_mul_f32_e32 v78, v1, v40
	v_fma_f32 v1, -v77, v4, v33
	v_fma_f32 v11, -v77, v11, v36
	;; [unrolled: 1-line block ×3, first 2 shown]
	s_delay_alu instid0(VALU_DEP_4)
	v_fma_f32 v2, -v78, v41, v2
	ds_load_b32 v79, v75 offset:92
	ds_load_2addr_b32 v[40:41], v76 offset0:8 offset1:20
	v_mul_f32_e32 v5, v2, v5
	s_waitcnt lgkmcnt(18)
	v_fma_f32 v42, -v78, v42, v1
	v_fma_f32 v9, -v78, v43, v9
	s_waitcnt lgkmcnt(17)
	v_fma_f32 v10, -v78, v44, v10
	v_fma_f32 v11, -v78, v45, v11
	;; [unrolled: 3-line block ×3, first 2 shown]
	v_fma_f32 v7, -v5, v7, v9
	v_fma_f32 v8, -v5, v8, v10
	;; [unrolled: 1-line block ×3, first 2 shown]
	s_waitcnt lgkmcnt(3)
	v_fma_f32 v11, -v5, v29, v11
	v_mul_f32_e32 v6, v6, v50
	ds_load_2addr_b64 v[1:4], v75 offset0:39 offset1:40
	ds_load_b64 v[33:34], v75 offset:328
	ds_load_2addr_b32 v[72:73], v75 offset0:47 offset1:71
	v_fma_f32 v13, -v77, v14, v39
	v_fma_f32 v9, -v78, v47, v9
	;; [unrolled: 1-line block ×4, first 2 shown]
	s_waitcnt lgkmcnt(3)
	v_fma_f32 v10, -v77, v15, v40
	v_fma_f32 v13, -v78, v48, v13
	;; [unrolled: 1-line block ×4, first 2 shown]
	v_mul_f32_e32 v7, v7, v17
	v_fma_f32 v8, -v6, v52, v8
	v_fma_f32 v11, -v6, v53, v11
	;; [unrolled: 1-line block ×10, first 2 shown]
	v_mul_f32_e32 v8, v8, v58
	v_fma_f32 v13, -v6, v56, v13
	v_fma_f32 v9, -v7, v21, v9
	ds_load_b32 v15, v75 offset:572
	v_fma_f32 v10, -v6, v57, v10
	v_fma_f32 v11, -v8, v59, v11
	;; [unrolled: 1-line block ×3, first 2 shown]
	s_delay_alu instid0(VALU_DEP_3) | instskip(SKIP_1) | instid1(VALU_DEP_3)
	v_fma_f32 v10, -v7, v23, v10
	s_waitcnt lgkmcnt(3)
	v_mul_f32_e32 v11, v11, v1
	v_fma_f32 v12, -v8, v60, v12
	v_fma_f32 v1, -v78, v79, v14
	;; [unrolled: 1-line block ×9, first 2 shown]
	s_waitcnt lgkmcnt(2)
	v_fma_f32 v10, -v11, v33, v10
	v_mul_f32_e32 v9, v2, v64
	ds_load_2addr_b32 v[1:2], v75 offset0:95 offset1:119
	s_waitcnt lgkmcnt(2)
	v_fma_f32 v12, -v6, v72, v12
	v_fma_f32 v3, -v9, v65, v3
	s_delay_alu instid0(VALU_DEP_2) | instskip(NEXT) | instid1(VALU_DEP_2)
	v_fma_f32 v12, -v7, v24, v12
	v_mul_f32_e32 v14, v3, v25
	v_fma_f32 v13, -v9, v66, v4
	ds_load_b64 v[3:4], v75 offset:520
	v_fma_f32 v12, -v8, v73, v12
	v_fma_f32 v10, -v9, v67, v10
	ds_store_2addr_b32 v74, v77, v78 offset0:144 offset1:156
	ds_store_2addr_b32 v74, v5, v6 offset0:168 offset1:180
	v_fma_f32 v13, -v14, v26, v13
	v_fma_f32 v12, -v11, v34, v12
	;; [unrolled: 1-line block ×3, first 2 shown]
	s_delay_alu instid0(VALU_DEP_3)
	v_mul_f32_e32 v13, v13, v68
	ds_store_2addr_b32 v74, v7, v8 offset0:192 offset1:204
	ds_store_2addr_b32 v74, v11, v9 offset0:216 offset1:228
	;; [unrolled: 1-line block ×3, first 2 shown]
	s_waitcnt lgkmcnt(6)
	v_fma_f32 v1, -v9, v1, v12
	v_fma_f32 v10, -v13, v69, v10
	s_delay_alu instid0(VALU_DEP_2) | instskip(SKIP_1) | instid1(VALU_DEP_2)
	v_fma_f32 v1, -v14, v28, v1
	s_waitcnt lgkmcnt(5)
	v_mul_f32_e32 v3, v10, v3
	s_delay_alu instid0(VALU_DEP_2) | instskip(NEXT) | instid1(VALU_DEP_1)
	v_fma_f32 v1, -v13, v2, v1
	v_fma_f32 v1, -v3, v4, v1
	s_delay_alu instid0(VALU_DEP_1)
	v_mul_f32_e32 v1, v1, v15
	ds_store_2addr_b32 v76, v3, v1 offset0:8 offset1:20
	s_cmp_lt_i32 s4, s12
	s_cbranch_scc1 .LBB13_45
	s_branch .LBB13_66
.LBB13_44:
	s_mov_b32 s4, 0
	s_delay_alu instid0(SALU_CYCLE_1)
	s_cmp_lt_i32 s4, s12
	s_cbranch_scc0 .LBB13_66
.LBB13_45:
	s_add_i32 s10, s4, 7
	s_delay_alu instid0(SALU_CYCLE_1)
	s_cmp_ge_u32 s10, s12
	s_cbranch_scc1 .LBB13_55
; %bb.46:
	s_mul_i32 s10, s4, 12
	s_and_not1_b32 vcc_lo, exec_lo, s11
	v_add_lshl_u32 v9, s10, v0, 2
	ds_load_2addr_b32 v[7:8], v9 offset0:144 offset1:156
	ds_load_2addr_b32 v[5:6], v9 offset0:168 offset1:180
	;; [unrolled: 1-line block ×4, first 2 shown]
	s_cbranch_vccnz .LBB13_54
; %bb.47:
	s_max_u32 s11, s4, 1
	s_delay_alu instid0(SALU_CYCLE_1)
	s_cmp_eq_u32 s11, 1
	s_cbranch_scc1 .LBB13_51
; %bb.48:
	v_lshl_or_b32 v10, v0, 2, 0x240
	s_and_b32 s16, s11, 12
	s_lshl_b32 s17, s4, 2
	s_mov_b32 s18, 0
.LBB13_49:                              ; =>This Inner Loop Header: Depth=1
	v_mov_b32_e32 v23, s17
	s_add_i32 s18, s18, 2
	s_addk_i32 s17, 0x60
	s_cmp_lg_u32 s16, s18
	ds_load_2addr_b32 v[27:28], v10 offset1:12
	ds_load_b128 v[11:14], v23
	ds_load_b128 v[15:18], v23 offset:16
	ds_load_b128 v[19:22], v23 offset:48
	;; [unrolled: 1-line block ×3, first 2 shown]
	v_add_nc_u32_e32 v10, 0x60, v10
	s_waitcnt lgkmcnt(3)
	v_fma_f32 v7, -v27, v11, v7
	v_fma_f32 v8, -v27, v12, v8
	v_fma_f32 v5, -v27, v13, v5
	v_fma_f32 v6, -v27, v14, v6
	s_waitcnt lgkmcnt(2)
	v_fma_f32 v3, -v27, v15, v3
	v_fma_f32 v4, -v27, v16, v4
	v_fma_f32 v1, -v27, v17, v1
	v_fma_f32 v2, -v27, v18, v2
	;; [unrolled: 5-line block ×4, first 2 shown]
	s_cbranch_scc1 .LBB13_49
; %bb.50:
	s_mul_i32 s16, s16, 12
	s_branch .LBB13_52
.LBB13_51:
	s_mov_b32 s16, 0
.LBB13_52:
	s_bitcmp0_b32 s11, 0
	s_cbranch_scc1 .LBB13_54
; %bb.53:
	s_add_i32 s11, s16, s4
	v_add_lshl_u32 v10, s16, v0, 2
	s_lshl_b32 s11, s11, 2
	s_delay_alu instid0(SALU_CYCLE_1)
	v_mov_b32_e32 v14, s11
	ds_load_b32 v18, v10 offset:576
	ds_load_b128 v[10:13], v14
	ds_load_b128 v[14:17], v14 offset:16
	s_waitcnt lgkmcnt(1)
	v_fma_f32 v7, -v18, v10, v7
	v_fma_f32 v8, -v18, v11, v8
	;; [unrolled: 1-line block ×4, first 2 shown]
	s_waitcnt lgkmcnt(0)
	v_fma_f32 v3, -v18, v14, v3
	v_fma_f32 v4, -v18, v15, v4
	;; [unrolled: 1-line block ×4, first 2 shown]
.LBB13_54:
	s_add_i32 s17, s10, 36
	s_mul_i32 s11, s4, 52
	s_add_i32 s22, s4, s17
	s_add_i32 s18, s10, 60
	s_lshl_b32 s22, s22, 2
	s_delay_alu instid0(SALU_CYCLE_1)
	v_dual_mov_b32 v31, s11 :: v_dual_mov_b32 v34, s22
	s_add_i32 s11, s10, 12
	s_add_i32 s19, s10, 0x48
	;; [unrolled: 1-line block ×3, first 2 shown]
	ds_load_b128 v[10:13], v31
	ds_load_2addr_b32 v[25:26], v31 offset0:13 offset1:14
	s_lshl_b32 s20, s20, 2
	s_delay_alu instid0(SALU_CYCLE_1)
	v_dual_mov_b32 v32, s20 :: v_dual_add_nc_u32 v9, 0x240, v9
	s_add_i32 s20, s4, s18
	ds_load_b128 v[14:17], v31 offset:16
	ds_load_2addr_b32 v[27:28], v32 offset0:3 offset1:4
	ds_load_2addr_b64 v[18:21], v31 offset0:13 offset1:14
	s_lshl_b32 s20, s20, 2
	s_add_i32 s23, s4, s19
	s_add_i32 s16, s10, 24
	;; [unrolled: 1-line block ×5, first 2 shown]
	s_lshl_b32 s21, s21, 2
	v_mov_b32_e32 v36, s20
	s_lshl_b32 s20, s23, 2
	s_waitcnt lgkmcnt(4)
	v_mul_f32_e32 v33, v7, v10
	s_delay_alu instid0(VALU_DEP_1)
	v_fma_f32 v10, -v33, v11, v8
	ds_load_2addr_b32 v[7:8], v32 offset0:5 offset1:6
	v_fma_f32 v5, -v33, v12, v5
	v_fma_f32 v38, -v33, v13, v6
	s_waitcnt lgkmcnt(3)
	v_fma_f32 v3, -v33, v14, v3
	v_mul_f32_e32 v37, v10, v25
	ds_load_2addr_b32 v[10:11], v31 offset0:39 offset1:40
	ds_load_b128 v[22:25], v31 offset:208
	ds_load_2addr_b32 v[29:30], v34 offset0:5 offset1:6
	ds_load_b32 v32, v32 offset:28
	v_fma_f32 v4, -v33, v15, v4
	v_fma_f32 v1, -v33, v16, v1
	ds_load_b32 v15, v34 offset:28
	v_fma_f32 v26, -v37, v26, v5
	v_mov_b32_e32 v35, s21
	s_waitcnt lgkmcnt(7)
	v_fma_f32 v14, -v37, v27, v38
	ds_load_2addr_b32 v[5:6], v31 offset0:65 offset1:66
	s_waitcnt lgkmcnt(7)
	v_mul_f32_e32 v18, v26, v18
	ds_load_b64 v[12:13], v35 offset:24
	ds_load_b32 v26, v36 offset:28
	v_fma_f32 v14, -v18, v19, v14
	s_waitcnt lgkmcnt(8)
	v_fma_f32 v4, -v37, v7, v4
	s_waitcnt lgkmcnt(7)
	s_delay_alu instid0(VALU_DEP_2) | instskip(SKIP_1) | instid1(VALU_DEP_3)
	v_dual_mul_f32 v7, v14, v10 :: v_dual_mov_b32 v10, s20
	v_fma_f32 v3, -v37, v28, v3
	v_fma_f32 v4, -v18, v21, v4
	;; [unrolled: 1-line block ×4, first 2 shown]
	ds_load_2addr_b32 v[1:2], v31 offset0:78 offset1:91
	v_fma_f32 v3, -v18, v20, v3
	s_waitcnt lgkmcnt(6)
	v_fma_f32 v4, -v7, v29, v4
	ds_load_b32 v10, v10 offset:28
	s_waitcnt lgkmcnt(3)
	v_fma_f32 v8, -v18, v12, v8
	v_fma_f32 v3, -v7, v11, v3
	;; [unrolled: 1-line block ×3, first 2 shown]
	v_add_lshl_u32 v12, s18, v0, 2
	s_delay_alu instid0(VALU_DEP_3) | instskip(NEXT) | instid1(VALU_DEP_3)
	v_mul_f32_e32 v3, v3, v22
	v_fma_f32 v11, -v18, v13, v11
	v_add_lshl_u32 v13, s19, v0, 2
	s_delay_alu instid0(VALU_DEP_3) | instskip(NEXT) | instid1(VALU_DEP_1)
	v_fma_f32 v4, -v3, v23, v4
	v_mul_f32_e32 v4, v4, v5
	v_fma_f32 v8, -v7, v30, v8
	v_fma_f32 v11, -v7, v15, v11
	s_delay_alu instid0(VALU_DEP_2) | instskip(NEXT) | instid1(VALU_DEP_2)
	v_fma_f32 v8, -v3, v24, v8
	v_fma_f32 v5, -v3, v25, v11
	v_add_lshl_u32 v11, s10, v0, 2
	s_delay_alu instid0(VALU_DEP_3) | instskip(SKIP_1) | instid1(VALU_DEP_3)
	v_fma_f32 v6, -v4, v6, v8
	s_waitcnt lgkmcnt(2)
	v_fma_f32 v5, -v4, v26, v5
	v_add_lshl_u32 v8, s16, v0, 2
	s_waitcnt lgkmcnt(1)
	v_mul_f32_e32 v1, v6, v1
	v_add_lshl_u32 v6, s11, v0, 2
	s_waitcnt lgkmcnt(0)
	s_delay_alu instid0(VALU_DEP_2)
	v_fma_f32 v5, -v1, v10, v5
	v_add_lshl_u32 v10, s17, v0, 2
	ds_store_b32 v9, v33
	ds_store_b32 v6, v37 offset:576
	ds_store_b32 v8, v18 offset:576
	;; [unrolled: 1-line block ×5, first 2 shown]
	v_mul_f32_e32 v2, v5, v2
	ds_store_2addr_b32 v13, v1, v2 offset0:144 offset1:156
.LBB13_55:
	s_cmp_ge_i32 s4, s12
	s_cbranch_scc1 .LBB13_66
; %bb.56:
	v_lshl_or_b32 v1, v0, 2, 0x240
	s_add_i32 s10, s4, -1
	s_lshl_b32 s11, s4, 2
	s_mov_b32 s16, 0
	s_mov_b32 s17, s4
	s_branch .LBB13_58
.LBB13_57:                              ;   in Loop: Header=BB13_58 Depth=1
	s_mul_i32 s18, s4, 52
	v_add_nc_u16 v5, s17, 1
	v_mov_b32_e32 v4, s18
	s_add_i32 s4, s4, 1
	s_add_i32 s16, s16, 1
	;; [unrolled: 1-line block ×3, first 2 shown]
	v_readfirstlane_b32 s17, v5
	ds_load_b32 v4, v4
	v_add_nc_u32_e32 v2, 0x240, v2
	s_cmp_ge_i32 s4, s12
	s_waitcnt lgkmcnt(0)
	v_mul_f32_e32 v3, v3, v4
	ds_store_b32 v2, v3
	s_cbranch_scc1 .LBB13_66
.LBB13_58:                              ; =>This Loop Header: Depth=1
                                        ;     Child Loop BB13_61 Depth 2
                                        ;     Child Loop BB13_65 Depth 2
	s_mul_i32 s18, s4, 12
	s_cmp_eq_u32 s4, 0
	v_add_lshl_u32 v2, s18, v0, 2
	ds_load_b32 v3, v2 offset:576
	s_cbranch_scc1 .LBB13_57
; %bb.59:                               ;   in Loop: Header=BB13_58 Depth=1
	s_add_i32 s18, s10, s16
	s_delay_alu instid0(SALU_CYCLE_1)
	s_cmp_lt_u32 s18, 7
	s_cbranch_scc1 .LBB13_63
; %bb.60:                               ;   in Loop: Header=BB13_58 Depth=1
	v_mov_b32_e32 v4, v1
	s_and_b32 s18, s4, -8
	s_mov_b32 s19, 0
	s_mov_b32 s20, s11
	s_set_inst_prefetch_distance 0x1
	.p2align	6
.LBB13_61:                              ;   Parent Loop BB13_58 Depth=1
                                        ; =>  This Inner Loop Header: Depth=2
	v_mov_b32_e32 v17, s20
	s_add_i32 s19, s19, 8
	s_addk_i32 s20, 0x180
	s_cmp_lg_u32 s18, s19
	ds_load_2addr_b32 v[5:6], v4 offset1:12
	ds_load_2addr_b32 v[7:8], v17 offset1:12
	ds_load_2addr_b32 v[9:10], v4 offset0:24 offset1:36
	ds_load_2addr_b32 v[11:12], v17 offset0:24 offset1:36
	;; [unrolled: 1-line block ×4, first 2 shown]
	s_waitcnt lgkmcnt(4)
	v_fma_f32 v3, -v5, v7, v3
	s_delay_alu instid0(VALU_DEP_1)
	v_fma_f32 v3, -v6, v8, v3
	ds_load_2addr_b32 v[5:6], v4 offset0:72 offset1:84
	ds_load_2addr_b32 v[7:8], v17 offset0:72 offset1:84
	v_add_nc_u32_e32 v4, 0x180, v4
	s_waitcnt lgkmcnt(4)
	v_fma_f32 v3, -v9, v11, v3
	s_delay_alu instid0(VALU_DEP_1) | instskip(SKIP_1) | instid1(VALU_DEP_1)
	v_fma_f32 v3, -v10, v12, v3
	s_waitcnt lgkmcnt(2)
	v_fma_f32 v3, -v13, v15, v3
	s_delay_alu instid0(VALU_DEP_1) | instskip(SKIP_1) | instid1(VALU_DEP_1)
	v_fma_f32 v3, -v14, v16, v3
	s_waitcnt lgkmcnt(0)
	v_fma_f32 v3, -v5, v7, v3
	s_delay_alu instid0(VALU_DEP_1)
	v_fma_f32 v3, -v6, v8, v3
	s_cbranch_scc1 .LBB13_61
; %bb.62:                               ;   in Loop: Header=BB13_58 Depth=1
	s_set_inst_prefetch_distance 0x2
	s_and_b32 s19, s4, 7
	s_delay_alu instid0(SALU_CYCLE_1)
	s_cmp_eq_u32 s19, 0
	s_cbranch_scc0 .LBB13_64
	s_branch .LBB13_57
.LBB13_63:                              ;   in Loop: Header=BB13_58 Depth=1
	s_mov_b32 s18, 0
	s_and_b32 s19, s4, 7
	s_delay_alu instid0(SALU_CYCLE_1)
	s_cmp_eq_u32 s19, 0
	s_cbranch_scc1 .LBB13_57
.LBB13_64:                              ;   in Loop: Header=BB13_58 Depth=1
	s_and_b32 s19, s17, 7
	s_mul_i32 s18, s18, 48
.LBB13_65:                              ;   Parent Loop BB13_58 Depth=1
                                        ; =>  This Inner Loop Header: Depth=2
	s_delay_alu instid0(SALU_CYCLE_1) | instskip(NEXT) | instid1(SALU_CYCLE_1)
	s_add_i32 s20, s11, s18
	v_dual_mov_b32 v5, s20 :: v_dual_add_nc_u32 v4, s18, v1
	s_add_i32 s19, s19, -1
	s_add_i32 s18, s18, 48
	s_cmp_lg_u32 s19, 0
	ds_load_b32 v4, v4
	ds_load_b32 v5, v5
	s_waitcnt lgkmcnt(0)
	v_fma_f32 v3, -v4, v5, v3
	s_cbranch_scc1 .LBB13_65
	s_branch .LBB13_57
.LBB13_66:
	s_waitcnt vmcnt(0) lgkmcnt(0)
	s_waitcnt_vscnt null, 0x0
	; wave barrier
	s_waitcnt lgkmcnt(0)
	buffer_gl0_inv
	s_and_saveexec_b32 s4, s14
	s_cbranch_execz .LBB13_74
; %bb.67:
	s_cmp_lt_i32 s6, 8
	s_mov_b32 s6, 0
	s_cbranch_scc1 .LBB13_71
; %bb.68:
	v_mad_i64_i32 v[1:2], null, s13, v0, 0
	s_lshl_b32 s4, s12, 2
	s_delay_alu instid0(SALU_CYCLE_1) | instskip(NEXT) | instid1(VALU_DEP_1)
	s_and_b32 s6, s4, 32
	v_lshlrev_b64 v[2:3], 2, v[1:2]
	v_lshl_or_b32 v1, v0, 2, 0x240
	s_delay_alu instid0(VALU_DEP_2) | instskip(NEXT) | instid1(VALU_DEP_3)
	v_add_co_u32 v2, vcc_lo, s5, v2
	v_add_co_ci_u32_e32 v3, vcc_lo, s7, v3, vcc_lo
	s_mov_b64 s[4:5], 0
	.p2align	6
.LBB13_69:                              ; =>This Inner Loop Header: Depth=1
	ds_load_2addr_b32 v[4:5], v1 offset1:12
	ds_load_2addr_b32 v[6:7], v1 offset0:24 offset1:36
	ds_load_2addr_b32 v[8:9], v1 offset0:48 offset1:60
	;; [unrolled: 1-line block ×3, first 2 shown]
	v_add_co_u32 v12, vcc_lo, v2, s4
	v_add_co_ci_u32_e32 v13, vcc_lo, s5, v3, vcc_lo
	v_add_nc_u32_e32 v1, 0x180, v1
	s_add_u32 s4, s4, 32
	s_addc_u32 s5, s5, 0
	s_cmp_lg_u32 s6, s4
	s_waitcnt lgkmcnt(2)
	global_store_b128 v[12:13], v[4:7], off
	s_waitcnt lgkmcnt(0)
	global_store_b128 v[12:13], v[8:11], off offset:16
	s_cbranch_scc1 .LBB13_69
; %bb.70:
	s_mov_b32 s6, 8
.LBB13_71:
	s_and_b32 s4, s12, 7
	s_delay_alu instid0(SALU_CYCLE_1)
	s_cmp_eq_u32 s4, 0
	s_cbranch_scc1 .LBB13_74
; %bb.72:
	v_lshlrev_b32_e32 v2, 2, v0
	s_lshl_b64 s[8:9], s[8:9], 2
	s_lshl_b32 s5, s6, 2
	s_delay_alu instid0(SALU_CYCLE_1) | instskip(NEXT) | instid1(VALU_DEP_1)
	s_add_u32 s2, s2, s5
	v_add_co_u32 v3, s7, s8, v2
	s_delay_alu instid0(VALU_DEP_1) | instskip(SKIP_3) | instid1(VALU_DEP_1)
	v_add_co_ci_u32_e64 v4, null, s9, 0, s7
	s_addc_u32 s3, s3, 0
	s_add_u32 s0, s2, s0
	s_addc_u32 s1, s3, s1
	v_mul_lo_u32 v4, v4, s13
	v_mad_u64_u32 v[0:1], null, v3, s13, s[0:1]
	v_mul_lo_u32 v3, v3, s15
	s_mul_i32 s0, s6, 48
	s_delay_alu instid0(SALU_CYCLE_1) | instskip(NEXT) | instid1(VALU_DEP_2)
	v_add3_u32 v2, s0, v2, 0x240
	v_add3_u32 v1, v4, v1, v3
.LBB13_73:                              ; =>This Inner Loop Header: Depth=1
	ds_load_b32 v3, v2
	v_add_nc_u32_e32 v2, 48, v2
	s_add_i32 s4, s4, -1
	s_delay_alu instid0(SALU_CYCLE_1)
	s_cmp_lg_u32 s4, 0
	s_waitcnt lgkmcnt(0)
	global_store_b32 v[0:1], v3, off
	v_add_co_u32 v0, vcc_lo, v0, 4
	v_add_co_ci_u32_e32 v1, vcc_lo, 0, v1, vcc_lo
	s_cbranch_scc1 .LBB13_73
.LBB13_74:
	s_nop 0
	s_sendmsg sendmsg(MSG_DEALLOC_VGPRS)
	s_endpgm
	.section	.rodata,"a",@progbits
	.p2align	6, 0x0
	.amdhsa_kernel _ZL38rocblas_trsm_small_left_device_sharedBILi12ELi12ELb1EffPKPKfPKPfEv13rocblas_fill_18rocblas_operation_17rocblas_diagonal_iiT3_T4_lilT5_lili
		.amdhsa_group_segment_fixed_size 1152
		.amdhsa_private_segment_fixed_size 0
		.amdhsa_kernarg_size 352
		.amdhsa_user_sgpr_count 14
		.amdhsa_user_sgpr_dispatch_ptr 0
		.amdhsa_user_sgpr_queue_ptr 0
		.amdhsa_user_sgpr_kernarg_segment_ptr 1
		.amdhsa_user_sgpr_dispatch_id 0
		.amdhsa_user_sgpr_private_segment_size 0
		.amdhsa_wavefront_size32 1
		.amdhsa_uses_dynamic_stack 0
		.amdhsa_enable_private_segment 0
		.amdhsa_system_sgpr_workgroup_id_x 1
		.amdhsa_system_sgpr_workgroup_id_y 0
		.amdhsa_system_sgpr_workgroup_id_z 1
		.amdhsa_system_sgpr_workgroup_info 0
		.amdhsa_system_vgpr_workitem_id 0
		.amdhsa_next_free_vgpr 80
		.amdhsa_next_free_sgpr 31
		.amdhsa_reserve_vcc 1
		.amdhsa_float_round_mode_32 0
		.amdhsa_float_round_mode_16_64 0
		.amdhsa_float_denorm_mode_32 3
		.amdhsa_float_denorm_mode_16_64 3
		.amdhsa_dx10_clamp 1
		.amdhsa_ieee_mode 1
		.amdhsa_fp16_overflow 0
		.amdhsa_workgroup_processor_mode 1
		.amdhsa_memory_ordered 1
		.amdhsa_forward_progress 0
		.amdhsa_shared_vgpr_count 0
		.amdhsa_exception_fp_ieee_invalid_op 0
		.amdhsa_exception_fp_denorm_src 0
		.amdhsa_exception_fp_ieee_div_zero 0
		.amdhsa_exception_fp_ieee_overflow 0
		.amdhsa_exception_fp_ieee_underflow 0
		.amdhsa_exception_fp_ieee_inexact 0
		.amdhsa_exception_int_div_zero 0
	.end_amdhsa_kernel
	.section	.text._ZL38rocblas_trsm_small_left_device_sharedBILi12ELi12ELb1EffPKPKfPKPfEv13rocblas_fill_18rocblas_operation_17rocblas_diagonal_iiT3_T4_lilT5_lili,"axG",@progbits,_ZL38rocblas_trsm_small_left_device_sharedBILi12ELi12ELb1EffPKPKfPKPfEv13rocblas_fill_18rocblas_operation_17rocblas_diagonal_iiT3_T4_lilT5_lili,comdat
.Lfunc_end13:
	.size	_ZL38rocblas_trsm_small_left_device_sharedBILi12ELi12ELb1EffPKPKfPKPfEv13rocblas_fill_18rocblas_operation_17rocblas_diagonal_iiT3_T4_lilT5_lili, .Lfunc_end13-_ZL38rocblas_trsm_small_left_device_sharedBILi12ELi12ELb1EffPKPKfPKPfEv13rocblas_fill_18rocblas_operation_17rocblas_diagonal_iiT3_T4_lilT5_lili
                                        ; -- End function
	.section	.AMDGPU.csdata,"",@progbits
; Kernel info:
; codeLenInByte = 8080
; NumSgprs: 33
; NumVgprs: 80
; ScratchSize: 0
; MemoryBound: 0
; FloatMode: 240
; IeeeMode: 1
; LDSByteSize: 1152 bytes/workgroup (compile time only)
; SGPRBlocks: 4
; VGPRBlocks: 9
; NumSGPRsForWavesPerEU: 33
; NumVGPRsForWavesPerEU: 80
; Occupancy: 16
; WaveLimiterHint : 1
; COMPUTE_PGM_RSRC2:SCRATCH_EN: 0
; COMPUTE_PGM_RSRC2:USER_SGPR: 14
; COMPUTE_PGM_RSRC2:TRAP_HANDLER: 0
; COMPUTE_PGM_RSRC2:TGID_X_EN: 1
; COMPUTE_PGM_RSRC2:TGID_Y_EN: 0
; COMPUTE_PGM_RSRC2:TGID_Z_EN: 1
; COMPUTE_PGM_RSRC2:TIDIG_COMP_CNT: 0
	.section	.text._ZL30rocblas_trsm_small_left_deviceILi12ELi12ELb1EffPKPKfPKPfEv13rocblas_fill_18rocblas_operation_17rocblas_diagonal_iiT3_T4_lilT5_lili,"axG",@progbits,_ZL30rocblas_trsm_small_left_deviceILi12ELi12ELb1EffPKPKfPKPfEv13rocblas_fill_18rocblas_operation_17rocblas_diagonal_iiT3_T4_lilT5_lili,comdat
	.globl	_ZL30rocblas_trsm_small_left_deviceILi12ELi12ELb1EffPKPKfPKPfEv13rocblas_fill_18rocblas_operation_17rocblas_diagonal_iiT3_T4_lilT5_lili ; -- Begin function _ZL30rocblas_trsm_small_left_deviceILi12ELi12ELb1EffPKPKfPKPfEv13rocblas_fill_18rocblas_operation_17rocblas_diagonal_iiT3_T4_lilT5_lili
	.p2align	8
	.type	_ZL30rocblas_trsm_small_left_deviceILi12ELi12ELb1EffPKPKfPKPfEv13rocblas_fill_18rocblas_operation_17rocblas_diagonal_iiT3_T4_lilT5_lili,@function
_ZL30rocblas_trsm_small_left_deviceILi12ELi12ELb1EffPKPKfPKPfEv13rocblas_fill_18rocblas_operation_17rocblas_diagonal_iiT3_T4_lilT5_lili: ; @_ZL30rocblas_trsm_small_left_deviceILi12ELi12ELb1EffPKPKfPKPfEv13rocblas_fill_18rocblas_operation_17rocblas_diagonal_iiT3_T4_lilT5_lili
; %bb.0:
	s_clause 0x1
	s_load_b128 s[8:11], s[0:1], 0x38
	s_load_b128 s[4:7], s[0:1], 0x4
	s_mov_b32 s2, s15
	s_mov_b32 s3, 0
	s_mov_b32 s13, exec_lo
	s_lshl_b64 s[22:23], s[2:3], 3
	s_waitcnt lgkmcnt(0)
	s_add_u32 s8, s8, s22
	s_addc_u32 s9, s9, s23
	s_load_b32 s15, s[0:1], 0x14
	s_load_b64 s[8:9], s[8:9], 0x0
	s_min_i32 s2, s6, 12
	s_delay_alu instid0(SALU_CYCLE_1)
	s_add_i32 s12, s2, -1
	v_cmpx_gt_i32_e64 s2, v0
	s_cbranch_execz .LBB14_10
; %bb.1:
	s_clause 0x1
	s_load_b32 s20, s[0:1], 0x28
	s_load_b128 s[16:19], s[0:1], 0x18
	v_lshlrev_b32_e32 v3, 2, v0
	s_waitcnt lgkmcnt(0)
	s_ashr_i32 s21, s20, 31
	s_add_u32 s16, s16, s22
	s_addc_u32 s17, s17, s23
	s_cmp_lt_u32 s12, 3
	s_load_b64 s[16:17], s[16:17], 0x0
	s_cbranch_scc1 .LBB14_4
; %bb.2:
	s_lshl_b64 s[22:23], s[18:19], 2
	v_mov_b32_e32 v4, v3
	s_waitcnt lgkmcnt(0)
	s_add_u32 s3, s16, s22
	s_addc_u32 s22, s17, s23
	v_add_co_u32 v1, s3, s3, v3
	s_delay_alu instid0(VALU_DEP_1)
	v_add_co_ci_u32_e64 v2, null, s22, 0, s3
	s_and_b32 s3, s2, -4
	s_mul_hi_i32 s28, s20, 12
	s_mul_i32 s29, s20, 12
	s_lshl_b64 s[22:23], s[20:21], 4
	s_lshl_b64 s[24:25], s[20:21], 3
	s_lshl_b64 s[26:27], s[20:21], 2
	s_mov_b32 s30, 0
	.p2align	6
.LBB14_3:                               ; =>This Inner Loop Header: Depth=1
	v_add_co_u32 v5, vcc_lo, v1, s26
	v_add_co_ci_u32_e32 v6, vcc_lo, s27, v2, vcc_lo
	v_add_co_u32 v7, vcc_lo, v1, s24
	v_add_co_ci_u32_e32 v8, vcc_lo, s25, v2, vcc_lo
	;; [unrolled: 2-line block ×3, first 2 shown]
	s_clause 0x3
	global_load_b32 v11, v[1:2], off
	global_load_b32 v5, v[5:6], off
	global_load_b32 v6, v[7:8], off
	global_load_b32 v7, v[9:10], off
	v_add_co_u32 v1, vcc_lo, v1, s22
	v_add_co_ci_u32_e32 v2, vcc_lo, s23, v2, vcc_lo
	s_add_i32 s30, s30, 4
	s_waitcnt vmcnt(2)
	ds_store_2addr_b32 v4, v11, v5 offset1:12
	s_waitcnt vmcnt(0)
	ds_store_2addr_b32 v4, v6, v7 offset0:24 offset1:36
	v_add_nc_u32_e32 v4, 0xc0, v4
	s_cmp_eq_u32 s3, s30
	s_cbranch_scc0 .LBB14_3
.LBB14_4:
	s_and_b32 s22, s2, 3
	s_delay_alu instid0(SALU_CYCLE_1)
	s_cmp_eq_u32 s22, 0
	s_cbranch_scc1 .LBB14_7
; %bb.5:
	s_mul_i32 s23, s21, s3
	s_mul_hi_u32 s24, s20, s3
	s_lshl_b64 s[18:19], s[18:19], 2
	s_add_i32 s25, s24, s23
	s_mul_i32 s24, s20, s3
	s_mul_i32 s3, s3, 48
	s_lshl_b64 s[24:25], s[24:25], 2
	v_lshl_add_u32 v4, v0, 2, s3
	s_add_u32 s3, s24, s18
	s_addc_u32 s18, s25, s19
	s_waitcnt lgkmcnt(0)
	s_add_u32 s3, s16, s3
	s_addc_u32 s16, s17, s18
	v_add_co_u32 v1, s3, s3, v3
	s_delay_alu instid0(VALU_DEP_1)
	v_add_co_ci_u32_e64 v2, null, s16, 0, s3
	s_lshl_b64 s[16:17], s[20:21], 2
.LBB14_6:                               ; =>This Inner Loop Header: Depth=1
	global_load_b32 v3, v[1:2], off
	v_add_co_u32 v1, vcc_lo, v1, s16
	v_add_co_ci_u32_e32 v2, vcc_lo, s17, v2, vcc_lo
	s_add_i32 s22, s22, -1
	s_delay_alu instid0(SALU_CYCLE_1)
	s_cmp_lg_u32 s22, 0
	s_waitcnt vmcnt(0)
	ds_store_b32 v4, v3
	v_add_nc_u32_e32 v4, 48, v4
	s_cbranch_scc1 .LBB14_6
.LBB14_7:
	v_mul_u32_u24_e32 v1, 13, v0
	s_cmpk_lg_i32 s5, 0x84
	s_delay_alu instid0(VALU_DEP_1)
	v_dual_mov_b32 v2, 1.0 :: v_dual_lshlrev_b32 v1, 2, v1
	s_cbranch_scc0 .LBB14_9
; %bb.8:
	ds_load_b32 v2, v1
	s_waitcnt lgkmcnt(0)
	v_div_scale_f32 v3, null, v2, v2, 1.0
	s_delay_alu instid0(VALU_DEP_1) | instskip(SKIP_2) | instid1(VALU_DEP_1)
	v_rcp_f32_e32 v4, v3
	s_waitcnt_depctr 0xfff
	v_fma_f32 v5, -v3, v4, 1.0
	v_fmac_f32_e32 v4, v5, v4
	v_div_scale_f32 v5, vcc_lo, 1.0, v2, 1.0
	s_delay_alu instid0(VALU_DEP_1) | instskip(NEXT) | instid1(VALU_DEP_1)
	v_mul_f32_e32 v6, v5, v4
	v_fma_f32 v7, -v3, v6, v5
	s_delay_alu instid0(VALU_DEP_1) | instskip(NEXT) | instid1(VALU_DEP_1)
	v_fmac_f32_e32 v6, v7, v4
	v_fma_f32 v3, -v3, v6, v5
	s_delay_alu instid0(VALU_DEP_1) | instskip(NEXT) | instid1(VALU_DEP_1)
	v_div_fmas_f32 v3, v3, v4, v6
	v_div_fixup_f32 v2, v3, v2, 1.0
.LBB14_9:
	ds_store_b32 v1, v2
.LBB14_10:
	s_or_b32 exec_lo, exec_lo, s13
	s_load_b32 s3, s[0:1], 0x60
	s_mul_i32 s5, s14, -12
	s_waitcnt lgkmcnt(0)
	s_add_i32 s5, s5, s7
	; wave barrier
	buffer_gl0_inv
	s_add_i32 s3, s3, -1
	s_delay_alu instid0(SALU_CYCLE_1) | instskip(SKIP_1) | instid1(SALU_CYCLE_1)
	s_cmp_ge_u32 s14, s3
	s_cselect_b32 s3, s5, 12
	v_cmp_gt_i32_e32 vcc_lo, s3, v0
	s_mov_b32 s3, -1
	s_and_saveexec_b32 s5, vcc_lo
	s_cbranch_execz .LBB14_57
; %bb.11:
	s_load_b32 s0, s[0:1], 0x48
	v_mad_u64_u32 v[1:2], null, s14, 12, v[0:1]
	s_waitcnt lgkmcnt(0)
	s_delay_alu instid0(VALU_DEP_1) | instskip(SKIP_1) | instid1(SALU_CYCLE_1)
	v_mad_i64_i32 v[2:3], null, s0, v1, 0
	s_lshl_b64 s[0:1], s[10:11], 2
	s_add_u32 s5, s8, s0
	s_addc_u32 s7, s9, s1
	s_cmpk_eq_i32 s4, 0x6f
	s_delay_alu instid0(VALU_DEP_1) | instskip(NEXT) | instid1(VALU_DEP_1)
	v_lshlrev_b64 v[2:3], 2, v[2:3]
	v_add_co_u32 v0, vcc_lo, s5, v2
	s_delay_alu instid0(VALU_DEP_2)
	v_add_co_ci_u32_e32 v1, vcc_lo, s7, v3, vcc_lo
	s_cbranch_scc1 .LBB14_34
; %bb.12:
	s_cmp_gt_i32 s6, 11
	s_cbranch_scc0 .LBB14_14
; %bb.13:
	s_ashr_i32 s13, s12, 31
	s_mov_b32 s3, 0
	s_lshl_b64 s[4:5], s[12:13], 2
	s_delay_alu instid0(SALU_CYCLE_1)
	v_add_co_u32 v15, vcc_lo, v0, s4
	v_add_co_ci_u32_e32 v16, vcc_lo, s5, v1, vcc_lo
	s_lshl_b64 s[4:5], s[2:3], 2
	s_mul_i32 s3, s12, 52
	v_add_co_u32 v8, vcc_lo, v0, s4
	global_load_b32 v51, v[15:16], off
	v_add_co_ci_u32_e32 v9, vcc_lo, s5, v1, vcc_lo
	s_clause 0x2
	global_load_b96 v[12:14], v[8:9], off offset:-16
	global_load_b128 v[4:7], v[8:9], off offset:-32
	global_load_b128 v[8:11], v[8:9], off offset:-48
	s_mul_i32 s4, s2, 12
	s_mul_i32 s5, s2, 52
	s_add_i32 s4, s4, s12
	s_add_i32 s10, s3, 0xffffff98
	s_lshl_b32 s4, s4, 2
	s_add_i32 s16, s3, 0xfffffec8
	s_add_i32 s30, s4, 0xfffffe18
	;; [unrolled: 1-line block ×3, first 2 shown]
	s_sub_i32 s7, s3, 52
	s_delay_alu instid0(SALU_CYCLE_1)
	v_dual_mov_b32 v17, s3 :: v_dual_mov_b32 v18, s7
	s_add_i32 s11, s3, 0xffffff64
	s_add_i32 s13, s3, 0xffffff30
	;; [unrolled: 1-line block ×4, first 2 shown]
	s_addk_i32 s3, 0xfe2c
	s_add_i32 s19, s5, 0xfffffdc4
	v_dual_mov_b32 v19, s10 :: v_dual_mov_b32 v20, s16
	v_mov_b32_e32 v53, s30
	s_add_i32 s10, s4, 0xffffff10
	s_delay_alu instid0(SALU_CYCLE_1) | instskip(SKIP_4) | instid1(SALU_CYCLE_1)
	v_dual_mov_b32 v21, s17 :: v_dual_mov_b32 v28, s10
	v_dual_mov_b32 v23, s11 :: v_dual_mov_b32 v22, s18
	;; [unrolled: 1-line block ×3, first 2 shown]
	s_add_i32 s3, s4, 0xffffff70
	s_add_i32 s7, s4, 0xffffff3c
	v_dual_mov_b32 v33, s14 :: v_dual_mov_b32 v26, s7
	s_add_i32 s11, s4, 0xffffff08
	s_add_i32 s13, s4, 0xfffffedc
	s_delay_alu instid0(SALU_CYCLE_1)
	v_dual_mov_b32 v59, s19 :: v_dual_mov_b32 v30, s13
	s_add_i32 s14, s4, 0xfffffed4
	s_add_i32 s16, s4, 0xfffffeb0
	;; [unrolled: 1-line block ×28, first 2 shown]
	s_addk_i32 s4, 0xfd9c
	v_dual_mov_b32 v25, s3 :: v_dual_mov_b32 v36, s17
	v_dual_mov_b32 v29, s11 :: v_dual_mov_b32 v38, s19
	;; [unrolled: 1-line block ×11, first 2 shown]
	ds_load_b32 v75, v20
	ds_load_b32 v76, v21
	;; [unrolled: 1-line block ×5, first 2 shown]
	ds_load_2addr_b32 v[17:18], v18 offset1:1
	ds_load_b32 v79, v25
	ds_load_2addr_b32 v[19:20], v19 offset1:1
	ds_load_2addr_b32 v[21:22], v26 offset1:1
	;; [unrolled: 1-line block ×3, first 2 shown]
	ds_load_b32 v80, v28
	ds_load_2addr_b32 v[25:26], v29 offset1:1
	ds_load_2addr_b32 v[27:28], v27 offset1:1
	;; [unrolled: 1-line block ×5, first 2 shown]
	ds_load_b32 v81, v35
	ds_load_b32 v82, v36
	ds_load_2addr_b32 v[35:36], v37 offset1:1
	ds_load_2addr_b32 v[37:38], v38 offset1:1
	ds_load_b32 v83, v39
	ds_load_2addr_b32 v[39:40], v40 offset1:1
	ds_load_2addr_b32 v[41:42], v41 offset1:1
	;; [unrolled: 1-line block ×3, first 2 shown]
	ds_load_b32 v84, v45
	ds_load_b32 v85, v46
	ds_load_2addr_b32 v[45:46], v47 offset1:1
	ds_load_2addr_b32 v[47:48], v48 offset1:1
	;; [unrolled: 1-line block ×3, first 2 shown]
	ds_load_b32 v86, v52
	s_addk_i32 s5, 0xfd90
	s_ashr_i32 s3, s2, 31
	s_waitcnt vmcnt(3)
	v_mul_f32_e32 v68, s15, v51
	s_waitcnt lgkmcnt(25)
	s_delay_alu instid0(VALU_DEP_1)
	v_mul_f32_e32 v89, v68, v66
	v_mov_b32_e32 v55, s33
	v_mov_b32_e32 v57, s34
	;; [unrolled: 1-line block ×3, first 2 shown]
	s_waitcnt lgkmcnt(16)
	v_dual_mov_b32 v63, s38 :: v_dual_mul_f32 v30, v89, v30
	v_mul_f32_e32 v18, v89, v18
	v_mul_f32_e32 v79, v89, v79
	;; [unrolled: 1-line block ×3, first 2 shown]
	ds_load_2addr_b32 v[51:52], v53 offset1:1
	ds_load_2addr_b32 v[53:54], v54 offset1:1
	;; [unrolled: 1-line block ×4, first 2 shown]
	ds_load_b32 v87, v60
	ds_load_b32 v88, v59
	ds_load_2addr_b32 v[59:60], v64 offset1:1
	s_waitcnt vmcnt(1)
	v_fma_f32 v6, v6, s15, -v30
	v_fma_f32 v14, v14, s15, -v18
	v_mov_b32_e32 v67, s40
	v_fma_f32 v13, v13, s15, -v79
	v_mul_f32_e32 v18, v89, v80
	v_fma_f32 v12, v12, s15, -v22
	v_mul_f32_e32 v14, v14, v17
	s_delay_alu instid0(VALU_DEP_3) | instskip(NEXT) | instid1(VALU_DEP_2)
	v_fma_f32 v7, v7, s15, -v18
	v_fma_f32 v13, -v14, v20, v13
	s_delay_alu instid0(VALU_DEP_4) | instskip(SKIP_1) | instid1(VALU_DEP_4)
	v_fma_f32 v12, -v14, v21, v12
	v_fma_f32 v6, -v14, v29, v6
	;; [unrolled: 1-line block ×3, first 2 shown]
	v_mov_b32_e32 v21, s5
	v_mul_f32_e32 v13, v13, v19
	s_lshl_b64 s[4:5], s[2:3], 2
	s_delay_alu instid0(VALU_DEP_1)
	v_fma_f32 v12, -v13, v24, v12
	v_mov_b32_e32 v73, s44
	v_fma_f32 v7, -v13, v25, v7
	s_waitcnt lgkmcnt(22)
	v_fma_f32 v6, -v13, v32, v6
	v_mul_f32_e32 v12, v12, v23
	s_delay_alu instid0(VALU_DEP_1) | instskip(NEXT) | instid1(VALU_DEP_3)
	v_fma_f32 v7, -v12, v28, v7
	v_fma_f32 v6, -v12, v31, v6
	s_delay_alu instid0(VALU_DEP_2) | instskip(SKIP_1) | instid1(VALU_DEP_1)
	v_mul_f32_e32 v7, v7, v27
	s_waitcnt lgkmcnt(21)
	v_fma_f32 v6, -v7, v34, v6
	s_delay_alu instid0(VALU_DEP_1)
	v_dual_mul_f32 v6, v6, v33 :: v_dual_mov_b32 v65, s39
	s_waitcnt lgkmcnt(20)
	v_mul_f32_e32 v80, v89, v81
	s_waitcnt lgkmcnt(16)
	v_mul_f32_e32 v17, v89, v83
	;; [unrolled: 2-line block ×3, first 2 shown]
	s_waitcnt lgkmcnt(2)
	v_dual_mov_b32 v69, s42 :: v_dual_mul_f32 v20, v89, v87
	v_fma_f32 v5, v5, s15, -v80
	v_fma_f32 v4, v4, s15, -v17
	s_waitcnt lgkmcnt(0)
	v_dual_mov_b32 v71, s43 :: v_dual_mul_f32 v22, v89, v60
	ds_load_b32 v90, v61
	ds_load_2addr_b32 v[61:62], v62 offset1:1
	ds_load_2addr_b32 v[63:64], v63 offset1:1
	;; [unrolled: 1-line block ×4, first 2 shown]
	v_fma_f32 v5, -v14, v82, v5
	v_mul_f32_e32 v81, v89, v86
	s_waitcnt vmcnt(0)
	v_fma_f32 v11, v11, s15, -v79
	v_fma_f32 v4, -v14, v40, v4
	ds_load_2addr_b32 v[69:70], v69 offset1:1
	ds_load_2addr_b32 v[71:72], v71 offset1:1
	v_fma_f32 v5, -v13, v36, v5
	v_fma_f32 v10, v10, s15, -v81
	v_fma_f32 v11, -v14, v85, v11
	v_fma_f32 v4, -v13, v39, v4
	v_fma_f32 v9, v9, s15, -v20
	v_fma_f32 v5, -v12, v35, v5
	v_fma_f32 v8, v8, s15, -v22
	v_fma_f32 v10, -v14, v52, v10
	v_fma_f32 v11, -v13, v46, v11
	;; [unrolled: 1-line block ×4, first 2 shown]
	s_waitcnt lgkmcnt(6)
	v_fma_f32 v9, -v14, v90, v9
	v_fma_f32 v8, -v14, v59, v8
	v_fma_f32 v10, -v13, v51, v10
	v_fma_f32 v11, -v12, v45, v11
	v_fma_f32 v4, -v7, v41, v4
	v_fma_f32 v5, -v6, v37, v5
	s_waitcnt lgkmcnt(5)
	v_fma_f32 v9, -v13, v62, v9
	s_waitcnt lgkmcnt(1)
	v_fma_f32 v17, -v13, v70, v8
	v_fma_f32 v8, -v12, v54, v10
	;; [unrolled: 1-line block ×4, first 2 shown]
	v_mul_f32_e32 v5, v5, v75
	v_fma_f32 v11, -v12, v61, v9
	v_fma_f32 v18, -v7, v53, v8
	ds_load_2addr_b32 v[8:9], v73 offset1:1
	v_fma_f32 v10, -v6, v47, v10
	v_fma_f32 v4, -v5, v43, v4
	;; [unrolled: 1-line block ×6, first 2 shown]
	v_mul_f32_e32 v4, v4, v76
	s_waitcnt lgkmcnt(1)
	v_fma_f32 v19, -v7, v72, v17
	v_fma_f32 v11, -v6, v63, v11
	;; [unrolled: 1-line block ×3, first 2 shown]
	ds_load_2addr_b32 v[17:18], v74 offset1:1
	v_fma_f32 v10, -v4, v49, v10
	v_fma_f32 v22, -v6, v71, v19
	;; [unrolled: 1-line block ×4, first 2 shown]
	ds_load_2addr_b32 v[19:20], v21 offset1:1
	v_mul_f32_e32 v11, v10, v77
	v_fma_f32 v10, -v4, v65, v23
	s_waitcnt lgkmcnt(2)
	v_fma_f32 v9, -v5, v9, v22
	s_delay_alu instid0(VALU_DEP_3) | instskip(NEXT) | instid1(VALU_DEP_2)
	v_fma_f32 v21, -v11, v57, v24
	v_fma_f32 v8, -v4, v8, v9
	;; [unrolled: 1-line block ×3, first 2 shown]
	s_delay_alu instid0(VALU_DEP_3) | instskip(SKIP_1) | instid1(VALU_DEP_3)
	v_mul_f32_e32 v10, v21, v78
	s_waitcnt lgkmcnt(1)
	v_fma_f32 v8, -v11, v18, v8
	s_delay_alu instid0(VALU_DEP_2) | instskip(NEXT) | instid1(VALU_DEP_2)
	v_fma_f32 v9, -v10, v67, v9
	v_fma_f32 v8, -v10, v17, v8
	s_delay_alu instid0(VALU_DEP_2) | instskip(SKIP_3) | instid1(VALU_DEP_3)
	v_mul_f32_e32 v9, v9, v88
	v_add_co_u32 v17, vcc_lo, v0, s4
	v_add_co_ci_u32_e32 v18, vcc_lo, s5, v1, vcc_lo
	s_waitcnt lgkmcnt(0)
	v_fma_f32 v8, -v9, v20, v8
	s_add_i32 s4, s2, -13
	s_clause 0x1
	global_store_b32 v[15:16], v89, off
	global_store_b96 v[17:18], v[12:14], off offset:-16
	v_mul_f32_e32 v8, v8, v19
	s_clause 0x1
	global_store_b128 v[17:18], v[4:7], off offset:-32
	global_store_b128 v[17:18], v[8:11], off offset:-48
	s_cmp_gt_i32 s4, -1
	s_cbranch_scc1 .LBB14_15
	s_branch .LBB14_33
.LBB14_14:
	s_mov_b32 s4, s12
	s_delay_alu instid0(SALU_CYCLE_1)
	s_cmp_gt_i32 s4, -1
	s_cbranch_scc0 .LBB14_33
.LBB14_15:
	s_cmp_lt_u32 s4, 7
	s_cbranch_scc1 .LBB14_20
; %bb.16:
	s_mov_b32 s5, 0
	s_delay_alu instid0(SALU_CYCLE_1)
	s_lshl_b64 s[10:11], s[4:5], 2
	s_cmp_le_i32 s12, s4
	v_add_co_u32 v4, vcc_lo, v0, s10
	v_add_co_ci_u32_e32 v5, vcc_lo, s11, v1, vcc_lo
	s_clause 0x1
	global_load_b128 v[6:9], v[4:5], off offset:-12
	global_load_b128 v[16:19], v[4:5], off offset:-28
	s_waitcnt vmcnt(1)
	v_dual_mul_f32 v15, s15, v9 :: v_dual_mul_f32 v14, s15, v8
	v_dual_mul_f32 v13, s15, v7 :: v_dual_mul_f32 v12, s15, v6
	s_waitcnt vmcnt(0)
	v_dual_mul_f32 v11, s15, v19 :: v_dual_mul_f32 v10, s15, v18
	v_dual_mul_f32 v9, s15, v17 :: v_dual_mul_f32 v8, s15, v16
	s_cbranch_scc1 .LBB14_19
; %bb.17:
	s_mul_i32 s3, s4, 48
	s_lshl_b32 s5, s2, 2
	s_ashr_i32 s13, s12, 31
	s_add_i32 s3, s3, s5
	s_lshl_b64 s[10:11], s[12:13], 2
	s_addk_i32 s3, 0xfeac
	s_add_u32 s5, s8, s10
	s_addc_u32 s7, s9, s11
	s_add_u32 s5, s5, s0
	s_addc_u32 s7, s7, s1
	v_add_co_u32 v6, vcc_lo, s5, v2
	v_add_co_ci_u32_e32 v7, vcc_lo, s7, v3, vcc_lo
	s_mov_b32 s5, s12
	s_set_inst_prefetch_distance 0x1
	.p2align	6
.LBB14_18:                              ; =>This Inner Loop Header: Depth=1
	global_load_b32 v24, v[6:7], off
	v_mov_b32_e32 v22, s3
	v_add_co_u32 v6, vcc_lo, v6, -4
	v_add_co_ci_u32_e32 v7, vcc_lo, -1, v7, vcc_lo
	ds_load_2addr_b32 v[16:17], v22 offset0:72 offset1:84
	ds_load_2addr_b32 v[18:19], v22 offset0:48 offset1:60
	;; [unrolled: 1-line block ×3, first 2 shown]
	ds_load_2addr_b32 v[22:23], v22 offset1:12
	s_add_i32 s5, s5, -1
	s_add_i32 s3, s3, -4
	s_cmp_gt_i32 s5, s4
	s_waitcnt vmcnt(0) lgkmcnt(3)
	v_fma_f32 v15, -v24, v17, v15
	v_fma_f32 v14, -v24, v16, v14
	s_waitcnt lgkmcnt(2)
	v_fma_f32 v13, -v24, v19, v13
	v_fma_f32 v12, -v24, v18, v12
	s_waitcnt lgkmcnt(1)
	;; [unrolled: 3-line block ×3, first 2 shown]
	v_fma_f32 v9, -v24, v23, v9
	v_fma_f32 v8, -v24, v22, v8
	s_cbranch_scc1 .LBB14_18
.LBB14_19:
	s_set_inst_prefetch_distance 0x2
	s_mul_i32 s3, s4, 52
	s_delay_alu instid0(SALU_CYCLE_1) | instskip(NEXT) | instid1(SALU_CYCLE_1)
	s_sub_i32 s5, s3, 52
	v_dual_mov_b32 v6, s3 :: v_dual_mov_b32 v7, s5
	s_add_i32 s7, s3, 0xffffffa0
	s_add_i32 s13, s3, 0xffffff40
	s_delay_alu instid0(SALU_CYCLE_1)
	v_dual_mov_b32 v16, s7 :: v_dual_mov_b32 v23, s13
	ds_load_b32 v22, v6
	s_add_i32 s5, s3, 0xffffff6c
	s_add_i32 s10, s3, 0xffffff98
	ds_load_b32 v24, v16
	ds_load_2addr_b32 v[6:7], v7 offset1:1
	s_add_i32 s7, s3, 0xffffff38
	s_delay_alu instid0(SALU_CYCLE_1)
	v_dual_mov_b32 v16, s5 :: v_dual_mov_b32 v25, s7
	v_mov_b32_e32 v18, s10
	s_add_i32 s11, s3, 0xffffff64
	s_add_i32 s16, s3, 0xffffff0c
	v_mov_b32_e32 v20, s11
	s_add_i32 s14, s3, 0xffffff30
	s_add_i32 s5, s3, 0xffffff04
	;; [unrolled: 1-line block ×6, first 2 shown]
	s_waitcnt lgkmcnt(2)
	v_mul_f32_e32 v27, v15, v22
	v_mov_b32_e32 v15, s16
	ds_load_2addr_b32 v[16:17], v16 offset1:1
	ds_load_2addr_b32 v[18:19], v18 offset1:1
	ds_load_2addr_b32 v[20:21], v20 offset1:1
	ds_load_b32 v26, v23
	ds_load_2addr_b32 v[22:23], v25 offset1:1
	s_waitcnt lgkmcnt(5)
	v_fma_f32 v7, -v27, v7, v14
	v_mov_b32_e32 v14, s14
	v_fma_f32 v24, -v27, v24, v13
	v_mov_b32_e32 v25, s5
	s_add_i32 s14, s3, 0xfffffeb0
	v_mul_f32_e32 v13, v7, v6
	ds_load_2addr_b32 v[6:7], v14 offset1:1
	ds_load_2addr_b32 v[14:15], v15 offset1:1
	s_add_i32 s5, s3, 0xfffffea8
	s_waitcnt lgkmcnt(6)
	v_fma_f32 v12, -v27, v17, v12
	s_waitcnt lgkmcnt(5)
	v_fma_f32 v17, -v13, v19, v24
	v_dual_mov_b32 v24, s10 :: v_dual_mov_b32 v19, s7
	s_waitcnt lgkmcnt(3)
	v_fma_f32 v11, -v27, v26, v11
	v_fma_f32 v16, -v13, v16, v12
	v_mul_f32_e32 v12, v17, v18
	v_mov_b32_e32 v26, s11
	ds_load_b32 v24, v24
	s_waitcnt lgkmcnt(3)
	v_fma_f32 v11, -v13, v23, v11
	v_mov_b32_e32 v23, s14
	v_fma_f32 v21, -v12, v21, v16
	ds_load_2addr_b32 v[16:17], v25 offset1:1
	ds_load_2addr_b32 v[18:19], v19 offset1:1
	ds_load_b32 v25, v26
	s_waitcnt lgkmcnt(4)
	v_fma_f32 v10, -v27, v15, v10
	v_mov_b32_e32 v15, s13
	v_fma_f32 v22, -v12, v22, v11
	v_mul_f32_e32 v11, v21, v20
	ds_load_b32 v26, v23
	v_fma_f32 v10, -v13, v14, v10
	ds_load_2addr_b32 v[20:21], v15 offset1:1
	v_mov_b32_e32 v23, s5
	s_add_i32 s5, s3, 0xfffffecc
	v_fma_f32 v7, -v11, v7, v22
	s_add_i32 s7, s3, 0xfffffe98
	ds_load_2addr_b32 v[14:15], v23 offset1:1
	v_mov_b32_e32 v23, s5
	s_add_i32 s5, s3, 0xfffffea0
	s_waitcnt lgkmcnt(6)
	v_fma_f32 v22, -v27, v24, v9
	v_dual_mov_b32 v24, s5 :: v_dual_mul_f32 v9, v7, v6
	s_waitcnt lgkmcnt(5)
	v_fma_f32 v10, -v12, v17, v10
	ds_load_2addr_b32 v[6:7], v23 offset1:1
	s_waitcnt lgkmcnt(4)
	v_fma_f32 v17, -v13, v25, v22
	ds_load_2addr_b32 v[22:23], v24 offset1:1
	s_add_i32 s5, s3, 0xfffffec8
	s_delay_alu instid0(SALU_CYCLE_1)
	v_dual_mov_b32 v25, s7 :: v_dual_mov_b32 v24, s5
	s_waitcnt lgkmcnt(4)
	v_fma_f32 v8, -v27, v26, v8
	v_fma_f32 v10, -v11, v16, v10
	s_waitcnt lgkmcnt(3)
	v_fma_f32 v21, -v12, v21, v17
	ds_load_b32 v24, v24
	ds_load_2addr_b32 v[16:17], v25 offset1:1
	s_addk_i32 s3, 0xfe94
	v_fma_f32 v10, -v9, v19, v10
	s_waitcnt lgkmcnt(4)
	v_fma_f32 v8, -v13, v15, v8
	v_fma_f32 v15, -v11, v20, v21
	v_mov_b32_e32 v19, s3
	s_ashr_i32 s5, s4, 31
	s_delay_alu instid0(VALU_DEP_3)
	v_fma_f32 v14, -v12, v14, v8
	v_mul_f32_e32 v8, v10, v18
	s_waitcnt lgkmcnt(3)
	v_fma_f32 v7, -v9, v7, v15
	ds_load_b32 v18, v19
	s_lshl_b64 s[10:11], s[4:5], 2
	s_waitcnt lgkmcnt(3)
	v_fma_f32 v10, -v11, v23, v14
	v_add_co_u32 v14, vcc_lo, v0, s10
	v_fma_f32 v6, -v8, v6, v7
	v_add_co_ci_u32_e32 v15, vcc_lo, s11, v1, vcc_lo
	s_delay_alu instid0(VALU_DEP_4)
	v_fma_f32 v10, -v9, v22, v10
	s_add_i32 s4, s4, -8
	s_waitcnt lgkmcnt(2)
	v_mul_f32_e32 v7, v6, v24
	global_store_b96 v[14:15], v[11:13], off offset:-12
	s_waitcnt lgkmcnt(1)
	v_fma_f32 v6, -v8, v17, v10
	s_delay_alu instid0(VALU_DEP_1) | instskip(SKIP_1) | instid1(VALU_DEP_1)
	v_fma_f32 v6, -v7, v16, v6
	s_waitcnt lgkmcnt(0)
	v_mul_f32_e32 v6, v6, v18
	s_clause 0x1
	global_store_b32 v[4:5], v27, off
	global_store_b128 v[14:15], v[6:9], off offset:-28
.LBB14_20:
	s_cmp_lt_i32 s4, 0
	s_cbranch_scc1 .LBB14_33
; %bb.21:
	s_bitcmp1_b32 s4, 0
	s_mov_b32 s10, s4
	s_cselect_b32 s3, -1, 0
	s_delay_alu instid0(SALU_CYCLE_1)
	s_and_b32 vcc_lo, exec_lo, s3
	s_cbranch_vccnz .LBB14_26
; %bb.22:
	s_mov_b32 s5, 0
	s_delay_alu instid0(SALU_CYCLE_1)
	s_lshl_b64 s[10:11], s[4:5], 2
	s_cmp_le_i32 s12, s4
	v_add_co_u32 v4, vcc_lo, v0, s10
	v_add_co_ci_u32_e32 v5, vcc_lo, s11, v1, vcc_lo
	global_load_b32 v6, v[4:5], off
	s_waitcnt vmcnt(0)
	v_mul_f32_e32 v8, s15, v6
	s_cbranch_scc1 .LBB14_25
; %bb.23:
	s_mul_i32 s3, s4, 48
	s_lshl_b32 s5, s2, 2
	s_ashr_i32 s13, s12, 31
	s_add_i32 s3, s3, s5
	s_lshl_b64 s[10:11], s[12:13], 2
	s_add_i32 s3, s3, -4
	s_add_u32 s5, s8, s10
	s_addc_u32 s7, s9, s11
	s_add_u32 s5, s5, s0
	s_addc_u32 s7, s7, s1
	v_add_co_u32 v6, vcc_lo, s5, v2
	v_add_co_ci_u32_e32 v7, vcc_lo, s7, v3, vcc_lo
	s_mov_b32 s5, s12
.LBB14_24:                              ; =>This Inner Loop Header: Depth=1
	global_load_b32 v9, v[6:7], off
	v_mov_b32_e32 v10, s3
	v_add_co_u32 v6, vcc_lo, v6, -4
	v_add_co_ci_u32_e32 v7, vcc_lo, -1, v7, vcc_lo
	ds_load_b32 v10, v10
	s_add_i32 s5, s5, -1
	s_add_i32 s3, s3, -4
	s_cmp_gt_i32 s5, s4
	s_waitcnt vmcnt(0) lgkmcnt(0)
	v_fma_f32 v8, -v9, v10, v8
	s_cbranch_scc1 .LBB14_24
.LBB14_25:
	s_mul_i32 s3, s4, 52
	s_add_i32 s10, s4, -1
	v_mov_b32_e32 v6, s3
	ds_load_b32 v6, v6
	s_waitcnt lgkmcnt(0)
	v_mul_f32_e32 v6, v8, v6
	global_store_b32 v[4:5], v6, off
.LBB14_26:
	s_cmp_eq_u32 s4, 0
	s_mov_b32 s11, 0
	s_cbranch_scc1 .LBB14_33
; %bb.27:
	s_mul_i32 s3, s10, 48
	s_lshl_b32 s4, s2, 2
	s_ashr_i32 s13, s12, 31
	s_add_i32 s7, s3, s4
	s_lshl_b64 s[4:5], s[12:13], 2
	s_add_i32 s3, s7, -4
	s_add_u32 s4, s8, s4
	s_addc_u32 s5, s9, s5
	s_add_u32 s4, s4, s0
	s_addc_u32 s5, s5, s1
	v_add_co_u32 v4, vcc_lo, s4, v2
	v_add_co_ci_u32_e32 v5, vcc_lo, s5, v3, vcc_lo
	s_sub_i32 s4, s7, 52
	s_branch .LBB14_29
.LBB14_28:                              ;   in Loop: Header=BB14_29 Depth=1
	s_sub_i32 s5, s5, 52
	s_addk_i32 s3, 0xffa0
	v_mov_b32_e32 v8, s5
	s_add_i32 s5, s10, -2
	s_addk_i32 s4, 0xffa0
	s_cmp_lt_i32 s10, 2
	s_mov_b32 s10, s5
	ds_load_b32 v8, v8
	s_waitcnt lgkmcnt(0)
	v_mul_f32_e32 v8, v10, v8
	global_store_b32 v[6:7], v8, off offset:-4
	s_cbranch_scc1 .LBB14_33
.LBB14_29:                              ; =>This Loop Header: Depth=1
                                        ;     Child Loop BB14_30 Depth 2
                                        ;     Child Loop BB14_32 Depth 2
	s_lshl_b64 s[16:17], s[10:11], 2
	s_cmp_le_i32 s12, s10
	v_add_co_u32 v6, vcc_lo, v0, s16
	v_add_co_ci_u32_e32 v7, vcc_lo, s17, v1, vcc_lo
	s_mov_b32 s5, s3
	s_mov_b32 s7, s12
	global_load_b32 v6, v[6:7], off
	s_waitcnt vmcnt(0)
	v_dual_mul_f32 v8, s15, v6 :: v_dual_mov_b32 v7, v5
	v_mov_b32_e32 v6, v4
	s_cbranch_scc1 .LBB14_31
.LBB14_30:                              ;   Parent Loop BB14_29 Depth=1
                                        ; =>  This Inner Loop Header: Depth=2
	global_load_b32 v9, v[6:7], off
	v_mov_b32_e32 v10, s5
	v_add_co_u32 v6, vcc_lo, v6, -4
	v_add_co_ci_u32_e32 v7, vcc_lo, -1, v7, vcc_lo
	ds_load_b32 v10, v10
	s_add_i32 s7, s7, -1
	s_add_i32 s5, s5, -4
	s_cmp_gt_i32 s7, s10
	s_waitcnt vmcnt(0) lgkmcnt(0)
	v_fma_f32 v8, -v9, v10, v8
	s_cbranch_scc1 .LBB14_30
.LBB14_31:                              ;   in Loop: Header=BB14_29 Depth=1
	s_add_i32 s16, s10, -1
	s_mov_b32 s17, s11
	s_mul_i32 s5, s10, 52
	s_lshl_b64 s[16:17], s[16:17], 2
	s_mov_b32 s7, s4
	v_add_co_u32 v6, vcc_lo, v0, s16
	v_add_co_ci_u32_e32 v7, vcc_lo, s17, v1, vcc_lo
	s_ashr_i32 s17, s10, 31
	s_mov_b32 s16, s10
	s_mov_b32 s13, s2
	global_load_b32 v9, v[6:7], off
	v_mov_b32_e32 v6, s5
	s_lshl_b64 s[16:17], s[16:17], 2
	s_cmp_lt_i32 s12, s10
	ds_load_b32 v10, v6
	v_add_co_u32 v6, vcc_lo, v0, s16
	v_add_co_ci_u32_e32 v7, vcc_lo, s17, v1, vcc_lo
	s_waitcnt lgkmcnt(0)
	v_mul_f32_e32 v11, v8, v10
	global_store_b32 v[6:7], v11, off
	s_waitcnt vmcnt(0)
	v_dual_mul_f32 v10, s15, v9 :: v_dual_mov_b32 v9, v5
	v_mov_b32_e32 v8, v4
	s_cbranch_scc1 .LBB14_28
.LBB14_32:                              ;   Parent Loop BB14_29 Depth=1
                                        ; =>  This Inner Loop Header: Depth=2
	global_load_b32 v11, v[8:9], off
	v_mov_b32_e32 v12, s7
	v_add_co_u32 v8, vcc_lo, v8, -4
	v_add_co_ci_u32_e32 v9, vcc_lo, -1, v9, vcc_lo
	ds_load_b32 v12, v12
	s_add_i32 s13, s13, -1
	s_add_i32 s7, s7, -4
	s_cmp_gt_i32 s13, s10
	s_waitcnt vmcnt(0) lgkmcnt(0)
	v_fma_f32 v10, -v11, v12, v10
	s_cbranch_scc1 .LBB14_32
	s_branch .LBB14_28
.LBB14_33:
	s_mov_b32 s3, 0
.LBB14_34:
	s_delay_alu instid0(SALU_CYCLE_1)
	s_and_b32 vcc_lo, exec_lo, s3
	s_cbranch_vccz .LBB14_57
; %bb.35:
	s_cmp_gt_i32 s6, 11
	s_cselect_b32 s3, -1, 0
	s_delay_alu instid0(SALU_CYCLE_1)
	s_and_b32 vcc_lo, exec_lo, s3
	s_cbranch_vccz .LBB14_37
; %bb.36:
	s_clause 0x2
	global_load_b128 v[4:7], v[0:1], off
	global_load_b128 v[8:11], v[0:1], off offset:16
	global_load_b128 v[12:15], v[0:1], off offset:32
	v_mov_b32_e32 v84, 0
	s_mov_b32 s4, 12
	ds_load_b128 v[16:19], v84
	ds_load_b128 v[20:23], v84 offset:16
	ds_load_2addr_b32 v[52:53], v84 offset0:13 offset1:14
	ds_load_b128 v[24:27], v84 offset:32
	ds_load_2addr_b64 v[28:31], v84 offset0:13 offset1:14
	ds_load_b32 v85, v84 offset:92
	ds_load_b128 v[32:35], v84 offset:208
	ds_load_b128 v[36:39], v84 offset:224
	ds_load_2addr_b32 v[54:55], v84 offset0:15 offset1:16
	ds_load_2addr_b32 v[56:57], v84 offset0:17 offset1:18
	;; [unrolled: 1-line block ×4, first 2 shown]
	s_waitcnt vmcnt(2)
	v_mul_f32_e32 v4, s15, v4
	s_waitcnt lgkmcnt(11)
	s_delay_alu instid0(VALU_DEP_1) | instskip(NEXT) | instid1(VALU_DEP_1)
	v_mul_f32_e32 v4, v4, v16
	v_mul_f32_e32 v86, v4, v17
	s_waitcnt lgkmcnt(10)
	v_mul_f32_e32 v21, v4, v21
	ds_load_2addr_b32 v[62:63], v84 offset0:39 offset1:40
	ds_load_2addr_b32 v[64:65], v84 offset0:41 offset1:42
	;; [unrolled: 1-line block ×9, first 2 shown]
	ds_load_b128 v[40:43], v84 offset:416
	ds_load_2addr_b32 v[80:81], v84 offset0:117 offset1:118
	v_mul_f32_e32 v18, v4, v18
	v_fma_f32 v5, v5, s15, -v86
	v_mul_f32_e32 v86, v4, v19
	v_mul_f32_e32 v20, v4, v20
	s_waitcnt vmcnt(1)
	v_fma_f32 v9, v9, s15, -v21
	v_fma_f32 v6, v6, s15, -v18
	s_waitcnt lgkmcnt(20)
	v_mul_f32_e32 v5, v5, v52
	v_fma_f32 v7, v7, s15, -v86
	v_fma_f32 v8, v8, s15, -v20
	ds_load_2addr_b64 v[44:47], v84 offset0:15 offset1:16
	ds_load_b64 v[16:17], v84 offset:136
	ds_load_2addr_b64 v[48:51], v84 offset0:39 offset1:40
	ds_load_b64 v[82:83], v84 offset:328
	ds_load_2addr_b32 v[18:19], v84 offset0:47 offset1:71
	v_fma_f32 v6, -v5, v53, v6
	s_waitcnt lgkmcnt(19)
	v_fma_f32 v7, -v5, v54, v7
	v_fma_f32 v8, -v5, v55, v8
	s_waitcnt lgkmcnt(18)
	v_fma_f32 v9, -v5, v56, v9
	v_mul_f32_e32 v6, v6, v28
	s_delay_alu instid0(VALU_DEP_1) | instskip(SKIP_1) | instid1(VALU_DEP_4)
	v_fma_f32 v7, -v6, v29, v7
	v_fma_f32 v8, -v6, v30, v8
	;; [unrolled: 1-line block ×3, first 2 shown]
	s_waitcnt lgkmcnt(15)
	s_delay_alu instid0(VALU_DEP_3) | instskip(NEXT) | instid1(VALU_DEP_1)
	v_mul_f32_e32 v7, v7, v62
	v_fma_f32 v8, -v7, v63, v8
	s_waitcnt lgkmcnt(14)
	v_fma_f32 v9, -v7, v64, v9
	s_delay_alu instid0(VALU_DEP_2) | instskip(NEXT) | instid1(VALU_DEP_1)
	v_mul_f32_e32 v8, v8, v32
	v_fma_f32 v9, -v8, v33, v9
	s_waitcnt lgkmcnt(11)
	s_delay_alu instid0(VALU_DEP_1) | instskip(SKIP_4) | instid1(VALU_DEP_4)
	v_mul_f32_e32 v9, v9, v70
	v_mul_f32_e32 v22, v4, v22
	;; [unrolled: 1-line block ×5, first 2 shown]
	v_fma_f32 v10, v10, s15, -v22
	s_waitcnt vmcnt(0)
	v_fma_f32 v14, v14, s15, -v20
	v_fma_f32 v15, v15, s15, -v26
	;; [unrolled: 1-line block ×3, first 2 shown]
	v_fma_f32 v10, -v5, v57, v10
	s_delay_alu instid0(VALU_DEP_4) | instskip(NEXT) | instid1(VALU_DEP_4)
	v_fma_f32 v14, -v5, v61, v14
	v_fma_f32 v15, -v5, v85, v15
	s_delay_alu instid0(VALU_DEP_4)
	v_fma_f32 v12, -v5, v59, v12
	s_waitcnt lgkmcnt(4)
	v_fma_f32 v10, -v6, v44, v10
	s_waitcnt lgkmcnt(3)
	v_fma_f32 v14, -v6, v16, v14
	v_fma_f32 v16, -v6, v17, v15
	;; [unrolled: 1-line block ×4, first 2 shown]
	s_delay_alu instid0(VALU_DEP_4)
	v_fma_f32 v14, -v7, v69, v14
	s_waitcnt lgkmcnt(0)
	v_fma_f32 v16, -v7, v18, v16
	v_fma_f32 v12, -v7, v67, v12
	v_fma_f32 v10, -v8, v34, v10
	v_fma_f32 v17, -v8, v38, v14
	s_delay_alu instid0(VALU_DEP_4) | instskip(NEXT) | instid1(VALU_DEP_4)
	v_fma_f32 v18, -v8, v39, v16
	v_fma_f32 v12, -v8, v36, v12
	ds_load_2addr_b32 v[14:15], v84 offset0:95 offset1:119
	v_fma_f32 v10, -v9, v71, v10
	v_mul_f32_e32 v23, v4, v23
	v_fma_f32 v17, -v9, v75, v17
	v_fma_f32 v18, -v9, v19, v18
	;; [unrolled: 1-line block ×3, first 2 shown]
	v_mul_f32_e32 v10, v10, v48
	v_fma_f32 v11, v11, s15, -v23
	s_delay_alu instid0(VALU_DEP_2) | instskip(NEXT) | instid1(VALU_DEP_2)
	v_fma_f32 v20, -v10, v82, v17
	v_fma_f32 v11, -v5, v58, v11
	ds_load_b64 v[16:17], v84 offset:520
	v_fma_f32 v12, -v10, v50, v12
	v_fma_f32 v18, -v10, v83, v18
	;; [unrolled: 1-line block ×3, first 2 shown]
	s_delay_alu instid0(VALU_DEP_1) | instskip(NEXT) | instid1(VALU_DEP_1)
	v_fma_f32 v11, -v7, v66, v11
	v_fma_f32 v11, -v8, v35, v11
	s_delay_alu instid0(VALU_DEP_1) | instskip(NEXT) | instid1(VALU_DEP_1)
	v_fma_f32 v11, -v9, v72, v11
	v_fma_f32 v11, -v10, v49, v11
	s_delay_alu instid0(VALU_DEP_1) | instskip(NEXT) | instid1(VALU_DEP_1)
	v_mul_f32_e32 v11, v11, v76
	v_fma_f32 v19, -v11, v79, v20
	ds_load_b32 v20, v84 offset:572
	v_mul_f32_e32 v25, v4, v25
	v_fma_f32 v12, -v11, v77, v12
	s_waitcnt lgkmcnt(2)
	v_fma_f32 v14, -v11, v14, v18
	s_clause 0x1
	global_store_b128 v[0:1], v[4:7], off
	global_store_b128 v[0:1], v[8:11], off offset:16
	v_fma_f32 v13, v13, s15, -v25
	v_mul_f32_e32 v12, v12, v40
	s_delay_alu instid0(VALU_DEP_2) | instskip(NEXT) | instid1(VALU_DEP_2)
	v_fma_f32 v13, -v5, v60, v13
	v_fma_f32 v19, -v12, v42, v19
	s_delay_alu instid0(VALU_DEP_2) | instskip(NEXT) | instid1(VALU_DEP_1)
	v_fma_f32 v13, -v6, v47, v13
	v_fma_f32 v13, -v7, v68, v13
	s_delay_alu instid0(VALU_DEP_1) | instskip(NEXT) | instid1(VALU_DEP_1)
	v_fma_f32 v13, -v8, v37, v13
	v_fma_f32 v13, -v9, v74, v13
	s_delay_alu instid0(VALU_DEP_1) | instskip(NEXT) | instid1(VALU_DEP_1)
	;; [unrolled: 3-line block ×3, first 2 shown]
	v_fma_f32 v13, -v12, v41, v13
	v_mul_f32_e32 v13, v13, v80
	s_delay_alu instid0(VALU_DEP_1) | instskip(SKIP_2) | instid1(VALU_DEP_2)
	v_fma_f32 v18, -v13, v81, v19
	v_fma_f32 v19, -v12, v43, v14
	s_waitcnt lgkmcnt(1)
	v_mul_f32_e32 v14, v18, v16
	s_delay_alu instid0(VALU_DEP_2) | instskip(NEXT) | instid1(VALU_DEP_1)
	v_fma_f32 v15, -v13, v15, v19
	v_fma_f32 v15, -v14, v17, v15
	s_waitcnt lgkmcnt(0)
	s_delay_alu instid0(VALU_DEP_1)
	v_mul_f32_e32 v15, v15, v20
	global_store_b128 v[0:1], v[12:15], off offset:32
	s_cmp_lt_i32 s4, s2
	s_cbranch_scc1 .LBB14_38
	s_branch .LBB14_57
.LBB14_37:
	s_mov_b32 s4, 0
	s_delay_alu instid0(SALU_CYCLE_1)
	s_cmp_lt_i32 s4, s2
	s_cbranch_scc0 .LBB14_57
.LBB14_38:
	s_add_i32 s5, s4, 7
	s_delay_alu instid0(SALU_CYCLE_1)
	s_cmp_ge_u32 s5, s2
	s_cbranch_scc1 .LBB14_46
; %bb.39:
	s_lshl_b32 s6, s4, 2
	s_delay_alu instid0(SALU_CYCLE_1)
	v_add_co_u32 v4, vcc_lo, v0, s6
	v_add_co_ci_u32_e32 v5, vcc_lo, 0, v1, vcc_lo
	s_and_not1_b32 vcc_lo, exec_lo, s3
	s_mov_b32 s3, 0
	s_clause 0x1
	global_load_b128 v[6:9], v[4:5], off
	global_load_b128 v[16:19], v[4:5], off offset:16
	s_waitcnt vmcnt(1)
	v_dual_mul_f32 v15, s15, v6 :: v_dual_mul_f32 v14, s15, v7
	v_dual_mul_f32 v13, s15, v8 :: v_dual_mul_f32 v12, s15, v9
	s_waitcnt vmcnt(0)
	v_dual_mul_f32 v11, s15, v16 :: v_dual_mul_f32 v10, s15, v17
	v_dual_mul_f32 v9, s15, v18 :: v_dual_mul_f32 v8, s15, v19
	s_cbranch_vccnz .LBB14_45
; %bb.40:
	s_max_u32 s7, s4, 1
	s_delay_alu instid0(SALU_CYCLE_1)
	s_cmp_eq_u32 s7, 1
	s_cbranch_scc1 .LBB14_43
; %bb.41:
	s_and_b32 s3, s7, 12
	s_add_u32 s10, s8, s0
	s_addc_u32 s11, s9, s1
	v_add_co_u32 v6, vcc_lo, s10, v2
	v_add_co_ci_u32_e32 v7, vcc_lo, s11, v3, vcc_lo
	s_mov_b32 s10, 0
	s_delay_alu instid0(VALU_DEP_2) | instskip(NEXT) | instid1(VALU_DEP_2)
	v_add_co_u32 v6, vcc_lo, v6, 4
	v_add_co_ci_u32_e32 v7, vcc_lo, 0, v7, vcc_lo
.LBB14_42:                              ; =>This Inner Loop Header: Depth=1
	global_load_b64 v[32:33], v[6:7], off offset:-4
	v_mov_b32_e32 v28, s6
	v_add_co_u32 v6, vcc_lo, v6, 8
	v_add_co_ci_u32_e32 v7, vcc_lo, 0, v7, vcc_lo
	ds_load_b128 v[16:19], v28
	ds_load_b128 v[20:23], v28 offset:16
	ds_load_b128 v[24:27], v28 offset:48
	ds_load_b128 v[28:31], v28 offset:64
	s_add_i32 s10, s10, 2
	s_addk_i32 s6, 0x60
	s_cmp_lg_u32 s3, s10
	s_waitcnt vmcnt(0) lgkmcnt(3)
	v_fma_f32 v15, -v32, v16, v15
	v_fma_f32 v14, -v32, v17, v14
	v_fma_f32 v13, -v32, v18, v13
	v_fma_f32 v12, -v32, v19, v12
	s_waitcnt lgkmcnt(2)
	v_fma_f32 v11, -v32, v20, v11
	v_fma_f32 v10, -v32, v21, v10
	v_fma_f32 v9, -v32, v22, v9
	v_fma_f32 v8, -v32, v23, v8
	s_waitcnt lgkmcnt(1)
	;; [unrolled: 5-line block ×3, first 2 shown]
	v_fma_f32 v11, -v33, v28, v11
	v_fma_f32 v10, -v33, v29, v10
	v_fma_f32 v9, -v33, v30, v9
	v_fma_f32 v8, -v33, v31, v8
	s_cbranch_scc1 .LBB14_42
.LBB14_43:
	s_bitcmp0_b32 s7, 0
	s_cbranch_scc1 .LBB14_45
; %bb.44:
	s_lshl_b32 s6, s3, 2
	s_mul_i32 s3, s3, 12
	v_add_co_u32 v6, vcc_lo, v0, s6
	v_add_co_ci_u32_e32 v7, vcc_lo, 0, v1, vcc_lo
	s_add_i32 s3, s3, s4
	s_delay_alu instid0(SALU_CYCLE_1)
	s_lshl_b32 s3, s3, 2
	global_load_b32 v6, v[6:7], off
	v_mov_b32_e32 v7, s3
	ds_load_b128 v[16:19], v7
	ds_load_b128 v[20:23], v7 offset:16
	s_waitcnt vmcnt(0) lgkmcnt(1)
	v_fma_f32 v15, -v6, v16, v15
	v_fma_f32 v14, -v6, v17, v14
	;; [unrolled: 1-line block ×4, first 2 shown]
	s_waitcnt lgkmcnt(0)
	v_fma_f32 v11, -v6, v20, v11
	v_fma_f32 v10, -v6, v21, v10
	;; [unrolled: 1-line block ×4, first 2 shown]
.LBB14_45:
	s_mul_i32 s3, s4, 52
	s_add_i32 s4, s4, 8
	v_mov_b32_e32 v36, s3
	s_mul_i32 s3, s5, 52
	ds_load_b128 v[16:19], v36
	ds_load_2addr_b32 v[6:7], v36 offset0:13 offset1:14
	ds_load_b128 v[20:23], v36 offset:16
	ds_load_2addr_b64 v[24:27], v36 offset0:13 offset1:14
	ds_load_2addr_b32 v[28:29], v36 offset0:15 offset1:16
	s_waitcnt lgkmcnt(4)
	v_mul_f32_e32 v15, v15, v16
	ds_load_2addr_b32 v[30:31], v36 offset0:17 offset1:18
	ds_load_b32 v37, v36 offset:76
	ds_load_2addr_b32 v[32:33], v36 offset0:39 offset1:40
	v_fma_f32 v14, -v15, v17, v14
	v_fma_f32 v13, -v15, v18, v13
	;; [unrolled: 1-line block ×3, first 2 shown]
	s_waitcnt lgkmcnt(5)
	v_fma_f32 v18, -v15, v20, v11
	v_fma_f32 v10, -v15, v21, v10
	v_mul_f32_e32 v16, v14, v6
	v_fma_f32 v22, -v15, v22, v9
	v_fma_f32 v8, -v15, v23, v8
	s_delay_alu instid0(VALU_DEP_3)
	v_fma_f32 v13, -v16, v7, v13
	ds_load_2addr_b32 v[6:7], v36 offset0:41 offset1:42
	ds_load_b64 v[34:35], v36 offset:120
	s_waitcnt lgkmcnt(6)
	v_mul_f32_e32 v17, v13, v24
	s_waitcnt lgkmcnt(5)
	v_fma_f32 v19, -v16, v28, v12
	ds_load_b128 v[11:14], v36 offset:208
	v_fma_f32 v18, -v16, v29, v18
	s_waitcnt lgkmcnt(5)
	v_fma_f32 v24, -v16, v30, v10
	ds_load_b64 v[9:10], v36 offset:264
	v_fma_f32 v21, -v17, v25, v19
	ds_load_2addr_b32 v[19:20], v36 offset0:43 offset1:65
	v_fma_f32 v25, -v17, v26, v18
	v_fma_f32 v23, -v16, v31, v22
	;; [unrolled: 1-line block ×3, first 2 shown]
	s_waitcnt lgkmcnt(5)
	v_mul_f32_e32 v18, v21, v32
	ds_load_2addr_b32 v[21:22], v36 offset0:78 offset1:79
	v_fma_f32 v8, -v16, v37, v8
	v_fma_f32 v25, -v18, v33, v25
	s_waitcnt lgkmcnt(4)
	v_fma_f32 v23, -v17, v34, v23
	v_fma_f32 v24, -v18, v6, v24
	;; [unrolled: 1-line block ×3, first 2 shown]
	s_waitcnt lgkmcnt(3)
	v_dual_mul_f32 v6, v25, v11 :: v_dual_mov_b32 v11, s3
	v_fma_f32 v7, -v18, v7, v23
	s_delay_alu instid0(VALU_DEP_2)
	v_fma_f32 v12, -v6, v12, v24
	ds_load_b32 v11, v11
	v_fma_f32 v13, -v6, v13, v7
	s_waitcnt lgkmcnt(2)
	v_fma_f32 v8, -v18, v19, v8
	v_mul_f32_e32 v7, v12, v20
	s_delay_alu instid0(VALU_DEP_2) | instskip(NEXT) | instid1(VALU_DEP_2)
	v_fma_f32 v12, -v6, v14, v8
	v_fma_f32 v9, -v7, v9, v13
	s_waitcnt lgkmcnt(1)
	s_delay_alu instid0(VALU_DEP_1) | instskip(NEXT) | instid1(VALU_DEP_3)
	v_mul_f32_e32 v8, v9, v21
	v_fma_f32 v9, -v7, v10, v12
	s_delay_alu instid0(VALU_DEP_1) | instskip(SKIP_1) | instid1(VALU_DEP_1)
	v_fma_f32 v9, -v8, v22, v9
	s_waitcnt lgkmcnt(0)
	v_mul_f32_e32 v9, v9, v11
	s_clause 0x1
	global_store_b128 v[4:5], v[15:18], off
	global_store_b128 v[4:5], v[6:9], off offset:16
.LBB14_46:
	s_cmp_ge_i32 s4, s2
	s_cbranch_scc1 .LBB14_57
; %bb.47:
	s_add_i32 s3, s4, -1
	s_lshl_b32 s6, s4, 2
	s_add_u32 s0, s8, s0
	s_addc_u32 s1, s9, s1
	v_add_co_u32 v8, vcc_lo, s0, v2
	v_add_co_ci_u32_e32 v9, vcc_lo, s1, v3, vcc_lo
	s_mov_b32 s1, 0
	s_delay_alu instid0(VALU_DEP_2) | instskip(NEXT) | instid1(VALU_DEP_2)
	v_add_co_u32 v2, vcc_lo, v8, 28
	v_add_co_ci_u32_e32 v3, vcc_lo, 0, v9, vcc_lo
	s_mov_b32 s8, s4
	s_mov_b32 s7, 0
	s_branch .LBB14_49
.LBB14_48:                              ;   in Loop: Header=BB14_49 Depth=1
	s_mul_i32 s0, s4, 52
	v_add_nc_u16 v7, s8, 1
	v_mov_b32_e32 v6, s0
	s_add_i32 s4, s4, 1
	s_add_i32 s7, s7, 1
	;; [unrolled: 1-line block ×3, first 2 shown]
	v_readfirstlane_b32 s8, v7
	ds_load_b32 v6, v6
	s_cmp_ge_i32 s4, s2
	s_waitcnt lgkmcnt(0)
	v_mul_f32_e32 v6, v10, v6
	global_store_b32 v[4:5], v6, off
	s_cbranch_scc1 .LBB14_57
.LBB14_49:                              ; =>This Loop Header: Depth=1
                                        ;     Child Loop BB14_52 Depth 2
                                        ;     Child Loop BB14_56 Depth 2
	s_ashr_i32 s5, s4, 31
	s_delay_alu instid0(SALU_CYCLE_1)
	s_lshl_b64 s[10:11], s[4:5], 2
	s_cmp_eq_u32 s4, 0
	v_add_co_u32 v4, vcc_lo, v0, s10
	v_add_co_ci_u32_e32 v5, vcc_lo, s11, v1, vcc_lo
	global_load_b32 v6, v[4:5], off
	s_waitcnt vmcnt(0)
	v_mul_f32_e32 v10, s15, v6
	s_cbranch_scc1 .LBB14_48
; %bb.50:                               ;   in Loop: Header=BB14_49 Depth=1
	s_add_i32 s0, s3, s7
	s_delay_alu instid0(SALU_CYCLE_1)
	s_cmp_lt_u32 s0, 7
	s_cbranch_scc1 .LBB14_54
; %bb.51:                               ;   in Loop: Header=BB14_49 Depth=1
	v_dual_mov_b32 v7, v3 :: v_dual_mov_b32 v6, v2
	s_and_b32 s0, s4, -8
	s_mov_b32 s5, 0
	s_mov_b32 s9, s6
	s_set_inst_prefetch_distance 0x1
	.p2align	6
.LBB14_52:                              ;   Parent Loop BB14_49 Depth=1
                                        ; =>  This Inner Loop Header: Depth=2
	s_clause 0x1
	global_load_b128 v[11:14], v[6:7], off offset:-28
	global_load_b128 v[15:18], v[6:7], off offset:-12
	v_mov_b32_e32 v25, s9
	v_add_co_u32 v6, vcc_lo, v6, 32
	v_add_co_ci_u32_e32 v7, vcc_lo, 0, v7, vcc_lo
	ds_load_2addr_b32 v[19:20], v25 offset1:12
	ds_load_2addr_b32 v[21:22], v25 offset0:24 offset1:36
	ds_load_2addr_b32 v[23:24], v25 offset0:48 offset1:60
	s_add_i32 s5, s5, 8
	s_addk_i32 s9, 0x180
	s_cmp_lg_u32 s0, s5
	s_waitcnt vmcnt(1) lgkmcnt(2)
	v_fma_f32 v10, -v11, v19, v10
	s_delay_alu instid0(VALU_DEP_1) | instskip(SKIP_3) | instid1(VALU_DEP_1)
	v_fma_f32 v12, -v12, v20, v10
	ds_load_2addr_b32 v[10:11], v25 offset0:72 offset1:84
	s_waitcnt lgkmcnt(2)
	v_fma_f32 v12, -v13, v21, v12
	v_fma_f32 v12, -v14, v22, v12
	s_waitcnt vmcnt(0) lgkmcnt(1)
	s_delay_alu instid0(VALU_DEP_1) | instskip(NEXT) | instid1(VALU_DEP_1)
	v_fma_f32 v12, -v15, v23, v12
	v_fma_f32 v12, -v16, v24, v12
	s_waitcnt lgkmcnt(0)
	s_delay_alu instid0(VALU_DEP_1) | instskip(NEXT) | instid1(VALU_DEP_1)
	v_fma_f32 v10, -v17, v10, v12
	v_fma_f32 v10, -v18, v11, v10
	s_cbranch_scc1 .LBB14_52
; %bb.53:                               ;   in Loop: Header=BB14_49 Depth=1
	s_set_inst_prefetch_distance 0x2
	s_and_b32 s5, s4, 7
	s_delay_alu instid0(SALU_CYCLE_1)
	s_cmp_eq_u32 s5, 0
	s_cbranch_scc0 .LBB14_55
	s_branch .LBB14_48
.LBB14_54:                              ;   in Loop: Header=BB14_49 Depth=1
	s_mov_b32 s0, 0
	s_and_b32 s5, s4, 7
	s_delay_alu instid0(SALU_CYCLE_1)
	s_cmp_eq_u32 s5, 0
	s_cbranch_scc1 .LBB14_48
.LBB14_55:                              ;   in Loop: Header=BB14_49 Depth=1
	s_lshl_b64 s[10:11], s[0:1], 2
	s_and_b32 s5, s8, 7
	v_add_co_u32 v6, vcc_lo, v8, s10
	v_add_co_ci_u32_e32 v7, vcc_lo, s11, v9, vcc_lo
	s_mul_i32 s0, s0, 48
.LBB14_56:                              ;   Parent Loop BB14_49 Depth=1
                                        ; =>  This Inner Loop Header: Depth=2
	global_load_b32 v11, v[6:7], off
	s_add_i32 s9, s6, s0
	v_add_co_u32 v6, vcc_lo, v6, 4
	v_mov_b32_e32 v12, s9
	v_add_co_ci_u32_e32 v7, vcc_lo, 0, v7, vcc_lo
	s_add_i32 s5, s5, -1
	s_add_i32 s0, s0, 48
	ds_load_b32 v12, v12
	s_cmp_lg_u32 s5, 0
	s_waitcnt vmcnt(0) lgkmcnt(0)
	v_fma_f32 v10, -v11, v12, v10
	s_cbranch_scc1 .LBB14_56
	s_branch .LBB14_48
.LBB14_57:
	s_nop 0
	s_sendmsg sendmsg(MSG_DEALLOC_VGPRS)
	s_endpgm
	.section	.rodata,"a",@progbits
	.p2align	6, 0x0
	.amdhsa_kernel _ZL30rocblas_trsm_small_left_deviceILi12ELi12ELb1EffPKPKfPKPfEv13rocblas_fill_18rocblas_operation_17rocblas_diagonal_iiT3_T4_lilT5_lili
		.amdhsa_group_segment_fixed_size 576
		.amdhsa_private_segment_fixed_size 0
		.amdhsa_kernarg_size 352
		.amdhsa_user_sgpr_count 14
		.amdhsa_user_sgpr_dispatch_ptr 0
		.amdhsa_user_sgpr_queue_ptr 0
		.amdhsa_user_sgpr_kernarg_segment_ptr 1
		.amdhsa_user_sgpr_dispatch_id 0
		.amdhsa_user_sgpr_private_segment_size 0
		.amdhsa_wavefront_size32 1
		.amdhsa_uses_dynamic_stack 0
		.amdhsa_enable_private_segment 0
		.amdhsa_system_sgpr_workgroup_id_x 1
		.amdhsa_system_sgpr_workgroup_id_y 0
		.amdhsa_system_sgpr_workgroup_id_z 1
		.amdhsa_system_sgpr_workgroup_info 0
		.amdhsa_system_vgpr_workitem_id 0
		.amdhsa_next_free_vgpr 91
		.amdhsa_next_free_sgpr 45
		.amdhsa_reserve_vcc 1
		.amdhsa_float_round_mode_32 0
		.amdhsa_float_round_mode_16_64 0
		.amdhsa_float_denorm_mode_32 3
		.amdhsa_float_denorm_mode_16_64 3
		.amdhsa_dx10_clamp 1
		.amdhsa_ieee_mode 1
		.amdhsa_fp16_overflow 0
		.amdhsa_workgroup_processor_mode 1
		.amdhsa_memory_ordered 1
		.amdhsa_forward_progress 0
		.amdhsa_shared_vgpr_count 0
		.amdhsa_exception_fp_ieee_invalid_op 0
		.amdhsa_exception_fp_denorm_src 0
		.amdhsa_exception_fp_ieee_div_zero 0
		.amdhsa_exception_fp_ieee_overflow 0
		.amdhsa_exception_fp_ieee_underflow 0
		.amdhsa_exception_fp_ieee_inexact 0
		.amdhsa_exception_int_div_zero 0
	.end_amdhsa_kernel
	.section	.text._ZL30rocblas_trsm_small_left_deviceILi12ELi12ELb1EffPKPKfPKPfEv13rocblas_fill_18rocblas_operation_17rocblas_diagonal_iiT3_T4_lilT5_lili,"axG",@progbits,_ZL30rocblas_trsm_small_left_deviceILi12ELi12ELb1EffPKPKfPKPfEv13rocblas_fill_18rocblas_operation_17rocblas_diagonal_iiT3_T4_lilT5_lili,comdat
.Lfunc_end14:
	.size	_ZL30rocblas_trsm_small_left_deviceILi12ELi12ELb1EffPKPKfPKPfEv13rocblas_fill_18rocblas_operation_17rocblas_diagonal_iiT3_T4_lilT5_lili, .Lfunc_end14-_ZL30rocblas_trsm_small_left_deviceILi12ELi12ELb1EffPKPKfPKPfEv13rocblas_fill_18rocblas_operation_17rocblas_diagonal_iiT3_T4_lilT5_lili
                                        ; -- End function
	.section	.AMDGPU.csdata,"",@progbits
; Kernel info:
; codeLenInByte = 7152
; NumSgprs: 47
; NumVgprs: 91
; ScratchSize: 0
; MemoryBound: 0
; FloatMode: 240
; IeeeMode: 1
; LDSByteSize: 576 bytes/workgroup (compile time only)
; SGPRBlocks: 5
; VGPRBlocks: 11
; NumSGPRsForWavesPerEU: 47
; NumVGPRsForWavesPerEU: 91
; Occupancy: 16
; WaveLimiterHint : 1
; COMPUTE_PGM_RSRC2:SCRATCH_EN: 0
; COMPUTE_PGM_RSRC2:USER_SGPR: 14
; COMPUTE_PGM_RSRC2:TRAP_HANDLER: 0
; COMPUTE_PGM_RSRC2:TGID_X_EN: 1
; COMPUTE_PGM_RSRC2:TGID_Y_EN: 0
; COMPUTE_PGM_RSRC2:TGID_Z_EN: 1
; COMPUTE_PGM_RSRC2:TIDIG_COMP_CNT: 0
	.section	.text._ZL31rocblas_trsm_small_right_deviceIffPKPKfPKPfLi12EEv13rocblas_fill_18rocblas_operation_17rocblas_diagonal_iiT0_T1_lilT2_lili,"axG",@progbits,_ZL31rocblas_trsm_small_right_deviceIffPKPKfPKPfLi12EEv13rocblas_fill_18rocblas_operation_17rocblas_diagonal_iiT0_T1_lilT2_lili,comdat
	.globl	_ZL31rocblas_trsm_small_right_deviceIffPKPKfPKPfLi12EEv13rocblas_fill_18rocblas_operation_17rocblas_diagonal_iiT0_T1_lilT2_lili ; -- Begin function _ZL31rocblas_trsm_small_right_deviceIffPKPKfPKPfLi12EEv13rocblas_fill_18rocblas_operation_17rocblas_diagonal_iiT0_T1_lilT2_lili
	.p2align	8
	.type	_ZL31rocblas_trsm_small_right_deviceIffPKPKfPKPfLi12EEv13rocblas_fill_18rocblas_operation_17rocblas_diagonal_iiT0_T1_lilT2_lili,@function
_ZL31rocblas_trsm_small_right_deviceIffPKPKfPKPfLi12EEv13rocblas_fill_18rocblas_operation_17rocblas_diagonal_iiT0_T1_lilT2_lili: ; @_ZL31rocblas_trsm_small_right_deviceIffPKPKfPKPfLi12EEv13rocblas_fill_18rocblas_operation_17rocblas_diagonal_iiT0_T1_lilT2_lili
; %bb.0:
	s_clause 0x1
	s_load_b128 s[8:11], s[0:1], 0x38
	s_load_b64 s[12:13], s[0:1], 0x10
	s_mov_b32 s20, s15
	s_mov_b32 s21, 0
	s_mov_b32 s15, exec_lo
	s_lshl_b64 s[22:23], s[20:21], 3
	s_waitcnt lgkmcnt(0)
	s_add_u32 s2, s8, s22
	s_addc_u32 s3, s9, s23
	s_load_b128 s[4:7], s[0:1], 0x0
	s_load_b64 s[2:3], s[2:3], 0x0
	s_min_i32 s20, s12, 12
	s_delay_alu instid0(SALU_CYCLE_1)
	s_add_i32 s28, s20, -1
	v_cmpx_gt_i32_e64 s20, v0
	s_cbranch_execz .LBB15_9
; %bb.1:
	s_clause 0x1
	s_load_b32 s8, s[0:1], 0x28
	s_load_b128 s[16:19], s[0:1], 0x18
	s_waitcnt lgkmcnt(0)
	s_ashr_i32 s9, s8, 31
	s_add_u32 s16, s16, s22
	s_addc_u32 s17, s17, s23
	s_cmp_lt_u32 s28, 3
	s_load_b64 s[16:17], s[16:17], 0x0
	s_cbranch_scc1 .LBB15_4
; %bb.2:
	v_lshlrev_b32_e32 v3, 2, v0
	s_lshl_b64 s[22:23], s[18:19], 2
	s_mul_hi_i32 s29, s8, 12
	s_waitcnt lgkmcnt(0)
	s_add_u32 s21, s16, s22
	s_addc_u32 s22, s17, s23
	v_add_co_u32 v1, s21, s21, v3
	s_delay_alu instid0(VALU_DEP_1)
	v_add_co_ci_u32_e64 v2, null, s22, 0, s21
	s_and_b32 s21, s20, -4
	s_mul_i32 s30, s8, 12
	s_lshl_b64 s[22:23], s[8:9], 4
	s_lshl_b64 s[24:25], s[8:9], 3
	;; [unrolled: 1-line block ×3, first 2 shown]
	s_mov_b32 s31, 0
	.p2align	6
.LBB15_3:                               ; =>This Inner Loop Header: Depth=1
	v_add_co_u32 v4, vcc_lo, v1, s26
	v_add_co_ci_u32_e32 v5, vcc_lo, s27, v2, vcc_lo
	v_add_co_u32 v6, vcc_lo, v1, s24
	v_add_co_ci_u32_e32 v7, vcc_lo, s25, v2, vcc_lo
	;; [unrolled: 2-line block ×3, first 2 shown]
	s_clause 0x3
	global_load_b32 v10, v[1:2], off
	global_load_b32 v4, v[4:5], off
	;; [unrolled: 1-line block ×4, first 2 shown]
	v_add_co_u32 v1, vcc_lo, v1, s22
	v_add_co_ci_u32_e32 v2, vcc_lo, s23, v2, vcc_lo
	s_add_i32 s31, s31, 4
	s_waitcnt vmcnt(2)
	ds_store_2addr_b32 v3, v10, v4 offset1:12
	s_waitcnt vmcnt(0)
	ds_store_2addr_b32 v3, v5, v6 offset0:24 offset1:36
	v_add_nc_u32_e32 v3, 0xc0, v3
	s_cmp_eq_u32 s21, s31
	s_cbranch_scc0 .LBB15_3
.LBB15_4:
	s_and_b32 s22, s20, 3
	s_delay_alu instid0(SALU_CYCLE_1)
	s_cmp_eq_u32 s22, 0
	s_cbranch_scc1 .LBB15_7
; %bb.5:
	s_mul_i32 s23, s9, s21
	s_mul_hi_u32 s24, s8, s21
	s_lshl_b64 s[18:19], s[18:19], 2
	s_add_i32 s25, s24, s23
	s_mul_i32 s24, s8, s21
	v_lshlrev_b32_e32 v1, 2, v0
	s_lshl_b64 s[24:25], s[24:25], 2
	s_mul_i32 s21, s21, 48
	s_add_u32 s18, s24, s18
	s_addc_u32 s19, s25, s19
	s_waitcnt lgkmcnt(0)
	s_add_u32 s16, s16, s18
	s_addc_u32 s17, s17, s19
	v_add_co_u32 v1, s16, s16, v1
	v_lshl_add_u32 v3, v0, 2, s21
	v_add_co_ci_u32_e64 v2, null, s17, 0, s16
	s_lshl_b64 s[8:9], s[8:9], 2
.LBB15_6:                               ; =>This Inner Loop Header: Depth=1
	global_load_b32 v4, v[1:2], off
	v_add_co_u32 v1, vcc_lo, v1, s8
	v_add_co_ci_u32_e32 v2, vcc_lo, s9, v2, vcc_lo
	s_add_i32 s22, s22, -1
	s_delay_alu instid0(SALU_CYCLE_1)
	s_cmp_lg_u32 s22, 0
	s_waitcnt vmcnt(0)
	ds_store_b32 v3, v4
	v_add_nc_u32_e32 v3, 48, v3
	s_cbranch_scc1 .LBB15_6
.LBB15_7:
	s_cmpk_eq_i32 s6, 0x84
	s_cbranch_scc0 .LBB15_9
; %bb.8:
	v_mul_u32_u24_e32 v1, 13, v0
	s_delay_alu instid0(VALU_DEP_1)
	v_dual_mov_b32 v2, 1.0 :: v_dual_lshlrev_b32 v1, 2, v1
	ds_store_b32 v1, v2
.LBB15_9:
	s_or_b32 exec_lo, exec_lo, s15
	s_waitcnt lgkmcnt(0)
	s_clause 0x1
	s_load_b32 s6, s[0:1], 0x60
	s_load_b32 s0, s[0:1], 0x48
	s_lshl_b64 s[8:9], s[10:11], 2
	s_mul_i32 s11, s14, -12
	s_add_u32 s1, s2, s8
	s_addc_u32 s10, s3, s9
	s_add_i32 s11, s11, s7
	s_mul_i32 s16, s14, 48
	s_mul_hi_i32 s17, s14, 48
	s_mov_b32 s23, 0
	s_waitcnt lgkmcnt(0)
	s_add_i32 s6, s6, -1
	s_delay_alu instid0(SALU_CYCLE_1)
	s_cmp_ge_u32 s14, s6
	s_cselect_b32 s6, s11, 12
	s_add_u32 s18, s1, s16
	s_addc_u32 s19, s10, s17
	v_cmp_gt_i32_e32 vcc_lo, s6, v0
	s_cmp_gt_i32 s12, 0
	s_cselect_b32 s1, -1, 0
	s_delay_alu instid0(SALU_CYCLE_1) | instskip(NEXT) | instid1(SALU_CYCLE_1)
	s_and_b32 s21, vcc_lo, s1
	s_and_saveexec_b32 s22, s21
	s_cbranch_execz .LBB15_16
; %bb.10:
	s_ashr_i32 s1, s0, 31
	s_cmp_lt_u32 s12, 4
	s_cbranch_scc1 .LBB15_13
; %bb.11:
	v_lshlrev_b32_e32 v1, 2, v0
	v_lshl_or_b32 v3, v0, 2, 0x240
	s_and_b32 s23, s12, 0x7ffffffc
	s_mul_hi_i32 s24, s0, 12
	s_mul_i32 s25, s0, 12
	v_add_co_u32 v1, s6, s18, v1
	s_delay_alu instid0(VALU_DEP_1)
	v_add_co_ci_u32_e64 v2, null, s19, 0, s6
	s_lshl_b64 s[6:7], s[0:1], 4
	s_lshl_b64 s[10:11], s[0:1], 3
	;; [unrolled: 1-line block ×3, first 2 shown]
	s_mov_b32 s26, 0
	s_set_inst_prefetch_distance 0x1
	.p2align	6
.LBB15_12:                              ; =>This Inner Loop Header: Depth=1
	v_add_co_u32 v4, vcc_lo, v1, s14
	v_add_co_ci_u32_e32 v5, vcc_lo, s15, v2, vcc_lo
	v_add_co_u32 v6, vcc_lo, v1, s10
	v_add_co_ci_u32_e32 v7, vcc_lo, s11, v2, vcc_lo
	v_add_co_u32 v8, vcc_lo, v1, s25
	v_add_co_ci_u32_e32 v9, vcc_lo, s24, v2, vcc_lo
	s_clause 0x3
	global_load_b32 v10, v[1:2], off
	global_load_b32 v4, v[4:5], off
	global_load_b32 v5, v[6:7], off
	global_load_b32 v6, v[8:9], off
	v_add_co_u32 v1, vcc_lo, v1, s6
	v_add_co_ci_u32_e32 v2, vcc_lo, s7, v2, vcc_lo
	s_add_i32 s26, s26, 4
	s_delay_alu instid0(SALU_CYCLE_1)
	s_cmp_lg_u32 s23, s26
	s_waitcnt vmcnt(2)
	v_dual_mul_f32 v7, s13, v10 :: v_dual_mul_f32 v4, s13, v4
	s_waitcnt vmcnt(0)
	v_dual_mul_f32 v5, s13, v5 :: v_dual_mul_f32 v6, s13, v6
	ds_store_2addr_b32 v3, v7, v4 offset1:12
	ds_store_2addr_b32 v3, v5, v6 offset0:24 offset1:36
	v_add_nc_u32_e32 v3, 0xc0, v3
	s_cbranch_scc1 .LBB15_12
.LBB15_13:
	s_set_inst_prefetch_distance 0x2
	s_and_b32 s10, s12, 3
	s_delay_alu instid0(SALU_CYCLE_1)
	s_cmp_eq_u32 s10, 0
	s_cbranch_scc1 .LBB15_16
; %bb.14:
	s_mul_hi_i32 s7, s0, s23
	s_mul_i32 s6, s0, s23
	v_lshlrev_b32_e32 v1, 2, v0
	s_lshl_b64 s[6:7], s[6:7], 2
	s_mul_i32 s11, s23, 48
	s_add_u32 s6, s6, s16
	s_addc_u32 s7, s7, s17
	s_add_u32 s6, s6, s8
	s_addc_u32 s7, s7, s9
	s_add_u32 s6, s2, s6
	v_add3_u32 v3, s11, v1, 0x240
	s_addc_u32 s7, s3, s7
	v_add_co_u32 v1, s6, s6, v1
	s_delay_alu instid0(VALU_DEP_1)
	v_add_co_ci_u32_e64 v2, null, s7, 0, s6
	s_lshl_b64 s[6:7], s[0:1], 2
.LBB15_15:                              ; =>This Inner Loop Header: Depth=1
	global_load_b32 v4, v[1:2], off
	v_add_co_u32 v1, vcc_lo, v1, s6
	v_add_co_ci_u32_e32 v2, vcc_lo, s7, v2, vcc_lo
	s_add_i32 s10, s10, -1
	s_delay_alu instid0(SALU_CYCLE_1)
	s_cmp_lg_u32 s10, 0
	s_waitcnt vmcnt(0)
	v_mul_f32_e32 v4, s13, v4
	ds_store_b32 v3, v4
	v_add_nc_u32_e32 v3, 48, v3
	s_cbranch_scc1 .LBB15_15
.LBB15_16:
	s_or_b32 exec_lo, exec_lo, s22
	s_cmpk_eq_i32 s5, 0x6f
	s_waitcnt lgkmcnt(0)
	s_cselect_b32 s1, -1, 0
	s_cmpk_eq_i32 s4, 0x79
	; wave barrier
	buffer_gl0_inv
	s_cselect_b32 s6, -1, 0
	s_cmpk_lg_i32 s4, 0x79
	s_cselect_b32 s5, -1, 0
	s_and_b32 s6, s6, s1
	s_delay_alu instid0(SALU_CYCLE_1)
	s_and_not1_b32 vcc_lo, exec_lo, s6
	s_mov_b32 s6, -1
	s_cbranch_vccz .LBB15_80
; %bb.17:
	s_cmpk_lg_i32 s4, 0x7a
	s_cselect_b32 s4, -1, 0
	s_xor_b32 s1, s1, -1
	s_delay_alu instid0(SALU_CYCLE_1)
	s_or_b32 s4, s4, s1
	s_cmp_gt_i32 s12, 3
	s_cselect_b32 s1, -1, 0
	s_and_b32 vcc_lo, exec_lo, s4
	s_mov_b32 s4, -1
	s_cbranch_vccz .LBB15_59
; %bb.18:
	s_and_not1_b32 vcc_lo, exec_lo, s5
	s_cbranch_vccnz .LBB15_38
; %bb.19:
	s_and_not1_b32 vcc_lo, exec_lo, s1
	s_mov_b32 s6, 0
	s_cbranch_vccnz .LBB15_26
; %bb.20:
	v_lshl_or_b32 v3, v0, 2, 0x240
	s_mov_b32 s4, 0
	s_mov_b32 s5, 0
.LBB15_21:                              ; =>This Loop Header: Depth=1
                                        ;     Child Loop BB15_23 Depth 2
	s_delay_alu instid0(SALU_CYCLE_1) | instskip(NEXT) | instid1(SALU_CYCLE_1)
	s_mul_i32 s7, s5, 12
	s_add_i32 s6, s7, 12
	v_add_lshl_u32 v4, s7, v0, 2
	s_add_i32 s7, s7, 24
	v_add_lshl_u32 v5, s6, v0, 2
	v_add_lshl_u32 v6, s7, v0, 2
	s_cmp_eq_u32 s5, 0
	ds_load_b32 v8, v4 offset:576
	ds_load_b32 v7, v5 offset:576
	ds_load_2addr_b32 v[1:2], v6 offset0:144 offset1:156
	s_cbranch_scc1 .LBB15_24
; %bb.22:                               ;   in Loop: Header=BB15_21 Depth=1
	v_mov_b32_e32 v9, v3
	s_mov_b32 s7, 0
	s_mov_b32 s10, s4
.LBB15_23:                              ;   Parent Loop BB15_21 Depth=1
                                        ; =>  This Inner Loop Header: Depth=2
	s_delay_alu instid0(SALU_CYCLE_1)
	v_mov_b32_e32 v22, s10
	s_add_i32 s7, s7, 4
	s_addk_i32 s10, 0xc0
	s_cmp_ge_u32 s7, s5
	ds_load_2addr_b32 v[26:27], v9 offset1:12
	ds_load_b128 v[10:13], v22
	ds_load_b128 v[14:17], v22 offset:48
	ds_load_2addr_b32 v[28:29], v9 offset0:24 offset1:36
	ds_load_b128 v[18:21], v22 offset:96
	ds_load_b128 v[22:25], v22 offset:144
	v_add_nc_u32_e32 v9, 0xc0, v9
	s_waitcnt lgkmcnt(4)
	v_fma_f32 v8, -v26, v10, v8
	v_fma_f32 v7, -v26, v11, v7
	v_fma_f32 v1, -v26, v12, v1
	v_fma_f32 v2, -v26, v13, v2
	s_waitcnt lgkmcnt(3)
	v_fma_f32 v8, -v27, v14, v8
	v_fma_f32 v7, -v27, v15, v7
	v_fma_f32 v1, -v27, v16, v1
	v_fma_f32 v2, -v27, v17, v2
	;; [unrolled: 5-line block ×4, first 2 shown]
	s_cbranch_scc0 .LBB15_23
.LBB15_24:                              ;   in Loop: Header=BB15_21 Depth=1
	s_mul_i32 s7, s5, 52
	s_delay_alu instid0(SALU_CYCLE_1)
	v_dual_mov_b32 v15, s7 :: v_dual_add_nc_u32 v4, 0x240, v4
	s_add_i32 s6, s6, s5
	s_add_i32 s4, s4, 16
	s_lshl_b32 s6, s6, 2
	ds_load_b128 v[9:12], v15
	ds_load_2addr_b32 v[13:14], v15 offset0:13 offset1:14
	s_waitcnt lgkmcnt(1)
	v_div_scale_f32 v16, null, v9, v9, v8
	v_div_scale_f32 v19, vcc_lo, v8, v9, v8
	s_delay_alu instid0(VALU_DEP_2) | instskip(SKIP_2) | instid1(VALU_DEP_1)
	v_rcp_f32_e32 v17, v16
	s_waitcnt_depctr 0xfff
	v_fma_f32 v18, -v16, v17, 1.0
	v_dual_fmac_f32 v17, v18, v17 :: v_dual_add_nc_u32 v6, 0x240, v6
	s_delay_alu instid0(VALU_DEP_1) | instskip(NEXT) | instid1(VALU_DEP_1)
	v_mul_f32_e32 v18, v19, v17
	v_fma_f32 v20, -v16, v18, v19
	s_delay_alu instid0(VALU_DEP_1) | instskip(NEXT) | instid1(VALU_DEP_1)
	v_fmac_f32_e32 v18, v20, v17
	v_fma_f32 v16, -v16, v18, v19
	s_delay_alu instid0(VALU_DEP_1) | instskip(NEXT) | instid1(VALU_DEP_1)
	v_div_fmas_f32 v16, v16, v17, v18
	v_div_fixup_f32 v9, v16, v9, v8
	s_delay_alu instid0(VALU_DEP_1)
	v_fma_f32 v10, -v9, v10, v7
	v_fma_f32 v1, -v9, v11, v1
	;; [unrolled: 1-line block ×3, first 2 shown]
	ds_load_b32 v11, v15 offset:156
	s_waitcnt lgkmcnt(1)
	v_div_scale_f32 v16, null, v13, v13, v10
	v_div_scale_f32 v18, vcc_lo, v10, v13, v10
	s_delay_alu instid0(VALU_DEP_2) | instskip(SKIP_2) | instid1(VALU_DEP_1)
	v_rcp_f32_e32 v17, v16
	s_waitcnt_depctr 0xfff
	v_fma_f32 v7, -v16, v17, 1.0
	v_fmac_f32_e32 v17, v7, v17
	s_delay_alu instid0(VALU_DEP_1) | instskip(NEXT) | instid1(VALU_DEP_1)
	v_mul_f32_e32 v19, v18, v17
	v_fma_f32 v7, -v16, v19, v18
	s_delay_alu instid0(VALU_DEP_1) | instskip(SKIP_2) | instid1(VALU_DEP_1)
	v_fmac_f32_e32 v19, v7, v17
	ds_load_b64 v[7:8], v15 offset:104
	v_fma_f32 v16, -v16, v19, v18
	v_div_fmas_f32 v16, v16, v17, v19
	s_delay_alu instid0(VALU_DEP_1) | instskip(NEXT) | instid1(VALU_DEP_1)
	v_div_fixup_f32 v10, v16, v13, v10
	v_fma_f32 v1, -v10, v14, v1
	s_waitcnt lgkmcnt(0)
	s_delay_alu instid0(VALU_DEP_1) | instskip(SKIP_1) | instid1(VALU_DEP_2)
	v_div_scale_f32 v13, null, v7, v7, v1
	v_div_scale_f32 v16, vcc_lo, v1, v7, v1
	v_rcp_f32_e32 v14, v13
	s_waitcnt_depctr 0xfff
	v_fma_f32 v15, -v13, v14, 1.0
	s_delay_alu instid0(VALU_DEP_1) | instskip(SKIP_3) | instid1(SALU_CYCLE_1)
	v_dual_fmac_f32 v14, v15, v14 :: v_dual_add_nc_u32 v5, 0x240, v5
	v_mov_b32_e32 v15, s6
	s_add_i32 s6, s5, 4
	s_add_i32 s5, s5, 7
	s_cmp_ge_i32 s5, s20
	v_mul_f32_e32 v17, v16, v14
	ds_load_b32 v15, v15 offset:12
	v_fma_f32 v18, -v13, v17, v16
	s_delay_alu instid0(VALU_DEP_1) | instskip(NEXT) | instid1(VALU_DEP_1)
	v_fmac_f32_e32 v17, v18, v14
	v_fma_f32 v13, -v13, v17, v16
	s_delay_alu instid0(VALU_DEP_1) | instskip(SKIP_2) | instid1(VALU_DEP_2)
	v_div_fmas_f32 v12, v13, v14, v17
	s_waitcnt lgkmcnt(0)
	v_fma_f32 v2, -v10, v15, v2
	v_div_fixup_f32 v1, v12, v7, v1
	s_delay_alu instid0(VALU_DEP_1) | instskip(NEXT) | instid1(VALU_DEP_1)
	v_fma_f32 v2, -v1, v8, v2
	v_div_scale_f32 v7, null, v11, v11, v2
	v_div_scale_f32 v13, vcc_lo, v2, v11, v2
	s_delay_alu instid0(VALU_DEP_2) | instskip(SKIP_2) | instid1(VALU_DEP_1)
	v_rcp_f32_e32 v8, v7
	s_waitcnt_depctr 0xfff
	v_fma_f32 v12, -v7, v8, 1.0
	v_fmac_f32_e32 v8, v12, v8
	s_delay_alu instid0(VALU_DEP_1) | instskip(NEXT) | instid1(VALU_DEP_1)
	v_mul_f32_e32 v12, v13, v8
	v_fma_f32 v14, -v7, v12, v13
	s_delay_alu instid0(VALU_DEP_1) | instskip(NEXT) | instid1(VALU_DEP_1)
	v_fmac_f32_e32 v12, v14, v8
	v_fma_f32 v7, -v7, v12, v13
	s_delay_alu instid0(VALU_DEP_1) | instskip(NEXT) | instid1(VALU_DEP_1)
	v_div_fmas_f32 v7, v7, v8, v12
	v_div_fixup_f32 v2, v7, v11, v2
	ds_store_b32 v4, v9
	ds_store_b32 v5, v10
	ds_store_2addr_b32 v6, v1, v2 offset1:12
	s_cbranch_scc1 .LBB15_26
; %bb.25:                               ;   in Loop: Header=BB15_21 Depth=1
	s_mov_b32 s5, s6
	s_branch .LBB15_21
.LBB15_26:
	s_cmp_ge_i32 s6, s20
	s_cbranch_scc1 .LBB15_37
; %bb.27:
	v_lshl_or_b32 v1, v0, 2, 0x240
	s_add_i32 s4, s6, -1
	s_lshl_b32 s5, s6, 2
	s_mov_b32 s7, 0
	s_mov_b32 s10, s6
	s_branch .LBB15_29
.LBB15_28:                              ;   in Loop: Header=BB15_29 Depth=1
	s_mul_i32 s11, s6, 52
	s_delay_alu instid0(SALU_CYCLE_1)
	v_dual_mov_b32 v4, s11 :: v_dual_add_nc_u32 v3, 0x240, v3
	s_add_i32 s6, s6, 1
	s_add_i32 s7, s7, 1
	;; [unrolled: 1-line block ×3, first 2 shown]
	s_cmp_ge_i32 s6, s20
	ds_load_b32 v4, v4
	s_waitcnt lgkmcnt(0)
	v_div_scale_f32 v5, null, v4, v4, v2
	v_div_scale_f32 v8, vcc_lo, v2, v4, v2
	s_delay_alu instid0(VALU_DEP_2) | instskip(SKIP_2) | instid1(VALU_DEP_1)
	v_rcp_f32_e32 v6, v5
	s_waitcnt_depctr 0xfff
	v_fma_f32 v7, -v5, v6, 1.0
	v_fmac_f32_e32 v6, v7, v6
	s_delay_alu instid0(VALU_DEP_1) | instskip(NEXT) | instid1(VALU_DEP_1)
	v_mul_f32_e32 v7, v8, v6
	v_fma_f32 v9, -v5, v7, v8
	s_delay_alu instid0(VALU_DEP_1) | instskip(NEXT) | instid1(VALU_DEP_1)
	v_fmac_f32_e32 v7, v9, v6
	v_fma_f32 v5, -v5, v7, v8
	s_delay_alu instid0(VALU_DEP_1) | instskip(SKIP_1) | instid1(VALU_DEP_2)
	v_div_fmas_f32 v5, v5, v6, v7
	v_add_nc_u16 v6, s10, 1
	v_div_fixup_f32 v2, v5, v4, v2
	s_delay_alu instid0(VALU_DEP_2)
	v_readfirstlane_b32 s10, v6
	ds_store_b32 v3, v2
	s_cbranch_scc1 .LBB15_37
.LBB15_29:                              ; =>This Loop Header: Depth=1
                                        ;     Child Loop BB15_32 Depth 2
                                        ;     Child Loop BB15_36 Depth 2
	s_mul_i32 s11, s6, 12
	s_cmp_eq_u32 s6, 0
	v_add_lshl_u32 v3, s11, v0, 2
	ds_load_b32 v2, v3 offset:576
	s_cbranch_scc1 .LBB15_28
; %bb.30:                               ;   in Loop: Header=BB15_29 Depth=1
	s_add_i32 s11, s4, s7
	s_delay_alu instid0(SALU_CYCLE_1)
	s_cmp_lt_u32 s11, 7
	s_cbranch_scc1 .LBB15_34
; %bb.31:                               ;   in Loop: Header=BB15_29 Depth=1
	v_mov_b32_e32 v4, v1
	s_and_b32 s11, s6, -8
	s_mov_b32 s13, 0
	s_mov_b32 s14, s5
	s_set_inst_prefetch_distance 0x1
	.p2align	6
.LBB15_32:                              ;   Parent Loop BB15_29 Depth=1
                                        ; =>  This Inner Loop Header: Depth=2
	v_mov_b32_e32 v17, s14
	s_add_i32 s13, s13, 8
	s_addk_i32 s14, 0x180
	s_cmp_eq_u32 s11, s13
	ds_load_2addr_b32 v[5:6], v4 offset1:12
	ds_load_2addr_b32 v[7:8], v17 offset1:12
	ds_load_2addr_b32 v[9:10], v4 offset0:24 offset1:36
	ds_load_2addr_b32 v[11:12], v17 offset0:24 offset1:36
	;; [unrolled: 1-line block ×4, first 2 shown]
	s_waitcnt lgkmcnt(4)
	v_fma_f32 v2, -v5, v7, v2
	s_delay_alu instid0(VALU_DEP_1)
	v_fma_f32 v2, -v6, v8, v2
	ds_load_2addr_b32 v[5:6], v4 offset0:72 offset1:84
	ds_load_2addr_b32 v[7:8], v17 offset0:72 offset1:84
	v_add_nc_u32_e32 v4, 0x180, v4
	s_waitcnt lgkmcnt(4)
	v_fma_f32 v2, -v9, v11, v2
	s_delay_alu instid0(VALU_DEP_1) | instskip(SKIP_1) | instid1(VALU_DEP_1)
	v_fma_f32 v2, -v10, v12, v2
	s_waitcnt lgkmcnt(2)
	v_fma_f32 v2, -v13, v15, v2
	s_delay_alu instid0(VALU_DEP_1) | instskip(SKIP_1) | instid1(VALU_DEP_1)
	v_fma_f32 v2, -v14, v16, v2
	s_waitcnt lgkmcnt(0)
	v_fma_f32 v2, -v5, v7, v2
	s_delay_alu instid0(VALU_DEP_1)
	v_fma_f32 v2, -v6, v8, v2
	s_cbranch_scc0 .LBB15_32
; %bb.33:                               ;   in Loop: Header=BB15_29 Depth=1
	s_set_inst_prefetch_distance 0x2
	s_and_b32 s13, s6, 7
	s_delay_alu instid0(SALU_CYCLE_1)
	s_cmp_eq_u32 s13, 0
	s_cbranch_scc0 .LBB15_35
	s_branch .LBB15_28
.LBB15_34:                              ;   in Loop: Header=BB15_29 Depth=1
	s_mov_b32 s11, 0
	s_and_b32 s13, s6, 7
	s_delay_alu instid0(SALU_CYCLE_1)
	s_cmp_eq_u32 s13, 0
	s_cbranch_scc1 .LBB15_28
.LBB15_35:                              ;   in Loop: Header=BB15_29 Depth=1
	s_and_b32 s13, s10, 7
	s_mul_i32 s11, s11, 48
.LBB15_36:                              ;   Parent Loop BB15_29 Depth=1
                                        ; =>  This Inner Loop Header: Depth=2
	s_delay_alu instid0(SALU_CYCLE_1) | instskip(NEXT) | instid1(SALU_CYCLE_1)
	s_add_i32 s14, s5, s11
	v_dual_mov_b32 v5, s14 :: v_dual_add_nc_u32 v4, s11, v1
	s_add_i32 s13, s13, -1
	s_add_i32 s11, s11, 48
	s_cmp_lg_u32 s13, 0
	ds_load_b32 v4, v4
	ds_load_b32 v5, v5
	s_waitcnt lgkmcnt(0)
	v_fma_f32 v2, -v4, v5, v2
	s_cbranch_scc1 .LBB15_36
	s_branch .LBB15_28
.LBB15_37:
	s_mov_b32 s4, 0
.LBB15_38:
	s_delay_alu instid0(SALU_CYCLE_1)
	s_and_b32 vcc_lo, exec_lo, s4
	s_cbranch_vccz .LBB15_58
; %bb.39:
	s_and_not1_b32 vcc_lo, exec_lo, s1
	s_mov_b32 s6, s28
	s_cbranch_vccnz .LBB15_45
; %bb.40:
	v_lshlrev_b32_e32 v1, 2, v0
	s_mul_i32 s4, s20, 48
	s_mov_b32 s5, s28
	s_delay_alu instid0(VALU_DEP_1) | instskip(SKIP_1) | instid1(SALU_CYCLE_1)
	v_add3_u32 v3, s4, v1, 0x180
	s_mul_i32 s4, s20, 52
	s_addk_i32 s4, 0xff30
.LBB15_41:                              ; =>This Loop Header: Depth=1
                                        ;     Child Loop BB15_42 Depth 2
	s_mul_i32 s10, s5, 12
	s_delay_alu instid0(VALU_DEP_1)
	v_mov_b32_e32 v8, v3
	s_add_i32 s7, s10, -12
	v_add_lshl_u32 v6, s10, v0, 2
	s_sub_i32 s6, s10, 24
	v_add_lshl_u32 v7, s7, v0, 2
	v_add_lshl_u32 v9, s6, v0, 2
	s_cmp_le_i32 s28, s5
	ds_load_b32 v5, v6 offset:576
	ds_load_b32 v4, v7 offset:576
	ds_load_2addr_b32 v[1:2], v9 offset0:132 offset1:144
	s_mov_b32 s11, s4
	s_mov_b32 s13, s28
	s_cbranch_scc1 .LBB15_43
.LBB15_42:                              ;   Parent Loop BB15_41 Depth=1
                                        ; =>  This Inner Loop Header: Depth=2
	v_mov_b32_e32 v28, s11
	s_add_i32 s13, s13, -4
	s_addk_i32 s11, 0xff40
	s_cmp_le_i32 s13, s5
	ds_load_2addr_b32 v[10:11], v8 offset0:24 offset1:36
	ds_load_2addr_b32 v[12:13], v28 offset0:38 offset1:39
	;; [unrolled: 1-line block ×5, first 2 shown]
	ds_load_2addr_b32 v[20:21], v8 offset1:12
	ds_load_2addr_b32 v[22:23], v28 offset0:14 offset1:15
	ds_load_2addr_b32 v[24:25], v28 offset0:12 offset1:13
	;; [unrolled: 1-line block ×3, first 2 shown]
	ds_load_2addr_b32 v[28:29], v28 offset1:1
	v_add_nc_u32_e32 v8, 0xffffff40, v8
	s_waitcnt lgkmcnt(8)
	v_fma_f32 v5, -v11, v13, v5
	v_fma_f32 v4, -v11, v12, v4
	s_waitcnt lgkmcnt(7)
	v_fma_f32 v2, -v11, v15, v2
	v_fma_f32 v1, -v11, v14, v1
	;; [unrolled: 3-line block ×8, first 2 shown]
	s_cbranch_scc0 .LBB15_42
.LBB15_43:                              ;   in Loop: Header=BB15_41 Depth=1
	s_add_i32 s11, s5, s10
	s_add_i32 s13, s5, -3
	s_lshl_b32 s11, s11, 2
	s_add_i32 s7, s7, s13
	s_add_i32 s11, s11, -4
	s_delay_alu instid0(SALU_CYCLE_1)
	v_dual_mov_b32 v10, s11 :: v_dual_add_nc_u32 v7, 0x240, v7
	s_mul_i32 s11, s5, 52
	s_lshl_b32 s7, s7, 2
	s_add_i32 s10, s10, s13
	s_sub_i32 s14, s11, 52
	ds_load_2addr_b32 v[10:11], v10 offset1:1
	s_lshl_b32 s10, s10, 2
	s_delay_alu instid0(SALU_CYCLE_1)
	v_dual_mov_b32 v13, s10 :: v_dual_add_nc_u32 v6, 0x240, v6
	s_add_i32 s6, s6, s13
	s_add_i32 s4, s4, -16
	s_lshl_b32 s6, s6, 2
	v_mov_b32_e32 v12, s14
	s_waitcnt lgkmcnt(0)
	v_div_scale_f32 v17, null, v11, v11, v5
	v_div_scale_f32 v20, vcc_lo, v5, v11, v5
	s_delay_alu instid0(VALU_DEP_2) | instskip(SKIP_2) | instid1(VALU_DEP_1)
	v_rcp_f32_e32 v18, v17
	s_waitcnt_depctr 0xfff
	v_fma_f32 v19, -v17, v18, 1.0
	v_fmac_f32_e32 v18, v19, v18
	v_add_nc_u32_e32 v8, 0x240, v9
	v_add_nc_u32_e32 v9, 0x210, v9
	s_delay_alu instid0(VALU_DEP_3) | instskip(NEXT) | instid1(VALU_DEP_1)
	v_mul_f32_e32 v19, v20, v18
	v_fma_f32 v21, -v17, v19, v20
	s_delay_alu instid0(VALU_DEP_1) | instskip(SKIP_4) | instid1(VALU_DEP_1)
	v_dual_mov_b32 v14, s7 :: v_dual_fmac_f32 v19, v21, v18
	ds_load_b32 v16, v12
	ds_load_2addr_b32 v[12:13], v13 offset1:1
	ds_load_2addr_b32 v[14:15], v14 offset1:1
	v_fma_f32 v17, -v17, v19, v20
	v_div_fmas_f32 v17, v17, v18, v19
	s_delay_alu instid0(VALU_DEP_1) | instskip(NEXT) | instid1(VALU_DEP_1)
	v_div_fixup_f32 v11, v17, v11, v5
	v_fma_f32 v10, -v11, v10, v4
	s_waitcnt lgkmcnt(1)
	v_fma_f32 v2, -v11, v13, v2
	v_fma_f32 v1, -v11, v12, v1
	s_delay_alu instid0(VALU_DEP_3) | instskip(SKIP_1) | instid1(VALU_DEP_2)
	v_div_scale_f32 v4, null, v16, v16, v10
	v_div_scale_f32 v18, vcc_lo, v10, v16, v10
	v_rcp_f32_e32 v17, v4
	s_waitcnt_depctr 0xfff
	v_fma_f32 v5, -v4, v17, 1.0
	s_delay_alu instid0(VALU_DEP_1) | instskip(NEXT) | instid1(VALU_DEP_1)
	v_fmac_f32_e32 v17, v5, v17
	v_mul_f32_e32 v19, v18, v17
	s_delay_alu instid0(VALU_DEP_1) | instskip(NEXT) | instid1(VALU_DEP_1)
	v_fma_f32 v5, -v4, v19, v18
	v_fmac_f32_e32 v19, v5, v17
	v_mov_b32_e32 v5, s6
	s_add_i32 s6, s11, 0xffffff64
	s_delay_alu instid0(SALU_CYCLE_1) | instskip(NEXT) | instid1(VALU_DEP_3)
	v_mov_b32_e32 v13, s6
	v_fma_f32 v18, -v4, v19, v18
	ds_load_2addr_b32 v[4:5], v5 offset1:1
	s_add_i32 s6, s5, -4
	s_cmp_lt_i32 s5, 7
	ds_load_b32 v13, v13
	v_div_fmas_f32 v17, v18, v17, v19
	s_delay_alu instid0(VALU_DEP_1) | instskip(SKIP_1) | instid1(VALU_DEP_1)
	v_div_fixup_f32 v10, v17, v16, v10
	s_waitcnt lgkmcnt(2)
	v_fma_f32 v2, -v10, v15, v2
	v_fma_f32 v1, -v10, v14, v1
	s_waitcnt lgkmcnt(1)
	s_delay_alu instid0(VALU_DEP_2) | instskip(SKIP_1) | instid1(VALU_DEP_2)
	v_div_scale_f32 v15, null, v5, v5, v2
	v_div_scale_f32 v18, vcc_lo, v2, v5, v2
	v_rcp_f32_e32 v16, v15
	s_waitcnt_depctr 0xfff
	v_fma_f32 v17, -v15, v16, 1.0
	s_delay_alu instid0(VALU_DEP_1) | instskip(NEXT) | instid1(VALU_DEP_1)
	v_fmac_f32_e32 v16, v17, v16
	v_mul_f32_e32 v17, v18, v16
	s_delay_alu instid0(VALU_DEP_1) | instskip(NEXT) | instid1(VALU_DEP_1)
	v_fma_f32 v19, -v15, v17, v18
	v_fmac_f32_e32 v17, v19, v16
	s_delay_alu instid0(VALU_DEP_1) | instskip(NEXT) | instid1(VALU_DEP_1)
	v_fma_f32 v15, -v15, v17, v18
	v_div_fmas_f32 v12, v15, v16, v17
	s_delay_alu instid0(VALU_DEP_1) | instskip(NEXT) | instid1(VALU_DEP_1)
	v_div_fixup_f32 v2, v12, v5, v2
	v_fma_f32 v1, -v2, v4, v1
	s_waitcnt lgkmcnt(0)
	s_delay_alu instid0(VALU_DEP_1) | instskip(SKIP_1) | instid1(VALU_DEP_2)
	v_div_scale_f32 v4, null, v13, v13, v1
	v_div_scale_f32 v14, vcc_lo, v1, v13, v1
	v_rcp_f32_e32 v5, v4
	s_waitcnt_depctr 0xfff
	v_fma_f32 v12, -v4, v5, 1.0
	s_delay_alu instid0(VALU_DEP_1) | instskip(NEXT) | instid1(VALU_DEP_1)
	v_fmac_f32_e32 v5, v12, v5
	v_mul_f32_e32 v12, v14, v5
	s_delay_alu instid0(VALU_DEP_1) | instskip(NEXT) | instid1(VALU_DEP_1)
	v_fma_f32 v15, -v4, v12, v14
	v_fmac_f32_e32 v12, v15, v5
	s_delay_alu instid0(VALU_DEP_1) | instskip(NEXT) | instid1(VALU_DEP_1)
	v_fma_f32 v4, -v4, v12, v14
	v_div_fmas_f32 v4, v4, v5, v12
	s_delay_alu instid0(VALU_DEP_1)
	v_div_fixup_f32 v1, v4, v13, v1
	ds_store_b32 v6, v11
	ds_store_b32 v7, v10
	;; [unrolled: 1-line block ×4, first 2 shown]
	s_cbranch_scc1 .LBB15_45
; %bb.44:                               ;   in Loop: Header=BB15_41 Depth=1
	s_mov_b32 s5, s6
	s_branch .LBB15_41
.LBB15_45:
	s_cmp_lt_i32 s6, 0
	s_cbranch_scc1 .LBB15_58
; %bb.46:
	s_bitcmp1_b32 s6, 0
	s_cselect_b32 s4, -1, 0
	s_delay_alu instid0(SALU_CYCLE_1)
	s_and_b32 vcc_lo, exec_lo, s4
	s_mov_b32 s4, s6
	s_cbranch_vccnz .LBB15_51
; %bb.47:
	s_mul_i32 s4, s6, 12
	s_cmp_le_i32 s28, s6
	v_add_lshl_u32 v2, s4, v0, 2
	ds_load_b32 v1, v2 offset:576
	s_cbranch_scc1 .LBB15_50
; %bb.48:
	v_lshlrev_b32_e32 v3, 2, v0
	s_mul_i32 s4, s20, 48
	s_lshl_b32 s5, s6, 2
	s_delay_alu instid0(SALU_CYCLE_1) | instskip(NEXT) | instid1(VALU_DEP_1)
	s_add_i32 s5, s4, s5
	v_add3_u32 v3, s4, v3, 0x210
	s_sub_i32 s4, s5, 48
	s_mov_b32 s5, s28
.LBB15_49:                              ; =>This Inner Loop Header: Depth=1
	v_mov_b32_e32 v4, s4
	s_add_i32 s5, s5, -1
	s_sub_i32 s4, s4, 48
	s_cmp_gt_i32 s5, s6
	ds_load_b32 v5, v3
	ds_load_b32 v4, v4
	v_subrev_nc_u32_e32 v3, 48, v3
	s_waitcnt lgkmcnt(0)
	v_fma_f32 v1, -v5, v4, v1
	s_cbranch_scc1 .LBB15_49
.LBB15_50:
	s_mul_i32 s4, s6, 52
	s_delay_alu instid0(SALU_CYCLE_1) | instskip(SKIP_4) | instid1(VALU_DEP_1)
	v_dual_mov_b32 v3, s4 :: v_dual_add_nc_u32 v2, 0x240, v2
	s_add_i32 s4, s6, -1
	ds_load_b32 v3, v3
	s_waitcnt lgkmcnt(0)
	v_div_scale_f32 v4, null, v3, v3, v1
	v_rcp_f32_e32 v5, v4
	s_waitcnt_depctr 0xfff
	v_fma_f32 v6, -v4, v5, 1.0
	s_delay_alu instid0(VALU_DEP_1) | instskip(SKIP_1) | instid1(VALU_DEP_1)
	v_fmac_f32_e32 v5, v6, v5
	v_div_scale_f32 v6, vcc_lo, v1, v3, v1
	v_mul_f32_e32 v7, v6, v5
	s_delay_alu instid0(VALU_DEP_1) | instskip(NEXT) | instid1(VALU_DEP_1)
	v_fma_f32 v8, -v4, v7, v6
	v_fmac_f32_e32 v7, v8, v5
	s_delay_alu instid0(VALU_DEP_1) | instskip(NEXT) | instid1(VALU_DEP_1)
	v_fma_f32 v4, -v4, v7, v6
	v_div_fmas_f32 v4, v4, v5, v7
	s_delay_alu instid0(VALU_DEP_1)
	v_div_fixup_f32 v1, v4, v3, v1
	ds_store_b32 v2, v1
.LBB15_51:
	s_cmp_eq_u32 s6, 0
	s_cbranch_scc1 .LBB15_58
; %bb.52:
	v_lshlrev_b32_e32 v1, 2, v0
	s_mul_i32 s5, s20, 48
	s_lshl_b32 s6, s4, 2
	s_delay_alu instid0(SALU_CYCLE_1) | instskip(NEXT) | instid1(VALU_DEP_1)
	s_add_i32 s6, s5, s6
	v_add3_u32 v1, s5, v1, 0x210
	s_sub_i32 s5, s6, 48
	s_sub_i32 s6, s6, 52
	s_branch .LBB15_54
.LBB15_53:                              ;   in Loop: Header=BB15_54 Depth=1
	s_sub_i32 s7, s7, 52
	s_add_i32 s5, s5, -8
	v_mov_b32_e32 v3, s7
	s_add_i32 s7, s4, -2
	s_add_i32 s6, s6, -8
	s_cmp_lt_i32 s4, 2
	s_mov_b32 s4, s7
	ds_load_b32 v3, v3
	s_waitcnt lgkmcnt(0)
	v_div_scale_f32 v5, null, v3, v3, v4
	v_div_scale_f32 v8, vcc_lo, v4, v3, v4
	s_delay_alu instid0(VALU_DEP_2) | instskip(SKIP_2) | instid1(VALU_DEP_1)
	v_rcp_f32_e32 v6, v5
	s_waitcnt_depctr 0xfff
	v_fma_f32 v7, -v5, v6, 1.0
	v_fmac_f32_e32 v6, v7, v6
	s_delay_alu instid0(VALU_DEP_1) | instskip(NEXT) | instid1(VALU_DEP_1)
	v_mul_f32_e32 v7, v8, v6
	v_fma_f32 v9, -v5, v7, v8
	s_delay_alu instid0(VALU_DEP_1) | instskip(NEXT) | instid1(VALU_DEP_1)
	v_fmac_f32_e32 v7, v9, v6
	v_fma_f32 v5, -v5, v7, v8
	s_delay_alu instid0(VALU_DEP_1) | instskip(NEXT) | instid1(VALU_DEP_1)
	v_div_fmas_f32 v5, v5, v6, v7
	v_div_fixup_f32 v3, v5, v3, v4
	ds_store_b32 v2, v3
	s_cbranch_scc1 .LBB15_58
.LBB15_54:                              ; =>This Loop Header: Depth=1
                                        ;     Child Loop BB15_55 Depth 2
                                        ;     Child Loop BB15_57 Depth 2
	s_mul_i32 s7, s4, 12
	v_mov_b32_e32 v4, v1
	v_add_lshl_u32 v2, s7, v0, 2
	s_cmp_le_i32 s28, s4
	s_mov_b32 s7, s5
	s_mov_b32 s10, s28
	ds_load_b32 v3, v2 offset:576
	s_cbranch_scc1 .LBB15_56
.LBB15_55:                              ;   Parent Loop BB15_54 Depth=1
                                        ; =>  This Inner Loop Header: Depth=2
	v_mov_b32_e32 v5, s7
	s_add_i32 s10, s10, -1
	s_sub_i32 s7, s7, 48
	s_cmp_le_i32 s10, s4
	ds_load_b32 v6, v4
	ds_load_b32 v5, v5
	v_subrev_nc_u32_e32 v4, 48, v4
	s_waitcnt lgkmcnt(0)
	v_fma_f32 v3, -v6, v5, v3
	s_cbranch_scc0 .LBB15_55
.LBB15_56:                              ;   in Loop: Header=BB15_54 Depth=1
	s_mul_i32 s7, s4, 52
	s_delay_alu instid0(SALU_CYCLE_1)
	v_dual_mov_b32 v2, s7 :: v_dual_add_nc_u32 v5, 0x240, v2
	s_cmp_lt_i32 s28, s4
	s_mov_b32 s10, s6
	s_mov_b32 s11, s20
	ds_load_b32 v6, v2
	v_subrev_nc_u32_e32 v2, 48, v5
	ds_load_b32 v4, v2
	s_waitcnt lgkmcnt(1)
	v_div_scale_f32 v7, null, v6, v6, v3
	s_delay_alu instid0(VALU_DEP_1) | instskip(SKIP_2) | instid1(VALU_DEP_1)
	v_rcp_f32_e32 v8, v7
	s_waitcnt_depctr 0xfff
	v_fma_f32 v9, -v7, v8, 1.0
	v_fmac_f32_e32 v8, v9, v8
	v_div_scale_f32 v9, vcc_lo, v3, v6, v3
	s_delay_alu instid0(VALU_DEP_1) | instskip(NEXT) | instid1(VALU_DEP_1)
	v_mul_f32_e32 v10, v9, v8
	v_fma_f32 v11, -v7, v10, v9
	s_delay_alu instid0(VALU_DEP_1) | instskip(NEXT) | instid1(VALU_DEP_1)
	v_fmac_f32_e32 v10, v11, v8
	v_fma_f32 v7, -v7, v10, v9
	s_delay_alu instid0(VALU_DEP_1) | instskip(NEXT) | instid1(VALU_DEP_1)
	v_div_fmas_f32 v7, v7, v8, v10
	v_div_fixup_f32 v6, v7, v6, v3
	v_mov_b32_e32 v3, v1
	ds_store_b32 v5, v6
	s_cbranch_scc1 .LBB15_53
.LBB15_57:                              ;   Parent Loop BB15_54 Depth=1
                                        ; =>  This Inner Loop Header: Depth=2
	v_mov_b32_e32 v5, s10
	s_add_i32 s11, s11, -1
	s_sub_i32 s10, s10, 48
	s_cmp_gt_i32 s11, s4
	ds_load_b32 v6, v3
	ds_load_b32 v5, v5
	v_subrev_nc_u32_e32 v3, 48, v3
	s_waitcnt lgkmcnt(0)
	v_fma_f32 v4, -v6, v5, v4
	s_cbranch_scc1 .LBB15_57
	s_branch .LBB15_53
.LBB15_58:
	s_mov_b32 s4, 0
.LBB15_59:
	s_delay_alu instid0(SALU_CYCLE_1)
	s_and_not1_b32 vcc_lo, exec_lo, s4
	s_cbranch_vccnz .LBB15_79
; %bb.60:
	s_and_not1_b32 vcc_lo, exec_lo, s1
	s_mov_b32 s5, s28
	s_cbranch_vccnz .LBB15_66
; %bb.61:
	v_lshlrev_b32_e32 v1, 2, v0
	s_mul_i32 s1, s20, 48
	s_mul_i32 s4, s20, 52
	s_delay_alu instid0(VALU_DEP_1)
	v_add3_u32 v1, s1, v1, 0x180
	s_add_i32 s1, s4, 0xffffff30
	s_mov_b32 s4, s28
.LBB15_62:                              ; =>This Loop Header: Depth=1
                                        ;     Child Loop BB15_63 Depth 2
	s_delay_alu instid0(SALU_CYCLE_1) | instskip(NEXT) | instid1(VALU_DEP_1)
	s_mul_i32 s5, s4, 12
	v_mov_b32_e32 v10, v1
	s_add_i32 s7, s5, -12
	v_add_lshl_u32 v6, s5, v0, 2
	s_sub_i32 s6, s5, 24
	v_add_lshl_u32 v7, s7, v0, 2
	s_sub_i32 s5, s5, 36
	v_add_lshl_u32 v8, s6, v0, 2
	v_add_lshl_u32 v9, s5, v0, 2
	ds_load_b32 v5, v6 offset:576
	ds_load_b32 v4, v7 offset:576
	;; [unrolled: 1-line block ×4, first 2 shown]
	s_cmp_le_i32 s28, s4
	s_mov_b32 s7, s1
	s_mov_b32 s10, s28
	s_cbranch_scc1 .LBB15_64
.LBB15_63:                              ;   Parent Loop BB15_62 Depth=1
                                        ; =>  This Inner Loop Header: Depth=2
	v_mov_b32_e32 v29, s7
	s_add_i32 s10, s10, -4
	s_add_i32 s7, s7, -16
	s_cmp_le_i32 s10, s4
	ds_load_2addr_b32 v[11:12], v10 offset0:24 offset1:36
	ds_load_2addr_b32 v[13:14], v29 offset0:38 offset1:39
	;; [unrolled: 1-line block ×5, first 2 shown]
	ds_load_2addr_b32 v[21:22], v10 offset1:12
	ds_load_2addr_b32 v[23:24], v29 offset0:36 offset1:37
	ds_load_2addr_b32 v[25:26], v29 offset0:24 offset1:25
	;; [unrolled: 1-line block ×3, first 2 shown]
	ds_load_2addr_b32 v[29:30], v29 offset1:1
	v_add_nc_u32_e32 v10, 0xffffff40, v10
	s_waitcnt lgkmcnt(8)
	v_fma_f32 v5, -v12, v14, v5
	s_waitcnt lgkmcnt(7)
	v_fma_f32 v4, -v12, v16, v4
	;; [unrolled: 2-line block ×4, first 2 shown]
	v_fma_f32 v5, -v11, v13, v5
	v_fma_f32 v4, -v11, v15, v4
	;; [unrolled: 1-line block ×3, first 2 shown]
	s_delay_alu instid0(VALU_DEP_4)
	v_fma_f32 v2, -v11, v19, v2
	s_waitcnt lgkmcnt(3)
	v_fma_f32 v5, -v22, v24, v5
	s_waitcnt lgkmcnt(2)
	;; [unrolled: 2-line block ×4, first 2 shown]
	v_fma_f32 v2, -v22, v30, v2
	v_fma_f32 v5, -v21, v23, v5
	;; [unrolled: 1-line block ×4, first 2 shown]
	s_delay_alu instid0(VALU_DEP_4)
	v_fma_f32 v2, -v21, v29, v2
	s_cbranch_scc0 .LBB15_63
.LBB15_64:                              ;   in Loop: Header=BB15_62 Depth=1
	s_mul_i32 s7, s4, 52
	s_delay_alu instid0(SALU_CYCLE_1)
	v_dual_mov_b32 v10, s7 :: v_dual_add_nc_u32 v7, 0x240, v7
	s_add_i32 s6, s6, s4
	s_sub_i32 s10, s7, 52
	s_lshl_b32 s6, s6, 2
	v_add_nc_u32_e32 v9, 0x240, v9
	ds_load_b32 v14, v10
	v_mov_b32_e32 v10, s10
	s_add_i32 s11, s7, 0xffffff98
	v_mov_b32_e32 v12, s6
	v_dual_mov_b32 v13, s11 :: v_dual_add_nc_u32 v6, 0x240, v6
	ds_load_2addr_b32 v[10:11], v10 offset1:1
	ds_load_b32 v15, v12
	ds_load_2addr_b32 v[12:13], v13 offset1:1
	s_add_i32 s5, s4, s5
	s_addk_i32 s1, 0xff40
	s_lshl_b32 s5, s5, 2
	s_delay_alu instid0(SALU_CYCLE_1) | instskip(SKIP_3) | instid1(VALU_DEP_2)
	s_add_i32 s5, s5, -4
	s_waitcnt lgkmcnt(3)
	v_div_scale_f32 v16, null, v14, v14, v5
	v_div_scale_f32 v19, vcc_lo, v5, v14, v5
	v_rcp_f32_e32 v17, v16
	s_waitcnt_depctr 0xfff
	v_fma_f32 v18, -v16, v17, 1.0
	s_delay_alu instid0(VALU_DEP_1) | instskip(NEXT) | instid1(VALU_DEP_1)
	v_dual_fmac_f32 v17, v18, v17 :: v_dual_add_nc_u32 v8, 0x240, v8
	v_mul_f32_e32 v18, v19, v17
	s_delay_alu instid0(VALU_DEP_1) | instskip(NEXT) | instid1(VALU_DEP_1)
	v_fma_f32 v20, -v16, v18, v19
	v_fmac_f32_e32 v18, v20, v17
	s_delay_alu instid0(VALU_DEP_1) | instskip(NEXT) | instid1(VALU_DEP_1)
	v_fma_f32 v16, -v16, v18, v19
	v_div_fmas_f32 v16, v16, v17, v18
	s_delay_alu instid0(VALU_DEP_1) | instskip(SKIP_1) | instid1(VALU_DEP_1)
	v_div_fixup_f32 v5, v16, v14, v5
	s_waitcnt lgkmcnt(2)
	v_fma_f32 v4, -v5, v11, v4
	s_waitcnt lgkmcnt(1)
	v_fma_f32 v3, -v5, v15, v3
	s_delay_alu instid0(VALU_DEP_2) | instskip(SKIP_1) | instid1(VALU_DEP_2)
	v_div_scale_f32 v11, null, v10, v10, v4
	v_div_scale_f32 v17, vcc_lo, v4, v10, v4
	v_rcp_f32_e32 v14, v11
	s_waitcnt_depctr 0xfff
	v_fma_f32 v16, -v11, v14, 1.0
	s_delay_alu instid0(VALU_DEP_1) | instskip(NEXT) | instid1(VALU_DEP_1)
	v_fmac_f32_e32 v14, v16, v14
	v_mul_f32_e32 v16, v17, v14
	s_delay_alu instid0(VALU_DEP_1) | instskip(NEXT) | instid1(VALU_DEP_1)
	v_fma_f32 v18, -v11, v16, v17
	v_fmac_f32_e32 v16, v18, v14
	s_delay_alu instid0(VALU_DEP_1) | instskip(NEXT) | instid1(VALU_DEP_1)
	v_fma_f32 v11, -v11, v16, v17
	v_div_fmas_f32 v11, v11, v14, v16
	s_delay_alu instid0(VALU_DEP_1) | instskip(SKIP_2) | instid1(SALU_CYCLE_1)
	v_div_fixup_f32 v14, v11, v10, v4
	v_mov_b32_e32 v4, s5
	s_add_i32 s5, s7, 0xffffff64
	v_mov_b32_e32 v10, s5
	s_waitcnt lgkmcnt(0)
	v_fma_f32 v13, -v14, v13, v3
	s_add_i32 s5, s4, -4
	s_cmp_lt_i32 s4, 7
	ds_load_2addr_b32 v[10:11], v10 offset1:1
	v_div_scale_f32 v15, null, v12, v12, v13
	v_div_scale_f32 v17, vcc_lo, v13, v12, v13
	s_delay_alu instid0(VALU_DEP_2) | instskip(SKIP_2) | instid1(VALU_DEP_1)
	v_rcp_f32_e32 v16, v15
	s_waitcnt_depctr 0xfff
	v_fma_f32 v3, -v15, v16, 1.0
	v_fmac_f32_e32 v16, v3, v16
	ds_load_2addr_b32 v[3:4], v4 offset1:1
	v_mul_f32_e32 v18, v17, v16
	s_delay_alu instid0(VALU_DEP_1) | instskip(NEXT) | instid1(VALU_DEP_1)
	v_fma_f32 v19, -v15, v18, v17
	v_fmac_f32_e32 v18, v19, v16
	s_delay_alu instid0(VALU_DEP_1) | instskip(SKIP_2) | instid1(VALU_DEP_2)
	v_fma_f32 v15, -v15, v18, v17
	s_waitcnt lgkmcnt(0)
	v_fma_f32 v2, -v5, v4, v2
	v_div_fmas_f32 v4, v15, v16, v18
	s_delay_alu instid0(VALU_DEP_2) | instskip(NEXT) | instid1(VALU_DEP_2)
	v_fma_f32 v2, -v14, v3, v2
	v_div_fixup_f32 v3, v4, v12, v13
	s_delay_alu instid0(VALU_DEP_1) | instskip(NEXT) | instid1(VALU_DEP_1)
	v_fma_f32 v2, -v3, v11, v2
	v_div_scale_f32 v4, null, v10, v10, v2
	v_div_scale_f32 v13, vcc_lo, v2, v10, v2
	s_delay_alu instid0(VALU_DEP_2) | instskip(SKIP_2) | instid1(VALU_DEP_1)
	v_rcp_f32_e32 v11, v4
	s_waitcnt_depctr 0xfff
	v_fma_f32 v12, -v4, v11, 1.0
	v_fmac_f32_e32 v11, v12, v11
	s_delay_alu instid0(VALU_DEP_1) | instskip(NEXT) | instid1(VALU_DEP_1)
	v_mul_f32_e32 v12, v13, v11
	v_fma_f32 v15, -v4, v12, v13
	s_delay_alu instid0(VALU_DEP_1) | instskip(NEXT) | instid1(VALU_DEP_1)
	v_fmac_f32_e32 v12, v15, v11
	v_fma_f32 v4, -v4, v12, v13
	s_delay_alu instid0(VALU_DEP_1) | instskip(NEXT) | instid1(VALU_DEP_1)
	v_div_fmas_f32 v4, v4, v11, v12
	v_div_fixup_f32 v2, v4, v10, v2
	ds_store_b32 v6, v5
	ds_store_b32 v7, v14
	ds_store_b32 v8, v3
	ds_store_b32 v9, v2
	s_cbranch_scc1 .LBB15_66
; %bb.65:                               ;   in Loop: Header=BB15_62 Depth=1
	s_mov_b32 s4, s5
	s_branch .LBB15_62
.LBB15_66:
	s_cmp_lt_i32 s5, 0
	s_cbranch_scc1 .LBB15_79
; %bb.67:
	s_bitcmp1_b32 s5, 0
	s_cselect_b32 s1, -1, 0
	s_delay_alu instid0(SALU_CYCLE_1)
	s_and_b32 vcc_lo, exec_lo, s1
	s_mov_b32 s1, s5
	s_cbranch_vccnz .LBB15_72
; %bb.68:
	s_mul_i32 s1, s5, 12
	s_cmp_le_i32 s28, s5
	v_add_lshl_u32 v2, s1, v0, 2
	ds_load_b32 v1, v2 offset:576
	s_cbranch_scc1 .LBB15_71
; %bb.69:
	v_lshlrev_b32_e32 v3, 2, v0
	s_mul_i32 s6, s20, 48
	s_mul_i32 s1, s5, 48
	s_lshl_b32 s4, s20, 2
	s_delay_alu instid0(SALU_CYCLE_1)
	s_add_i32 s1, s1, s4
	v_add3_u32 v3, s6, v3, 0x210
	s_add_i32 s1, s1, -4
	s_mov_b32 s4, s28
.LBB15_70:                              ; =>This Inner Loop Header: Depth=1
	v_mov_b32_e32 v4, s1
	s_add_i32 s4, s4, -1
	s_add_i32 s1, s1, -4
	s_cmp_gt_i32 s4, s5
	ds_load_b32 v5, v3
	ds_load_b32 v4, v4
	v_subrev_nc_u32_e32 v3, 48, v3
	s_waitcnt lgkmcnt(0)
	v_fma_f32 v1, -v5, v4, v1
	s_cbranch_scc1 .LBB15_70
.LBB15_71:
	s_mul_i32 s1, s5, 52
	s_delay_alu instid0(SALU_CYCLE_1) | instskip(SKIP_4) | instid1(VALU_DEP_1)
	v_dual_mov_b32 v3, s1 :: v_dual_add_nc_u32 v2, 0x240, v2
	s_add_i32 s1, s5, -1
	ds_load_b32 v3, v3
	s_waitcnt lgkmcnt(0)
	v_div_scale_f32 v4, null, v3, v3, v1
	v_rcp_f32_e32 v5, v4
	s_waitcnt_depctr 0xfff
	v_fma_f32 v6, -v4, v5, 1.0
	s_delay_alu instid0(VALU_DEP_1) | instskip(SKIP_1) | instid1(VALU_DEP_1)
	v_fmac_f32_e32 v5, v6, v5
	v_div_scale_f32 v6, vcc_lo, v1, v3, v1
	v_mul_f32_e32 v7, v6, v5
	s_delay_alu instid0(VALU_DEP_1) | instskip(NEXT) | instid1(VALU_DEP_1)
	v_fma_f32 v8, -v4, v7, v6
	v_fmac_f32_e32 v7, v8, v5
	s_delay_alu instid0(VALU_DEP_1) | instskip(NEXT) | instid1(VALU_DEP_1)
	v_fma_f32 v4, -v4, v7, v6
	v_div_fmas_f32 v4, v4, v5, v7
	s_delay_alu instid0(VALU_DEP_1)
	v_div_fixup_f32 v1, v4, v3, v1
	ds_store_b32 v2, v1
.LBB15_72:
	s_cmp_eq_u32 s5, 0
	s_cbranch_scc1 .LBB15_79
; %bb.73:
	v_lshlrev_b32_e32 v1, 2, v0
	s_mul_i32 s6, s20, 48
	s_mul_i32 s4, s1, 48
	s_lshl_b32 s5, s20, 2
	s_delay_alu instid0(SALU_CYCLE_1)
	s_add_i32 s5, s4, s5
	v_add3_u32 v1, s6, v1, 0x210
	s_add_i32 s4, s5, -4
	s_sub_i32 s5, s5, 52
	s_branch .LBB15_75
.LBB15_74:                              ;   in Loop: Header=BB15_75 Depth=1
	s_sub_i32 s6, s6, 52
	v_add_nc_u32_e32 v2, 0x240, v4
	v_mov_b32_e32 v4, s6
	s_add_i32 s6, s1, -2
	s_addk_i32 s4, 0xffa0
	s_addk_i32 s5, 0xffa0
	s_cmp_lt_i32 s1, 2
	ds_load_b32 v4, v4
	s_mov_b32 s1, s6
	s_waitcnt lgkmcnt(0)
	v_div_scale_f32 v5, null, v4, v4, v3
	v_div_scale_f32 v8, vcc_lo, v3, v4, v3
	s_delay_alu instid0(VALU_DEP_2) | instskip(SKIP_2) | instid1(VALU_DEP_1)
	v_rcp_f32_e32 v6, v5
	s_waitcnt_depctr 0xfff
	v_fma_f32 v7, -v5, v6, 1.0
	v_fmac_f32_e32 v6, v7, v6
	s_delay_alu instid0(VALU_DEP_1) | instskip(NEXT) | instid1(VALU_DEP_1)
	v_mul_f32_e32 v7, v8, v6
	v_fma_f32 v9, -v5, v7, v8
	s_delay_alu instid0(VALU_DEP_1) | instskip(NEXT) | instid1(VALU_DEP_1)
	v_fmac_f32_e32 v7, v9, v6
	v_fma_f32 v5, -v5, v7, v8
	s_delay_alu instid0(VALU_DEP_1) | instskip(NEXT) | instid1(VALU_DEP_1)
	v_div_fmas_f32 v5, v5, v6, v7
	v_div_fixup_f32 v3, v5, v4, v3
	ds_store_b32 v2, v3
	s_cbranch_scc1 .LBB15_79
.LBB15_75:                              ; =>This Loop Header: Depth=1
                                        ;     Child Loop BB15_76 Depth 2
                                        ;     Child Loop BB15_78 Depth 2
	s_mul_i32 s7, s1, 12
	v_mov_b32_e32 v4, v1
	v_add_lshl_u32 v3, s7, v0, 2
	s_cmp_le_i32 s28, s1
	s_mov_b32 s6, s4
	s_mov_b32 s10, s28
	ds_load_b32 v2, v3 offset:576
	s_cbranch_scc1 .LBB15_77
.LBB15_76:                              ;   Parent Loop BB15_75 Depth=1
                                        ; =>  This Inner Loop Header: Depth=2
	v_mov_b32_e32 v5, s6
	s_add_i32 s10, s10, -1
	s_add_i32 s6, s6, -4
	s_cmp_le_i32 s10, s1
	ds_load_b32 v6, v4
	ds_load_b32 v5, v5
	v_subrev_nc_u32_e32 v4, 48, v4
	s_waitcnt lgkmcnt(0)
	v_fma_f32 v2, -v6, v5, v2
	s_cbranch_scc0 .LBB15_76
.LBB15_77:                              ;   in Loop: Header=BB15_75 Depth=1
	s_mul_i32 s6, s1, 52
	v_add_nc_u32_e32 v5, 0x240, v3
	v_mov_b32_e32 v3, s6
	s_add_i32 s7, s7, -12
	s_cmp_lt_i32 s28, s1
	v_add_lshl_u32 v4, s7, v0, 2
	s_mov_b32 s7, s5
	ds_load_b32 v6, v3
	s_mov_b32 s10, s20
	ds_load_b32 v3, v4 offset:576
	s_waitcnt lgkmcnt(1)
	v_div_scale_f32 v7, null, v6, v6, v2
	s_delay_alu instid0(VALU_DEP_1) | instskip(SKIP_2) | instid1(VALU_DEP_1)
	v_rcp_f32_e32 v8, v7
	s_waitcnt_depctr 0xfff
	v_fma_f32 v9, -v7, v8, 1.0
	v_fmac_f32_e32 v8, v9, v8
	v_div_scale_f32 v9, vcc_lo, v2, v6, v2
	s_delay_alu instid0(VALU_DEP_1) | instskip(NEXT) | instid1(VALU_DEP_1)
	v_mul_f32_e32 v10, v9, v8
	v_fma_f32 v11, -v7, v10, v9
	s_delay_alu instid0(VALU_DEP_1) | instskip(NEXT) | instid1(VALU_DEP_1)
	v_fmac_f32_e32 v10, v11, v8
	v_fma_f32 v7, -v7, v10, v9
	s_delay_alu instid0(VALU_DEP_1) | instskip(NEXT) | instid1(VALU_DEP_1)
	v_div_fmas_f32 v7, v7, v8, v10
	v_div_fixup_f32 v6, v7, v6, v2
	v_mov_b32_e32 v2, v1
	ds_store_b32 v5, v6
	s_cbranch_scc1 .LBB15_74
.LBB15_78:                              ;   Parent Loop BB15_75 Depth=1
                                        ; =>  This Inner Loop Header: Depth=2
	v_mov_b32_e32 v5, s7
	s_add_i32 s10, s10, -1
	s_add_i32 s7, s7, -4
	s_cmp_gt_i32 s10, s1
	ds_load_b32 v6, v2
	ds_load_b32 v5, v5
	v_subrev_nc_u32_e32 v2, 48, v2
	s_waitcnt lgkmcnt(0)
	v_fma_f32 v3, -v6, v5, v3
	s_cbranch_scc1 .LBB15_78
	s_branch .LBB15_74
.LBB15_79:
	s_mov_b32 s6, 0
.LBB15_80:
	s_delay_alu instid0(SALU_CYCLE_1)
	s_and_not1_b32 vcc_lo, exec_lo, s6
	s_cbranch_vccnz .LBB15_99
; %bb.81:
	s_cmp_lt_i32 s12, 4
	s_mov_b32 s5, 0
	s_cbranch_scc1 .LBB15_88
; %bb.82:
	v_lshl_or_b32 v1, v0, 2, 0x240
	s_mov_b32 s1, 0
	s_mov_b32 s4, 0
.LBB15_83:                              ; =>This Loop Header: Depth=1
                                        ;     Child Loop BB15_85 Depth 2
	s_delay_alu instid0(SALU_CYCLE_1) | instskip(NEXT) | instid1(SALU_CYCLE_1)
	s_mul_i32 s5, s4, 12
	s_add_i32 s7, s5, 12
	v_add_lshl_u32 v6, s5, v0, 2
	s_add_i32 s6, s5, 24
	v_add_lshl_u32 v7, s7, v0, 2
	;; [unrolled: 2-line block ×3, first 2 shown]
	v_add_lshl_u32 v9, s5, v0, 2
	ds_load_b32 v5, v6 offset:576
	ds_load_b32 v4, v7 offset:576
	;; [unrolled: 1-line block ×4, first 2 shown]
	s_cmp_eq_u32 s4, 0
	s_cbranch_scc1 .LBB15_86
; %bb.84:                               ;   in Loop: Header=BB15_83 Depth=1
	v_mov_b32_e32 v10, v1
	s_mov_b32 s10, 0
	s_mov_b32 s11, s1
.LBB15_85:                              ;   Parent Loop BB15_83 Depth=1
                                        ; =>  This Inner Loop Header: Depth=2
	s_delay_alu instid0(SALU_CYCLE_1)
	v_mov_b32_e32 v23, s11
	s_add_i32 s10, s10, 4
	s_add_i32 s11, s11, 16
	s_cmp_ge_u32 s10, s4
	ds_load_2addr_b32 v[27:28], v10 offset1:12
	ds_load_b128 v[11:14], v23
	ds_load_b128 v[15:18], v23 offset:48
	ds_load_b128 v[19:22], v23 offset:96
	;; [unrolled: 1-line block ×3, first 2 shown]
	ds_load_2addr_b32 v[29:30], v10 offset0:24 offset1:36
	v_add_nc_u32_e32 v10, 0xc0, v10
	s_waitcnt lgkmcnt(4)
	v_fma_f32 v5, -v27, v11, v5
	s_waitcnt lgkmcnt(3)
	v_fma_f32 v4, -v27, v15, v4
	;; [unrolled: 2-line block ×4, first 2 shown]
	v_fma_f32 v5, -v28, v12, v5
	v_fma_f32 v4, -v28, v16, v4
	;; [unrolled: 1-line block ×3, first 2 shown]
	s_delay_alu instid0(VALU_DEP_4)
	v_fma_f32 v2, -v28, v24, v2
	s_waitcnt lgkmcnt(0)
	v_fma_f32 v5, -v29, v13, v5
	v_fma_f32 v4, -v29, v17, v4
	;; [unrolled: 1-line block ×4, first 2 shown]
	s_delay_alu instid0(VALU_DEP_4) | instskip(NEXT) | instid1(VALU_DEP_4)
	v_fma_f32 v5, -v30, v14, v5
	v_fma_f32 v4, -v30, v18, v4
	s_delay_alu instid0(VALU_DEP_4) | instskip(NEXT) | instid1(VALU_DEP_4)
	v_fma_f32 v3, -v30, v22, v3
	v_fma_f32 v2, -v30, v26, v2
	s_cbranch_scc0 .LBB15_85
.LBB15_86:                              ;   in Loop: Header=BB15_83 Depth=1
	s_mul_i32 s10, s4, 52
	s_delay_alu instid0(SALU_CYCLE_1)
	v_dual_mov_b32 v10, s10 :: v_dual_add_nc_u32 v7, 0x240, v7
	s_add_i32 s7, s7, s4
	s_add_i32 s6, s6, s4
	s_lshl_b32 s7, s7, 2
	s_lshl_b32 s6, s6, 2
	ds_load_b32 v15, v10
	s_add_i32 s5, s5, s4
	v_dual_mov_b32 v10, s7 :: v_dual_add_nc_u32 v9, 0x240, v9
	s_lshl_b32 s5, s5, 2
	v_mov_b32_e32 v12, s6
	ds_load_b64 v[10:11], v10
	ds_load_b96 v[12:14], v12
	s_addk_i32 s1, 0xc0
	s_waitcnt lgkmcnt(2)
	v_div_scale_f32 v16, null, v15, v15, v5
	v_div_scale_f32 v19, vcc_lo, v5, v15, v5
	s_delay_alu instid0(VALU_DEP_2) | instskip(SKIP_2) | instid1(VALU_DEP_1)
	v_rcp_f32_e32 v17, v16
	s_waitcnt_depctr 0xfff
	v_fma_f32 v18, -v16, v17, 1.0
	v_dual_fmac_f32 v17, v18, v17 :: v_dual_add_nc_u32 v6, 0x240, v6
	s_delay_alu instid0(VALU_DEP_1) | instskip(NEXT) | instid1(VALU_DEP_1)
	v_mul_f32_e32 v18, v19, v17
	v_fma_f32 v20, -v16, v18, v19
	s_delay_alu instid0(VALU_DEP_1) | instskip(NEXT) | instid1(VALU_DEP_1)
	v_fmac_f32_e32 v18, v20, v17
	v_fma_f32 v16, -v16, v18, v19
	s_delay_alu instid0(VALU_DEP_1) | instskip(NEXT) | instid1(VALU_DEP_1)
	v_div_fmas_f32 v16, v16, v17, v18
	v_div_fixup_f32 v5, v16, v15, v5
	s_waitcnt lgkmcnt(1)
	s_delay_alu instid0(VALU_DEP_1) | instskip(SKIP_2) | instid1(VALU_DEP_2)
	v_fma_f32 v4, -v5, v10, v4
	s_waitcnt lgkmcnt(0)
	v_fma_f32 v3, -v5, v12, v3
	v_div_scale_f32 v10, null, v11, v11, v4
	v_div_scale_f32 v17, vcc_lo, v4, v11, v4
	s_delay_alu instid0(VALU_DEP_2) | instskip(SKIP_2) | instid1(VALU_DEP_1)
	v_rcp_f32_e32 v15, v10
	s_waitcnt_depctr 0xfff
	v_fma_f32 v16, -v10, v15, 1.0
	v_dual_fmac_f32 v15, v16, v15 :: v_dual_add_nc_u32 v8, 0x240, v8
	s_delay_alu instid0(VALU_DEP_1) | instskip(NEXT) | instid1(VALU_DEP_1)
	v_mul_f32_e32 v16, v17, v15
	v_fma_f32 v18, -v10, v16, v17
	s_delay_alu instid0(VALU_DEP_1) | instskip(NEXT) | instid1(VALU_DEP_1)
	v_fmac_f32_e32 v16, v18, v15
	v_fma_f32 v10, -v10, v16, v17
	s_delay_alu instid0(VALU_DEP_1) | instskip(NEXT) | instid1(VALU_DEP_1)
	v_div_fmas_f32 v10, v10, v15, v16
	v_div_fixup_f32 v4, v10, v11, v4
	v_mov_b32_e32 v11, s5
	s_add_i32 s5, s4, 4
	s_add_i32 s4, s4, 7
	s_delay_alu instid0(SALU_CYCLE_1) | instskip(SKIP_1) | instid1(VALU_DEP_1)
	s_cmp_ge_i32 s4, s20
	v_fma_f32 v3, -v4, v13, v3
	v_div_scale_f32 v15, null, v14, v14, v3
	v_div_scale_f32 v17, vcc_lo, v3, v14, v3
	s_delay_alu instid0(VALU_DEP_2) | instskip(SKIP_2) | instid1(VALU_DEP_1)
	v_rcp_f32_e32 v16, v15
	s_waitcnt_depctr 0xfff
	v_fma_f32 v10, -v15, v16, 1.0
	v_fmac_f32_e32 v16, v10, v16
	ds_load_b128 v[10:13], v11
	v_mul_f32_e32 v18, v17, v16
	s_delay_alu instid0(VALU_DEP_1) | instskip(NEXT) | instid1(VALU_DEP_1)
	v_fma_f32 v19, -v15, v18, v17
	v_fmac_f32_e32 v18, v19, v16
	s_delay_alu instid0(VALU_DEP_1) | instskip(SKIP_2) | instid1(VALU_DEP_2)
	v_fma_f32 v15, -v15, v18, v17
	s_waitcnt lgkmcnt(0)
	v_fma_f32 v2, -v5, v10, v2
	v_div_fmas_f32 v10, v15, v16, v18
	s_delay_alu instid0(VALU_DEP_2) | instskip(NEXT) | instid1(VALU_DEP_2)
	v_fma_f32 v2, -v4, v11, v2
	v_div_fixup_f32 v3, v10, v14, v3
	s_delay_alu instid0(VALU_DEP_1) | instskip(NEXT) | instid1(VALU_DEP_1)
	v_fma_f32 v2, -v3, v12, v2
	v_div_scale_f32 v10, null, v13, v13, v2
	v_div_scale_f32 v14, vcc_lo, v2, v13, v2
	s_delay_alu instid0(VALU_DEP_2) | instskip(SKIP_2) | instid1(VALU_DEP_1)
	v_rcp_f32_e32 v11, v10
	s_waitcnt_depctr 0xfff
	v_fma_f32 v12, -v10, v11, 1.0
	v_fmac_f32_e32 v11, v12, v11
	s_delay_alu instid0(VALU_DEP_1) | instskip(NEXT) | instid1(VALU_DEP_1)
	v_mul_f32_e32 v12, v14, v11
	v_fma_f32 v15, -v10, v12, v14
	s_delay_alu instid0(VALU_DEP_1) | instskip(NEXT) | instid1(VALU_DEP_1)
	v_fmac_f32_e32 v12, v15, v11
	v_fma_f32 v10, -v10, v12, v14
	s_delay_alu instid0(VALU_DEP_1) | instskip(NEXT) | instid1(VALU_DEP_1)
	v_div_fmas_f32 v10, v10, v11, v12
	v_div_fixup_f32 v2, v10, v13, v2
	ds_store_b32 v6, v5
	ds_store_b32 v7, v4
	;; [unrolled: 1-line block ×4, first 2 shown]
	s_cbranch_scc1 .LBB15_88
; %bb.87:                               ;   in Loop: Header=BB15_83 Depth=1
	s_mov_b32 s4, s5
	s_branch .LBB15_83
.LBB15_88:
	s_cmp_ge_i32 s5, s20
	s_cbranch_scc1 .LBB15_99
; %bb.89:
	v_lshl_or_b32 v1, v0, 2, 0x240
	s_add_i32 s1, s5, -1
	s_mul_i32 s4, s5, 48
	s_mov_b32 s6, 0
	s_mov_b32 s7, s5
	s_branch .LBB15_91
.LBB15_90:                              ;   in Loop: Header=BB15_91 Depth=1
	s_mul_i32 s10, s5, 52
	s_delay_alu instid0(SALU_CYCLE_1)
	v_dual_mov_b32 v3, s10 :: v_dual_add_nc_u32 v2, 0x240, v5
	s_add_i32 s5, s5, 1
	s_add_i32 s6, s6, 1
	;; [unrolled: 1-line block ×3, first 2 shown]
	s_cmp_ge_i32 s5, s20
	ds_load_b32 v3, v3
	s_waitcnt lgkmcnt(0)
	v_div_scale_f32 v5, null, v3, v3, v4
	v_div_scale_f32 v8, vcc_lo, v4, v3, v4
	s_delay_alu instid0(VALU_DEP_2) | instskip(SKIP_2) | instid1(VALU_DEP_1)
	v_rcp_f32_e32 v6, v5
	s_waitcnt_depctr 0xfff
	v_fma_f32 v7, -v5, v6, 1.0
	v_fmac_f32_e32 v6, v7, v6
	s_delay_alu instid0(VALU_DEP_1) | instskip(NEXT) | instid1(VALU_DEP_1)
	v_mul_f32_e32 v7, v8, v6
	v_fma_f32 v9, -v5, v7, v8
	s_delay_alu instid0(VALU_DEP_1) | instskip(NEXT) | instid1(VALU_DEP_1)
	v_fmac_f32_e32 v7, v9, v6
	v_fma_f32 v5, -v5, v7, v8
	s_delay_alu instid0(VALU_DEP_1) | instskip(SKIP_1) | instid1(VALU_DEP_2)
	v_div_fmas_f32 v5, v5, v6, v7
	v_add_nc_u16 v6, s7, 1
	v_div_fixup_f32 v3, v5, v3, v4
	s_delay_alu instid0(VALU_DEP_2)
	v_readfirstlane_b32 s7, v6
	ds_store_b32 v2, v3
	s_cbranch_scc1 .LBB15_99
.LBB15_91:                              ; =>This Loop Header: Depth=1
                                        ;     Child Loop BB15_94 Depth 2
                                        ;     Child Loop BB15_98 Depth 2
	s_mul_i32 s10, s5, 12
	s_cmp_eq_u32 s5, 0
	v_add_lshl_u32 v5, s10, v0, 2
	ds_load_b32 v4, v5 offset:576
	s_cbranch_scc1 .LBB15_90
; %bb.92:                               ;   in Loop: Header=BB15_91 Depth=1
	s_add_i32 s10, s1, s6
	s_delay_alu instid0(SALU_CYCLE_1)
	s_cmp_lt_u32 s10, 7
	s_cbranch_scc1 .LBB15_96
; %bb.93:                               ;   in Loop: Header=BB15_91 Depth=1
	v_mov_b32_e32 v2, v1
	s_and_b32 s10, s5, -8
	s_mov_b32 s11, 0
	s_mov_b32 s13, s4
	s_set_inst_prefetch_distance 0x1
	.p2align	6
.LBB15_94:                              ;   Parent Loop BB15_91 Depth=1
                                        ; =>  This Inner Loop Header: Depth=2
	v_mov_b32_e32 v3, s13
	s_add_i32 s11, s11, 8
	s_add_i32 s13, s13, 32
	s_cmp_eq_u32 s10, s11
	ds_load_2addr_b32 v[14:15], v2 offset1:12
	ds_load_b128 v[6:9], v3
	ds_load_2addr_b32 v[16:17], v2 offset0:24 offset1:36
	ds_load_2addr_b32 v[18:19], v2 offset0:48 offset1:60
	ds_load_b128 v[10:13], v3 offset:16
	s_waitcnt lgkmcnt(3)
	v_fma_f32 v3, -v14, v6, v4
	s_delay_alu instid0(VALU_DEP_1) | instskip(SKIP_4) | instid1(VALU_DEP_1)
	v_fma_f32 v6, -v15, v7, v3
	ds_load_2addr_b32 v[3:4], v2 offset0:72 offset1:84
	v_add_nc_u32_e32 v2, 0x180, v2
	s_waitcnt lgkmcnt(3)
	v_fma_f32 v6, -v16, v8, v6
	v_fma_f32 v6, -v17, v9, v6
	s_waitcnt lgkmcnt(1)
	s_delay_alu instid0(VALU_DEP_1) | instskip(NEXT) | instid1(VALU_DEP_1)
	v_fma_f32 v6, -v18, v10, v6
	v_fma_f32 v6, -v19, v11, v6
	s_waitcnt lgkmcnt(0)
	s_delay_alu instid0(VALU_DEP_1) | instskip(NEXT) | instid1(VALU_DEP_1)
	v_fma_f32 v3, -v3, v12, v6
	v_fma_f32 v4, -v4, v13, v3
	s_cbranch_scc0 .LBB15_94
; %bb.95:                               ;   in Loop: Header=BB15_91 Depth=1
	s_set_inst_prefetch_distance 0x2
	s_and_b32 s11, s5, 7
	s_delay_alu instid0(SALU_CYCLE_1)
	s_cmp_eq_u32 s11, 0
	s_cbranch_scc0 .LBB15_97
	s_branch .LBB15_90
.LBB15_96:                              ;   in Loop: Header=BB15_91 Depth=1
	s_mov_b32 s10, 0
	s_and_b32 s11, s5, 7
	s_delay_alu instid0(SALU_CYCLE_1)
	s_cmp_eq_u32 s11, 0
	s_cbranch_scc1 .LBB15_90
.LBB15_97:                              ;   in Loop: Header=BB15_91 Depth=1
	v_mad_u64_u32 v[2:3], null, s10, 48, v[1:2]
	s_and_b32 s11, s7, 7
	s_lshl_b32 s10, s10, 2
.LBB15_98:                              ;   Parent Loop BB15_91 Depth=1
                                        ; =>  This Inner Loop Header: Depth=2
	s_delay_alu instid0(SALU_CYCLE_1)
	s_add_i32 s13, s4, s10
	s_add_i32 s11, s11, -1
	v_mov_b32_e32 v3, s13
	s_add_i32 s10, s10, 4
	s_cmp_lg_u32 s11, 0
	ds_load_b32 v6, v2
	ds_load_b32 v3, v3
	v_add_nc_u32_e32 v2, 48, v2
	s_waitcnt lgkmcnt(0)
	v_fma_f32 v4, -v6, v3, v4
	s_cbranch_scc1 .LBB15_98
	s_branch .LBB15_90
.LBB15_99:
	s_and_saveexec_b32 s1, s21
	s_cbranch_execz .LBB15_106
; %bb.100:
	v_lshlrev_b32_e32 v3, 2, v0
	s_ashr_i32 s1, s0, 31
	s_cmp_lt_u32 s12, 4
	s_mov_b32 s13, 0
	s_cbranch_scc1 .LBB15_103
; %bb.101:
	v_add_co_u32 v1, s4, s18, v3
	s_delay_alu instid0(VALU_DEP_1)
	v_add_co_ci_u32_e64 v2, null, s19, 0, s4
	v_lshl_or_b32 v0, v0, 2, 0x240
	s_and_b32 s13, s12, 0x7ffffffc
	s_mul_hi_i32 s14, s0, 12
	s_mul_i32 s15, s0, 12
	s_lshl_b64 s[4:5], s[0:1], 4
	s_lshl_b64 s[6:7], s[0:1], 3
	s_lshl_b64 s[10:11], s[0:1], 2
	s_mov_b32 s18, 0
	.p2align	6
.LBB15_102:                             ; =>This Inner Loop Header: Depth=1
	ds_load_2addr_b32 v[4:5], v0 offset1:12
	ds_load_2addr_b32 v[6:7], v0 offset0:24 offset1:36
	v_add_co_u32 v8, vcc_lo, v1, s10
	v_add_co_ci_u32_e32 v9, vcc_lo, s11, v2, vcc_lo
	v_add_co_u32 v10, vcc_lo, v1, s6
	v_add_co_ci_u32_e32 v11, vcc_lo, s7, v2, vcc_lo
	v_add_co_u32 v12, vcc_lo, v1, s15
	v_add_co_ci_u32_e32 v13, vcc_lo, s14, v2, vcc_lo
	v_add_nc_u32_e32 v0, 0xc0, v0
	s_add_i32 s18, s18, 4
	s_delay_alu instid0(SALU_CYCLE_1)
	s_cmp_lg_u32 s13, s18
	s_waitcnt lgkmcnt(1)
	global_store_b32 v[1:2], v4, off
	v_add_co_u32 v1, vcc_lo, v1, s4
	v_add_co_ci_u32_e32 v2, vcc_lo, s5, v2, vcc_lo
	global_store_b32 v[8:9], v5, off
	s_waitcnt lgkmcnt(0)
	s_clause 0x1
	global_store_b32 v[10:11], v6, off
	global_store_b32 v[12:13], v7, off
	s_cbranch_scc1 .LBB15_102
.LBB15_103:
	s_and_b32 s4, s12, 3
	s_delay_alu instid0(SALU_CYCLE_1)
	s_cmp_eq_u32 s4, 0
	s_cbranch_scc1 .LBB15_106
; %bb.104:
	s_mul_hi_i32 s7, s0, s13
	s_mul_i32 s6, s0, s13
	s_mul_i32 s5, s13, 48
	s_lshl_b64 s[6:7], s[6:7], 2
	v_add3_u32 v2, s5, v3, 0x240
	s_add_u32 s6, s6, s16
	s_addc_u32 s7, s7, s17
	s_add_u32 s6, s6, s8
	s_addc_u32 s7, s7, s9
	;; [unrolled: 2-line block ×3, first 2 shown]
	v_add_co_u32 v0, s2, s2, v3
	s_delay_alu instid0(VALU_DEP_1)
	v_add_co_ci_u32_e64 v1, null, s3, 0, s2
	s_lshl_b64 s[0:1], s[0:1], 2
.LBB15_105:                             ; =>This Inner Loop Header: Depth=1
	ds_load_b32 v3, v2
	v_add_nc_u32_e32 v2, 48, v2
	s_add_i32 s4, s4, -1
	s_delay_alu instid0(SALU_CYCLE_1)
	s_cmp_lg_u32 s4, 0
	s_waitcnt lgkmcnt(0)
	global_store_b32 v[0:1], v3, off
	v_add_co_u32 v0, vcc_lo, v0, s0
	v_add_co_ci_u32_e32 v1, vcc_lo, s1, v1, vcc_lo
	s_cbranch_scc1 .LBB15_105
.LBB15_106:
	s_nop 0
	s_sendmsg sendmsg(MSG_DEALLOC_VGPRS)
	s_endpgm
	.section	.rodata,"a",@progbits
	.p2align	6, 0x0
	.amdhsa_kernel _ZL31rocblas_trsm_small_right_deviceIffPKPKfPKPfLi12EEv13rocblas_fill_18rocblas_operation_17rocblas_diagonal_iiT0_T1_lilT2_lili
		.amdhsa_group_segment_fixed_size 1152
		.amdhsa_private_segment_fixed_size 0
		.amdhsa_kernarg_size 352
		.amdhsa_user_sgpr_count 14
		.amdhsa_user_sgpr_dispatch_ptr 0
		.amdhsa_user_sgpr_queue_ptr 0
		.amdhsa_user_sgpr_kernarg_segment_ptr 1
		.amdhsa_user_sgpr_dispatch_id 0
		.amdhsa_user_sgpr_private_segment_size 0
		.amdhsa_wavefront_size32 1
		.amdhsa_uses_dynamic_stack 0
		.amdhsa_enable_private_segment 0
		.amdhsa_system_sgpr_workgroup_id_x 1
		.amdhsa_system_sgpr_workgroup_id_y 0
		.amdhsa_system_sgpr_workgroup_id_z 1
		.amdhsa_system_sgpr_workgroup_info 0
		.amdhsa_system_vgpr_workitem_id 0
		.amdhsa_next_free_vgpr 31
		.amdhsa_next_free_sgpr 32
		.amdhsa_reserve_vcc 1
		.amdhsa_float_round_mode_32 0
		.amdhsa_float_round_mode_16_64 0
		.amdhsa_float_denorm_mode_32 3
		.amdhsa_float_denorm_mode_16_64 3
		.amdhsa_dx10_clamp 1
		.amdhsa_ieee_mode 1
		.amdhsa_fp16_overflow 0
		.amdhsa_workgroup_processor_mode 1
		.amdhsa_memory_ordered 1
		.amdhsa_forward_progress 0
		.amdhsa_shared_vgpr_count 0
		.amdhsa_exception_fp_ieee_invalid_op 0
		.amdhsa_exception_fp_denorm_src 0
		.amdhsa_exception_fp_ieee_div_zero 0
		.amdhsa_exception_fp_ieee_overflow 0
		.amdhsa_exception_fp_ieee_underflow 0
		.amdhsa_exception_fp_ieee_inexact 0
		.amdhsa_exception_int_div_zero 0
	.end_amdhsa_kernel
	.section	.text._ZL31rocblas_trsm_small_right_deviceIffPKPKfPKPfLi12EEv13rocblas_fill_18rocblas_operation_17rocblas_diagonal_iiT0_T1_lilT2_lili,"axG",@progbits,_ZL31rocblas_trsm_small_right_deviceIffPKPKfPKPfLi12EEv13rocblas_fill_18rocblas_operation_17rocblas_diagonal_iiT0_T1_lilT2_lili,comdat
.Lfunc_end15:
	.size	_ZL31rocblas_trsm_small_right_deviceIffPKPKfPKPfLi12EEv13rocblas_fill_18rocblas_operation_17rocblas_diagonal_iiT0_T1_lilT2_lili, .Lfunc_end15-_ZL31rocblas_trsm_small_right_deviceIffPKPKfPKPfLi12EEv13rocblas_fill_18rocblas_operation_17rocblas_diagonal_iiT0_T1_lilT2_lili
                                        ; -- End function
	.section	.AMDGPU.csdata,"",@progbits
; Kernel info:
; codeLenInByte = 8380
; NumSgprs: 34
; NumVgprs: 31
; ScratchSize: 0
; MemoryBound: 0
; FloatMode: 240
; IeeeMode: 1
; LDSByteSize: 1152 bytes/workgroup (compile time only)
; SGPRBlocks: 4
; VGPRBlocks: 3
; NumSGPRsForWavesPerEU: 34
; NumVGPRsForWavesPerEU: 31
; Occupancy: 16
; WaveLimiterHint : 0
; COMPUTE_PGM_RSRC2:SCRATCH_EN: 0
; COMPUTE_PGM_RSRC2:USER_SGPR: 14
; COMPUTE_PGM_RSRC2:TRAP_HANDLER: 0
; COMPUTE_PGM_RSRC2:TGID_X_EN: 1
; COMPUTE_PGM_RSRC2:TGID_Y_EN: 0
; COMPUTE_PGM_RSRC2:TGID_Z_EN: 1
; COMPUTE_PGM_RSRC2:TIDIG_COMP_CNT: 0
	.section	.text._ZL38rocblas_trsm_small_left_device_sharedBILi16ELi16ELb0EffPKPKfPKPfEv13rocblas_fill_18rocblas_operation_17rocblas_diagonal_iiT3_T4_lilT5_lili,"axG",@progbits,_ZL38rocblas_trsm_small_left_device_sharedBILi16ELi16ELb0EffPKPKfPKPfEv13rocblas_fill_18rocblas_operation_17rocblas_diagonal_iiT3_T4_lilT5_lili,comdat
	.globl	_ZL38rocblas_trsm_small_left_device_sharedBILi16ELi16ELb0EffPKPKfPKPfEv13rocblas_fill_18rocblas_operation_17rocblas_diagonal_iiT3_T4_lilT5_lili ; -- Begin function _ZL38rocblas_trsm_small_left_device_sharedBILi16ELi16ELb0EffPKPKfPKPfEv13rocblas_fill_18rocblas_operation_17rocblas_diagonal_iiT3_T4_lilT5_lili
	.p2align	8
	.type	_ZL38rocblas_trsm_small_left_device_sharedBILi16ELi16ELb0EffPKPKfPKPfEv13rocblas_fill_18rocblas_operation_17rocblas_diagonal_iiT3_T4_lilT5_lili,@function
_ZL38rocblas_trsm_small_left_device_sharedBILi16ELi16ELb0EffPKPKfPKPfEv13rocblas_fill_18rocblas_operation_17rocblas_diagonal_iiT3_T4_lilT5_lili: ; @_ZL38rocblas_trsm_small_left_device_sharedBILi16ELi16ELb0EffPKPKfPKPfEv13rocblas_fill_18rocblas_operation_17rocblas_diagonal_iiT3_T4_lilT5_lili
; %bb.0:
	s_clause 0x1
	s_load_b128 s[8:11], s[0:1], 0x38
	s_load_b128 s[4:7], s[0:1], 0x4
	s_mov_b32 s12, s15
	s_mov_b32 s13, 0
	s_delay_alu instid0(SALU_CYCLE_1)
	s_lshl_b64 s[20:21], s[12:13], 3
	s_mov_b32 s12, exec_lo
	s_waitcnt lgkmcnt(0)
	s_add_u32 s2, s8, s20
	s_addc_u32 s3, s9, s21
	s_load_b32 s27, s[0:1], 0x14
	s_load_b64 s[2:3], s[2:3], 0x0
	s_min_i32 s15, s6, 16
	s_delay_alu instid0(SALU_CYCLE_1)
	s_add_i32 s26, s15, -1
	v_cmpx_gt_i32_e64 s15, v0
	s_cbranch_execz .LBB16_10
; %bb.1:
	s_clause 0x1
	s_load_b32 s8, s[0:1], 0x28
	s_load_b128 s[16:19], s[0:1], 0x18
	s_waitcnt lgkmcnt(0)
	s_ashr_i32 s9, s8, 31
	s_add_u32 s16, s16, s20
	s_addc_u32 s17, s17, s21
	s_cmp_lt_u32 s26, 3
	s_load_b64 s[16:17], s[16:17], 0x0
	s_cbranch_scc1 .LBB16_4
; %bb.2:
	v_lshlrev_b32_e32 v3, 2, v0
	s_lshl_b64 s[20:21], s[18:19], 2
	s_mul_hi_i32 s28, s8, 12
	s_waitcnt lgkmcnt(0)
	s_add_u32 s13, s16, s20
	s_addc_u32 s20, s17, s21
	v_add_co_u32 v1, s13, s13, v3
	s_delay_alu instid0(VALU_DEP_1)
	v_add_co_ci_u32_e64 v2, null, s20, 0, s13
	s_and_b32 s13, s15, -4
	s_mul_i32 s29, s8, 12
	s_lshl_b64 s[20:21], s[8:9], 4
	s_lshl_b64 s[22:23], s[8:9], 3
	;; [unrolled: 1-line block ×3, first 2 shown]
	s_mov_b32 s30, 0
	.p2align	6
.LBB16_3:                               ; =>This Inner Loop Header: Depth=1
	v_add_co_u32 v4, vcc_lo, v1, s24
	v_add_co_ci_u32_e32 v5, vcc_lo, s25, v2, vcc_lo
	v_add_co_u32 v6, vcc_lo, v1, s22
	v_add_co_ci_u32_e32 v7, vcc_lo, s23, v2, vcc_lo
	;; [unrolled: 2-line block ×3, first 2 shown]
	s_clause 0x3
	global_load_b32 v10, v[1:2], off
	global_load_b32 v4, v[4:5], off
	;; [unrolled: 1-line block ×4, first 2 shown]
	v_add_co_u32 v1, vcc_lo, v1, s20
	v_add_co_ci_u32_e32 v2, vcc_lo, s21, v2, vcc_lo
	s_add_i32 s30, s30, 4
	s_waitcnt vmcnt(2)
	ds_store_2addr_b32 v3, v10, v4 offset1:16
	s_waitcnt vmcnt(0)
	ds_store_2addr_b32 v3, v5, v6 offset0:32 offset1:48
	v_add_nc_u32_e32 v3, 0x100, v3
	s_cmp_eq_u32 s13, s30
	s_cbranch_scc0 .LBB16_3
.LBB16_4:
	s_and_b32 s20, s15, 3
	s_delay_alu instid0(SALU_CYCLE_1)
	s_cmp_eq_u32 s20, 0
	s_cbranch_scc1 .LBB16_7
; %bb.5:
	s_mul_i32 s21, s9, s13
	s_mul_hi_u32 s22, s8, s13
	v_lshlrev_b32_e32 v1, 2, v0
	s_add_i32 s23, s22, s21
	s_mul_i32 s22, s8, s13
	s_lshl_b64 s[18:19], s[18:19], 2
	s_lshl_b64 s[22:23], s[22:23], 2
	v_lshl_or_b32 v3, s13, 6, v1
	s_add_u32 s13, s22, s18
	s_addc_u32 s18, s23, s19
	s_waitcnt lgkmcnt(0)
	s_add_u32 s13, s16, s13
	s_addc_u32 s16, s17, s18
	v_add_co_u32 v1, s13, s13, v1
	s_delay_alu instid0(VALU_DEP_1)
	v_add_co_ci_u32_e64 v2, null, s16, 0, s13
	s_lshl_b64 s[8:9], s[8:9], 2
.LBB16_6:                               ; =>This Inner Loop Header: Depth=1
	global_load_b32 v4, v[1:2], off
	v_add_co_u32 v1, vcc_lo, v1, s8
	v_add_co_ci_u32_e32 v2, vcc_lo, s9, v2, vcc_lo
	s_add_i32 s20, s20, -1
	s_delay_alu instid0(SALU_CYCLE_1)
	s_cmp_lg_u32 s20, 0
	s_waitcnt vmcnt(0)
	ds_store_b32 v3, v4
	v_add_nc_u32_e32 v3, 64, v3
	s_cbranch_scc1 .LBB16_6
.LBB16_7:
	v_mul_u32_u24_e32 v1, 17, v0
	s_cmpk_lg_i32 s5, 0x84
	s_delay_alu instid0(VALU_DEP_1)
	v_dual_mov_b32 v2, 1.0 :: v_dual_lshlrev_b32 v1, 2, v1
	s_cbranch_scc0 .LBB16_9
; %bb.8:
	ds_load_b32 v2, v1
	s_waitcnt lgkmcnt(0)
	v_div_scale_f32 v3, null, v2, v2, 1.0
	s_delay_alu instid0(VALU_DEP_1) | instskip(SKIP_2) | instid1(VALU_DEP_1)
	v_rcp_f32_e32 v4, v3
	s_waitcnt_depctr 0xfff
	v_fma_f32 v5, -v3, v4, 1.0
	v_fmac_f32_e32 v4, v5, v4
	v_div_scale_f32 v5, vcc_lo, 1.0, v2, 1.0
	s_delay_alu instid0(VALU_DEP_1) | instskip(NEXT) | instid1(VALU_DEP_1)
	v_mul_f32_e32 v6, v5, v4
	v_fma_f32 v7, -v3, v6, v5
	s_delay_alu instid0(VALU_DEP_1) | instskip(NEXT) | instid1(VALU_DEP_1)
	v_fmac_f32_e32 v6, v7, v4
	v_fma_f32 v3, -v3, v6, v5
	s_delay_alu instid0(VALU_DEP_1) | instskip(NEXT) | instid1(VALU_DEP_1)
	v_div_fmas_f32 v3, v3, v4, v6
	v_div_fixup_f32 v2, v3, v2, 1.0
.LBB16_9:
	ds_store_b32 v1, v2
.LBB16_10:
	s_or_b32 exec_lo, exec_lo, s12
	s_load_b32 s5, s[0:1], 0x60
	s_waitcnt lgkmcnt(0)
	s_load_b32 s16, s[0:1], 0x48
	s_lshl_b64 s[0:1], s[10:11], 2
	s_waitcnt lgkmcnt(0)
	s_ashr_i32 s17, s16, 31
	s_add_u32 s12, s2, s0
	s_addc_u32 s13, s3, s1
	s_lshl_b32 s8, s14, 4
	s_add_i32 s5, s5, -1
	s_sub_i32 s7, s7, s8
	s_mul_hi_i32 s11, s16, s8
	s_cmp_ge_u32 s14, s5
	s_mul_i32 s10, s16, s8
	s_cselect_b32 s14, s7, 16
	s_lshl_b64 s[10:11], s[10:11], 2
	s_ashr_i32 s9, s8, 31
	s_add_u32 s5, s12, s10
	s_addc_u32 s7, s13, s11
	v_cmp_gt_i32_e32 vcc_lo, s14, v0
	s_cmp_gt_i32 s6, 0
	s_mov_b32 s10, 0
	s_cselect_b32 s11, -1, 0
	s_delay_alu instid0(SALU_CYCLE_1) | instskip(NEXT) | instid1(SALU_CYCLE_1)
	s_and_b32 s14, vcc_lo, s11
	s_and_saveexec_b32 s18, s14
	s_cbranch_execz .LBB16_17
; %bb.11:
	s_cmp_lt_i32 s6, 8
	s_cbranch_scc1 .LBB16_14
; %bb.12:
	v_mad_i64_i32 v[1:2], null, s16, v0, 0
	v_lshl_or_b32 v3, v0, 2, 0x400
	s_lshl_b32 s10, s15, 2
	s_mov_b64 s[12:13], 0
	s_and_b32 s11, s10, 0x60
	s_mov_b32 s10, 0
	s_delay_alu instid0(VALU_DEP_2) | instskip(NEXT) | instid1(VALU_DEP_1)
	v_lshlrev_b64 v[1:2], 2, v[1:2]
	v_add_co_u32 v1, vcc_lo, s5, v1
	s_delay_alu instid0(VALU_DEP_2)
	v_add_co_ci_u32_e32 v2, vcc_lo, s7, v2, vcc_lo
	.p2align	6
.LBB16_13:                              ; =>This Inner Loop Header: Depth=1
	s_delay_alu instid0(VALU_DEP_2) | instskip(NEXT) | instid1(VALU_DEP_2)
	v_add_co_u32 v8, vcc_lo, v1, s12
	v_add_co_ci_u32_e32 v9, vcc_lo, s13, v2, vcc_lo
	s_add_i32 s10, s10, 8
	s_add_u32 s12, s12, 32
	s_addc_u32 s13, s13, 0
	s_clause 0x1
	global_load_b128 v[4:7], v[8:9], off
	global_load_b128 v[8:11], v[8:9], off offset:16
	s_cmp_lg_u32 s11, s12
	s_waitcnt vmcnt(1)
	v_dual_mul_f32 v4, s27, v4 :: v_dual_mul_f32 v5, s27, v5
	v_dual_mul_f32 v6, s27, v6 :: v_dual_mul_f32 v7, s27, v7
	s_waitcnt vmcnt(0)
	v_dual_mul_f32 v8, s27, v8 :: v_dual_mul_f32 v9, s27, v9
	v_dual_mul_f32 v10, s27, v10 :: v_dual_mul_f32 v11, s27, v11
	ds_store_2addr_b32 v3, v4, v5 offset1:16
	ds_store_2addr_b32 v3, v6, v7 offset0:32 offset1:48
	ds_store_2addr_b32 v3, v8, v9 offset0:64 offset1:80
	;; [unrolled: 1-line block ×3, first 2 shown]
	v_add_nc_u32_e32 v3, 0x200, v3
	s_cbranch_scc1 .LBB16_13
.LBB16_14:
	s_and_b32 s12, s15, 7
	s_mov_b32 s11, 0
	s_cmp_eq_u32 s12, 0
	s_cbranch_scc1 .LBB16_17
; %bb.15:
	v_lshlrev_b32_e32 v3, 2, v0
	s_lshl_b64 s[20:21], s[8:9], 2
	s_lshl_b64 s[22:23], s[10:11], 2
	s_delay_alu instid0(VALU_DEP_1) | instskip(NEXT) | instid1(VALU_DEP_1)
	v_add_co_u32 v4, s11, s20, v3
	v_add_co_ci_u32_e64 v5, null, s21, 0, s11
	s_add_u32 s11, s2, s22
	s_addc_u32 s13, s3, s23
	s_add_u32 s20, s11, s0
	s_addc_u32 s21, s13, s1
	v_mul_lo_u32 v5, v5, s16
	v_mad_u64_u32 v[1:2], null, v4, s16, s[20:21]
	v_mul_lo_u32 v4, v4, s17
	v_lshl_or_b32 v3, s10, 6, v3
	s_delay_alu instid0(VALU_DEP_1) | instskip(NEXT) | instid1(VALU_DEP_3)
	v_add_nc_u32_e32 v3, 0x400, v3
	v_add3_u32 v2, v5, v2, v4
.LBB16_16:                              ; =>This Inner Loop Header: Depth=1
	global_load_b32 v4, v[1:2], off
	v_add_co_u32 v1, vcc_lo, v1, 4
	v_add_co_ci_u32_e32 v2, vcc_lo, 0, v2, vcc_lo
	s_add_i32 s12, s12, -1
	s_delay_alu instid0(SALU_CYCLE_1)
	s_cmp_lg_u32 s12, 0
	s_waitcnt vmcnt(0)
	v_mul_f32_e32 v4, s27, v4
	ds_store_b32 v3, v4
	v_add_nc_u32_e32 v3, 64, v3
	s_cbranch_scc1 .LBB16_16
.LBB16_17:
	s_or_b32 exec_lo, exec_lo, s18
	s_cmpk_eq_i32 s4, 0x6f
	s_mov_b32 s4, -1
	s_waitcnt vmcnt(0) lgkmcnt(0)
	s_waitcnt_vscnt null, 0x0
	; wave barrier
	s_waitcnt lgkmcnt(0)
	buffer_gl0_inv
	s_cbranch_scc1 .LBB16_42
; %bb.18:
	s_cmp_gt_i32 s6, 15
	s_cselect_b32 s12, -1, 0
	s_delay_alu instid0(SALU_CYCLE_1)
	s_and_b32 vcc_lo, exec_lo, s12
	s_cbranch_vccz .LBB16_20
; %bb.19:
	v_dual_mov_b32 v82, 0 :: v_dual_lshlrev_b32 v1, 2, v0
	s_mov_b32 s4, 16
	s_delay_alu instid0(VALU_DEP_1)
	v_add_nc_u32_e32 v81, 0x400, v1
	ds_load_2addr_b32 v[28:29], v81 offset1:16
	ds_load_b32 v17, v82
	ds_load_b64 v[40:41], v82 offset:64
	ds_load_b96 v[47:49], v82 offset:128
	ds_load_2addr_b32 v[44:45], v81 offset0:32 offset1:48
	ds_load_b128 v[1:4], v82 offset:192
	ds_load_b128 v[5:8], v82 offset:256
	ds_load_b32 v83, v82 offset:272
	ds_load_b128 v[9:12], v82 offset:320
	ds_load_b64 v[71:72], v82 offset:336
	ds_load_b128 v[13:16], v82 offset:384
	ds_load_2addr_b32 v[73:74], v81 offset0:64 offset1:80
	s_waitcnt lgkmcnt(10)
	v_mul_f32_e32 v84, v28, v17
	ds_load_b96 v[65:67], v82 offset:400
	ds_load_b128 v[17:20], v82 offset:448
	ds_load_b128 v[21:24], v82 offset:464
	;; [unrolled: 1-line block ×3, first 2 shown]
	s_waitcnt lgkmcnt(13)
	v_fma_f32 v42, -v84, v40, v29
	s_waitcnt lgkmcnt(11)
	v_fma_f32 v46, -v84, v47, v44
	;; [unrolled: 2-line block ×3, first 2 shown]
	ds_load_b128 v[29:32], v82 offset:528
	ds_load_b32 v85, v82 offset:544
	ds_load_b128 v[33:36], v82 offset:576
	ds_load_b128 v[37:40], v82 offset:592
	v_mul_f32_e32 v86, v42, v41
	s_waitcnt lgkmcnt(8)
	v_fma_f32 v5, -v84, v5, v73
	s_delay_alu instid0(VALU_DEP_2) | instskip(SKIP_1) | instid1(VALU_DEP_3)
	v_fma_f32 v50, -v86, v48, v46
	v_fma_f32 v1, -v86, v2, v1
	;; [unrolled: 1-line block ×3, first 2 shown]
	s_delay_alu instid0(VALU_DEP_3) | instskip(NEXT) | instid1(VALU_DEP_1)
	v_mul_f32_e32 v87, v50, v49
	v_fma_f32 v1, -v87, v3, v1
	v_fma_f32 v3, -v84, v9, v74
	s_delay_alu instid0(VALU_DEP_4) | instskip(NEXT) | instid1(VALU_DEP_3)
	v_fma_f32 v2, -v87, v7, v2
	v_mul_f32_e32 v88, v1, v4
	ds_load_2addr_b32 v[75:76], v81 offset0:96 offset1:112
	ds_load_b64 v[77:78], v82 offset:608
	ds_load_b128 v[41:44], v82 offset:640
	ds_load_b128 v[45:48], v82 offset:656
	ds_load_b96 v[68:70], v82 offset:672
	ds_load_2addr_b32 v[79:80], v81 offset0:128 offset1:144
	ds_load_b128 v[49:52], v82 offset:704
	ds_load_b128 v[53:56], v82 offset:720
	;; [unrolled: 1-line block ×4, first 2 shown]
	ds_load_2addr_b32 v[73:74], v81 offset0:160 offset1:176
	v_fma_f32 v10, -v86, v10, v3
	s_waitcnt lgkmcnt(10)
	v_fma_f32 v9, -v84, v13, v75
	v_fma_f32 v13, -v84, v17, v76
	;; [unrolled: 1-line block ×3, first 2 shown]
	ds_load_b128 v[1:4], v82 offset:784
	ds_load_b128 v[5:8], v82 offset:800
	v_fma_f32 v9, -v86, v14, v9
	v_fma_f32 v13, -v86, v18, v13
	s_waitcnt lgkmcnt(7)
	v_fma_f32 v18, -v84, v33, v80
	v_mul_f32_e32 v80, v17, v83
	v_fma_f32 v10, -v87, v11, v10
	v_fma_f32 v15, -v87, v15, v9
	;; [unrolled: 1-line block ×3, first 2 shown]
	s_waitcnt lgkmcnt(2)
	v_fma_f32 v33, -v84, v41, v73
	v_fma_f32 v34, -v86, v34, v18
	;; [unrolled: 1-line block ×4, first 2 shown]
	s_delay_alu instid0(VALU_DEP_3) | instskip(NEXT) | instid1(VALU_DEP_3)
	v_fma_f32 v34, -v87, v35, v34
	v_fma_f32 v19, -v80, v71, v19
	s_delay_alu instid0(VALU_DEP_2) | instskip(NEXT) | instid1(VALU_DEP_2)
	v_fma_f32 v83, -v88, v36, v34
	v_mul_f32_e32 v73, v19, v72
	v_fma_f32 v14, -v84, v25, v79
	ds_load_b32 v79, v82 offset:816
	ds_load_b128 v[9:12], v82 offset:832
	v_fma_f32 v37, -v80, v37, v83
	v_fma_f32 v25, -v86, v26, v14
	v_fma_f32 v26, -v88, v20, v13
	ds_load_b64 v[75:76], v82 offset:880
	ds_load_b128 v[13:16], v82 offset:896
	v_fma_f32 v25, -v87, v27, v25
	v_fma_f32 v27, -v80, v65, v17
	;; [unrolled: 1-line block ×3, first 2 shown]
	ds_load_b128 v[17:20], v82 offset:912
	v_fma_f32 v35, -v88, v28, v25
	v_fma_f32 v25, -v73, v66, v27
	ds_load_2addr_b32 v[65:66], v81 offset0:192 offset1:208
	v_fma_f32 v21, -v73, v22, v21
	v_fma_f32 v29, -v80, v29, v35
	v_mul_f32_e32 v67, v25, v67
	v_fma_f32 v33, -v86, v42, v33
	s_delay_alu instid0(VALU_DEP_3) | instskip(NEXT) | instid1(VALU_DEP_3)
	v_fma_f32 v29, -v73, v30, v29
	v_fma_f32 v21, -v67, v23, v21
	s_delay_alu instid0(VALU_DEP_3)
	v_fma_f32 v33, -v87, v43, v33
	v_fma_f32 v30, -v73, v38, v37
	ds_load_b96 v[41:43], v82 offset:944
	ds_load_b128 v[25:28], v82 offset:960
	ds_load_2addr_b32 v[71:72], v81 offset0:224 offset1:240
	v_fma_f32 v29, -v67, v31, v29
	v_mul_f32_e32 v31, v21, v24
	v_fma_f32 v22, -v88, v44, v33
	v_fma_f32 v23, -v84, v49, v74
	;; [unrolled: 1-line block ×3, first 2 shown]
	ds_load_b128 v[33:36], v82 offset:976
	v_fma_f32 v29, -v31, v32, v29
	v_fma_f32 v22, -v80, v45, v22
	s_waitcnt lgkmcnt(4)
	v_fma_f32 v21, -v84, v61, v65
	v_fma_f32 v23, -v86, v50, v23
	;; [unrolled: 1-line block ×3, first 2 shown]
	v_mul_f32_e32 v29, v29, v85
	v_fma_f32 v22, -v73, v46, v22
	v_fma_f32 v30, -v86, v62, v21
	;; [unrolled: 1-line block ×8, first 2 shown]
	s_waitcnt lgkmcnt(1)
	v_fma_f32 v13, -v84, v13, v71
	v_mul_f32_e32 v38, v38, v78
	v_fma_f32 v37, -v31, v48, v22
	ds_load_b128 v[21:24], v82 offset:848
	v_fma_f32 v32, -v80, v53, v32
	v_fma_f32 v9, -v86, v10, v9
	;; [unrolled: 1-line block ×14, first 2 shown]
	ds_load_b128 v[9:12], v82 offset:864
	v_fma_f32 v15, -v86, v26, v25
	v_mul_f32_e32 v30, v32, v70
	v_fma_f32 v1, -v67, v3, v1
	v_fma_f32 v2, -v88, v16, v2
	s_waitcnt lgkmcnt(1)
	v_fma_f32 v14, -v80, v21, v14
	v_fma_f32 v21, -v31, v56, v13
	;; [unrolled: 1-line block ×6, first 2 shown]
	ds_load_b128 v[13:16], v82 offset:928
	v_fma_f32 v17, -v29, v57, v21
	v_fma_f32 v21, -v88, v28, v3
	;; [unrolled: 1-line block ×4, first 2 shown]
	ds_load_b128 v[1:4], v82 offset:992
	v_fma_f32 v17, -v38, v58, v17
	v_fma_f32 v21, -v80, v33, v21
	;; [unrolled: 1-line block ×8, first 2 shown]
	s_waitcnt lgkmcnt(2)
	v_fma_f32 v6, -v29, v9, v22
	v_fma_f32 v9, -v31, v20, v18
	v_mul_f32_e32 v17, v17, v60
	v_fma_f32 v18, -v67, v35, v19
	v_fma_f32 v5, -v30, v7, v5
	;; [unrolled: 1-line block ×3, first 2 shown]
	s_waitcnt lgkmcnt(1)
	v_fma_f32 v7, -v29, v13, v9
	v_fma_f32 v9, -v31, v36, v18
	;; [unrolled: 1-line block ×4, first 2 shown]
	s_delay_alu instid0(VALU_DEP_4)
	v_fma_f32 v13, -v38, v14, v7
	ds_load_b128 v[5:8], v82 offset:1008
	s_waitcnt lgkmcnt(1)
	v_fma_f32 v1, -v29, v1, v9
	v_mul_f32_e32 v9, v10, v79
	v_fma_f32 v10, -v17, v12, v11
	v_fma_f32 v11, -v30, v15, v13
	ds_store_2addr_b32 v81, v84, v86 offset1:16
	ds_store_2addr_b32 v81, v87, v88 offset0:32 offset1:48
	ds_store_2addr_b32 v81, v80, v73 offset0:64 offset1:80
	;; [unrolled: 1-line block ×3, first 2 shown]
	v_fma_f32 v1, -v38, v2, v1
	v_fma_f32 v2, -v9, v75, v10
	;; [unrolled: 1-line block ×3, first 2 shown]
	s_delay_alu instid0(VALU_DEP_3) | instskip(NEXT) | instid1(VALU_DEP_3)
	v_fma_f32 v1, -v30, v3, v1
	v_mul_f32_e32 v2, v2, v76
	s_delay_alu instid0(VALU_DEP_3) | instskip(NEXT) | instid1(VALU_DEP_3)
	v_fma_f32 v3, -v9, v41, v10
	v_fma_f32 v1, -v17, v4, v1
	s_delay_alu instid0(VALU_DEP_2) | instskip(SKIP_1) | instid1(VALU_DEP_2)
	v_fma_f32 v3, -v2, v42, v3
	s_waitcnt lgkmcnt(4)
	v_fma_f32 v1, -v9, v5, v1
	s_delay_alu instid0(VALU_DEP_2) | instskip(SKIP_4) | instid1(VALU_DEP_1)
	v_mul_f32_e32 v3, v3, v43
	ds_store_2addr_b32 v81, v29, v38 offset0:128 offset1:144
	ds_store_2addr_b32 v81, v30, v17 offset0:160 offset1:176
	;; [unrolled: 1-line block ×3, first 2 shown]
	v_fma_f32 v1, -v2, v6, v1
	v_fma_f32 v1, -v3, v7, v1
	s_delay_alu instid0(VALU_DEP_1)
	v_mul_f32_e32 v1, v1, v8
	ds_store_2addr_b32 v81, v3, v1 offset0:224 offset1:240
	s_cmp_lt_i32 s4, s15
	s_cbranch_scc1 .LBB16_21
	s_branch .LBB16_41
.LBB16_20:
	s_mov_b32 s4, 0
	s_delay_alu instid0(SALU_CYCLE_1)
	s_cmp_lt_i32 s4, s15
	s_cbranch_scc0 .LBB16_41
.LBB16_21:
	s_or_b32 s11, s4, 11
	s_delay_alu instid0(SALU_CYCLE_1)
	s_cmp_ge_u32 s11, s15
	s_cbranch_scc1 .LBB16_30
; %bb.22:
	s_lshl_b32 s10, s4, 4
	s_lshl_b32 s11, s11, 4
	v_or_b32_e32 v1, s10, v0
	s_and_not1_b32 vcc_lo, exec_lo, s12
	s_delay_alu instid0(VALU_DEP_1) | instskip(SKIP_1) | instid1(VALU_DEP_2)
	v_lshlrev_b32_e32 v13, 2, v1
	v_or_b32_e32 v1, s11, v0
	v_add_nc_u32_e32 v2, 0x400, v13
	s_delay_alu instid0(VALU_DEP_2)
	v_lshlrev_b32_e32 v15, 2, v1
	ds_load_2addr_b32 v[9:10], v2 offset1:16
	ds_load_2addr_b32 v[7:8], v2 offset0:32 offset1:48
	ds_load_2addr_b32 v[5:6], v2 offset0:64 offset1:80
	;; [unrolled: 1-line block ×4, first 2 shown]
	ds_load_b32 v12, v13 offset:1664
	ds_load_b32 v11, v15 offset:1024
	s_cbranch_vccnz .LBB16_29
; %bb.23:
	s_max_u32 s13, s4, 1
	s_delay_alu instid0(SALU_CYCLE_1)
	s_cmp_eq_u32 s13, 1
	s_cbranch_scc1 .LBB16_26
; %bb.24:
	v_lshl_or_b32 v14, v0, 2, 0x400
	s_and_b32 s12, s13, 16
	s_lshl_b32 s18, s4, 6
	s_mov_b32 s19, 0
.LBB16_25:                              ; =>This Inner Loop Header: Depth=1
	v_mov_b32_e32 v36, s18
	ds_load_2addr_b32 v[40:41], v14 offset1:16
	v_add_nc_u32_e32 v14, 0x80, v14
	s_add_i32 s19, s19, 2
	s_add_i32 s18, s18, 8
	ds_load_2addr_b64 v[16:19], v36 offset1:8
	ds_load_2addr_b64 v[20:23], v36 offset0:16 offset1:24
	ds_load_2addr_b64 v[24:27], v36 offset0:32 offset1:40
	;; [unrolled: 1-line block ×5, first 2 shown]
	s_cmp_lg_u32 s12, s19
	s_waitcnt lgkmcnt(5)
	v_fma_f32 v9, -v40, v16, v9
	v_fma_f32 v10, -v40, v18, v10
	s_waitcnt lgkmcnt(4)
	v_fma_f32 v7, -v40, v20, v7
	v_fma_f32 v8, -v40, v22, v8
	;; [unrolled: 3-line block ×6, first 2 shown]
	v_fma_f32 v9, -v41, v17, v9
	v_fma_f32 v10, -v41, v19, v10
	;; [unrolled: 1-line block ×12, first 2 shown]
	s_cbranch_scc1 .LBB16_25
	s_branch .LBB16_27
.LBB16_26:
	s_mov_b32 s12, 0
.LBB16_27:
	s_bitcmp0_b32 s13, 0
	s_cbranch_scc1 .LBB16_29
; %bb.28:
	v_lshlrev_b32_e32 v14, 2, v0
	s_add_i32 s13, s10, s12
	s_delay_alu instid0(SALU_CYCLE_1) | instskip(NEXT) | instid1(SALU_CYCLE_1)
	s_lshl_b32 s13, s13, 2
	v_mov_b32_e32 v26, s13
	s_delay_alu instid0(VALU_DEP_2)
	v_lshl_or_b32 v14, s12, 6, v14
	s_add_i32 s12, s11, s12
	ds_load_2addr_b32 v[16:17], v26 offset1:16
	ds_load_b32 v14, v14 offset:1024
	s_lshl_b32 s12, s12, 2
	ds_load_2addr_b32 v[18:19], v26 offset0:32 offset1:48
	v_mov_b32_e32 v27, s12
	ds_load_2addr_b32 v[20:21], v26 offset0:64 offset1:80
	ds_load_2addr_b32 v[22:23], v26 offset0:96 offset1:112
	;; [unrolled: 1-line block ×3, first 2 shown]
	ds_load_b32 v26, v26 offset:640
	ds_load_b32 v27, v27
	s_waitcnt lgkmcnt(6)
	v_fma_f32 v9, -v14, v16, v9
	v_fma_f32 v10, -v14, v17, v10
	s_waitcnt lgkmcnt(5)
	v_fma_f32 v7, -v14, v18, v7
	v_fma_f32 v8, -v14, v19, v8
	;; [unrolled: 3-line block ×5, first 2 shown]
	s_waitcnt lgkmcnt(1)
	v_fma_f32 v12, -v14, v26, v12
	s_waitcnt lgkmcnt(0)
	v_fma_f32 v11, -v14, v27, v11
.LBB16_29:
	s_mul_i32 s13, s4, 0x44
	s_or_b32 s12, s10, 16
	v_mov_b32_e32 v38, s13
	s_add_i32 s13, s12, s4
	s_add_i32 s11, s11, s4
	s_lshl_b32 s18, s13, 2
	s_or_b32 s13, s10, 32
	v_add_nc_u32_e32 v14, 0x400, v13
	s_or_b32 s19, s13, s4
	s_lshl_b32 s11, s11, 2
	s_lshl_b32 s19, s19, 2
	s_delay_alu instid0(SALU_CYCLE_1)
	v_dual_mov_b32 v16, s19 :: v_dual_add_nc_u32 v13, 0x400, v15
	v_mov_b32_e32 v15, s18
	s_or_b32 s18, s10, 48
	s_or_b32 s19, s10, 64
	s_add_i32 s20, s18, s4
	ds_load_b96 v[31:33], v16
	s_lshl_b32 s20, s20, 2
	ds_load_b64 v[36:37], v15
	v_mov_b32_e32 v15, s20
	ds_load_2addr_b32 v[34:35], v38 offset1:68
	s_or_b32 s20, s19, s4
	v_mov_b32_e32 v46, s11
	s_lshl_b32 s21, s20, 2
	ds_load_b128 v[15:18], v15
	v_mov_b32_e32 v19, s21
	s_or_b32 s21, s10, 0x60
	s_or_b32 s20, s10, 0x50
	s_or_b32 s23, s21, s4
	s_add_i32 s22, s20, s4
	s_lshl_b32 s23, s23, 2
	s_lshl_b32 s22, s22, 2
	s_waitcnt lgkmcnt(1)
	v_dual_mul_f32 v39, v9, v34 :: v_dual_mov_b32 v34, s23
	ds_load_b128 v[19:22], v19
	s_or_b32 s23, s10, 0x80
	v_fma_f32 v10, -v39, v36, v10
	s_or_b32 s25, s23, s4
	s_delay_alu instid0(SALU_CYCLE_1) | instskip(NEXT) | instid1(VALU_DEP_1)
	s_lshl_b32 s25, s25, 2
	v_mul_f32_e32 v40, v10, v37
	v_fma_f32 v7, -v39, v31, v7
	s_waitcnt lgkmcnt(1)
	v_fma_f32 v8, -v39, v15, v8
	s_delay_alu instid0(VALU_DEP_2) | instskip(NEXT) | instid1(VALU_DEP_2)
	v_fma_f32 v7, -v40, v32, v7
	v_fma_f32 v8, -v40, v16, v8
	s_delay_alu instid0(VALU_DEP_2) | instskip(SKIP_2) | instid1(VALU_DEP_2)
	v_mul_f32_e32 v41, v7, v33
	s_waitcnt lgkmcnt(0)
	v_fma_f32 v5, -v39, v19, v5
	v_fma_f32 v7, -v41, v17, v8
	v_mov_b32_e32 v9, s22
	s_or_b32 s22, s10, 0x70
	s_delay_alu instid0(VALU_DEP_3)
	v_fma_f32 v5, -v40, v20, v5
	s_add_i32 s24, s22, s4
	v_mul_f32_e32 v42, v7, v18
	ds_load_b128 v[23:26], v9
	ds_load_b128 v[27:30], v34
	s_lshl_b32 s24, s24, 2
	ds_load_2addr_b32 v[36:37], v38 offset0:102 offset1:119
	v_mov_b32_e32 v19, s24
	s_or_b32 s24, s10, 0x90
	ds_load_b64 v[9:10], v9 offset:16
	ds_load_b64 v[31:32], v34 offset:16
	s_or_b32 s10, s10, 0xa0
	ds_store_b32 v14, v39
	v_or_b32_e32 v14, s24, v0
	s_delay_alu instid0(VALU_DEP_1)
	v_lshlrev_b32_e32 v14, 2, v14
	s_waitcnt lgkmcnt(5)
	v_fma_f32 v15, -v39, v23, v6
	v_mov_b32_e32 v23, s25
	s_add_i32 s25, s24, s4
	s_waitcnt lgkmcnt(4)
	v_fma_f32 v3, -v39, v27, v3
	s_lshl_b32 s25, s25, 2
	v_fma_f32 v15, -v40, v24, v15
	v_mov_b32_e32 v44, s25
	v_fma_f32 v16, -v41, v21, v5
	ds_load_b128 v[5:8], v19
	v_fma_f32 v3, -v40, v28, v3
	v_fma_f32 v21, -v41, v25, v15
	s_or_b32 s25, s10, s4
	v_fma_f32 v20, -v42, v22, v16
	ds_load_b128 v[15:18], v23
	v_fma_f32 v3, -v41, v29, v3
	s_lshl_b32 s25, s25, 2
	s_or_b32 s4, s4, 12
	v_mul_f32_e32 v43, v20, v35
	v_fma_f32 v20, -v42, v26, v21
	v_fma_f32 v27, -v42, v30, v3
	v_mov_b32_e32 v45, s25
	s_waitcnt lgkmcnt(4)
	s_delay_alu instid0(VALU_DEP_3) | instskip(SKIP_2) | instid1(VALU_DEP_2)
	v_fma_f32 v9, -v43, v9, v20
	s_waitcnt lgkmcnt(1)
	v_fma_f32 v3, -v39, v5, v4
	v_mul_f32_e32 v47, v9, v10
	s_delay_alu instid0(VALU_DEP_2)
	v_fma_f32 v28, -v40, v6, v3
	ds_load_b128 v[3:6], v23 offset:16
	ds_load_b96 v[33:35], v19 offset:16
	ds_load_b128 v[19:22], v44
	ds_load_b128 v[23:26], v45
	s_waitcnt lgkmcnt(4)
	v_fma_f32 v1, -v39, v15, v1
	v_fma_f32 v9, -v43, v31, v27
	;; [unrolled: 1-line block ×3, first 2 shown]
	ds_load_b128 v[27:30], v46
	v_fma_f32 v1, -v40, v16, v1
	v_fma_f32 v15, -v47, v32, v9
	;; [unrolled: 1-line block ×3, first 2 shown]
	ds_load_b128 v[7:10], v44 offset:16
	ds_load_b32 v44, v44 offset:32
	v_fma_f32 v1, -v41, v17, v1
	v_mul_f32_e32 v36, v15, v36
	s_delay_alu instid0(VALU_DEP_2)
	v_fma_f32 v1, -v42, v18, v1
	s_waitcnt lgkmcnt(4)
	v_fma_f32 v2, -v39, v19, v2
	v_fma_f32 v19, -v43, v33, v16
	s_waitcnt lgkmcnt(3)
	v_fma_f32 v12, -v39, v23, v12
	v_fma_f32 v1, -v43, v3, v1
	ds_load_b128 v[15:18], v45 offset:16
	v_fma_f32 v2, -v40, v20, v2
	v_fma_f32 v23, -v47, v34, v19
	ds_load_b128 v[31:34], v46 offset:16
	s_waitcnt lgkmcnt(4)
	v_fma_f32 v11, -v39, v27, v11
	v_fma_f32 v1, -v47, v4, v1
	;; [unrolled: 1-line block ×4, first 2 shown]
	ds_load_2addr_b32 v[19:20], v38 offset0:136 offset1:153
	v_fma_f32 v4, -v40, v28, v11
	v_fma_f32 v12, -v36, v35, v23
	;; [unrolled: 1-line block ×5, first 2 shown]
	s_delay_alu instid0(VALU_DEP_4)
	v_mul_f32_e32 v11, v12, v37
	s_waitcnt lgkmcnt(4)
	v_fma_f32 v2, -v43, v7, v2
	v_fma_f32 v7, -v41, v29, v4
	;; [unrolled: 1-line block ×3, first 2 shown]
	ds_load_b64 v[4:5], v45 offset:32
	v_fma_f32 v6, -v11, v6, v1
	v_fma_f32 v2, -v47, v8, v2
	;; [unrolled: 1-line block ×3, first 2 shown]
	s_waitcnt lgkmcnt(3)
	v_fma_f32 v3, -v43, v15, v3
	s_delay_alu instid0(VALU_DEP_3)
	v_fma_f32 v8, -v36, v9, v2
	s_waitcnt lgkmcnt(2)
	v_fma_f32 v12, -v43, v31, v7
	s_waitcnt lgkmcnt(1)
	v_mul_f32_e32 v15, v6, v19
	ds_load_2addr_b32 v[6:7], v38 offset0:170 offset1:187
	v_fma_f32 v8, -v11, v10, v8
	v_fma_f32 v10, -v47, v32, v12
	v_or_b32_e32 v12, s23, v0
	s_delay_alu instid0(VALU_DEP_3) | instskip(NEXT) | instid1(VALU_DEP_3)
	v_fma_f32 v8, -v15, v44, v8
	v_fma_f32 v10, -v36, v33, v10
	s_delay_alu instid0(VALU_DEP_3)
	v_lshlrev_b32_e32 v12, 2, v12
	v_fma_f32 v9, -v47, v16, v3
	ds_load_b96 v[1:3], v46 offset:32
	v_mul_f32_e32 v8, v8, v20
	v_or_b32_e32 v16, s10, v0
	v_fma_f32 v9, -v36, v17, v9
	s_delay_alu instid0(VALU_DEP_2) | instskip(NEXT) | instid1(VALU_DEP_2)
	v_lshlrev_b32_e32 v16, 2, v16
	v_fma_f32 v9, -v11, v18, v9
	s_waitcnt lgkmcnt(2)
	s_delay_alu instid0(VALU_DEP_1) | instskip(NEXT) | instid1(VALU_DEP_1)
	v_fma_f32 v4, -v15, v4, v9
	v_fma_f32 v4, -v8, v5, v4
	v_or_b32_e32 v5, s18, v0
	s_waitcnt lgkmcnt(1)
	s_delay_alu instid0(VALU_DEP_2) | instskip(SKIP_1) | instid1(VALU_DEP_3)
	v_mul_f32_e32 v4, v4, v6
	v_or_b32_e32 v6, s19, v0
	v_lshlrev_b32_e32 v5, 2, v5
	s_delay_alu instid0(VALU_DEP_2) | instskip(SKIP_3) | instid1(VALU_DEP_2)
	v_lshlrev_b32_e32 v6, 2, v6
	v_fma_f32 v9, -v11, v34, v10
	v_or_b32_e32 v10, s22, v0
	s_waitcnt lgkmcnt(0)
	v_fma_f32 v1, -v15, v1, v9
	v_or_b32_e32 v9, s21, v0
	s_delay_alu instid0(VALU_DEP_3) | instskip(NEXT) | instid1(VALU_DEP_3)
	v_lshlrev_b32_e32 v10, 2, v10
	v_fma_f32 v1, -v8, v2, v1
	v_or_b32_e32 v2, s12, v0
	s_delay_alu instid0(VALU_DEP_4) | instskip(NEXT) | instid1(VALU_DEP_3)
	v_lshlrev_b32_e32 v9, 2, v9
	v_fma_f32 v1, -v4, v3, v1
	v_or_b32_e32 v3, s13, v0
	s_delay_alu instid0(VALU_DEP_2) | instskip(SKIP_1) | instid1(VALU_DEP_3)
	v_dual_mul_f32 v1, v1, v7 :: v_dual_lshlrev_b32 v2, 2, v2
	v_or_b32_e32 v7, s20, v0
	v_lshlrev_b32_e32 v3, 2, v3
	s_delay_alu instid0(VALU_DEP_2)
	v_lshlrev_b32_e32 v7, 2, v7
	ds_store_b32 v3, v41 offset:1024
	ds_store_b32 v5, v42 offset:1024
	;; [unrolled: 1-line block ×10, first 2 shown]
	ds_store_b32 v13, v1
.LBB16_30:
	s_cmp_ge_i32 s4, s15
	s_cbranch_scc1 .LBB16_41
; %bb.31:
	v_lshl_or_b32 v1, v0, 2, 0x400
	v_lshlrev_b32_e32 v2, 2, v0
	s_add_i32 s10, s4, -1
	s_lshl_b32 s11, s4, 6
	s_mov_b32 s12, 0
	s_mov_b32 s13, s4
	s_branch .LBB16_33
.LBB16_32:                              ;   in Loop: Header=BB16_33 Depth=1
	s_mul_i32 s18, s4, 0x44
	v_add_nc_u16 v6, s13, 1
	v_mov_b32_e32 v5, s18
	s_add_i32 s4, s4, 1
	s_add_i32 s12, s12, 1
	;; [unrolled: 1-line block ×3, first 2 shown]
	v_readfirstlane_b32 s13, v6
	ds_load_b32 v5, v5
	v_add_nc_u32_e32 v3, 0x400, v3
	s_cmp_ge_i32 s4, s15
	s_waitcnt lgkmcnt(0)
	v_mul_f32_e32 v4, v4, v5
	ds_store_b32 v3, v4
	s_cbranch_scc1 .LBB16_41
.LBB16_33:                              ; =>This Loop Header: Depth=1
                                        ;     Child Loop BB16_36 Depth 2
                                        ;     Child Loop BB16_40 Depth 2
	v_lshl_or_b32 v3, s4, 6, v2
	s_cmp_eq_u32 s4, 0
	ds_load_b32 v4, v3 offset:1024
	s_cbranch_scc1 .LBB16_32
; %bb.34:                               ;   in Loop: Header=BB16_33 Depth=1
	s_add_i32 s18, s10, s12
	s_delay_alu instid0(SALU_CYCLE_1)
	s_cmp_lt_u32 s18, 7
	s_cbranch_scc1 .LBB16_38
; %bb.35:                               ;   in Loop: Header=BB16_33 Depth=1
	v_mov_b32_e32 v5, v1
	s_and_b32 s18, s4, -8
	s_mov_b32 s19, 0
	s_mov_b32 s20, s11
	s_set_inst_prefetch_distance 0x1
	.p2align	6
.LBB16_36:                              ;   Parent Loop BB16_33 Depth=1
                                        ; =>  This Inner Loop Header: Depth=2
	v_mov_b32_e32 v10, s20
	s_add_i32 s19, s19, 8
	s_add_i32 s20, s20, 32
	s_cmp_lg_u32 s18, s19
	ds_load_2addr_b32 v[14:15], v5 offset1:16
	ds_load_b128 v[6:9], v10
	ds_load_2addr_b32 v[16:17], v5 offset0:32 offset1:48
	ds_load_2addr_b32 v[18:19], v5 offset0:64 offset1:80
	ds_load_b128 v[10:13], v10 offset:16
	s_waitcnt lgkmcnt(3)
	v_fma_f32 v4, -v14, v6, v4
	s_delay_alu instid0(VALU_DEP_1) | instskip(SKIP_4) | instid1(VALU_DEP_1)
	v_fma_f32 v4, -v15, v7, v4
	ds_load_2addr_b32 v[6:7], v5 offset0:96 offset1:112
	v_add_nc_u32_e32 v5, 0x200, v5
	s_waitcnt lgkmcnt(3)
	v_fma_f32 v4, -v16, v8, v4
	v_fma_f32 v4, -v17, v9, v4
	s_waitcnt lgkmcnt(1)
	s_delay_alu instid0(VALU_DEP_1) | instskip(NEXT) | instid1(VALU_DEP_1)
	v_fma_f32 v4, -v18, v10, v4
	v_fma_f32 v4, -v19, v11, v4
	s_waitcnt lgkmcnt(0)
	s_delay_alu instid0(VALU_DEP_1) | instskip(NEXT) | instid1(VALU_DEP_1)
	v_fma_f32 v4, -v6, v12, v4
	v_fma_f32 v4, -v7, v13, v4
	s_cbranch_scc1 .LBB16_36
; %bb.37:                               ;   in Loop: Header=BB16_33 Depth=1
	s_set_inst_prefetch_distance 0x2
	s_and_b32 s19, s4, 7
	s_delay_alu instid0(SALU_CYCLE_1)
	s_cmp_eq_u32 s19, 0
	s_cbranch_scc0 .LBB16_39
	s_branch .LBB16_32
.LBB16_38:                              ;   in Loop: Header=BB16_33 Depth=1
	s_mov_b32 s18, 0
	s_and_b32 s19, s4, 7
	s_delay_alu instid0(SALU_CYCLE_1)
	s_cmp_eq_u32 s19, 0
	s_cbranch_scc1 .LBB16_32
.LBB16_39:                              ;   in Loop: Header=BB16_33 Depth=1
	v_lshl_add_u32 v5, s18, 6, v1
	s_and_b32 s19, s13, 7
	s_lshl_b32 s18, s18, 2
.LBB16_40:                              ;   Parent Loop BB16_33 Depth=1
                                        ; =>  This Inner Loop Header: Depth=2
	s_delay_alu instid0(SALU_CYCLE_1)
	s_add_i32 s20, s11, s18
	s_add_i32 s19, s19, -1
	v_mov_b32_e32 v6, s20
	s_add_i32 s18, s18, 4
	s_cmp_lg_u32 s19, 0
	ds_load_b32 v7, v5
	ds_load_b32 v6, v6
	v_add_nc_u32_e32 v5, 64, v5
	s_waitcnt lgkmcnt(0)
	v_fma_f32 v4, -v7, v6, v4
	s_cbranch_scc1 .LBB16_40
	s_branch .LBB16_32
.LBB16_41:
	s_mov_b32 s4, 0
.LBB16_42:
	s_delay_alu instid0(SALU_CYCLE_1)
	s_and_b32 vcc_lo, exec_lo, s4
	s_cbranch_vccz .LBB16_64
; %bb.43:
	s_cmp_gt_i32 s6, 15
	s_cbranch_scc0 .LBB16_45
; %bb.44:
	s_lshl_b32 s24, s15, 4
	s_lshl_b32 s12, s26, 4
	s_sub_i32 s4, s24, 32
	s_add_i32 s13, s24, 0xffffffa0
	v_or_b32_e32 v2, s4, v0
	s_sub_i32 s4, s24, 64
	s_sub_i32 s11, s24, 48
	v_or_b32_e32 v4, s4, v0
	v_or_b32_e32 v3, s11, v0
	;; [unrolled: 1-line block ×3, first 2 shown]
	s_add_i32 s18, s24, 0xffffff80
	s_add_i32 s10, s24, 0xffffffb0
	v_lshlrev_b32_e32 v6, 2, v4
	v_or_b32_e32 v4, s13, v0
	s_add_i32 s13, s15, -2
	s_add_i32 s4, s24, 0xffffff90
	s_add_i32 s19, s13, s12
	v_or_b32_e32 v8, s18, v0
	s_lshl_b32 s18, s19, 2
	s_mul_i32 s25, s26, 0x44
	v_lshlrev_b32_e32 v5, 2, v2
	v_dual_mov_b32 v9, s18 :: v_dual_lshlrev_b32 v2, 2, v3
	v_or_b32_e32 v3, s10, v0
	v_or_b32_e32 v7, s4, v0
	s_lshl_b32 s21, s13, 4
	s_add_i32 s13, s25, 0xffffffbc
	v_lshlrev_b32_e32 v1, 2, v1
	s_add_i32 s20, s15, -4
	v_lshlrev_b32_e32 v3, 2, v3
	s_add_i32 s22, s20, s21
	v_lshlrev_b32_e32 v11, 2, v8
	s_lshl_b32 s22, s22, 2
	v_lshlrev_b32_e32 v10, 2, v4
	v_lshlrev_b32_e32 v4, 2, v7
	ds_load_2addr_b32 v[7:8], v9 offset1:1
	ds_load_b32 v13, v1 offset:1024
	ds_load_b32 v14, v5 offset:1024
	ds_load_b32 v17, v2 offset:1024
	ds_load_b32 v18, v6 offset:1024
	ds_load_b32 v19, v3 offset:1024
	ds_load_b32 v28, v10 offset:1024
	ds_load_b32 v29, v4 offset:1024
	ds_load_b32 v30, v11 offset:1024
	v_mov_b32_e32 v6, s13
	s_add_i32 s13, s20, s12
	v_mov_b32_e32 v11, s22
	s_lshl_b32 s13, s13, 2
	s_add_i32 s19, s24, 0xffffff60
	v_mov_b32_e32 v9, s13
	ds_load_b32 v15, v6
	ds_load_2addr_b32 v[9:10], v9 offset1:1
	ds_load_2addr_b32 v[11:12], v11 offset1:1
	s_add_i32 s13, s20, s11
	v_or_b32_e32 v16, s19, v0
	s_lshl_b32 s19, s13, 2
	s_add_i32 s18, s24, 0xffffff70
	s_waitcnt lgkmcnt(10)
	v_mul_f32_e32 v6, v13, v8
	v_mov_b32_e32 v8, s19
	s_add_i32 s22, s15, -6
	v_or_b32_e32 v5, s18, v0
	s_add_i32 s19, s25, 0xffffff34
	s_add_i32 s23, s22, s12
	s_waitcnt lgkmcnt(9)
	v_fma_f32 v7, -v6, v7, v14
	ds_load_2addr_b32 v[13:14], v8 offset1:1
	s_lshl_b32 s23, s23, 2
	v_mov_b32_e32 v8, s19
	s_add_i32 s19, s22, s21
	v_lshlrev_b32_e32 v5, 2, v5
	s_lshl_b32 s19, s19, 2
	v_dual_mov_b32 v16, s23 :: v_dual_lshlrev_b32 v31, 2, v16
	s_add_i32 s13, s24, 0xffffff50
	s_waitcnt lgkmcnt(2)
	v_fma_f32 v9, -v6, v9, v18
	v_or_b32_e32 v20, s13, v0
	v_mul_f32_e32 v7, v7, v15
	ds_load_b32 v21, v8
	ds_load_2addr_b32 v[15:16], v16 offset1:1
	v_fma_f32 v8, -v6, v10, v17
	v_mov_b32_e32 v10, s19
	s_add_i32 s23, s24, 0xffffff40
	s_add_i32 s19, s24, 0xffffff30
	v_or_b32_e32 v22, s23, v0
	s_waitcnt lgkmcnt(3)
	v_fma_f32 v12, -v7, v12, v8
	v_lshlrev_b32_e32 v8, 2, v20
	ds_load_2addr_b32 v[17:18], v10 offset1:1
	s_add_i32 s23, s24, 0xffffff20
	v_or_b32_e32 v20, s19, v0
	s_waitcnt lgkmcnt(3)
	v_mul_f32_e32 v10, v12, v14
	v_fma_f32 v11, -v7, v11, v9
	v_or_b32_e32 v14, s23, v0
	s_lshl_b32 s23, s20, 4
	v_lshlrev_b32_e32 v9, 2, v20
	s_add_i32 s20, s22, s11
	s_add_i32 s27, s22, s23
	s_lshl_b32 s20, s20, 2
	s_lshl_b32 s27, s27, 2
	v_fma_f32 v11, -v10, v13, v11
	s_waitcnt lgkmcnt(1)
	v_fma_f32 v12, -v6, v16, v19
	v_dual_mov_b32 v13, s20 :: v_dual_mov_b32 v16, s27
	s_add_i32 s27, s22, s10
	s_add_i32 s28, s15, -8
	s_lshl_b32 s27, s27, 2
	s_add_i32 s29, s28, s12
	s_waitcnt lgkmcnt(0)
	v_fma_f32 v26, -v7, v18, v12
	ds_load_2addr_b32 v[12:13], v13 offset1:1
	ds_load_2addr_b32 v[18:19], v16 offset1:1
	v_mov_b32_e32 v16, s27
	s_lshl_b32 s27, s29, 2
	s_add_i32 s29, s28, s21
	v_mov_b32_e32 v20, s27
	s_lshl_b32 s27, s29, 2
	v_dual_mul_f32 v11, v11, v21 :: v_dual_lshlrev_b32 v32, 2, v22
	s_add_i32 s29, s25, 0xfffffeac
	v_mov_b32_e32 v22, s27
	ds_load_2addr_b32 v[20:21], v20 offset1:1
	s_add_i32 s27, s28, s11
	v_mov_b32_e32 v27, s29
	s_lshl_b32 s27, s27, 2
	ds_load_2addr_b32 v[22:23], v22 offset1:1
	v_mov_b32_e32 v33, s27
	ds_load_2addr_b32 v[24:25], v16 offset1:1
	ds_load_b32 v34, v27
	s_add_i32 s27, s28, s23
	v_fma_f32 v28, -v6, v15, v28
	s_lshl_b32 s27, s27, 2
	s_waitcnt lgkmcnt(5)
	v_fma_f32 v13, -v10, v13, v26
	v_mov_b32_e32 v16, s27
	ds_load_2addr_b32 v[26:27], v33 offset1:1
	s_add_i32 s27, s28, s10
	s_lshl_b32 s22, s22, 4
	s_lshl_b32 s27, s27, 2
	ds_load_2addr_b32 v[15:16], v16 offset1:1
	v_mov_b32_e32 v33, s27
	v_fma_f32 v17, -v7, v17, v28
	s_waitcnt lgkmcnt(6)
	v_fma_f32 v13, -v11, v19, v13
	s_waitcnt lgkmcnt(5)
	v_fma_f32 v19, -v6, v21, v29
	s_add_i32 s27, s28, s22
	s_add_i32 s20, s24, 0xffffff10
	s_lshl_b32 s27, s27, 2
	s_addk_i32 s24, 0xff00
	ds_load_2addr_b32 v[28:29], v33 offset1:1
	v_fma_f32 v17, -v10, v12, v17
	s_waitcnt lgkmcnt(5)
	v_fma_f32 v19, -v7, v23, v19
	v_or_b32_e32 v23, s24, v0
	s_waitcnt lgkmcnt(4)
	v_dual_mul_f32 v12, v13, v25 :: v_dual_mov_b32 v13, s27
	v_fma_f32 v21, -v11, v18, v17
	s_waitcnt lgkmcnt(2)
	v_fma_f32 v19, -v10, v27, v19
	v_or_b32_e32 v35, s20, v0
	s_add_i32 s24, s25, 0xfffffe68
	ds_load_2addr_b32 v[17:18], v13 offset1:1
	s_add_i32 s27, s15, -10
	s_waitcnt lgkmcnt(2)
	v_fma_f32 v16, -v11, v16, v19
	v_lshlrev_b32_e32 v19, 2, v23
	v_fma_f32 v13, -v12, v24, v21
	v_lshlrev_b32_e32 v21, 2, v14
	v_lshlrev_b32_e32 v14, 2, v35
	v_fma_f32 v20, -v6, v20, v30
	v_mov_b32_e32 v23, s24
	v_mul_f32_e32 v13, v13, v34
	s_waitcnt lgkmcnt(1)
	v_fma_f32 v16, -v12, v29, v16
	s_add_i32 s24, s27, s12
	ds_load_b32 v24, v5 offset:1024
	ds_load_b32 v31, v31 offset:1024
	;; [unrolled: 1-line block ×8, first 2 shown]
	s_lshl_b32 s24, s24, 2
	v_fma_f32 v19, -v7, v22, v20
	s_add_i32 s29, s27, s21
	s_add_i32 s30, s27, s18
	v_or_b32_e32 v49, s21, v0
	s_lshl_b32 s30, s30, 2
	v_or_b32_e32 v51, s23, v0
	s_waitcnt lgkmcnt(8)
	v_fma_f32 v32, -v13, v18, v16
	v_mov_b32_e32 v18, s24
	s_lshl_b32 s24, s29, 2
	v_fma_f32 v16, -v10, v26, v19
	v_mov_b32_e32 v20, s24
	s_add_i32 s24, s27, s11
	ds_load_2addr_b32 v[18:19], v18 offset1:1
	s_lshl_b32 s24, s24, 2
	ds_load_b32 v36, v23
	v_mov_b32_e32 v23, s24
	ds_load_2addr_b32 v[20:21], v20 offset1:1
	s_add_i32 s29, s28, s4
	v_fma_f32 v37, -v11, v15, v16
	s_lshl_b32 s29, s29, 2
	ds_load_2addr_b32 v[15:16], v23 offset1:1
	v_mov_b32_e32 v22, s29
	s_add_i32 s24, s27, s23
	s_add_i32 s29, s27, s10
	s_lshl_b32 s24, s24, 2
	ds_load_b32 v38, v22
	v_mov_b32_e32 v22, s24
	s_lshl_b32 s24, s28, 4
	s_lshl_b32 s28, s29, 2
	s_add_i32 s29, s25, 0xfffffe24
	v_mov_b32_e32 v25, s28
	v_mov_b32_e32 v29, s29
	ds_load_2addr_b32 v[22:23], v22 offset1:1
	s_waitcnt lgkmcnt(5)
	v_fma_f32 v19, -v6, v19, v24
	s_add_i32 s28, s27, s22
	ds_load_2addr_b32 v[24:25], v25 offset1:1
	s_lshl_b32 s28, s28, 2
	ds_load_b32 v41, v29
	v_mov_b32_e32 v26, s28
	s_waitcnt lgkmcnt(5)
	v_fma_f32 v19, -v7, v21, v19
	s_add_i32 s28, s27, s4
	v_mul_f32_e32 v45, v32, v36
	s_lshl_b32 s28, s28, 2
	v_fma_f32 v18, -v6, v18, v31
	v_mov_b32_e32 v21, s28
	ds_load_2addr_b32 v[26:27], v26 offset1:1
	s_waitcnt lgkmcnt(5)
	v_fma_f32 v16, -v10, v16, v19
	v_fma_f32 v19, -v12, v28, v37
	s_add_i32 s28, s27, s24
	ds_load_2addr_b32 v[29:30], v21 offset1:1
	s_lshl_b32 s28, s28, 2
	s_add_i32 s29, s15, -12
	v_fma_f32 v19, -v13, v17, v19
	s_waitcnt lgkmcnt(4)
	v_fma_f32 v23, -v11, v23, v16
	v_fma_f32 v18, -v7, v20, v18
	s_add_i32 s31, s29, s11
	v_fma_f32 v19, -v45, v38, v19
	v_mov_b32_e32 v21, s28
	s_add_i32 s28, s25, 0xfffffde0
	v_fma_f32 v15, -v10, v15, v18
	s_addk_i32 s25, 0xfd9c
	s_waitcnt lgkmcnt(2)
	v_mul_f32_e32 v46, v19, v41
	ds_load_2addr_b32 v[16:17], v21 offset1:1
	v_fma_f32 v21, -v12, v25, v23
	v_mov_b32_e32 v19, s28
	s_add_i32 s28, s29, s12
	v_fma_f32 v15, -v11, v22, v15
	s_lshl_b32 s28, s28, 2
	s_waitcnt lgkmcnt(2)
	v_fma_f32 v20, -v13, v27, v21
	v_mov_b32_e32 v18, s28
	s_add_i32 s28, s29, s21
	v_mov_b32_e32 v25, s30
	s_lshl_b32 s28, s28, 2
	s_waitcnt lgkmcnt(1)
	v_fma_f32 v36, -v45, v30, v20
	v_mov_b32_e32 v20, s28
	ds_load_b32 v37, v19
	ds_load_2addr_b32 v[18:19], v18 offset1:1
	s_lshl_b32 s28, s31, 2
	v_fma_f32 v15, -v12, v24, v15
	ds_load_2addr_b32 v[20:21], v20 offset1:1
	v_mov_b32_e32 v22, s28
	s_add_i32 s28, s29, s23
	ds_load_2addr_b32 v[22:23], v22 offset1:1
	ds_load_b32 v38, v25
	s_lshl_b32 s28, s28, 2
	v_mov_b32_e32 v32, s25
	v_mov_b32_e32 v24, s28
	s_add_i32 s28, s29, s10
	s_add_i32 s30, s29, s22
	s_lshl_b32 s28, s28, 2
	v_fma_f32 v15, -v13, v26, v15
	v_mov_b32_e32 v27, s28
	ds_load_2addr_b32 v[24:25], v24 offset1:1
	s_lshl_b32 s28, s30, 2
	s_waitcnt lgkmcnt(4)
	v_fma_f32 v19, -v6, v19, v33
	v_mov_b32_e32 v30, s28
	ds_load_2addr_b32 v[27:28], v27 offset1:1
	ds_load_b32 v26, v32
	s_add_i32 s28, s29, s4
	s_waitcnt lgkmcnt(5)
	v_fma_f32 v19, -v7, v21, v19
	s_lshl_b32 s25, s28, 2
	v_fma_f32 v17, -v46, v17, v36
	v_mov_b32_e32 v21, s25
	ds_load_2addr_b32 v[30:31], v30 offset1:1
	v_fma_f32 v15, -v45, v29, v15
	s_add_i32 s28, s15, -14
	s_waitcnt lgkmcnt(5)
	v_fma_f32 v19, -v10, v23, v19
	s_add_i32 s30, s28, s12
	ds_load_2addr_b32 v[32:33], v21 offset1:1
	s_lshl_b32 s30, s30, 2
	v_mul_f32_e32 v47, v17, v37
	v_fma_f32 v17, -v46, v16, v15
	s_add_i32 s25, s29, s24
	s_waitcnt lgkmcnt(4)
	v_fma_f32 v19, -v11, v25, v19
	s_lshl_b32 s25, s25, 2
	v_fma_f32 v18, -v6, v18, v34
	v_mov_b32_e32 v21, s25
	v_fma_f32 v17, -v47, v38, v17
	s_lshl_b32 s25, s27, 4
	s_add_i32 s27, s29, s18
	s_add_i32 s31, s29, s13
	ds_load_2addr_b32 v[15:16], v21 offset1:1
	s_waitcnt lgkmcnt(4)
	v_fma_f32 v19, -v12, v28, v19
	s_lshl_b32 s27, s27, 2
	s_waitcnt lgkmcnt(3)
	v_mul_f32_e32 v48, v17, v26
	v_fma_f32 v17, -v7, v20, v18
	v_mov_b32_e32 v18, s30
	s_waitcnt lgkmcnt(2)
	v_fma_f32 v19, -v13, v31, v19
	s_add_i32 s30, s28, s21
	v_fma_f32 v17, -v10, v22, v17
	s_lshl_b32 s30, s30, 2
	s_waitcnt lgkmcnt(1)
	v_fma_f32 v31, -v45, v33, v19
	v_mov_b32_e32 v20, s30
	s_lshl_b32 s30, s31, 2
	v_fma_f32 v19, -v11, v24, v17
	ds_load_2addr_b32 v[17:18], v18 offset1:1
	v_mov_b32_e32 v25, s30
	s_add_i32 s30, s28, s23
	s_add_i32 s31, s28, s22
	v_fma_f32 v29, -v12, v27, v19
	ds_load_2addr_b32 v[19:20], v20 offset1:1
	v_mov_b32_e32 v21, s27
	s_add_i32 s27, s29, s25
	s_waitcnt lgkmcnt(2)
	v_fma_f32 v16, -v46, v16, v31
	s_lshl_b32 s27, s27, 2
	v_fma_f32 v41, -v13, v30, v29
	v_mov_b32_e32 v23, s27
	s_add_i32 s27, s28, s11
	s_lshl_b32 s30, s30, 2
	s_lshl_b32 s27, s27, 2
	v_fma_f32 v32, -v45, v32, v41
	v_mov_b32_e32 v27, s27
	ds_load_2addr_b32 v[21:22], v21 offset1:1
	ds_load_2addr_b32 v[23:24], v23 offset1:1
	;; [unrolled: 1-line block ×4, first 2 shown]
	s_mul_i32 s27, s15, 0x44
	v_fma_f32 v15, -v46, v15, v32
	s_waitcnt lgkmcnt(5)
	v_fma_f32 v18, -v6, v18, v35
	s_lshl_b32 s29, s29, 4
	v_fma_f32 v17, -v6, v17, v39
	s_waitcnt lgkmcnt(4)
	s_delay_alu instid0(VALU_DEP_2) | instskip(NEXT) | instid1(VALU_DEP_2)
	v_fma_f32 v18, -v7, v20, v18
	v_fma_f32 v17, -v7, v19, v17
	s_waitcnt lgkmcnt(3)
	v_fma_f32 v16, -v47, v22, v16
	v_fma_f32 v15, -v47, v21, v15
	s_waitcnt lgkmcnt(0)
	v_fma_f32 v18, -v10, v28, v18
	s_delay_alu instid0(VALU_DEP_3)
	v_fma_f32 v16, -v48, v24, v16
	v_mov_b32_e32 v33, s30
	s_add_i32 s30, s28, s10
	v_fma_f32 v15, -v48, v23, v15
	s_lshl_b32 s30, s30, 2
	v_mul_f32_e32 v50, v16, v26
	ds_load_2addr_b32 v[29:30], v33 offset1:1
	v_mov_b32_e32 v33, s30
	s_lshl_b32 s30, s31, 2
	s_add_i32 s31, s27, 0xfffffcd0
	s_delay_alu instid0(SALU_CYCLE_1)
	v_dual_mov_b32 v35, s30 :: v_dual_mov_b32 v20, s31
	s_add_i32 s31, s28, s13
	ds_load_2addr_b32 v[33:34], v33 offset1:1
	s_add_i32 s30, s28, s4
	s_lshl_b32 s31, s31, 2
	s_lshl_b32 s30, s30, 2
	v_fma_f32 v43, -v50, v25, v15
	v_mov_b32_e32 v25, s31
	s_add_i32 s31, s28, s19
	ds_load_2addr_b32 v[35:36], v35 offset1:1
	s_lshl_b32 s31, s31, 2
	v_mov_b32_e32 v37, s30
	s_add_i32 s30, s28, s24
	ds_load_b32 v42, v20
	s_lshl_b32 s30, s30, 2
	s_waitcnt lgkmcnt(3)
	v_fma_f32 v18, -v11, v30, v18
	ds_load_2addr_b32 v[37:38], v37 offset1:1
	v_mov_b32_e32 v28, s30
	s_add_i32 s30, s28, s18
	s_delay_alu instid0(SALU_CYCLE_1) | instskip(SKIP_4) | instid1(VALU_DEP_1)
	s_lshl_b32 s30, s30, 2
	ds_load_2addr_b32 v[30:31], v28 offset1:1
	s_waitcnt lgkmcnt(4)
	v_fma_f32 v18, -v12, v34, v18
	s_waitcnt lgkmcnt(3)
	v_fma_f32 v18, -v13, v36, v18
	v_fma_f32 v36, -v10, v27, v17
	s_delay_alu instid0(VALU_DEP_1) | instskip(SKIP_1) | instid1(VALU_DEP_3)
	v_fma_f32 v29, -v11, v29, v36
	s_waitcnt lgkmcnt(1)
	v_fma_f32 v16, -v45, v38, v18
	v_mov_b32_e32 v18, s30
	s_add_i32 s30, s28, s25
	s_delay_alu instid0(SALU_CYCLE_1)
	s_lshl_b32 s30, s30, 2
	v_fma_f32 v29, -v12, v33, v29
	s_waitcnt lgkmcnt(0)
	v_fma_f32 v34, -v46, v31, v16
	ds_load_2addr_b32 v[15:16], v18 offset1:1
	v_mov_b32_e32 v23, s30
	s_add_i32 s30, s28, s29
	v_mov_b32_e32 v18, s31
	s_lshl_b32 s30, s30, 2
	s_add_i32 s31, s27, 0xfffffc48
	v_mov_b32_e32 v28, s30
	s_add_i32 s30, s15, -16
	v_fma_f32 v29, -v13, v35, v29
	s_add_i32 s12, s30, s12
	s_add_i32 s10, s30, s10
	s_lshl_b32 s12, s12, 2
	s_add_i32 s21, s30, s21
	v_mov_b32_e32 v20, s12
	s_lshl_b32 s10, s10, 2
	v_mov_b32_e32 v19, s31
	s_lshl_b32 s12, s21, 2
	s_add_i32 s11, s30, s11
	s_add_i32 s4, s30, s4
	s_lshl_b32 s11, s11, 2
	s_waitcnt lgkmcnt(0)
	v_fma_f32 v16, -v47, v16, v34
	v_mov_b32_e32 v34, s10
	s_add_i32 s10, s30, s22
	ds_load_2addr_b32 v[17:18], v18 offset1:1
	ds_load_b32 v52, v19
	ds_load_2addr_b32 v[19:20], v20 offset1:1
	s_lshl_b32 s10, s10, 2
	s_delay_alu instid0(SALU_CYCLE_1)
	v_dual_mov_b32 v21, s12 :: v_dual_mov_b32 v36, s10
	s_lshl_b32 s4, s4, 2
	v_mov_b32_e32 v31, s11
	s_add_i32 s12, s30, s23
	ds_load_2addr_b32 v[21:22], v21 offset1:1
	s_lshl_b32 s11, s12, 2
	s_add_i32 s10, s30, s25
	v_mov_b32_e32 v38, s11
	ds_load_2addr_b32 v[23:24], v23 offset1:1
	ds_load_2addr_b32 v[25:26], v25 offset1:1
	;; [unrolled: 1-line block ×5, first 2 shown]
	s_lshl_b32 s10, s10, 2
	ds_load_2addr_b32 v[38:39], v38 offset1:1
	s_add_i32 s11, s30, s29
	s_waitcnt lgkmcnt(7)
	v_fma_f32 v20, -v6, v20, v40
	v_fma_f32 v19, -v6, v19, v44
	s_waitcnt lgkmcnt(6)
	s_delay_alu instid0(VALU_DEP_2)
	v_fma_f32 v20, -v7, v22, v20
	v_mov_b32_e32 v22, s4
	ds_load_2addr_b32 v[31:32], v31 offset1:1
	s_add_i32 s4, s30, s24
	s_waitcnt lgkmcnt(6)
	v_fma_f32 v16, -v48, v24, v16
	s_lshl_b32 s4, s4, 2
	ds_load_2addr_b32 v[40:41], v22 offset1:1
	v_mov_b32_e32 v24, s4
	s_add_i32 s4, s30, s18
	v_fma_f32 v21, -v7, v21, v19
	s_lshl_b32 s4, s4, 2
	s_waitcnt lgkmcnt(6)
	v_fma_f32 v26, -v50, v26, v16
	s_waitcnt lgkmcnt(1)
	v_fma_f32 v20, -v10, v32, v20
	v_mul_f32_e32 v32, v43, v42
	ds_load_2addr_b32 v[42:43], v24 offset1:1
	v_fma_f32 v22, -v45, v37, v29
	v_mov_b32_e32 v24, s10
	v_fma_f32 v20, -v11, v39, v20
	v_fma_f32 v21, -v10, v31, v21
	s_add_i32 s10, s30, s13
	v_fma_f32 v16, -v46, v30, v22
	v_mov_b32_e32 v22, s4
	v_fma_f32 v20, -v12, v34, v20
	v_fma_f32 v21, -v11, v38, v21
	s_lshl_b32 s10, s10, 2
	v_fma_f32 v30, -v47, v15, v16
	v_fma_f32 v34, -v32, v28, v26
	v_fma_f32 v29, -v13, v36, v20
	ds_load_2addr_b32 v[15:16], v22 offset1:1
	ds_load_2addr_b32 v[19:20], v24 offset1:1
	v_fma_f32 v24, -v12, v33, v21
	v_fma_f32 v26, -v48, v23, v30
	s_lshl_b32 s4, s28, 4
	s_waitcnt lgkmcnt(3)
	v_fma_f32 v22, -v45, v41, v29
	v_mul_f32_e32 v18, v34, v18
	v_fma_f32 v29, -v13, v35, v24
	v_fma_f32 v31, -v50, v25, v26
	s_waitcnt lgkmcnt(2)
	v_fma_f32 v23, -v46, v43, v22
	v_mov_b32_e32 v22, s10
	s_lshl_b32 s10, s11, 2
	s_add_i32 s11, s30, s19
	v_mov_b32_e32 v28, s10
	s_lshl_b32 s10, s11, 2
	ds_load_2addr_b32 v[21:22], v22 offset1:1
	v_mov_b32_e32 v30, s10
	s_add_i32 s10, s30, s4
	v_fma_f32 v27, -v32, v27, v31
	s_waitcnt lgkmcnt(2)
	v_fma_f32 v16, -v47, v16, v23
	ds_load_2addr_b32 v[23:24], v28 offset1:1
	ds_load_2addr_b32 v[25:26], v30 offset1:1
	v_fma_f32 v28, -v45, v40, v29
	s_lshl_b32 s10, s10, 2
	s_waitcnt lgkmcnt(3)
	v_fma_f32 v16, -v48, v20, v16
	v_mov_b32_e32 v29, s10
	s_add_i32 s10, s30, s20
	v_fma_f32 v30, -v46, v42, v28
	s_lshl_b32 s10, s10, 2
	v_fma_f32 v17, -v18, v17, v27
	ds_load_2addr_b32 v[28:29], v29 offset1:1
	v_mov_b32_e32 v20, s10
	v_fma_f32 v15, -v47, v15, v30
	s_add_i32 s10, s27, 0xfffffbc0
	v_mul_f32_e32 v17, v17, v52
	s_waitcnt lgkmcnt(3)
	v_fma_f32 v22, -v50, v22, v16
	v_or_b32_e32 v27, s29, v0
	v_fma_f32 v19, -v48, v19, v15
	ds_load_2addr_b32 v[15:16], v20 offset1:1
	s_waitcnt lgkmcnt(3)
	v_fma_f32 v22, -v32, v24, v22
	v_lshlrev_b32_e32 v24, 2, v51
	v_fma_f32 v19, -v50, v21, v19
	v_or_b32_e32 v21, s22, v0
	s_waitcnt lgkmcnt(2)
	v_fma_f32 v22, -v18, v26, v22
	v_or_b32_e32 v26, s24, v0
	v_fma_f32 v19, -v32, v23, v19
	v_mov_b32_e32 v23, s10
	v_lshlrev_b32_e32 v21, 2, v21
	s_delay_alu instid0(VALU_DEP_3)
	v_fma_f32 v19, -v18, v25, v19
	ds_load_b32 v23, v23
	s_waitcnt lgkmcnt(2)
	v_fma_f32 v22, -v17, v29, v22
	v_or_b32_e32 v25, s25, v0
	v_lshlrev_b32_e32 v20, 2, v49
	v_fma_f32 v19, -v17, v28, v19
	v_or_b32_e32 v29, s4, v0
	s_waitcnt lgkmcnt(1)
	v_mul_f32_e32 v16, v22, v16
	v_lshlrev_b32_e32 v22, 2, v26
	s_sub_i32 s4, s15, 17
	v_lshlrev_b32_e32 v25, 2, v25
	v_lshlrev_b32_e32 v26, 2, v27
	v_fma_f32 v15, -v16, v15, v19
	v_lshlrev_b32_e32 v19, 2, v0
	v_lshlrev_b32_e32 v27, 2, v29
	ds_store_b32 v1, v6 offset:1024
	ds_store_b32 v2, v10 offset:1024
	;; [unrolled: 1-line block ×8, first 2 shown]
	v_lshl_or_b32 v2, s30, 6, v19
	s_waitcnt lgkmcnt(8)
	v_mul_f32_e32 v1, v15, v23
	ds_store_b32 v20, v7 offset:1024
	ds_store_b32 v24, v11 offset:1024
	;; [unrolled: 1-line block ×8, first 2 shown]
	s_cmp_gt_i32 s4, -1
	s_cbranch_scc1 .LBB16_46
	s_branch .LBB16_64
.LBB16_45:
	s_mov_b32 s4, s26
	s_delay_alu instid0(SALU_CYCLE_1)
	s_cmp_gt_i32 s4, -1
	s_cbranch_scc0 .LBB16_64
.LBB16_46:
	s_cmp_lt_u32 s4, 11
	s_cbranch_scc1 .LBB16_51
; %bb.47:
	s_lshl_b32 s10, s4, 4
	s_cmp_le_i32 s26, s4
	v_or_b32_e32 v1, s10, v0
	s_delay_alu instid0(VALU_DEP_1) | instskip(NEXT) | instid1(VALU_DEP_1)
	v_lshlrev_b32_e32 v14, 2, v1
	v_add_nc_u32_e32 v1, 0x200, v14
	ds_load_2addr_b32 v[9:10], v14 offset0:208 offset1:224
	ds_load_2addr_b32 v[7:8], v14 offset0:176 offset1:192
	;; [unrolled: 1-line block ×6, first 2 shown]
	s_waitcnt lgkmcnt(4)
	v_dual_mov_b32 v13, v10 :: v_dual_mov_b32 v10, v8
	s_waitcnt lgkmcnt(3)
	v_mov_b32_e32 v8, v6
	s_cbranch_scc1 .LBB16_50
; %bb.48:
	s_lshl_b32 s11, s15, 6
	s_lshl_b32 s12, s4, 2
	v_lshl_or_b32 v6, v0, 2, s11
	s_add_i32 s11, s11, s12
	s_mov_b32 s12, s26
	s_addk_i32 s11, 0xff94
	s_delay_alu instid0(VALU_DEP_1)
	v_add_nc_u32_e32 v6, 0x3c0, v6
	s_set_inst_prefetch_distance 0x1
	.p2align	6
.LBB16_49:                              ; =>This Inner Loop Header: Depth=1
	v_mov_b32_e32 v25, s11
	s_add_i32 s12, s12, -1
	s_sub_i32 s11, s11, 64
	s_cmp_gt_i32 s12, s4
	ds_load_b32 v27, v6
	ds_load_2addr_b32 v[15:16], v25 offset0:10 offset1:11
	ds_load_2addr_b32 v[17:18], v25 offset0:8 offset1:9
	;; [unrolled: 1-line block ×5, first 2 shown]
	ds_load_2addr_b32 v[25:26], v25 offset1:1
	v_subrev_nc_u32_e32 v6, 64, v6
	s_waitcnt lgkmcnt(5)
	v_fma_f32 v12, -v27, v16, v12
	v_fma_f32 v11, -v27, v15, v11
	s_waitcnt lgkmcnt(4)
	v_fma_f32 v13, -v27, v18, v13
	v_fma_f32 v9, -v27, v17, v9
	;; [unrolled: 3-line block ×6, first 2 shown]
	s_cbranch_scc1 .LBB16_49
.LBB16_50:
	s_set_inst_prefetch_distance 0x2
	s_add_i32 s19, s4, -3
	s_add_i32 s12, s4, -1
	s_add_i32 s21, s19, s10
	s_add_i32 s13, s12, s10
	s_add_i32 s20, s4, -5
	s_lshl_b32 s21, s21, 2
	s_delay_alu instid0(SALU_CYCLE_1) | instskip(SKIP_4) | instid1(SALU_CYCLE_1)
	v_dual_mov_b32 v17, s21 :: v_dual_add_nc_u32 v6, 0x400, v14
	s_lshl_b32 s18, s13, 2
	s_add_i32 s21, s20, s10
	s_mul_i32 s11, s4, 0x44
	s_lshl_b32 s21, s21, 2
	v_dual_mov_b32 v14, s18 :: v_dual_mov_b32 v23, s21
	s_lshl_b32 s18, s12, 4
	s_add_i32 s12, s11, 0xffffffbc
	s_sub_i32 s13, s10, 32
	ds_load_2addr_b32 v[14:15], v14 offset1:1
	v_mov_b32_e32 v16, s12
	s_add_i32 s12, s19, s18
	s_add_i32 s22, s19, s13
	s_lshl_b32 s12, s12, 2
	s_lshl_b32 s21, s19, 4
	s_add_i32 s19, s20, s13
	s_add_i32 s25, s20, s21
	s_lshl_b32 s19, s19, 2
	v_mov_b32_e32 v18, s12
	s_lshl_b32 s12, s22, 2
	s_add_i32 s22, s4, -7
	v_mov_b32_e32 v20, s12
	s_add_i32 s23, s11, 0xffffff34
	s_add_i32 s12, s20, s18
	;; [unrolled: 1-line block ×3, first 2 shown]
	s_lshl_b32 s12, s12, 2
	s_lshl_b32 s24, s24, 2
	s_waitcnt lgkmcnt(0)
	v_mul_f32_e32 v25, v12, v15
	ds_load_b32 v24, v16
	ds_load_2addr_b32 v[16:17], v17 offset1:1
	ds_load_2addr_b32 v[18:19], v18 offset1:1
	;; [unrolled: 1-line block ×3, first 2 shown]
	v_fma_f32 v14, -v25, v14, v11
	s_waitcnt lgkmcnt(3)
	s_delay_alu instid0(VALU_DEP_1)
	v_mul_f32_e32 v24, v14, v24
	s_waitcnt lgkmcnt(2)
	v_fma_f32 v13, -v25, v17, v13
	v_fma_f32 v9, -v25, v16, v9
	v_mov_b32_e32 v14, s24
	s_waitcnt lgkmcnt(1)
	s_delay_alu instid0(VALU_DEP_3) | instskip(NEXT) | instid1(VALU_DEP_3)
	v_fma_f32 v13, -v24, v19, v13
	v_fma_f32 v9, -v24, v18, v9
	s_waitcnt lgkmcnt(0)
	s_delay_alu instid0(VALU_DEP_2) | instskip(SKIP_1) | instid1(SALU_CYCLE_1)
	v_dual_mul_f32 v26, v13, v21 :: v_dual_mov_b32 v13, s19
	s_lshl_b32 s19, s25, 2
	v_mov_b32_e32 v16, s19
	s_add_i32 s19, s22, s18
	s_delay_alu instid0(VALU_DEP_2)
	v_fma_f32 v9, -v26, v20, v9
	s_lshl_b32 s19, s19, 2
	v_mov_b32_e32 v22, s23
	v_mov_b32_e32 v18, s19
	s_add_i32 s19, s22, s13
	ds_load_b32 v15, v22
	ds_load_2addr_b32 v[22:23], v23 offset1:1
	s_lshl_b32 s19, s19, 2
	s_delay_alu instid0(SALU_CYCLE_1) | instskip(SKIP_1) | instid1(SALU_CYCLE_1)
	v_mov_b32_e32 v20, s19
	s_add_i32 s19, s22, s21
	s_lshl_b32 s19, s19, 2
	s_delay_alu instid0(SALU_CYCLE_1) | instskip(SKIP_1) | instid1(SALU_CYCLE_1)
	v_dual_mov_b32 v12, s12 :: v_dual_mov_b32 v29, s19
	s_sub_i32 s12, s10, 64
	s_add_i32 s19, s22, s12
	ds_load_2addr_b32 v[11:12], v12 offset1:1
	s_lshl_b32 s19, s19, 2
	s_add_i32 s23, s20, s12
	s_delay_alu instid0(SALU_CYCLE_1) | instskip(NEXT) | instid1(SALU_CYCLE_1)
	s_lshl_b32 s23, s23, 2
	v_mov_b32_e32 v17, s23
	s_waitcnt lgkmcnt(2)
	v_mul_f32_e32 v27, v9, v15
	s_waitcnt lgkmcnt(1)
	v_fma_f32 v10, -v25, v23, v10
	v_fma_f32 v7, -v25, v22, v7
	s_add_i32 s23, s11, 0xfffffeac
	s_delay_alu instid0(SALU_CYCLE_1) | instskip(SKIP_1) | instid1(SALU_CYCLE_1)
	v_mov_b32_e32 v28, s23
	s_add_i32 s23, s4, -9
	s_add_i32 s24, s23, s10
	s_add_i32 s27, s23, s18
	s_lshl_b32 s24, s24, 2
	s_waitcnt lgkmcnt(0)
	v_fma_f32 v7, -v24, v11, v7
	v_mov_b32_e32 v11, s19
	v_fma_f32 v23, -v24, v12, v10
	ds_load_2addr_b32 v[9:10], v13 offset1:1
	ds_load_2addr_b32 v[12:13], v14 offset1:1
	;; [unrolled: 1-line block ×6, first 2 shown]
	s_lshl_b32 s19, s20, 4
	s_delay_alu instid0(SALU_CYCLE_1) | instskip(NEXT) | instid1(SALU_CYCLE_1)
	s_add_i32 s20, s22, s19
	s_lshl_b32 s20, s20, 2
	s_waitcnt lgkmcnt(5)
	v_fma_f32 v10, -v26, v10, v23
	ds_load_2addr_b32 v[22:23], v29 offset1:1
	s_waitcnt lgkmcnt(5)
	v_fma_f32 v13, -v25, v13, v8
	v_fma_f32 v9, -v26, v9, v7
	ds_load_2addr_b32 v[7:8], v11 offset1:1
	s_waitcnt lgkmcnt(5)
	v_fma_f32 v10, -v27, v15, v10
	v_fma_f32 v5, -v25, v12, v5
	s_waitcnt lgkmcnt(3)
	v_fma_f32 v11, -v24, v19, v13
	v_fma_f32 v9, -v27, v14, v9
	v_mul_f32_e32 v29, v10, v17
	v_fma_f32 v5, -v24, v18, v5
	s_waitcnt lgkmcnt(2)
	v_fma_f32 v10, -v26, v21, v11
	s_delay_alu instid0(VALU_DEP_3) | instskip(SKIP_1) | instid1(VALU_DEP_2)
	v_fma_f32 v9, -v29, v16, v9
	s_waitcnt lgkmcnt(1)
	v_fma_f32 v11, -v27, v23, v10
	s_waitcnt lgkmcnt(0)
	s_delay_alu instid0(VALU_DEP_1)
	v_fma_f32 v8, -v29, v8, v11
	v_mov_b32_e32 v11, s24
	s_lshl_b32 s24, s27, 2
	v_fma_f32 v5, -v26, v20, v5
	v_mov_b32_e32 v13, s24
	s_add_i32 s24, s23, s13
	s_delay_alu instid0(SALU_CYCLE_1) | instskip(NEXT) | instid1(VALU_DEP_2)
	s_lshl_b32 s24, s24, 2
	v_fma_f32 v30, -v27, v22, v5
	v_mov_b32_e32 v5, s24
	ds_load_b32 v28, v28
	s_add_i32 s24, s23, s21
	ds_load_2addr_b32 v[13:14], v13 offset1:1
	s_lshl_b32 s24, s24, 2
	s_delay_alu instid0(SALU_CYCLE_1)
	v_dual_mov_b32 v10, s20 :: v_dual_mov_b32 v17, s24
	s_add_i32 s20, s11, 0xfffffe68
	s_add_i32 s24, s23, s12
	v_mov_b32_e32 v12, s20
	s_add_i32 s20, s10, 0xffffffa0
	ds_load_2addr_b32 v[17:18], v17 offset1:1
	s_add_i32 s25, s22, s20
	s_lshl_b32 s24, s24, 2
	s_lshl_b32 s25, s25, 2
	;; [unrolled: 1-line block ×3, first 2 shown]
	v_mov_b32_e32 v15, s25
	s_add_i32 s25, s11, 0xfffffe24
	s_delay_alu instid0(SALU_CYCLE_1)
	v_mov_b32_e32 v21, s25
	s_add_i32 s25, s23, s19
	s_waitcnt lgkmcnt(2)
	v_mul_f32_e32 v23, v9, v28
	ds_load_2addr_b32 v[9:10], v10 offset1:1
	ds_load_b32 v28, v12
	ds_load_2addr_b32 v[11:12], v11 offset1:1
	ds_load_b32 v31, v15
	ds_load_2addr_b32 v[15:16], v5 offset1:1
	v_mov_b32_e32 v5, s24
	s_lshl_b32 s24, s25, 2
	s_add_i32 s25, s11, 0xfffffde0
	v_mov_b32_e32 v19, s24
	s_add_i32 s24, s23, s20
	s_delay_alu instid0(SALU_CYCLE_1)
	s_lshl_b32 s24, s24, 2
	s_waitcnt lgkmcnt(4)
	v_fma_f32 v10, -v23, v10, v8
	s_waitcnt lgkmcnt(2)
	v_fma_f32 v12, -v25, v12, v4
	ds_load_2addr_b32 v[4:5], v5 offset1:1
	v_fma_f32 v3, -v25, v11, v3
	v_fma_f32 v12, -v24, v14, v12
	v_mov_b32_e32 v14, s24
	s_add_i32 s24, s23, s22
	s_delay_alu instid0(VALU_DEP_3)
	v_fma_f32 v3, -v24, v13, v3
	s_lshl_b32 s24, s24, 2
	s_waitcnt lgkmcnt(1)
	v_fma_f32 v12, -v26, v16, v12
	v_mov_b32_e32 v16, s24
	ds_load_2addr_b32 v[19:20], v19 offset1:1
	ds_load_b32 v32, v21
	ds_load_2addr_b32 v[21:22], v14 offset1:1
	v_fma_f32 v14, -v29, v7, v30
	v_fma_f32 v12, -v27, v18, v12
	ds_load_2addr_b32 v[7:8], v16 offset1:1
	s_add_i32 s24, s4, -11
	ds_store_b32 v6, v25
	s_add_i32 s27, s24, s10
	v_fma_f32 v9, -v23, v9, v14
	s_waitcnt lgkmcnt(5)
	v_fma_f32 v5, -v29, v5, v12
	s_lshl_b32 s27, s27, 2
	v_mul_f32_e32 v16, v10, v28
	v_or_b32_e32 v10, s13, v0
	s_add_i32 s13, s24, s13
	v_fma_f32 v3, -v26, v15, v3
	s_lshl_b32 s13, s13, 2
	v_fma_f32 v6, -v16, v31, v9
	v_or_b32_e32 v9, s18, v0
	s_add_i32 s18, s24, s18
	s_waitcnt lgkmcnt(4)
	v_fma_f32 v5, -v23, v20, v5
	s_lshl_b32 s18, s18, 2
	s_waitcnt lgkmcnt(3)
	v_mul_f32_e32 v18, v6, v32
	v_dual_mov_b32 v11, s13 :: v_dual_lshlrev_b32 v20, 2, v9
	s_waitcnt lgkmcnt(2)
	v_fma_f32 v5, -v16, v22, v5
	v_mov_b32_e32 v9, s25
	v_fma_f32 v3, -v27, v17, v3
	v_lshlrev_b32_e32 v22, 2, v10
	v_or_b32_e32 v12, s21, v0
	s_waitcnt lgkmcnt(1)
	v_fma_f32 v30, -v18, v8, v5
	v_dual_mov_b32 v5, s27 :: v_dual_mov_b32 v8, s18
	v_fma_f32 v10, -v29, v4, v3
	s_add_i32 s13, s10, 0xffffff80
	s_add_i32 s18, s24, s21
	ds_load_2addr_b32 v[5:6], v5 offset1:1
	ds_load_2addr_b32 v[3:4], v8 offset1:1
	s_lshl_b32 s18, s18, 2
	s_add_i32 s21, s23, s13
	v_lshlrev_b32_e32 v28, 2, v12
	v_fma_f32 v12, -v23, v19, v10
	v_mov_b32_e32 v10, s18
	s_lshl_b32 s18, s21, 2
	s_add_i32 s21, s24, s12
	v_mov_b32_e32 v13, s18
	s_lshl_b32 s18, s21, 2
	s_add_i32 s21, s11, 0xfffffd9c
	;; [unrolled: 3-line block ×3, first 2 shown]
	ds_load_b32 v17, v9
	ds_load_2addr_b32 v[8:9], v11 offset1:1
	ds_load_b32 v19, v13
	s_addk_i32 s10, 0xff60
	s_addk_i32 s11, 0xfd14
	s_waitcnt lgkmcnt(4)
	v_fma_f32 v2, -v25, v6, v2
	v_fma_f32 v6, -v16, v21, v12
	ds_load_2addr_b32 v[12:13], v14 offset1:1
	s_add_i32 s4, s4, -12
	s_waitcnt lgkmcnt(4)
	v_fma_f32 v2, -v24, v4, v2
	v_mov_b32_e32 v4, s21
	s_lshl_b32 s21, s23, 2
	s_add_i32 s23, s24, s22
	v_fma_f32 v6, -v18, v7, v6
	s_lshl_b32 s23, s23, 2
	s_delay_alu instid0(SALU_CYCLE_1)
	v_mov_b32_e32 v31, s23
	ds_load_2addr_b32 v[10:11], v10 offset1:1
	s_add_i32 s23, s24, s18
	s_waitcnt lgkmcnt(3)
	v_fma_f32 v2, -v26, v9, v2
	v_mov_b32_e32 v9, s21
	s_add_i32 s21, s24, s20
	s_delay_alu instid0(SALU_CYCLE_1) | instskip(SKIP_3) | instid1(SALU_CYCLE_1)
	s_lshl_b32 s21, s21, 2
	ds_load_2addr_b32 v[14:15], v9 offset1:1
	v_mov_b32_e32 v21, s21
	s_add_i32 s21, s24, s13
	s_lshl_b32 s21, s21, 2
	s_waitcnt lgkmcnt(1)
	v_fma_f32 v9, -v27, v11, v2
	v_fma_f32 v11, -v25, v5, v1
	s_delay_alu instid0(VALU_DEP_2) | instskip(SKIP_2) | instid1(VALU_DEP_3)
	v_fma_f32 v13, -v29, v13, v9
	v_mov_b32_e32 v9, s21
	s_lshl_b32 s21, s23, 2
	v_fma_f32 v3, -v24, v3, v11
	v_mov_b32_e32 v11, s21
	ds_load_b32 v32, v4
	ds_load_2addr_b32 v[1:2], v21 offset1:1
	ds_load_2addr_b32 v[4:5], v31 offset1:1
	s_waitcnt lgkmcnt(3)
	v_fma_f32 v13, -v23, v15, v13
	v_fma_f32 v3, -v26, v8, v3
	ds_load_2addr_b32 v[8:9], v9 offset1:1
	s_add_i32 s21, s24, s10
	s_delay_alu instid0(SALU_CYCLE_1) | instskip(SKIP_3) | instid1(VALU_DEP_1)
	s_lshl_b32 s21, s21, 2
	v_fma_f32 v3, -v27, v10, v3
	ds_load_2addr_b32 v[10:11], v11 offset1:1
	v_fma_f32 v12, -v29, v12, v3
	v_fma_f32 v12, -v23, v14, v12
	s_waitcnt lgkmcnt(3)
	v_fma_f32 v7, -v16, v2, v13
	v_mov_b32_e32 v13, s11
	s_delay_alu instid0(VALU_DEP_3) | instskip(SKIP_1) | instid1(VALU_DEP_3)
	v_fma_f32 v1, -v16, v1, v12
	s_waitcnt lgkmcnt(2)
	v_fma_f32 v5, -v18, v5, v7
	v_or_b32_e32 v7, s12, v0
	v_mul_f32_e32 v17, v30, v17
	v_fma_f32 v1, -v18, v4, v1
	ds_load_b32 v12, v13
	v_lshlrev_b32_e32 v4, 2, v7
	v_fma_f32 v6, -v17, v19, v6
	v_mov_b32_e32 v15, s21
	s_waitcnt lgkmcnt(2)
	v_fma_f32 v5, -v17, v9, v5
	v_fma_f32 v1, -v17, v8, v1
	v_or_b32_e32 v8, s22, v0
	v_mul_f32_e32 v6, v6, v32
	ds_load_2addr_b32 v[2:3], v15 offset1:1
	v_or_b32_e32 v7, s19, v0
	v_or_b32_e32 v9, s20, v0
	s_waitcnt lgkmcnt(2)
	v_fma_f32 v5, -v6, v11, v5
	v_fma_f32 v1, -v6, v10, v1
	v_or_b32_e32 v10, s18, v0
	v_or_b32_e32 v11, s10, v0
	v_lshlrev_b32_e32 v7, 2, v7
	v_lshlrev_b32_e32 v9, 2, v9
	s_delay_alu instid0(VALU_DEP_3) | instskip(SKIP_4) | instid1(VALU_DEP_1)
	v_lshlrev_b32_e32 v11, 2, v11
	s_waitcnt lgkmcnt(0)
	v_mul_f32_e32 v3, v5, v3
	v_lshlrev_b32_e32 v5, 2, v8
	v_or_b32_e32 v8, s13, v0
	v_lshlrev_b32_e32 v8, 2, v8
	s_delay_alu instid0(VALU_DEP_4)
	v_fma_f32 v1, -v3, v2, v1
	v_lshlrev_b32_e32 v2, 2, v0
	v_lshlrev_b32_e32 v10, 2, v10
	ds_store_b32 v20, v24 offset:1024
	ds_store_b32 v22, v26 offset:1024
	;; [unrolled: 1-line block ×8, first 2 shown]
	v_mul_f32_e32 v1, v1, v12
	v_lshl_or_b32 v2, s24, 6, v2
	ds_store_b32 v10, v6 offset:1024
	ds_store_b32 v11, v3 offset:1024
	;; [unrolled: 1-line block ×3, first 2 shown]
.LBB16_51:
	s_cmp_lt_i32 s4, 0
	s_cbranch_scc1 .LBB16_64
; %bb.52:
	s_bitcmp1_b32 s4, 0
	s_cselect_b32 s10, -1, 0
	s_delay_alu instid0(SALU_CYCLE_1)
	s_and_b32 vcc_lo, exec_lo, s10
	s_mov_b32 s10, s4
	s_cbranch_vccnz .LBB16_57
; %bb.53:
	v_lshlrev_b32_e32 v1, 2, v0
	s_cmp_le_i32 s26, s4
	s_delay_alu instid0(VALU_DEP_1)
	v_lshl_or_b32 v2, s4, 6, v1
	ds_load_b32 v1, v2 offset:1024
	s_cbranch_scc1 .LBB16_56
; %bb.54:
	s_lshl_b32 s10, s15, 6
	s_lshl_b32 s11, s4, 2
	v_lshl_or_b32 v3, v0, 2, s10
	s_add_i32 s10, s10, s11
	s_mov_b32 s11, s26
	s_sub_i32 s10, s10, 64
	s_delay_alu instid0(VALU_DEP_1)
	v_add_nc_u32_e32 v3, 0x3c0, v3
.LBB16_55:                              ; =>This Inner Loop Header: Depth=1
	v_mov_b32_e32 v4, s10
	s_add_i32 s11, s11, -1
	s_sub_i32 s10, s10, 64
	s_cmp_gt_i32 s11, s4
	ds_load_b32 v5, v3
	ds_load_b32 v4, v4
	v_subrev_nc_u32_e32 v3, 64, v3
	s_waitcnt lgkmcnt(0)
	v_fma_f32 v1, -v5, v4, v1
	s_cbranch_scc1 .LBB16_55
.LBB16_56:
	s_mul_i32 s10, s4, 0x44
	s_delay_alu instid0(SALU_CYCLE_1)
	v_dual_mov_b32 v3, s10 :: v_dual_add_nc_u32 v2, 0x400, v2
	s_add_i32 s10, s4, -1
	ds_load_b32 v3, v3
	s_waitcnt lgkmcnt(0)
	v_mul_f32_e32 v1, v1, v3
	ds_store_b32 v2, v1
.LBB16_57:
	s_cmp_eq_u32 s4, 0
	s_cbranch_scc1 .LBB16_64
; %bb.58:
	s_lshl_b32 s4, s15, 6
	s_lshl_b32 s11, s10, 2
	v_lshl_or_b32 v1, v0, 2, s4
	v_lshlrev_b32_e32 v2, 2, v0
	s_add_i32 s11, s4, s11
	s_delay_alu instid0(SALU_CYCLE_1) | instskip(NEXT) | instid1(VALU_DEP_2)
	s_sub_i32 s4, s11, 64
	v_add_nc_u32_e32 v1, 0x3c0, v1
	s_addk_i32 s11, 0xffbc
	s_branch .LBB16_60
.LBB16_59:                              ;   in Loop: Header=BB16_60 Depth=1
	s_addk_i32 s12, 0xffbc
	v_add_nc_u32_e32 v3, 0x400, v5
	v_mov_b32_e32 v5, s12
	s_add_i32 s12, s10, -2
	s_add_i32 s4, s4, -8
	;; [unrolled: 1-line block ×3, first 2 shown]
	s_cmp_lt_i32 s10, 2
	ds_load_b32 v5, v5
	s_mov_b32 s10, s12
	s_waitcnt lgkmcnt(0)
	v_mul_f32_e32 v4, v4, v5
	ds_store_b32 v3, v4
	s_cbranch_scc1 .LBB16_64
.LBB16_60:                              ; =>This Loop Header: Depth=1
                                        ;     Child Loop BB16_61 Depth 2
                                        ;     Child Loop BB16_63 Depth 2
	v_lshl_or_b32 v4, s10, 6, v2
	s_delay_alu instid0(VALU_DEP_2)
	v_mov_b32_e32 v5, v1
	s_cmp_le_i32 s26, s10
	s_mov_b32 s12, s4
	s_mov_b32 s13, s26
	ds_load_b32 v3, v4 offset:1024
	s_cbranch_scc1 .LBB16_62
.LBB16_61:                              ;   Parent Loop BB16_60 Depth=1
                                        ; =>  This Inner Loop Header: Depth=2
	v_mov_b32_e32 v6, s12
	s_add_i32 s13, s13, -1
	s_sub_i32 s12, s12, 64
	s_cmp_gt_i32 s13, s10
	ds_load_b32 v7, v5
	ds_load_b32 v6, v6
	v_subrev_nc_u32_e32 v5, 64, v5
	s_waitcnt lgkmcnt(0)
	v_fma_f32 v3, -v7, v6, v3
	s_cbranch_scc1 .LBB16_61
.LBB16_62:                              ;   in Loop: Header=BB16_60 Depth=1
	s_mul_i32 s12, s10, 0x44
	v_add_nc_u32_e32 v6, 0x400, v4
	v_mov_b32_e32 v4, s12
	s_lshl_b32 s13, s10, 6
	s_mov_b32 s18, s15
	s_sub_i32 s13, s13, 64
	s_cmp_lt_i32 s26, s10
	ds_load_b32 v7, v4
	v_lshl_or_b32 v5, v0, 2, s13
	s_mov_b32 s13, s11
	ds_load_b32 v4, v5 offset:1024
	s_waitcnt lgkmcnt(1)
	v_mul_f32_e32 v7, v3, v7
	v_mov_b32_e32 v3, v1
	ds_store_b32 v6, v7
	s_cbranch_scc1 .LBB16_59
.LBB16_63:                              ;   Parent Loop BB16_60 Depth=1
                                        ; =>  This Inner Loop Header: Depth=2
	v_mov_b32_e32 v6, s13
	s_add_i32 s18, s18, -1
	s_sub_i32 s13, s13, 64
	s_cmp_gt_i32 s18, s10
	ds_load_b32 v7, v3
	ds_load_b32 v6, v6
	v_subrev_nc_u32_e32 v3, 64, v3
	s_waitcnt lgkmcnt(0)
	v_fma_f32 v4, -v7, v6, v4
	s_cbranch_scc1 .LBB16_63
	s_branch .LBB16_59
.LBB16_64:
	s_waitcnt vmcnt(0) lgkmcnt(0)
	s_waitcnt_vscnt null, 0x0
	; wave barrier
	s_waitcnt lgkmcnt(0)
	buffer_gl0_inv
	s_and_saveexec_b32 s4, s14
	s_cbranch_execz .LBB16_71
; %bb.65:
	s_cmp_lt_i32 s6, 8
	s_mov_b32 s4, 0
	s_cbranch_scc1 .LBB16_68
; %bb.66:
	v_mad_i64_i32 v[1:2], null, s16, v0, 0
	v_lshl_or_b32 v3, v0, 2, 0x400
	s_lshl_b32 s4, s15, 2
	s_delay_alu instid0(VALU_DEP_2) | instskip(NEXT) | instid1(VALU_DEP_1)
	v_lshlrev_b64 v[1:2], 2, v[1:2]
	v_add_co_u32 v1, vcc_lo, s5, v1
	s_delay_alu instid0(VALU_DEP_2)
	v_add_co_ci_u32_e32 v2, vcc_lo, s7, v2, vcc_lo
	s_and_b32 s5, s4, 0x60
	s_mov_b32 s4, 0
	s_mov_b64 s[6:7], 0
	.p2align	6
.LBB16_67:                              ; =>This Inner Loop Header: Depth=1
	ds_load_2addr_b32 v[4:5], v3 offset1:16
	ds_load_2addr_b32 v[6:7], v3 offset0:32 offset1:48
	ds_load_2addr_b32 v[8:9], v3 offset0:64 offset1:80
	;; [unrolled: 1-line block ×3, first 2 shown]
	v_add_co_u32 v12, vcc_lo, v1, s6
	v_add_co_ci_u32_e32 v13, vcc_lo, s7, v2, vcc_lo
	s_add_i32 s4, s4, 8
	v_add_nc_u32_e32 v3, 0x200, v3
	s_add_u32 s6, s6, 32
	s_addc_u32 s7, s7, 0
	s_cmp_lg_u32 s5, s6
	s_waitcnt lgkmcnt(2)
	global_store_b128 v[12:13], v[4:7], off
	s_waitcnt lgkmcnt(0)
	global_store_b128 v[12:13], v[8:11], off offset:16
	s_cbranch_scc1 .LBB16_67
.LBB16_68:
	s_and_b32 s6, s15, 7
	s_mov_b32 s5, 0
	s_cmp_eq_u32 s6, 0
	s_cbranch_scc1 .LBB16_71
; %bb.69:
	v_lshlrev_b32_e32 v2, 2, v0
	s_lshl_b64 s[8:9], s[8:9], 2
	s_lshl_b64 s[10:11], s[4:5], 2
	s_delay_alu instid0(SALU_CYCLE_1) | instskip(NEXT) | instid1(VALU_DEP_1)
	s_add_u32 s2, s2, s10
	v_add_co_u32 v3, s5, s8, v2
	s_delay_alu instid0(VALU_DEP_1) | instskip(SKIP_3) | instid1(VALU_DEP_1)
	v_add_co_ci_u32_e64 v4, null, s9, 0, s5
	s_addc_u32 s3, s3, s11
	s_add_u32 s0, s2, s0
	s_addc_u32 s1, s3, s1
	v_mul_lo_u32 v4, v4, s16
	v_mad_u64_u32 v[0:1], null, v3, s16, s[0:1]
	v_mul_lo_u32 v3, v3, s17
	v_lshl_or_b32 v2, s4, 6, v2
	s_delay_alu instid0(VALU_DEP_1) | instskip(NEXT) | instid1(VALU_DEP_3)
	v_add_nc_u32_e32 v2, 0x400, v2
	v_add3_u32 v1, v4, v1, v3
.LBB16_70:                              ; =>This Inner Loop Header: Depth=1
	ds_load_b32 v3, v2
	v_add_nc_u32_e32 v2, 64, v2
	s_add_i32 s6, s6, -1
	s_delay_alu instid0(SALU_CYCLE_1)
	s_cmp_lg_u32 s6, 0
	s_waitcnt lgkmcnt(0)
	global_store_b32 v[0:1], v3, off
	v_add_co_u32 v0, vcc_lo, v0, 4
	v_add_co_ci_u32_e32 v1, vcc_lo, 0, v1, vcc_lo
	s_cbranch_scc1 .LBB16_70
.LBB16_71:
	s_nop 0
	s_sendmsg sendmsg(MSG_DEALLOC_VGPRS)
	s_endpgm
	.section	.rodata,"a",@progbits
	.p2align	6, 0x0
	.amdhsa_kernel _ZL38rocblas_trsm_small_left_device_sharedBILi16ELi16ELb0EffPKPKfPKPfEv13rocblas_fill_18rocblas_operation_17rocblas_diagonal_iiT3_T4_lilT5_lili
		.amdhsa_group_segment_fixed_size 2048
		.amdhsa_private_segment_fixed_size 0
		.amdhsa_kernarg_size 352
		.amdhsa_user_sgpr_count 14
		.amdhsa_user_sgpr_dispatch_ptr 0
		.amdhsa_user_sgpr_queue_ptr 0
		.amdhsa_user_sgpr_kernarg_segment_ptr 1
		.amdhsa_user_sgpr_dispatch_id 0
		.amdhsa_user_sgpr_private_segment_size 0
		.amdhsa_wavefront_size32 1
		.amdhsa_uses_dynamic_stack 0
		.amdhsa_enable_private_segment 0
		.amdhsa_system_sgpr_workgroup_id_x 1
		.amdhsa_system_sgpr_workgroup_id_y 0
		.amdhsa_system_sgpr_workgroup_id_z 1
		.amdhsa_system_sgpr_workgroup_info 0
		.amdhsa_system_vgpr_workitem_id 0
		.amdhsa_next_free_vgpr 89
		.amdhsa_next_free_sgpr 32
		.amdhsa_reserve_vcc 1
		.amdhsa_float_round_mode_32 0
		.amdhsa_float_round_mode_16_64 0
		.amdhsa_float_denorm_mode_32 3
		.amdhsa_float_denorm_mode_16_64 3
		.amdhsa_dx10_clamp 1
		.amdhsa_ieee_mode 1
		.amdhsa_fp16_overflow 0
		.amdhsa_workgroup_processor_mode 1
		.amdhsa_memory_ordered 1
		.amdhsa_forward_progress 0
		.amdhsa_shared_vgpr_count 0
		.amdhsa_exception_fp_ieee_invalid_op 0
		.amdhsa_exception_fp_denorm_src 0
		.amdhsa_exception_fp_ieee_div_zero 0
		.amdhsa_exception_fp_ieee_overflow 0
		.amdhsa_exception_fp_ieee_underflow 0
		.amdhsa_exception_fp_ieee_inexact 0
		.amdhsa_exception_int_div_zero 0
	.end_amdhsa_kernel
	.section	.text._ZL38rocblas_trsm_small_left_device_sharedBILi16ELi16ELb0EffPKPKfPKPfEv13rocblas_fill_18rocblas_operation_17rocblas_diagonal_iiT3_T4_lilT5_lili,"axG",@progbits,_ZL38rocblas_trsm_small_left_device_sharedBILi16ELi16ELb0EffPKPKfPKPfEv13rocblas_fill_18rocblas_operation_17rocblas_diagonal_iiT3_T4_lilT5_lili,comdat
.Lfunc_end16:
	.size	_ZL38rocblas_trsm_small_left_device_sharedBILi16ELi16ELb0EffPKPKfPKPfEv13rocblas_fill_18rocblas_operation_17rocblas_diagonal_iiT3_T4_lilT5_lili, .Lfunc_end16-_ZL38rocblas_trsm_small_left_device_sharedBILi16ELi16ELb0EffPKPKfPKPfEv13rocblas_fill_18rocblas_operation_17rocblas_diagonal_iiT3_T4_lilT5_lili
                                        ; -- End function
	.section	.AMDGPU.csdata,"",@progbits
; Kernel info:
; codeLenInByte = 12068
; NumSgprs: 34
; NumVgprs: 89
; ScratchSize: 0
; MemoryBound: 0
; FloatMode: 240
; IeeeMode: 1
; LDSByteSize: 2048 bytes/workgroup (compile time only)
; SGPRBlocks: 4
; VGPRBlocks: 11
; NumSGPRsForWavesPerEU: 34
; NumVGPRsForWavesPerEU: 89
; Occupancy: 16
; WaveLimiterHint : 1
; COMPUTE_PGM_RSRC2:SCRATCH_EN: 0
; COMPUTE_PGM_RSRC2:USER_SGPR: 14
; COMPUTE_PGM_RSRC2:TRAP_HANDLER: 0
; COMPUTE_PGM_RSRC2:TGID_X_EN: 1
; COMPUTE_PGM_RSRC2:TGID_Y_EN: 0
; COMPUTE_PGM_RSRC2:TGID_Z_EN: 1
; COMPUTE_PGM_RSRC2:TIDIG_COMP_CNT: 0
	.section	.text._ZL30rocblas_trsm_small_left_deviceILi16ELi16ELb0EffPKPKfPKPfEv13rocblas_fill_18rocblas_operation_17rocblas_diagonal_iiT3_T4_lilT5_lili,"axG",@progbits,_ZL30rocblas_trsm_small_left_deviceILi16ELi16ELb0EffPKPKfPKPfEv13rocblas_fill_18rocblas_operation_17rocblas_diagonal_iiT3_T4_lilT5_lili,comdat
	.globl	_ZL30rocblas_trsm_small_left_deviceILi16ELi16ELb0EffPKPKfPKPfEv13rocblas_fill_18rocblas_operation_17rocblas_diagonal_iiT3_T4_lilT5_lili ; -- Begin function _ZL30rocblas_trsm_small_left_deviceILi16ELi16ELb0EffPKPKfPKPfEv13rocblas_fill_18rocblas_operation_17rocblas_diagonal_iiT3_T4_lilT5_lili
	.p2align	8
	.type	_ZL30rocblas_trsm_small_left_deviceILi16ELi16ELb0EffPKPKfPKPfEv13rocblas_fill_18rocblas_operation_17rocblas_diagonal_iiT3_T4_lilT5_lili,@function
_ZL30rocblas_trsm_small_left_deviceILi16ELi16ELb0EffPKPKfPKPfEv13rocblas_fill_18rocblas_operation_17rocblas_diagonal_iiT3_T4_lilT5_lili: ; @_ZL30rocblas_trsm_small_left_deviceILi16ELi16ELb0EffPKPKfPKPfEv13rocblas_fill_18rocblas_operation_17rocblas_diagonal_iiT3_T4_lilT5_lili
; %bb.0:
	s_clause 0x1
	s_load_b128 s[8:11], s[0:1], 0x38
	s_load_b128 s[4:7], s[0:1], 0x4
	s_mov_b32 s2, s15
	s_mov_b32 s3, 0
	s_delay_alu instid0(SALU_CYCLE_1)
	s_lshl_b64 s[22:23], s[2:3], 3
	s_waitcnt lgkmcnt(0)
	s_add_u32 s8, s8, s22
	s_addc_u32 s9, s9, s23
	s_load_b32 s15, s[0:1], 0x14
	s_load_b64 s[12:13], s[8:9], 0x0
	s_min_i32 s2, s6, 16
	s_mov_b32 s9, exec_lo
	s_add_i32 s8, s2, -1
	v_cmpx_gt_i32_e64 s2, v0
	s_cbranch_execz .LBB17_10
; %bb.1:
	s_clause 0x1
	s_load_b32 s20, s[0:1], 0x28
	s_load_b128 s[16:19], s[0:1], 0x18
	v_lshlrev_b32_e32 v3, 2, v0
	s_waitcnt lgkmcnt(0)
	s_ashr_i32 s21, s20, 31
	s_add_u32 s16, s16, s22
	s_addc_u32 s17, s17, s23
	s_cmp_lt_u32 s8, 3
	s_load_b64 s[16:17], s[16:17], 0x0
	s_cbranch_scc1 .LBB17_4
; %bb.2:
	s_lshl_b64 s[22:23], s[18:19], 2
	v_mov_b32_e32 v4, v3
	s_waitcnt lgkmcnt(0)
	s_add_u32 s3, s16, s22
	s_addc_u32 s22, s17, s23
	v_add_co_u32 v1, s3, s3, v3
	s_delay_alu instid0(VALU_DEP_1)
	v_add_co_ci_u32_e64 v2, null, s22, 0, s3
	s_and_b32 s3, s2, -4
	s_mul_hi_i32 s28, s20, 12
	s_mul_i32 s29, s20, 12
	s_lshl_b64 s[22:23], s[20:21], 4
	s_lshl_b64 s[24:25], s[20:21], 3
	;; [unrolled: 1-line block ×3, first 2 shown]
	s_mov_b32 s30, 0
	.p2align	6
.LBB17_3:                               ; =>This Inner Loop Header: Depth=1
	v_add_co_u32 v5, vcc_lo, v1, s26
	v_add_co_ci_u32_e32 v6, vcc_lo, s27, v2, vcc_lo
	v_add_co_u32 v7, vcc_lo, v1, s24
	v_add_co_ci_u32_e32 v8, vcc_lo, s25, v2, vcc_lo
	;; [unrolled: 2-line block ×3, first 2 shown]
	s_clause 0x3
	global_load_b32 v11, v[1:2], off
	global_load_b32 v5, v[5:6], off
	;; [unrolled: 1-line block ×4, first 2 shown]
	v_add_co_u32 v1, vcc_lo, v1, s22
	v_add_co_ci_u32_e32 v2, vcc_lo, s23, v2, vcc_lo
	s_add_i32 s30, s30, 4
	s_waitcnt vmcnt(2)
	ds_store_2addr_b32 v4, v11, v5 offset1:16
	s_waitcnt vmcnt(0)
	ds_store_2addr_b32 v4, v6, v7 offset0:32 offset1:48
	v_add_nc_u32_e32 v4, 0x100, v4
	s_cmp_eq_u32 s3, s30
	s_cbranch_scc0 .LBB17_3
.LBB17_4:
	s_and_b32 s22, s2, 3
	s_delay_alu instid0(SALU_CYCLE_1)
	s_cmp_eq_u32 s22, 0
	s_cbranch_scc1 .LBB17_7
; %bb.5:
	s_mul_i32 s23, s21, s3
	s_mul_hi_u32 s25, s20, s3
	s_mul_i32 s24, s20, s3
	s_add_i32 s25, s25, s23
	s_lshl_b64 s[18:19], s[18:19], 2
	s_lshl_b64 s[24:25], s[24:25], 2
	v_lshl_or_b32 v4, s3, 6, v3
	s_add_u32 s3, s24, s18
	s_addc_u32 s18, s25, s19
	s_waitcnt lgkmcnt(0)
	s_add_u32 s3, s16, s3
	s_addc_u32 s16, s17, s18
	v_add_co_u32 v1, s3, s3, v3
	s_delay_alu instid0(VALU_DEP_1)
	v_add_co_ci_u32_e64 v2, null, s16, 0, s3
	s_lshl_b64 s[16:17], s[20:21], 2
.LBB17_6:                               ; =>This Inner Loop Header: Depth=1
	global_load_b32 v3, v[1:2], off
	v_add_co_u32 v1, vcc_lo, v1, s16
	v_add_co_ci_u32_e32 v2, vcc_lo, s17, v2, vcc_lo
	s_add_i32 s22, s22, -1
	s_delay_alu instid0(SALU_CYCLE_1)
	s_cmp_lg_u32 s22, 0
	s_waitcnt vmcnt(0)
	ds_store_b32 v4, v3
	v_add_nc_u32_e32 v4, 64, v4
	s_cbranch_scc1 .LBB17_6
.LBB17_7:
	v_mul_u32_u24_e32 v1, 17, v0
	s_cmpk_lg_i32 s5, 0x84
	s_delay_alu instid0(VALU_DEP_1)
	v_dual_mov_b32 v2, 1.0 :: v_dual_lshlrev_b32 v1, 2, v1
	s_cbranch_scc0 .LBB17_9
; %bb.8:
	ds_load_b32 v2, v1
	s_waitcnt lgkmcnt(0)
	v_div_scale_f32 v3, null, v2, v2, 1.0
	s_delay_alu instid0(VALU_DEP_1) | instskip(SKIP_2) | instid1(VALU_DEP_1)
	v_rcp_f32_e32 v4, v3
	s_waitcnt_depctr 0xfff
	v_fma_f32 v5, -v3, v4, 1.0
	v_fmac_f32_e32 v4, v5, v4
	v_div_scale_f32 v5, vcc_lo, 1.0, v2, 1.0
	s_delay_alu instid0(VALU_DEP_1) | instskip(NEXT) | instid1(VALU_DEP_1)
	v_mul_f32_e32 v6, v5, v4
	v_fma_f32 v7, -v3, v6, v5
	s_delay_alu instid0(VALU_DEP_1) | instskip(NEXT) | instid1(VALU_DEP_1)
	v_fmac_f32_e32 v6, v7, v4
	v_fma_f32 v3, -v3, v6, v5
	s_delay_alu instid0(VALU_DEP_1) | instskip(NEXT) | instid1(VALU_DEP_1)
	v_div_fmas_f32 v3, v3, v4, v6
	v_div_fixup_f32 v2, v3, v2, 1.0
.LBB17_9:
	ds_store_b32 v1, v2
.LBB17_10:
	s_or_b32 exec_lo, exec_lo, s9
	s_load_b32 s3, s[0:1], 0x60
	s_lshl_b32 s5, s14, 4
	s_waitcnt lgkmcnt(0)
	s_sub_i32 s7, s7, s5
	; wave barrier
	buffer_gl0_inv
	s_add_i32 s3, s3, -1
	s_delay_alu instid0(SALU_CYCLE_1) | instskip(SKIP_1) | instid1(SALU_CYCLE_1)
	s_cmp_ge_u32 s14, s3
	s_cselect_b32 s3, s7, 16
	v_cmp_gt_i32_e32 vcc_lo, s3, v0
	s_mov_b32 s3, -1
	s_and_saveexec_b32 s7, vcc_lo
	s_cbranch_execz .LBB17_65
; %bb.11:
	s_load_b32 s0, s[0:1], 0x48
	v_add_nc_u32_e32 v2, s5, v0
	s_waitcnt lgkmcnt(0)
	s_delay_alu instid0(VALU_DEP_1) | instskip(SKIP_1) | instid1(SALU_CYCLE_1)
	v_mad_i64_i32 v[0:1], null, s0, v2, 0
	s_lshl_b64 s[0:1], s[10:11], 2
	s_add_u32 s5, s12, s0
	s_addc_u32 s7, s13, s1
	s_cmpk_eq_i32 s4, 0x6f
	s_delay_alu instid0(VALU_DEP_1) | instskip(NEXT) | instid1(VALU_DEP_1)
	v_lshlrev_b64 v[17:18], 2, v[0:1]
	v_add_co_u32 v15, vcc_lo, s5, v17
	s_delay_alu instid0(VALU_DEP_2)
	v_add_co_ci_u32_e32 v16, vcc_lo, s7, v18, vcc_lo
	s_cbranch_scc1 .LBB17_39
; %bb.12:
	s_cmp_lt_i32 s6, 16
	s_mov_b32 s4, 16
	s_cselect_b32 s3, -1, 0
	s_cmp_gt_i32 s6, 15
	s_cbranch_scc0 .LBB17_14
; %bb.13:
	s_clause 0x3
	global_load_b128 v[0:3], v[15:16], off
	global_load_b128 v[4:7], v[15:16], off offset:16
	global_load_b128 v[8:11], v[15:16], off offset:32
	;; [unrolled: 1-line block ×3, first 2 shown]
	s_waitcnt vmcnt(3)
	v_dual_mov_b32 v99, 0 :: v_dual_mul_f32 v0, s15, v0
	ds_load_b32 v27, v99
	ds_load_b64 v[34:35], v99 offset:64
	ds_load_b96 v[12:14], v99 offset:128
	ds_load_b128 v[23:26], v99 offset:192
	s_waitcnt lgkmcnt(3)
	v_mul_f32_e32 v0, v0, v27
	ds_load_b128 v[27:30], v99 offset:256
	s_waitcnt lgkmcnt(3)
	v_mul_f32_e32 v31, v0, v34
	s_delay_alu instid0(VALU_DEP_1)
	v_fma_f32 v1, v1, s15, -v31
	s_waitcnt lgkmcnt(2)
	v_mul_f32_e32 v12, v0, v12
	ds_load_b32 v100, v99 offset:272
	ds_load_b128 v[31:34], v99 offset:320
	v_mul_f32_e32 v1, v1, v35
	v_fma_f32 v2, v2, s15, -v12
	ds_load_b64 v[93:94], v99 offset:336
	ds_load_b128 v[35:38], v99 offset:384
	ds_load_b96 v[87:89], v99 offset:400
	ds_load_b128 v[39:42], v99 offset:448
	ds_load_b128 v[43:46], v99 offset:512
	;; [unrolled: 1-line block ×4, first 2 shown]
	ds_load_b64 v[95:96], v99 offset:608
	ds_load_b128 v[55:58], v99 offset:640
	ds_load_b128 v[59:62], v99 offset:704
	;; [unrolled: 1-line block ×8, first 2 shown]
	v_fma_f32 v2, -v1, v13, v2
	s_waitcnt lgkmcnt(19)
	v_mul_f32_e32 v23, v0, v23
	ds_load_b64 v[97:98], v99 offset:880
	v_mul_f32_e32 v2, v2, v14
	v_fma_f32 v3, v3, s15, -v23
	s_delay_alu instid0(VALU_DEP_1) | instskip(NEXT) | instid1(VALU_DEP_1)
	v_fma_f32 v3, -v1, v24, v3
	v_fma_f32 v3, -v2, v25, v3
	s_waitcnt lgkmcnt(19)
	s_delay_alu instid0(VALU_DEP_1)
	v_dual_mul_f32 v3, v3, v26 :: v_dual_mul_f32 v12, v0, v27
	s_waitcnt lgkmcnt(17)
	v_mul_f32_e32 v13, v0, v31
	s_waitcnt lgkmcnt(15)
	v_mul_f32_e32 v14, v0, v35
	s_waitcnt lgkmcnt(12)
	v_mul_f32_e32 v24, v0, v43
	v_mul_f32_e32 v23, v0, v39
	s_waitcnt vmcnt(2)
	v_fma_f32 v4, v4, s15, -v12
	v_fma_f32 v5, v5, s15, -v13
	;; [unrolled: 1-line block ×3, first 2 shown]
	s_waitcnt lgkmcnt(7)
	v_mul_f32_e32 v13, v0, v59
	s_waitcnt lgkmcnt(6)
	v_mul_f32_e32 v14, v0, v63
	v_fma_f32 v4, -v1, v28, v4
	v_mul_f32_e32 v6, v0, v51
	s_waitcnt vmcnt(1)
	v_fma_f32 v8, v8, s15, -v24
	v_fma_f32 v24, v11, s15, -v13
	s_waitcnt lgkmcnt(1)
	v_mul_f32_e32 v11, v0, v83
	s_waitcnt vmcnt(0)
	v_fma_f32 v25, v19, s15, -v14
	v_fma_f32 v13, -v1, v32, v5
	v_fma_f32 v14, -v2, v29, v4
	v_fma_f32 v23, v7, s15, -v23
	v_fma_f32 v9, v9, s15, -v6
	v_mul_f32_e32 v6, v0, v75
	v_fma_f32 v43, v22, s15, -v11
	v_fma_f32 v11, -v2, v33, v13
	v_fma_f32 v33, -v3, v30, v14
	;; [unrolled: 1-line block ×3, first 2 shown]
	ds_load_b96 v[12:14], v99 offset:944
	v_mul_f32_e32 v7, v0, v55
	v_fma_f32 v31, v20, s15, -v6
	v_fma_f32 v8, -v1, v44, v8
	v_fma_f32 v34, -v3, v34, v11
	;; [unrolled: 1-line block ×3, first 2 shown]
	v_fma_f32 v10, v10, s15, -v7
	v_mul_f32_e32 v7, v0, v79
	v_fma_f32 v19, -v2, v37, v19
	v_fma_f32 v23, -v2, v45, v8
	;; [unrolled: 1-line block ×3, first 2 shown]
	v_mul_f32_e32 v31, v33, v100
	v_fma_f32 v32, v21, s15, -v7
	v_fma_f32 v21, -v1, v56, v10
	ds_load_b128 v[4:7], v99 offset:736
	ds_load_b32 v63, v99 offset:816
	v_fma_f32 v20, -v1, v52, v9
	v_fma_f32 v22, -v2, v41, v11
	ds_load_b128 v[8:11], v99 offset:528
	ds_load_b32 v75, v99 offset:544
	v_fma_f32 v44, -v3, v38, v19
	v_fma_f32 v27, -v2, v57, v21
	v_fma_f32 v32, -v1, v80, v32
	v_fma_f32 v33, -v31, v93, v34
	v_fma_f32 v55, -v3, v42, v22
	v_fma_f32 v34, -v2, v77, v45
	v_fma_f32 v79, -v3, v58, v27
	v_fma_f32 v58, -v2, v81, v32
	v_fma_f32 v59, -v31, v87, v44
	v_mul_f32_e32 v32, v33, v94
	v_fma_f32 v26, -v2, v53, v20
	ds_load_b128 v[19:22], v99 offset:656
	ds_load_b96 v[90:92], v99 offset:672
	v_fma_f32 v56, -v3, v46, v23
	v_fma_f32 v76, -v3, v78, v34
	;; [unrolled: 1-line block ×7, first 2 shown]
	s_waitcnt lgkmcnt(3)
	v_fma_f32 v8, -v31, v8, v56
	v_fma_f32 v48, -v32, v48, v33
	v_mul_f32_e32 v33, v34, v89
	ds_load_b128 v[23:26], v99 offset:784
	ds_load_b128 v[27:30], v99 offset:800
	v_fma_f32 v35, -v2, v61, v35
	v_fma_f32 v36, -v2, v65, v36
	;; [unrolled: 1-line block ×7, first 2 shown]
	ds_load_b128 v[35:38], v99 offset:848
	ds_load_b128 v[39:42], v99 offset:864
	s_waitcnt lgkmcnt(5)
	v_fma_f32 v19, -v31, v19, v79
	v_fma_f32 v49, -v32, v68, v34
	;; [unrolled: 1-line block ×3, first 2 shown]
	v_mul_f32_e32 v34, v9, v50
	v_fma_f32 v57, -v1, v84, v43
	ds_load_b128 v[43:46], v99 offset:912
	ds_load_b128 v[51:54], v99 offset:928
	v_fma_f32 v48, -v31, v71, v65
	v_fma_f32 v19, -v32, v20, v19
	;; [unrolled: 1-line block ×6, first 2 shown]
	ds_load_b128 v[55:58], v99 offset:976
	ds_load_b128 v[59:62], v99 offset:992
	s_waitcnt lgkmcnt(7)
	v_fma_f32 v9, -v31, v23, v66
	v_fma_f32 v23, -v32, v72, v48
	;; [unrolled: 1-line block ×4, first 2 shown]
	v_mul_f32_e32 v8, v8, v75
	s_waitcnt lgkmcnt(5)
	v_fma_f32 v10, -v31, v35, v76
	v_fma_f32 v9, -v32, v24, v9
	;; [unrolled: 1-line block ×6, first 2 shown]
	s_waitcnt lgkmcnt(3)
	v_fma_f32 v11, -v31, v43, v77
	v_fma_f32 v10, -v32, v36, v10
	v_fma_f32 v22, -v33, v25, v9
	v_fma_f32 v23, -v34, v74, v23
	v_fma_f32 v19, -v8, v90, v19
	v_mul_f32_e32 v9, v20, v96
	v_fma_f32 v11, -v32, v44, v11
	s_waitcnt lgkmcnt(1)
	v_fma_f32 v21, -v31, v55, v47
	v_fma_f32 v10, -v33, v37, v10
	v_fma_f32 v20, -v34, v26, v22
	v_fma_f32 v4, -v8, v4, v23
	v_fma_f32 v19, -v9, v91, v19
	v_fma_f32 v11, -v33, v45, v11
	v_fma_f32 v22, -v34, v38, v10
	v_fma_f32 v20, -v8, v27, v20
	v_fma_f32 v4, -v9, v5, v4
	v_mul_f32_e32 v10, v19, v92
	v_fma_f32 v5, -v32, v56, v21
	v_fma_f32 v11, -v34, v46, v11
	;; [unrolled: 1-line block ×9, first 2 shown]
	v_mul_f32_e32 v11, v4, v7
	v_fma_f32 v22, -v34, v58, v5
	ds_load_b128 v[4:7], v99 offset:1008
	v_fma_f32 v21, -v9, v52, v21
	v_fma_f32 v19, -v10, v41, v19
	;; [unrolled: 1-line block ×3, first 2 shown]
	s_waitcnt lgkmcnt(1)
	v_fma_f32 v22, -v8, v59, v22
	v_fma_f32 v21, -v10, v53, v21
	;; [unrolled: 1-line block ×3, first 2 shown]
	v_mul_f32_e32 v19, v20, v63
	s_delay_alu instid0(VALU_DEP_4) | instskip(NEXT) | instid1(VALU_DEP_4)
	v_fma_f32 v20, -v9, v60, v22
	v_fma_f32 v21, -v11, v54, v21
	s_delay_alu instid0(VALU_DEP_3) | instskip(NEXT) | instid1(VALU_DEP_3)
	v_fma_f32 v22, -v19, v97, v23
	v_fma_f32 v23, -v10, v61, v20
	s_delay_alu instid0(VALU_DEP_3) | instskip(NEXT) | instid1(VALU_DEP_3)
	v_fma_f32 v12, -v19, v12, v21
	v_mul_f32_e32 v20, v22, v98
	s_delay_alu instid0(VALU_DEP_3) | instskip(NEXT) | instid1(VALU_DEP_2)
	v_fma_f32 v21, -v11, v62, v23
	v_fma_f32 v12, -v20, v13, v12
	s_waitcnt lgkmcnt(0)
	s_delay_alu instid0(VALU_DEP_2) | instskip(NEXT) | instid1(VALU_DEP_2)
	v_fma_f32 v4, -v19, v4, v21
	v_mul_f32_e32 v21, v12, v14
	s_delay_alu instid0(VALU_DEP_2) | instskip(NEXT) | instid1(VALU_DEP_1)
	v_fma_f32 v4, -v20, v5, v4
	v_fma_f32 v4, -v21, v6, v4
	s_delay_alu instid0(VALU_DEP_1)
	v_mul_f32_e32 v22, v4, v7
	s_clause 0x3
	global_store_b128 v[15:16], v[0:3], off
	global_store_b128 v[15:16], v[31:34], off offset:16
	global_store_b128 v[15:16], v[8:11], off offset:32
	;; [unrolled: 1-line block ×3, first 2 shown]
	s_cmp_lt_i32 s4, s2
	s_cbranch_scc1 .LBB17_15
	s_branch .LBB17_38
.LBB17_14:
	s_mov_b32 s4, 0
	s_delay_alu instid0(SALU_CYCLE_1)
	s_cmp_lt_i32 s4, s2
	s_cbranch_scc0 .LBB17_38
.LBB17_15:
	s_or_b32 s7, s4, 11
	s_delay_alu instid0(SALU_CYCLE_1)
	s_cmp_ge_u32 s7, s2
	s_cbranch_scc1 .LBB17_27
; %bb.16:
	s_lshl_b32 s5, s4, 2
	s_mov_b32 s9, 0
	v_add_co_u32 v0, vcc_lo, v15, s5
	v_add_co_ci_u32_e32 v1, vcc_lo, 0, v16, vcc_lo
	s_and_not1_b32 vcc_lo, exec_lo, s3
	s_clause 0x2
	global_load_b128 v[2:5], v[0:1], off
	global_load_b128 v[20:23], v[0:1], off offset:16
	global_load_b128 v[24:27], v[0:1], off offset:32
	s_waitcnt vmcnt(2)
	v_dual_mul_f32 v19, s15, v2 :: v_dual_mul_f32 v14, s15, v3
	v_dual_mul_f32 v13, s15, v4 :: v_dual_mul_f32 v12, s15, v5
	s_waitcnt vmcnt(1)
	v_dual_mul_f32 v11, s15, v20 :: v_dual_mul_f32 v10, s15, v21
	v_dual_mul_f32 v9, s15, v22 :: v_dual_mul_f32 v8, s15, v23
	;; [unrolled: 3-line block ×3, first 2 shown]
	s_cbranch_vccnz .LBB17_18
; %bb.17:
	s_lshl_b32 s3, s7, 4
	s_branch .LBB17_19
.LBB17_18:
	s_mov_b32 s9, -1
                                        ; implicit-def: $sgpr3
.LBB17_19:
	s_delay_alu instid0(SALU_CYCLE_1)
	s_and_not1_b32 vcc_lo, exec_lo, s9
	s_cbranch_vccnz .LBB17_26
; %bb.20:
	s_max_u32 s10, s4, 1
	s_delay_alu instid0(SALU_CYCLE_1)
	s_cmp_eq_u32 s10, 1
	s_cbranch_scc1 .LBB17_23
; %bb.21:
	s_and_b32 s9, s10, 16
	s_lshl_b32 s3, s4, 6
	s_add_u32 s11, s12, s0
	s_addc_u32 s14, s13, s1
	v_add_co_u32 v2, vcc_lo, s11, v17
	v_add_co_ci_u32_e32 v3, vcc_lo, s14, v18, vcc_lo
	s_mov_b32 s11, 0
	s_delay_alu instid0(VALU_DEP_2) | instskip(NEXT) | instid1(VALU_DEP_2)
	v_add_co_u32 v2, vcc_lo, v2, 4
	v_add_co_ci_u32_e32 v3, vcc_lo, 0, v3, vcc_lo
.LBB17_22:                              ; =>This Inner Loop Header: Depth=1
	global_load_b64 v[44:45], v[2:3], off offset:-4
	v_mov_b32_e32 v40, s3
	v_add_co_u32 v2, vcc_lo, v2, 8
	v_add_co_ci_u32_e32 v3, vcc_lo, 0, v3, vcc_lo
	ds_load_2addr_b64 v[20:23], v40 offset1:8
	ds_load_2addr_b64 v[24:27], v40 offset0:16 offset1:24
	ds_load_2addr_b64 v[28:31], v40 offset0:32 offset1:40
	ds_load_2addr_b64 v[32:35], v40 offset0:48 offset1:56
	ds_load_2addr_b64 v[36:39], v40 offset0:64 offset1:72
	ds_load_2addr_b64 v[40:43], v40 offset0:80 offset1:88
	s_add_i32 s11, s11, 2
	s_add_i32 s3, s3, 8
	s_cmp_lg_u32 s9, s11
	s_waitcnt vmcnt(0) lgkmcnt(5)
	v_fma_f32 v19, -v44, v20, v19
	v_fma_f32 v14, -v44, v22, v14
	s_waitcnt lgkmcnt(4)
	v_fma_f32 v13, -v44, v24, v13
	v_fma_f32 v12, -v44, v26, v12
	s_waitcnt lgkmcnt(3)
	;; [unrolled: 3-line block ×5, first 2 shown]
	v_fma_f32 v5, -v44, v40, v5
	v_fma_f32 v4, -v44, v42, v4
	;; [unrolled: 1-line block ×14, first 2 shown]
	s_cbranch_scc1 .LBB17_22
	s_branch .LBB17_24
.LBB17_23:
	s_mov_b32 s9, 0
.LBB17_24:
	s_lshl_b32 s3, s7, 4
	s_bitcmp0_b32 s10, 0
	s_cbranch_scc1 .LBB17_26
; %bb.25:
	s_lshl_b32 s7, s9, 2
	s_delay_alu instid0(SALU_CYCLE_1) | instskip(SKIP_2) | instid1(SALU_CYCLE_1)
	v_add_co_u32 v2, vcc_lo, v15, s7
	v_add_co_ci_u32_e32 v3, vcc_lo, 0, v16, vcc_lo
	s_lshl_b32 s7, s4, 4
	s_add_i32 s7, s7, s9
	global_load_b32 v28, v[2:3], off
	s_lshl_b32 s7, s7, 2
	s_delay_alu instid0(SALU_CYCLE_1) | instskip(SKIP_1) | instid1(SALU_CYCLE_1)
	v_mov_b32_e32 v29, s7
	s_add_i32 s7, s3, s9
	s_lshl_b32 s7, s7, 2
	s_delay_alu instid0(SALU_CYCLE_1)
	v_mov_b32_e32 v30, s7
	ds_load_2addr_b32 v[2:3], v29 offset1:16
	ds_load_2addr_b32 v[20:21], v29 offset0:32 offset1:48
	ds_load_2addr_b32 v[22:23], v29 offset0:64 offset1:80
	;; [unrolled: 1-line block ×4, first 2 shown]
	ds_load_b32 v29, v29 offset:640
	ds_load_b32 v30, v30
	s_waitcnt vmcnt(0) lgkmcnt(6)
	v_fma_f32 v19, -v28, v2, v19
	v_fma_f32 v14, -v28, v3, v14
	s_waitcnt lgkmcnt(5)
	v_fma_f32 v13, -v28, v20, v13
	v_fma_f32 v12, -v28, v21, v12
	s_waitcnt lgkmcnt(4)
	;; [unrolled: 3-line block ×5, first 2 shown]
	v_fma_f32 v5, -v28, v29, v5
	s_waitcnt lgkmcnt(0)
	v_fma_f32 v4, -v28, v30, v4
.LBB17_26:
	s_lshl_b32 s7, s4, 4
	s_mul_i32 s9, s4, 0x44
	s_add_i32 s7, s4, s7
	s_add_i32 s3, s3, s4
	s_lshl_b32 s7, s7, 2
	s_delay_alu instid0(SALU_CYCLE_1)
	v_dual_mov_b32 v78, s9 :: v_dual_mov_b32 v79, s7
	s_lshl_b32 s9, s4, 6
	s_lshl_b32 s3, s3, 2
	s_or_b32 s5, s9, s5
	ds_load_2addr_b32 v[2:3], v78 offset1:68
	ds_load_2addr_b64 v[20:23], v79 offset0:8 offset1:42
	s_or_b32 s7, s5, 0x80
	s_or_b32 s9, s5, 0x180
	s_delay_alu instid0(SALU_CYCLE_1)
	v_dual_mov_b32 v24, s7 :: v_dual_mov_b32 v33, s9
	s_or_b32 s7, s5, 0x100
	s_or_b32 s10, s5, 0x200
	;; [unrolled: 1-line block ×3, first 2 shown]
	ds_load_b96 v[69:71], v24
	ds_load_b128 v[24:27], v79 offset:192
	v_mov_b32_e32 v34, s10
	v_dual_mov_b32 v80, s3 :: v_dual_mov_b32 v81, s5
	s_or_b32 s4, s4, 12
	s_waitcnt lgkmcnt(3)
	v_mul_f32_e32 v32, v19, v2
	s_waitcnt lgkmcnt(2)
	s_delay_alu instid0(VALU_DEP_1)
	v_fma_f32 v2, -v32, v20, v14
	v_mov_b32_e32 v28, s7
	ds_load_b128 v[28:31], v28
	ds_load_2addr_b32 v[72:73], v78 offset0:102 offset1:119
	ds_load_2addr_b32 v[74:75], v78 offset0:136 offset1:153
	ds_load_b128 v[35:38], v79 offset:320
	ds_load_b128 v[39:42], v33
	ds_load_b128 v[43:46], v79 offset:448
	ds_load_b64 v[76:77], v33 offset:16
	ds_load_b128 v[47:50], v34
	ds_load_b32 v82, v79 offset:608
	v_mul_f32_e32 v33, v2, v21
	s_waitcnt lgkmcnt(10)
	v_fma_f32 v13, -v32, v69, v13
	s_waitcnt lgkmcnt(9)
	v_fma_f32 v2, -v32, v24, v12
	ds_load_b128 v[51:54], v79 offset:576
	ds_load_b128 v[55:58], v34 offset:16
	ds_load_b128 v[59:62], v81
	v_fma_f32 v12, -v33, v70, v13
	v_fma_f32 v2, -v33, v25, v2
	ds_load_b128 v[63:66], v80
	ds_load_b128 v[67:70], v80 offset:16
	v_mul_f32_e32 v34, v12, v71
	s_delay_alu instid0(VALU_DEP_1)
	v_fma_f32 v2, -v34, v26, v2
	s_waitcnt lgkmcnt(13)
	v_fma_f32 v24, -v32, v28, v11
	s_waitcnt lgkmcnt(10)
	;; [unrolled: 2-line block ×4, first 2 shown]
	v_fma_f32 v8, -v32, v43, v8
	v_mul_f32_e32 v35, v2, v27
	v_fma_f32 v24, -v33, v29, v24
	v_fma_f32 v10, -v33, v36, v10
	;; [unrolled: 1-line block ×3, first 2 shown]
	ds_load_b96 v[19:21], v79 offset:464
	ds_load_b128 v[11:14], v79 offset:592
	s_waitcnt lgkmcnt(8)
	v_fma_f32 v7, -v32, v47, v7
	v_fma_f32 v24, -v34, v30, v24
	;; [unrolled: 1-line block ×4, first 2 shown]
	s_delay_alu instid0(VALU_DEP_3) | instskip(SKIP_1) | instid1(VALU_DEP_4)
	v_fma_f32 v10, -v35, v31, v24
	v_fma_f32 v24, -v34, v41, v2
	;; [unrolled: 1-line block ×3, first 2 shown]
	s_delay_alu instid0(VALU_DEP_3)
	v_mul_f32_e32 v2, v10, v3
	s_waitcnt lgkmcnt(3)
	v_fma_f32 v10, -v32, v63, v4
	v_fma_f32 v3, -v33, v48, v7
	;; [unrolled: 1-line block ×9, first 2 shown]
	v_mul_f32_e32 v3, v8, v23
	v_fma_f32 v6, -v32, v51, v6
	v_fma_f32 v5, -v32, v59, v5
	s_waitcnt lgkmcnt(1)
	v_fma_f32 v4, -v2, v19, v4
	v_fma_f32 v22, -v35, v50, v22
	;; [unrolled: 1-line block ×7, first 2 shown]
	v_mul_f32_e32 v4, v19, v72
	v_fma_f32 v23, -v34, v53, v6
	ds_load_b128 v[6:9], v81 offset:16
	v_fma_f32 v5, -v34, v61, v5
	v_fma_f32 v20, -v4, v21, v20
	;; [unrolled: 1-line block ×3, first 2 shown]
	s_delay_alu instid0(VALU_DEP_3) | instskip(NEXT) | instid1(VALU_DEP_3)
	v_fma_f32 v21, -v35, v62, v5
	v_mul_f32_e32 v5, v20, v73
	v_fma_f32 v22, -v2, v55, v22
	s_waitcnt lgkmcnt(1)
	v_fma_f32 v11, -v2, v11, v23
	s_delay_alu instid0(VALU_DEP_2) | instskip(NEXT) | instid1(VALU_DEP_2)
	v_fma_f32 v19, -v3, v56, v22
	v_fma_f32 v11, -v3, v12, v11
	s_delay_alu instid0(VALU_DEP_2)
	v_fma_f32 v12, -v4, v57, v19
	ds_load_b64 v[19:20], v81 offset:32
	s_waitcnt lgkmcnt(1)
	v_fma_f32 v6, -v2, v6, v21
	v_fma_f32 v21, -v35, v66, v10
	;; [unrolled: 1-line block ×4, first 2 shown]
	ds_load_b96 v[10:12], v80 offset:32
	v_fma_f32 v7, -v3, v7, v6
	v_fma_f32 v21, -v2, v67, v21
	;; [unrolled: 1-line block ×3, first 2 shown]
	v_mul_f32_e32 v6, v22, v74
	ds_load_2addr_b32 v[13:14], v78 offset0:170 offset1:187
	v_fma_f32 v7, -v4, v8, v7
	v_fma_f32 v8, -v3, v68, v21
	s_delay_alu instid0(VALU_DEP_2) | instskip(SKIP_2) | instid1(VALU_DEP_2)
	v_fma_f32 v7, -v5, v9, v7
	v_fma_f32 v9, -v6, v82, v23
	s_waitcnt lgkmcnt(2)
	v_fma_f32 v19, -v6, v19, v7
	s_delay_alu instid0(VALU_DEP_2) | instskip(SKIP_1) | instid1(VALU_DEP_2)
	v_mul_f32_e32 v7, v9, v75
	v_fma_f32 v8, -v4, v69, v8
	v_fma_f32 v9, -v7, v20, v19
	s_delay_alu instid0(VALU_DEP_2) | instskip(SKIP_1) | instid1(VALU_DEP_1)
	v_fma_f32 v8, -v5, v70, v8
	s_waitcnt lgkmcnt(1)
	v_fma_f32 v10, -v6, v10, v8
	s_waitcnt lgkmcnt(0)
	v_mul_f32_e32 v8, v9, v13
	s_delay_alu instid0(VALU_DEP_2) | instskip(NEXT) | instid1(VALU_DEP_1)
	v_fma_f32 v9, -v7, v11, v10
	v_fma_f32 v9, -v8, v12, v9
	s_delay_alu instid0(VALU_DEP_1)
	v_mul_f32_e32 v9, v9, v14
	s_clause 0x2
	global_store_b128 v[0:1], v[32:35], off
	global_store_b128 v[0:1], v[2:5], off offset:16
	global_store_b128 v[0:1], v[6:9], off offset:32
.LBB17_27:
	s_cmp_ge_i32 s4, s2
	s_cbranch_scc1 .LBB17_38
; %bb.28:
	s_add_i32 s3, s4, -1
	s_lshl_b32 s7, s4, 6
	s_add_u32 s5, s12, s0
	s_addc_u32 s9, s13, s1
	v_add_co_u32 v6, vcc_lo, s5, v17
	v_add_co_ci_u32_e32 v7, vcc_lo, s9, v18, vcc_lo
	s_mov_b32 s11, 0
	s_delay_alu instid0(VALU_DEP_2) | instskip(NEXT) | instid1(VALU_DEP_2)
	v_add_co_u32 v0, vcc_lo, v6, 28
	v_add_co_ci_u32_e32 v1, vcc_lo, 0, v7, vcc_lo
	s_mov_b32 s14, s4
	s_mov_b32 s9, 0
	s_branch .LBB17_30
.LBB17_29:                              ;   in Loop: Header=BB17_30 Depth=1
	s_mul_i32 s5, s4, 0x44
	v_add_nc_u16 v5, s14, 1
	v_mov_b32_e32 v4, s5
	s_add_i32 s4, s4, 1
	s_add_i32 s9, s9, 1
	;; [unrolled: 1-line block ×3, first 2 shown]
	v_readfirstlane_b32 s14, v5
	ds_load_b32 v4, v4
	s_cmp_ge_i32 s4, s2
	s_waitcnt lgkmcnt(0)
	v_mul_f32_e32 v4, v8, v4
	global_store_b32 v[2:3], v4, off
	s_cbranch_scc1 .LBB17_38
.LBB17_30:                              ; =>This Loop Header: Depth=1
                                        ;     Child Loop BB17_33 Depth 2
                                        ;     Child Loop BB17_37 Depth 2
	s_ashr_i32 s5, s4, 31
	s_delay_alu instid0(SALU_CYCLE_1)
	s_lshl_b64 s[16:17], s[4:5], 2
	s_cmp_eq_u32 s4, 0
	v_add_co_u32 v2, vcc_lo, v15, s16
	v_add_co_ci_u32_e32 v3, vcc_lo, s17, v16, vcc_lo
	global_load_b32 v4, v[2:3], off
	s_waitcnt vmcnt(0)
	v_mul_f32_e32 v8, s15, v4
	s_cbranch_scc1 .LBB17_29
; %bb.31:                               ;   in Loop: Header=BB17_30 Depth=1
	s_add_i32 s5, s3, s9
	s_delay_alu instid0(SALU_CYCLE_1)
	s_cmp_lt_u32 s5, 7
	s_cbranch_scc1 .LBB17_35
; %bb.32:                               ;   in Loop: Header=BB17_30 Depth=1
	v_dual_mov_b32 v5, v1 :: v_dual_mov_b32 v4, v0
	s_and_b32 s10, s4, -8
	s_mov_b32 s5, 0
	s_mov_b32 s16, s7
	.p2align	6
.LBB17_33:                              ;   Parent Loop BB17_30 Depth=1
                                        ; =>  This Inner Loop Header: Depth=2
	s_clause 0x1
	global_load_b128 v[9:12], v[4:5], off offset:-28
	global_load_b128 v[19:22], v[4:5], off offset:-12
	v_mov_b32_e32 v13, s16
	v_add_co_u32 v4, vcc_lo, v4, 32
	v_add_co_ci_u32_e32 v5, vcc_lo, 0, v5, vcc_lo
	ds_load_b128 v[23:26], v13
	ds_load_b128 v[27:30], v13 offset:16
	s_add_i32 s5, s5, 8
	s_add_i32 s16, s16, 32
	s_cmp_lg_u32 s10, s5
	s_waitcnt vmcnt(1) lgkmcnt(1)
	v_fma_f32 v8, -v9, v23, v8
	s_delay_alu instid0(VALU_DEP_1) | instskip(NEXT) | instid1(VALU_DEP_1)
	v_fma_f32 v8, -v10, v24, v8
	v_fma_f32 v8, -v11, v25, v8
	s_delay_alu instid0(VALU_DEP_1) | instskip(SKIP_1) | instid1(VALU_DEP_1)
	v_fma_f32 v8, -v12, v26, v8
	s_waitcnt vmcnt(0) lgkmcnt(0)
	v_fma_f32 v8, -v19, v27, v8
	s_delay_alu instid0(VALU_DEP_1) | instskip(NEXT) | instid1(VALU_DEP_1)
	v_fma_f32 v8, -v20, v28, v8
	v_fma_f32 v8, -v21, v29, v8
	s_delay_alu instid0(VALU_DEP_1)
	v_fma_f32 v8, -v22, v30, v8
	s_cbranch_scc1 .LBB17_33
; %bb.34:                               ;   in Loop: Header=BB17_30 Depth=1
	s_and_b32 s5, s4, 7
	s_delay_alu instid0(SALU_CYCLE_1)
	s_cmp_eq_u32 s5, 0
	s_cbranch_scc0 .LBB17_36
	s_branch .LBB17_29
.LBB17_35:                              ;   in Loop: Header=BB17_30 Depth=1
	s_mov_b32 s10, 0
	s_and_b32 s5, s4, 7
	s_delay_alu instid0(SALU_CYCLE_1)
	s_cmp_eq_u32 s5, 0
	s_cbranch_scc1 .LBB17_29
.LBB17_36:                              ;   in Loop: Header=BB17_30 Depth=1
	s_lshl_b64 s[16:17], s[10:11], 2
	s_and_b32 s5, s14, 7
	v_add_co_u32 v4, vcc_lo, v6, s16
	v_add_co_ci_u32_e32 v5, vcc_lo, s17, v7, vcc_lo
	s_lshl_b32 s10, s10, 2
.LBB17_37:                              ;   Parent Loop BB17_30 Depth=1
                                        ; =>  This Inner Loop Header: Depth=2
	global_load_b32 v9, v[4:5], off
	s_add_i32 s16, s7, s10
	v_add_co_u32 v4, vcc_lo, v4, 4
	v_mov_b32_e32 v10, s16
	v_add_co_ci_u32_e32 v5, vcc_lo, 0, v5, vcc_lo
	s_add_i32 s5, s5, -1
	s_add_i32 s10, s10, 4
	ds_load_b32 v10, v10
	s_cmp_lg_u32 s5, 0
	s_waitcnt vmcnt(0) lgkmcnt(0)
	v_fma_f32 v8, -v9, v10, v8
	s_cbranch_scc1 .LBB17_37
	s_branch .LBB17_29
.LBB17_38:
	s_mov_b32 s3, 0
.LBB17_39:
	s_delay_alu instid0(SALU_CYCLE_1)
	s_and_b32 vcc_lo, exec_lo, s3
	s_cbranch_vccz .LBB17_65
; %bb.40:
	s_cmp_gt_i32 s6, 15
	s_cbranch_scc0 .LBB17_42
; %bb.41:
	s_ashr_i32 s9, s8, 31
	s_mov_b32 s3, 0
	s_lshl_b64 s[4:5], s[8:9], 2
	s_mul_i32 s10, s8, 0x44
	v_add_co_u32 v19, vcc_lo, v15, s4
	v_add_co_ci_u32_e32 v20, vcc_lo, s5, v16, vcc_lo
	s_lshl_b64 s[4:5], s[2:3], 2
	s_add_i32 s11, s2, -2
	v_add_co_u32 v12, vcc_lo, v15, s4
	global_load_b32 v21, v[19:20], off
	v_add_co_ci_u32_e32 v13, vcc_lo, s5, v16, vcc_lo
	s_clause 0x3
	global_load_b128 v[8:11], v[12:13], off offset:-32
	global_load_b128 v[4:7], v[12:13], off offset:-48
	;; [unrolled: 1-line block ×3, first 2 shown]
	global_load_b96 v[12:14], v[12:13], off offset:-16
	s_lshl_b32 s7, s8, 4
	s_add_i32 s4, s2, -4
	s_lshl_b32 s5, s2, 4
	s_add_i32 s6, s2, -6
	s_add_i32 s19, s11, s7
	s_lshl_b32 s11, s11, 4
	s_sub_i32 s22, s5, 48
	s_add_i32 s23, s10, 0xffffff34
	s_add_i32 s24, s6, s7
	s_lshl_b32 s25, s4, 4
	s_add_i32 s26, s5, 0xffffffb0
	s_lshl_b32 s29, s6, 4
	;; [unrolled: 2-line block ×3, first 2 shown]
	v_dual_mov_b32 v26, s23 :: v_dual_mov_b32 v57, s36
	s_lshl_b32 s23, s24, 2
	s_add_i32 s24, s6, s11
	s_add_i32 s48, s6, s22
	;; [unrolled: 1-line block ×6, first 2 shown]
	s_lshl_b32 s6, s6, 2
	s_delay_alu instid0(SALU_CYCLE_1)
	v_dual_mov_b32 v22, s19 :: v_dual_mov_b32 v65, s6
	s_add_i32 s9, s2, -8
	s_add_i32 s16, s2, -12
	s_add_i32 s30, s10, 0xfffffe68
	s_add_i32 s33, s10, 0xfffffe24
	v_dual_mov_b32 v36, s20 :: v_dual_mov_b32 v55, s30
	s_lshl_b32 s20, s21, 2
	s_add_i32 s21, s4, s11
	s_add_i32 s4, s4, s22
	;; [unrolled: 1-line block ×4, first 2 shown]
	v_dual_mov_b32 v56, s33 :: v_dual_mov_b32 v37, s20
	s_add_i32 s60, s16, s26
	s_lshl_b32 s20, s4, 2
	v_dual_mov_b32 v58, s38 :: v_dual_mov_b32 v27, s23
	s_lshl_b32 s23, s48, 2
	s_lshl_b32 s48, s53, 2
	;; [unrolled: 1-line block ×3, first 2 shown]
	s_delay_alu instid0(SALU_CYCLE_1)
	v_dual_mov_b32 v24, s20 :: v_dual_mov_b32 v77, s53
	ds_load_2addr_b32 v[22:23], v22 offset1:1
	ds_load_2addr_b32 v[24:25], v24 offset1:1
	ds_load_b32 v88, v26
	ds_load_2addr_b32 v[26:27], v27 offset1:1
	s_add_i32 s14, s2, -10
	s_add_i32 s27, s10, 0xfffffeac
	s_add_i32 s34, s14, s7
	;; [unrolled: 1-line block ×3, first 2 shown]
	s_lshl_b32 s30, s34, 2
	s_add_i32 s55, s14, s26
	s_add_i32 s28, s9, s7
	s_lshl_b32 s19, s21, 2
	s_lshl_b32 s21, s24, 2
	;; [unrolled: 1-line block ×4, first 2 shown]
	s_delay_alu instid0(SALU_CYCLE_1)
	v_dual_mov_b32 v30, s30 :: v_dual_mov_b32 v69, s49
	s_lshl_b32 s30, s33, 2
	s_add_i32 s31, s5, 0xffffff90
	s_lshl_b32 s35, s9, 4
	s_add_i32 s37, s5, 0xffffff70
	s_add_i32 s39, s16, s7
	s_lshl_b32 s40, s14, 4
	s_add_i32 s41, s5, 0xffffff50
	s_mul_i32 s3, s2, 0x44
	s_add_i32 s17, s2, -14
	s_addk_i32 s10, 0xfd58
	s_delay_alu instid0(SALU_CYCLE_1)
	v_dual_mov_b32 v54, s27 :: v_dual_mov_b32 v59, s10
	s_lshl_b32 s27, s28, 2
	v_mov_b32_e32 v48, s30
	s_add_i32 s18, s2, -16
	s_lshl_b32 s44, s16, 4
	s_add_i32 s28, s9, s11
	s_add_i32 s34, s14, s22
	s_lshl_b32 s36, s39, 2
	s_add_i32 s38, s16, s11
	s_add_i32 s39, s16, s22
	;; [unrolled: 1-line block ×12, first 2 shown]
	v_dual_mov_b32 v28, s27 :: v_dual_mov_b32 v67, s48
	s_add_i32 s46, s3, 0xfffffc48
	s_add_i32 s7, s18, s7
	;; [unrolled: 1-line block ×3, first 2 shown]
	s_lshl_b32 s27, s28, 2
	s_lshl_b32 s33, s34, 2
	;; [unrolled: 1-line block ×3, first 2 shown]
	s_add_i32 s57, s14, s31
	s_lshl_b32 s10, s43, 2
	s_delay_alu instid0(SALU_CYCLE_1)
	v_dual_mov_b32 v60, s42 :: v_dual_mov_b32 v61, s10
	s_add_i32 s42, s17, s11
	s_add_i32 s43, s17, s22
	s_lshl_b32 s28, s50, 2
	s_add_i32 s54, s14, s25
	s_add_i32 s56, s14, s29
	;; [unrolled: 1-line block ×5, first 2 shown]
	v_dual_mov_b32 v62, s46 :: v_dual_mov_b32 v63, s23
	s_lshl_b32 s7, s7, 2
	s_lshl_b32 s46, s51, 2
	v_dual_mov_b32 v42, s27 :: v_dual_mov_b32 v83, s16
	s_lshl_b32 s51, s57, 2
	s_delay_alu instid0(SALU_CYCLE_1) | instskip(SKIP_2) | instid1(SALU_CYCLE_1)
	v_dual_mov_b32 v32, s36 :: v_dual_mov_b32 v71, s51
	s_lshl_b32 s10, s42, 2
	s_lshl_b32 s42, s43, 2
	v_dual_mov_b32 v44, s28 :: v_dual_mov_b32 v85, s42
	s_lshl_b32 s34, s54, 2
	s_lshl_b32 s14, s14, 2
	;; [unrolled: 1-line block ×6, first 2 shown]
	v_dual_mov_b32 v34, s7 :: v_dual_mov_b32 v73, s14
	v_dual_mov_b32 v38, s19 :: v_dual_mov_b32 v75, s38
	;; [unrolled: 1-line block ×3, first 2 shown]
	ds_load_2addr_b32 v[28:29], v28 offset1:1
	s_lshl_b32 s50, s56, 2
	s_lshl_b32 s55, s62, 2
	s_delay_alu instid0(SALU_CYCLE_1)
	v_dual_mov_b32 v40, s21 :: v_dual_mov_b32 v79, s55
	ds_load_2addr_b32 v[30:31], v30 offset1:1
	ds_load_2addr_b32 v[32:33], v32 offset1:1
	;; [unrolled: 1-line block ×3, first 2 shown]
	ds_load_b32 v92, v36
	ds_load_2addr_b32 v[36:37], v37 offset1:1
	ds_load_2addr_b32 v[38:39], v38 offset1:1
	;; [unrolled: 1-line block ×3, first 2 shown]
	s_add_i32 s45, s5, 0xffffff30
	s_lshl_b32 s47, s17, 4
	s_add_i32 s52, s9, s26
	s_add_i32 s5, s5, s18
	;; [unrolled: 1-line block ×25, first 2 shown]
	s_lshl_b32 s47, s52, 2
	s_lshl_b32 s52, s58, 2
	;; [unrolled: 1-line block ×19, first 2 shown]
	v_dual_mov_b32 v84, s10 :: v_dual_mov_b32 v97, s66
	v_dual_mov_b32 v90, s7 :: v_dual_mov_b32 v101, s29
	v_dual_mov_b32 v68, s9 :: v_dual_mov_b32 v91, s11
	s_lshl_b32 s57, s64, 2
	s_delay_alu instid0(SALU_CYCLE_1) | instskip(SKIP_1) | instid1(SALU_CYCLE_1)
	v_dual_mov_b32 v64, s24 :: v_dual_mov_b32 v81, s57
	s_lshl_b32 s60, s68, 2
	v_dual_mov_b32 v66, s47 :: v_dual_mov_b32 v89, s60
	v_dual_mov_b32 v86, s43 :: v_dual_mov_b32 v99, s25
	s_lshl_b32 s61, s69, 2
	s_lshl_b32 s58, s65, 2
	;; [unrolled: 1-line block ×7, first 2 shown]
	v_mov_b32_e32 v82, s58
	s_lshl_b32 s17, s17, 2
	v_mov_b32_e32 v100, s26
	v_mov_b32_e32 v98, s17
	;; [unrolled: 1-line block ×4, first 2 shown]
	s_addk_i32 s3, 0xfbc0
	v_mov_b32_e32 v103, s35
	s_waitcnt vmcnt(4)
	v_dual_mul_f32 v21, s15, v21 :: v_dual_mov_b32 v50, s33
	s_waitcnt lgkmcnt(11)
	s_delay_alu instid0(VALU_DEP_1) | instskip(SKIP_3) | instid1(VALU_DEP_3)
	v_dual_mul_f32 v93, v21, v23 :: v_dual_mov_b32 v52, s34
	v_mov_b32_e32 v70, s50
	v_mov_b32_e32 v72, s52
	s_waitcnt lgkmcnt(6)
	v_dual_mov_b32 v74, s36 :: v_dual_mul_f32 v31, v93, v31
	v_mul_f32_e32 v21, v93, v27
	ds_load_2addr_b32 v[42:43], v42 offset1:1
	ds_load_2addr_b32 v[44:45], v44 offset1:1
	;; [unrolled: 1-line block ×6, first 2 shown]
	v_mul_f32_e32 v23, v93, v26
	ds_load_b32 v83, v83
	ds_load_b32 v94, v60
	ds_load_2addr_b32 v[26:27], v61 offset1:1
	v_mul_f32_e32 v29, v93, v29
	v_mul_f32_e32 v28, v93, v28
	s_waitcnt lgkmcnt(14)
	v_dual_mov_b32 v76, s39 :: v_dual_mul_f32 v33, v93, v33
	v_mov_b32_e32 v78, s54
	s_waitcnt lgkmcnt(13)
	v_dual_mov_b32 v80, s56 :: v_dual_mul_f32 v35, v93, v35
	v_mul_f32_e32 v22, v93, v22
	v_mul_f32_e32 v34, v93, v34
	s_waitcnt vmcnt(3)
	v_fma_f32 v21, v11, s15, -v21
	v_fma_f32 v23, v10, s15, -v23
	;; [unrolled: 1-line block ×4, first 2 shown]
	ds_load_2addr_b32 v[8:9], v74 offset1:1
	ds_load_2addr_b32 v[10:11], v75 offset1:1
	;; [unrolled: 1-line block ×3, first 2 shown]
	v_mul_f32_e32 v30, v93, v30
	s_waitcnt vmcnt(2)
	v_fma_f32 v75, v7, s15, -v31
	v_mul_f32_e32 v32, v93, v32
	v_fma_f32 v95, v5, s15, -v33
	s_waitcnt lgkmcnt(3)
	v_mul_f32_e32 v27, v93, v27
	v_mul_f32_e32 v26, v93, v26
	s_waitcnt vmcnt(1)
	s_delay_alu instid0(VALU_DEP_2) | instskip(NEXT) | instid1(VALU_DEP_2)
	v_fma_f32 v3, v3, s15, -v27
	v_fma_f32 v2, v2, s15, -v26
	;; [unrolled: 1-line block ×4, first 2 shown]
	v_mul_f32_e32 v0, v93, v37
	s_waitcnt vmcnt(0)
	v_fma_f32 v1, v14, s15, -v22
	v_mul_f32_e32 v22, v93, v36
	s_delay_alu instid0(VALU_DEP_3) | instskip(NEXT) | instid1(VALU_DEP_3)
	v_fma_f32 v0, v13, s15, -v0
	v_mul_f32_e32 v14, v1, v92
	s_delay_alu instid0(VALU_DEP_3) | instskip(SKIP_1) | instid1(VALU_DEP_3)
	v_fma_f32 v1, v12, s15, -v22
	v_mov_b32_e32 v92, s65
	v_fma_f32 v12, -v14, v39, v0
	s_delay_alu instid0(VALU_DEP_3)
	v_fma_f32 v34, -v14, v38, v1
	v_fma_f32 v38, -v14, v49, v75
	v_mov_b32_e32 v75, s40
	v_fma_f32 v76, v6, s15, -v30
	v_dual_mov_b32 v74, s22 :: v_dual_mul_f32 v13, v12, v25
	v_fma_f32 v35, -v14, v41, v21
	v_fma_f32 v23, -v14, v40, v23
	s_delay_alu instid0(VALU_DEP_4)
	v_fma_f32 v39, -v14, v48, v76
	s_waitcnt lgkmcnt(2)
	v_fma_f32 v48, -v14, v9, v95
	v_mov_b32_e32 v95, s44
	v_fma_f32 v96, v4, s15, -v32
	ds_load_2addr_b32 v[4:5], v84 offset1:1
	ds_load_2addr_b32 v[6:7], v90 offset1:1
	;; [unrolled: 1-line block ×5, first 2 shown]
	v_fma_f32 v12, -v13, v24, v34
	v_fma_f32 v36, -v14, v43, v60
	;; [unrolled: 1-line block ×3, first 2 shown]
	ds_load_b32 v96, v55
	ds_load_b32 v105, v56
	ds_load_b32 v106, v57
	ds_load_b32 v107, v58
	ds_load_b32 v108, v59
	v_fma_f32 v37, -v14, v42, v61
	v_mul_f32_e32 v12, v12, v88
	v_fma_f32 v59, -v13, v45, v36
	v_fma_f32 v61, -v13, v51, v38
	v_mov_b32_e32 v74, s61
	v_fma_f32 v60, -v13, v44, v37
	v_mov_b32_e32 v84, s62
	v_dual_mov_b32 v90, s63 :: v_dual_mov_b32 v91, s64
	v_mov_b32_e32 v76, s41
	s_waitcnt lgkmcnt(9)
	v_fma_f32 v55, -v14, v5, v3
	v_fma_f32 v56, -v14, v4, v2
	ds_load_2addr_b32 v[2:3], v64 offset1:1
	ds_load_2addr_b32 v[4:5], v65 offset1:1
	ds_load_b32 v63, v54
	s_waitcnt lgkmcnt(11)
	v_fma_f32 v54, -v14, v7, v26
	s_waitcnt lgkmcnt(8)
	v_fma_f32 v57, -v13, v1, v35
	v_fma_f32 v27, -v14, v6, v27
	ds_load_2addr_b32 v[6:7], v66 offset1:1
	ds_load_2addr_b32 v[8:9], v67 offset1:1
	ds_load_b32 v66, v68
	ds_load_2addr_b32 v[21:22], v85 offset1:1
	v_fma_f32 v58, -v13, v0, v23
	ds_load_2addr_b32 v[0:1], v69 offset1:1
	ds_load_2addr_b32 v[23:24], v70 offset1:1
	;; [unrolled: 1-line block ×4, first 2 shown]
	ds_load_b32 v67, v73
	v_fma_f32 v64, -v13, v50, v39
	ds_load_2addr_b32 v[36:37], v77 offset1:1
	ds_load_2addr_b32 v[38:39], v78 offset1:1
	;; [unrolled: 1-line block ×4, first 2 shown]
	v_fma_f32 v65, -v13, v11, v48
	v_fma_f32 v68, -v13, v10, v49
	ds_load_2addr_b32 v[10:11], v86 offset1:1
	ds_load_2addr_b32 v[44:45], v87 offset1:1
	;; [unrolled: 1-line block ×3, first 2 shown]
	v_fma_f32 v72, -v13, v30, v27
	v_fma_f32 v27, -v12, v47, v59
	;; [unrolled: 1-line block ×6, first 2 shown]
	s_waitcnt lgkmcnt(18)
	v_fma_f32 v3, -v12, v3, v57
	v_fma_f32 v2, -v12, v2, v58
	v_fma_f32 v68, -v12, v28, v68
	s_waitcnt lgkmcnt(17)
	s_delay_alu instid0(VALU_DEP_3)
	v_mul_f32_e32 v3, v3, v5
	s_waitcnt lgkmcnt(12)
	v_fma_f32 v69, -v13, v22, v55
	v_fma_f32 v70, -v13, v21, v56
	ds_load_2addr_b32 v[21:22], v81 offset1:1
	ds_load_2addr_b32 v[50:51], v82 offset1:1
	;; [unrolled: 1-line block ×6, first 2 shown]
	v_fma_f32 v2, -v3, v4, v2
	v_fma_f32 v7, -v3, v7, v27
	;; [unrolled: 1-line block ×4, first 2 shown]
	ds_load_2addr_b32 v[52:53], v92 offset1:1
	ds_load_2addr_b32 v[58:59], v97 offset1:1
	;; [unrolled: 1-line block ×3, first 2 shown]
	ds_load_b32 v78, v62
	v_mul_f32_e32 v2, v2, v63
	ds_load_2addr_b32 v[4:5], v99 offset1:1
	ds_load_2addr_b32 v[27:28], v100 offset1:1
	ds_load_2addr_b32 v[62:63], v101 offset1:1
	ds_load_2addr_b32 v[64:65], v102 offset1:1
	s_waitcnt lgkmcnt(25)
	v_fma_f32 v0, -v3, v0, v77
	s_waitcnt lgkmcnt(16)
	v_fma_f32 v11, -v12, v11, v69
	global_store_b32 v[19:20], v93, off
	v_fma_f32 v7, -v2, v9, v7
	v_fma_f32 v9, -v12, v10, v70
	;; [unrolled: 1-line block ×5, first 2 shown]
	v_mul_f32_e32 v1, v7, v96
	v_fma_f32 v8, -v3, v37, v29
	v_fma_f32 v23, -v2, v23, v0
	;; [unrolled: 1-line block ×8, first 2 shown]
	s_waitcnt lgkmcnt(3)
	v_fma_f32 v5, -v3, v5, v10
	v_mul_f32_e32 v0, v6, v105
	v_fma_f32 v6, -v3, v44, v9
	v_fma_f32 v9, -v1, v25, v23
	;; [unrolled: 1-line block ×8, first 2 shown]
	s_waitcnt lgkmcnt(2)
	v_fma_f32 v5, -v2, v28, v5
	v_mul_f32_e32 v7, v10, v106
	v_fma_f32 v10, -v2, v49, v11
	v_fma_f32 v11, -v2, v48, v6
	;; [unrolled: 1-line block ×9, first 2 shown]
	v_mul_f32_e32 v6, v9, v107
	v_fma_f32 v10, -v0, v47, v10
	ds_load_2addr_b32 v[8:9], v103 offset1:1
	v_fma_f32 v21, -v7, v21, v23
	s_waitcnt lgkmcnt(2)
	v_fma_f32 v23, -v1, v63, v5
	v_fma_f32 v22, -v6, v51, v22
	;; [unrolled: 1-line block ×4, first 2 shown]
	ds_load_2addr_b32 v[10:11], v104 offset1:1
	v_fma_f32 v21, -v6, v50, v21
	v_mul_f32_e32 v5, v22, v108
	v_fma_f32 v26, -v2, v27, v4
	v_fma_f32 v4, -v7, v54, v24
	;; [unrolled: 1-line block ×3, first 2 shown]
	s_waitcnt lgkmcnt(2)
	v_fma_f32 v27, -v0, v65, v23
	v_fma_f32 v25, -v5, v83, v21
	ds_load_2addr_b32 v[21:22], v75 offset1:1
	v_fma_f32 v30, -v1, v62, v26
	v_fma_f32 v29, -v5, v53, v24
	ds_load_2addr_b32 v[23:24], v76 offset1:1
	v_fma_f32 v28, -v6, v56, v4
	v_mul_f32_e32 v4, v25, v94
	ds_load_2addr_b32 v[25:26], v95 offset1:1
	s_waitcnt lgkmcnt(4)
	v_fma_f32 v9, -v7, v9, v27
	v_mov_b32_e32 v27, s4
	v_fma_f32 v30, -v0, v64, v30
	s_lshl_b32 s4, s5, 2
	v_fma_f32 v31, -v5, v52, v28
	s_addk_i32 s4, 0xfc40
	v_fma_f32 v29, -v4, v59, v29
	s_waitcnt lgkmcnt(3)
	v_fma_f32 v9, -v6, v11, v9
	v_mov_b32_e32 v32, s4
	ds_load_2addr_b32 v[27:28], v27 offset1:1
	v_fma_f32 v30, -v7, v8, v30
	v_mul_f32_e32 v11, v29, v61
	v_fma_f32 v29, -v4, v58, v31
	s_waitcnt lgkmcnt(3)
	v_fma_f32 v22, -v5, v22, v9
	ds_load_2addr_b32 v[8:9], v32 offset1:1
	v_fma_f32 v10, -v6, v10, v30
	v_mov_b32_e32 v30, s3
	v_fma_f32 v29, -v11, v60, v29
	s_waitcnt lgkmcnt(3)
	v_fma_f32 v22, -v4, v24, v22
	s_ashr_i32 s3, s2, 31
	v_fma_f32 v21, -v5, v21, v10
	ds_load_b32 v24, v30
	v_mul_f32_e32 v10, v29, v78
	s_waitcnt lgkmcnt(3)
	v_fma_f32 v22, -v11, v26, v22
	s_lshl_b64 s[4:5], s[2:3], 2
	v_fma_f32 v21, -v4, v23, v21
	s_waitcnt lgkmcnt(2)
	s_delay_alu instid0(VALU_DEP_2) | instskip(NEXT) | instid1(VALU_DEP_2)
	v_fma_f32 v22, -v10, v28, v22
	v_fma_f32 v21, -v11, v25, v21
	s_waitcnt lgkmcnt(1)
	s_delay_alu instid0(VALU_DEP_2) | instskip(NEXT) | instid1(VALU_DEP_2)
	v_mul_f32_e32 v9, v22, v9
	v_fma_f32 v21, -v10, v27, v21
	s_delay_alu instid0(VALU_DEP_1) | instskip(SKIP_3) | instid1(VALU_DEP_3)
	v_fma_f32 v8, -v9, v8, v21
	v_add_co_u32 v21, vcc_lo, v15, s4
	v_add_co_ci_u32_e32 v22, vcc_lo, s5, v16, vcc_lo
	s_waitcnt lgkmcnt(0)
	v_mul_f32_e32 v8, v8, v24
	s_sub_i32 s4, s2, 17
	s_clause 0x3
	global_store_b96 v[21:22], v[12:14], off offset:-16
	global_store_b128 v[21:22], v[0:3], off offset:-32
	global_store_b128 v[21:22], v[4:7], off offset:-48
	global_store_b128 v[21:22], v[8:11], off offset:-64
	s_cmp_gt_i32 s4, -1
	s_cbranch_scc1 .LBB17_43
	s_branch .LBB17_65
.LBB17_42:
	s_mov_b32 s4, s8
	s_delay_alu instid0(SALU_CYCLE_1)
	s_cmp_gt_i32 s4, -1
	s_cbranch_scc0 .LBB17_65
.LBB17_43:
	s_cmp_lt_u32 s4, 11
	s_cbranch_scc1 .LBB17_48
; %bb.44:
	s_mov_b32 s5, 0
	s_delay_alu instid0(SALU_CYCLE_1)
	s_lshl_b64 s[6:7], s[4:5], 2
	s_cmp_le_i32 s8, s4
	v_add_co_u32 v0, vcc_lo, v15, s6
	v_add_co_ci_u32_e32 v1, vcc_lo, s7, v16, vcc_lo
	s_clause 0x2
	global_load_b128 v[2:5], v[0:1], off offset:-12
	global_load_b128 v[6:9], v[0:1], off offset:-28
	;; [unrolled: 1-line block ×3, first 2 shown]
	s_waitcnt vmcnt(2)
	v_dual_mul_f32 v19, s15, v5 :: v_dual_mul_f32 v14, s15, v4
	v_dual_mul_f32 v13, s15, v3 :: v_dual_mul_f32 v12, s15, v2
	s_waitcnt vmcnt(1)
	v_dual_mul_f32 v11, s15, v9 :: v_dual_mul_f32 v10, s15, v8
	v_dual_mul_f32 v9, s15, v7 :: v_dual_mul_f32 v8, s15, v6
	;; [unrolled: 3-line block ×3, first 2 shown]
	s_cbranch_scc1 .LBB17_47
; %bb.45:
	s_lshl_b32 s3, s2, 6
	s_lshl_b32 s5, s4, 2
	s_ashr_i32 s9, s8, 31
	s_add_i32 s3, s3, s5
	s_lshl_b64 s[6:7], s[8:9], 2
	s_addk_i32 s3, 0xff94
	s_add_u32 s5, s12, s6
	s_addc_u32 s6, s13, s7
	s_add_u32 s5, s5, s0
	s_addc_u32 s6, s6, s1
	v_add_co_u32 v2, vcc_lo, s5, v17
	v_add_co_ci_u32_e32 v3, vcc_lo, s6, v18, vcc_lo
	s_mov_b32 s5, s8
	s_set_inst_prefetch_distance 0x1
	.p2align	6
.LBB17_46:                              ; =>This Inner Loop Header: Depth=1
	global_load_b32 v32, v[2:3], off
	v_mov_b32_e32 v30, s3
	v_add_co_u32 v2, vcc_lo, v2, -4
	v_add_co_ci_u32_e32 v3, vcc_lo, -1, v3, vcc_lo
	ds_load_2addr_b32 v[20:21], v30 offset0:10 offset1:11
	ds_load_2addr_b32 v[22:23], v30 offset0:8 offset1:9
	;; [unrolled: 1-line block ×5, first 2 shown]
	ds_load_2addr_b32 v[30:31], v30 offset1:1
	s_add_i32 s5, s5, -1
	s_sub_i32 s3, s3, 64
	s_cmp_gt_i32 s5, s4
	s_waitcnt vmcnt(0) lgkmcnt(5)
	v_fma_f32 v19, -v32, v21, v19
	v_fma_f32 v14, -v32, v20, v14
	s_waitcnt lgkmcnt(4)
	v_fma_f32 v13, -v32, v23, v13
	v_fma_f32 v12, -v32, v22, v12
	s_waitcnt lgkmcnt(3)
	;; [unrolled: 3-line block ×5, first 2 shown]
	v_fma_f32 v5, -v32, v31, v5
	v_fma_f32 v4, -v32, v30, v4
	s_cbranch_scc1 .LBB17_46
.LBB17_47:
	s_set_inst_prefetch_distance 0x2
	s_add_i32 s6, s4, -1
	s_lshl_b32 s5, s4, 4
	s_add_i32 s9, s4, -3
	s_add_i32 s7, s6, s5
	s_add_i32 s14, s9, s5
	s_lshl_b32 s7, s7, 2
	s_lshl_b32 s14, s14, 2
	s_delay_alu instid0(SALU_CYCLE_1)
	v_dual_mov_b32 v2, s7 :: v_dual_mov_b32 v21, s14
	s_mul_i32 s3, s4, 0x44
	s_lshl_b32 s7, s6, 4
	s_add_i32 s10, s3, 0xffffffbc
	ds_load_2addr_b32 v[2:3], v2 offset1:1
	s_sub_i32 s6, s5, 32
	s_add_i32 s16, s3, 0xffffff34
	v_mov_b32_e32 v20, s10
	s_add_i32 s10, s9, s7
	s_add_i32 s11, s4, -5
	s_add_i32 s14, s9, s6
	s_lshl_b32 s10, s10, 2
	s_add_i32 s17, s11, s6
	v_mov_b32_e32 v22, s10
	s_lshl_b32 s10, s14, 2
	s_add_i32 s14, s11, s5
	s_lshl_b32 s17, s17, 2
	s_waitcnt lgkmcnt(0)
	v_dual_mul_f32 v34, v19, v3 :: v_dual_mov_b32 v3, s16
	ds_load_b32 v28, v20
	ds_load_2addr_b32 v[20:21], v21 offset1:1
	v_fma_f32 v14, -v34, v2, v14
	v_mov_b32_e32 v24, s10
	s_lshl_b32 s10, s14, 2
	s_add_i32 s14, s11, s7
	v_mov_b32_e32 v26, s10
	s_lshl_b32 s10, s14, 2
	ds_load_2addr_b32 v[24:25], v24 offset1:1
	v_mov_b32_e32 v19, s10
	ds_load_2addr_b32 v[22:23], v22 offset1:1
	ds_load_b32 v29, v3
	s_lshl_b32 s10, s9, 4
	s_sub_i32 s9, s5, 64
	ds_load_2addr_b32 v[2:3], v19 offset1:1
	s_add_i32 s18, s11, s10
	s_add_i32 s19, s11, s9
	s_lshl_b32 s18, s18, 2
	s_add_i32 s14, s4, -7
	s_waitcnt lgkmcnt(4)
	v_fma_f32 v19, -v34, v21, v13
	v_mul_f32_e32 v13, v14, v28
	v_fma_f32 v12, -v34, v20, v12
	s_add_i32 s16, s14, s5
	s_lshl_b32 s11, s11, 4
	s_lshl_b32 s16, s16, 2
	s_waitcnt lgkmcnt(2)
	v_fma_f32 v14, -v13, v23, v19
	v_mov_b32_e32 v23, s18
	ds_load_2addr_b32 v[26:27], v26 offset1:1
	v_fma_f32 v19, -v13, v22, v12
	v_mul_f32_e32 v12, v14, v25
	v_mov_b32_e32 v14, s17
	s_lshl_b32 s17, s19, 2
	s_delay_alu instid0(SALU_CYCLE_1) | instskip(NEXT) | instid1(VALU_DEP_3)
	v_mov_b32_e32 v25, s17
	v_fma_f32 v21, -v12, v24, v19
	ds_load_2addr_b32 v[19:20], v14 offset1:1
	v_mov_b32_e32 v14, s16
	s_add_i32 s16, s3, 0xfffffeac
	s_add_i32 s17, s14, s6
	s_waitcnt lgkmcnt(1)
	v_fma_f32 v11, -v34, v27, v11
	s_delay_alu instid0(VALU_DEP_1)
	v_fma_f32 v3, -v13, v3, v11
	v_mul_f32_e32 v11, v21, v29
	v_mov_b32_e32 v29, s16
	s_add_i32 s16, s14, s7
	ds_load_2addr_b32 v[21:22], v14 offset1:1
	s_lshl_b32 s16, s16, 2
	ds_load_2addr_b32 v[23:24], v23 offset1:1
	ds_load_2addr_b32 v[27:28], v25 offset1:1
	ds_load_b32 v33, v29
	v_mov_b32_e32 v14, s16
	s_lshl_b32 s16, s17, 2
	v_fma_f32 v10, -v34, v26, v10
	v_mov_b32_e32 v25, s16
	s_add_i32 s16, s14, s10
	ds_load_2addr_b32 v[29:30], v14 offset1:1
	s_lshl_b32 s16, s16, 2
	v_fma_f32 v10, -v13, v2, v10
	ds_load_2addr_b32 v[31:32], v25 offset1:1
	s_waitcnt lgkmcnt(6)
	v_fma_f32 v14, -v12, v20, v3
	v_mov_b32_e32 v3, s16
	s_add_i32 s16, s14, s9
	s_delay_alu instid0(SALU_CYCLE_1)
	s_lshl_b32 s16, s16, 2
	ds_load_2addr_b32 v[25:26], v3 offset1:1
	v_mov_b32_e32 v3, s16
	s_add_i32 s16, s14, s11
	s_waitcnt lgkmcnt(6)
	v_fma_f32 v9, -v34, v22, v9
	s_lshl_b32 s16, s16, 2
	s_waitcnt lgkmcnt(5)
	v_fma_f32 v14, -v11, v24, v14
	v_mov_b32_e32 v20, s16
	ds_load_2addr_b32 v[2:3], v3 offset1:1
	v_fma_f32 v22, -v12, v19, v10
	s_add_i32 s16, s3, 0xfffffe68
	s_waitcnt lgkmcnt(3)
	v_fma_f32 v9, -v13, v30, v9
	ds_load_2addr_b32 v[19:20], v20 offset1:1
	v_mul_f32_e32 v10, v14, v28
	v_fma_f32 v14, -v11, v23, v22
	v_fma_f32 v8, -v34, v21, v8
	s_waitcnt lgkmcnt(3)
	v_fma_f32 v9, -v12, v32, v9
	s_delay_alu instid0(VALU_DEP_3) | instskip(SKIP_1) | instid1(VALU_DEP_2)
	v_fma_f32 v14, -v10, v27, v14
	s_waitcnt lgkmcnt(2)
	v_fma_f32 v22, -v11, v26, v9
	s_delay_alu instid0(VALU_DEP_2) | instskip(SKIP_2) | instid1(VALU_DEP_2)
	v_dual_mul_f32 v9, v14, v33 :: v_dual_mov_b32 v14, s16
	s_add_i32 s16, s4, -9
	s_waitcnt lgkmcnt(1)
	v_fma_f32 v3, -v10, v3, v22
	s_add_i32 s17, s16, s5
	s_add_i32 s18, s16, s7
	s_lshl_b32 s17, s17, 2
	ds_load_b32 v14, v14
	s_waitcnt lgkmcnt(1)
	v_fma_f32 v28, -v9, v20, v3
	v_fma_f32 v3, -v13, v29, v8
	v_mov_b32_e32 v8, s17
	s_lshl_b32 s17, s18, 2
	s_add_i32 s18, s5, 0xffffffa0
	v_mov_b32_e32 v22, s17
	v_fma_f32 v3, -v12, v31, v3
	ds_load_2addr_b32 v[20:21], v8 offset1:1
	s_add_i32 s17, s16, s6
	s_add_i32 s19, s14, s18
	ds_load_2addr_b32 v[22:23], v22 offset1:1
	s_lshl_b32 s17, s17, 2
	v_fma_f32 v3, -v11, v25, v3
	v_mov_b32_e32 v8, s17
	s_lshl_b32 s17, s19, 2
	s_add_i32 s19, s3, 0xfffffe24
	v_mov_b32_e32 v26, s17
	s_add_i32 s17, s16, s10
	ds_load_2addr_b32 v[24:25], v8 offset1:1
	s_lshl_b32 s17, s17, 2
	s_lshl_b32 s14, s14, 4
	ds_load_b32 v30, v26
	s_waitcnt lgkmcnt(3)
	v_fma_f32 v7, -v34, v21, v7
	v_mov_b32_e32 v21, s19
	v_fma_f32 v29, -v10, v2, v3
	v_mov_b32_e32 v2, s17
	s_add_i32 s17, s16, s9
	s_waitcnt lgkmcnt(2)
	v_fma_f32 v7, -v13, v23, v7
	s_lshl_b32 s17, s17, 2
	s_add_i32 s19, s16, s14
	ds_load_2addr_b32 v[2:3], v2 offset1:1
	v_mov_b32_e32 v8, s17
	s_add_i32 s17, s16, s11
	s_waitcnt lgkmcnt(2)
	v_fma_f32 v7, -v12, v25, v7
	s_lshl_b32 s17, s17, 2
	s_lshl_b32 s19, s19, 2
	ds_load_2addr_b32 v[26:27], v8 offset1:1
	v_dual_mov_b32 v23, s17 :: v_dual_mul_f32 v8, v28, v14
	v_fma_f32 v14, -v9, v19, v29
	ds_load_b32 v19, v21
	s_add_i32 s17, s16, s18
	ds_load_2addr_b32 v[28:29], v23 offset1:1
	s_lshl_b32 s17, s17, 2
	v_mov_b32_e32 v23, s19
	v_mov_b32_e32 v21, s17
	v_fma_f32 v6, -v34, v20, v6
	s_add_i32 s17, s3, 0xfffffde0
	s_waitcnt lgkmcnt(3)
	v_fma_f32 v3, -v11, v3, v7
	v_fma_f32 v7, -v8, v30, v14
	ds_load_2addr_b32 v[30:31], v21 offset1:1
	ds_load_2addr_b32 v[32:33], v23 offset1:1
	v_mov_b32_e32 v14, s17
	s_add_i32 s17, s4, -11
	v_fma_f32 v6, -v13, v22, v6
	s_waitcnt lgkmcnt(4)
	v_fma_f32 v3, -v10, v27, v3
	s_add_i32 s19, s17, s5
	s_add_i32 s7, s17, s7
	s_lshl_b32 s19, s19, 2
	s_waitcnt lgkmcnt(3)
	v_mul_f32_e32 v7, v7, v19
	s_lshl_b32 s7, s7, 2
	s_waitcnt lgkmcnt(2)
	v_fma_f32 v19, -v9, v29, v3
	v_fma_f32 v3, -v12, v24, v6
	v_mov_b32_e32 v6, s19
	ds_load_b32 v14, v14
	v_mov_b32_e32 v21, s7
	s_add_i32 s6, s17, s6
	v_fma_f32 v20, -v11, v2, v3
	ds_load_2addr_b32 v[2:3], v6 offset1:1
	s_lshl_b32 s6, s6, 2
	s_waitcnt lgkmcnt(3)
	v_fma_f32 v6, -v8, v31, v19
	v_mov_b32_e32 v23, s6
	v_fma_f32 v22, -v10, v26, v20
	ds_load_2addr_b32 v[19:20], v21 offset1:1
	s_add_i32 s6, s17, s10
	s_addk_i32 s5, 0xff80
	s_waitcnt lgkmcnt(3)
	v_fma_f32 v6, -v7, v33, v6
	v_fma_f32 v24, -v9, v28, v22
	ds_load_2addr_b32 v[21:22], v23 offset1:1
	s_lshl_b32 s6, s6, 2
	s_add_i32 s7, s16, s5
	v_mov_b32_e32 v23, s6
	s_lshl_b32 s6, s7, 2
	v_fma_f32 v29, -v8, v30, v24
	s_waitcnt lgkmcnt(3)
	v_mul_f32_e32 v6, v6, v14
	v_mov_b32_e32 v14, s6
	s_add_i32 s6, s3, 0xfffffd9c
	ds_load_2addr_b32 v[23:24], v23 offset1:1
	s_waitcnt lgkmcnt(3)
	v_fma_f32 v3, -v34, v3, v5
	v_mov_b32_e32 v5, s6
	s_add_i32 s6, s17, s9
	s_add_i32 s7, s17, s11
	s_lshl_b32 s6, s6, 2
	s_waitcnt lgkmcnt(2)
	v_fma_f32 v3, -v13, v20, v3
	v_mov_b32_e32 v20, s6
	s_lshl_b32 s6, s7, 2
	ds_load_b32 v14, v14
	s_add_i32 s7, s17, s14
	s_waitcnt lgkmcnt(2)
	v_fma_f32 v3, -v12, v22, v3
	ds_load_2addr_b32 v[25:26], v20 offset1:1
	v_mov_b32_e32 v22, s6
	s_add_i32 s6, s17, s18
	v_fma_f32 v30, -v34, v2, v4
	s_lshl_b32 s6, s6, 2
	ds_load_b32 v31, v5
	ds_load_2addr_b32 v[27:28], v22 offset1:1
	v_mov_b32_e32 v20, s6
	s_lshl_b32 s6, s7, 2
	v_fma_f32 v19, -v13, v19, v30
	v_mov_b32_e32 v22, s6
	s_waitcnt lgkmcnt(4)
	v_fma_f32 v24, -v11, v24, v3
	ds_load_2addr_b32 v[2:3], v20 offset1:1
	ds_load_2addr_b32 v[4:5], v22 offset1:1
	s_add_i32 s5, s17, s5
	s_lshl_b32 s6, s16, 4
	s_lshl_b32 s5, s5, 2
	v_fma_f32 v19, -v12, v21, v19
	v_mov_b32_e32 v20, s5
	s_add_i32 s17, s17, s6
	s_waitcnt lgkmcnt(4)
	v_fma_f32 v21, -v10, v26, v24
	s_lshl_b32 s5, s17, 2
	v_fma_f32 v23, -v11, v23, v19
	v_mov_b32_e32 v22, s5
	ds_load_2addr_b32 v[19:20], v20 offset1:1
	s_add_i32 s5, s3, 0xfffffd58
	s_waitcnt lgkmcnt(3)
	v_fma_f32 v24, -v9, v28, v21
	v_mov_b32_e32 v26, s5
	ds_load_2addr_b32 v[21:22], v22 offset1:1
	v_fma_f32 v23, -v10, v25, v23
	v_fma_f32 v25, -v7, v32, v29
	s_add_i32 s5, s19, 0xfffffd80
	s_waitcnt lgkmcnt(3)
	v_fma_f32 v3, -v8, v3, v24
	ds_load_b32 v24, v26
	v_fma_f32 v23, -v9, v27, v23
	v_mov_b32_e32 v26, s5
	v_fma_f32 v14, -v6, v14, v25
	s_addk_i32 s3, 0xfd14
	s_waitcnt lgkmcnt(3)
	v_fma_f32 v3, -v7, v5, v3
	v_fma_f32 v2, -v8, v2, v23
	ds_load_b32 v23, v26
	v_dual_mul_f32 v5, v14, v31 :: v_dual_mov_b32 v14, s3
	s_ashr_i32 s5, s4, 31
	v_fma_f32 v2, -v7, v4, v2
	s_lshl_b64 s[6:7], s[4:5], 2
	s_add_i32 s4, s4, -12
	ds_load_b32 v14, v14
	s_waitcnt lgkmcnt(4)
	v_fma_f32 v3, -v6, v20, v3
	v_fma_f32 v2, -v6, v19, v2
	v_add_co_u32 v19, vcc_lo, v15, s6
	v_add_co_ci_u32_e32 v20, vcc_lo, s7, v16, vcc_lo
	s_waitcnt lgkmcnt(3)
	v_fma_f32 v3, -v5, v22, v3
	v_fma_f32 v2, -v5, v21, v2
	s_clause 0x1
	global_store_b96 v[19:20], v[11:13], off offset:-12
	global_store_b128 v[19:20], v[7:10], off offset:-28
	s_waitcnt lgkmcnt(2)
	v_mul_f32_e32 v4, v3, v24
	s_waitcnt lgkmcnt(1)
	s_delay_alu instid0(VALU_DEP_1) | instskip(SKIP_1) | instid1(VALU_DEP_1)
	v_fma_f32 v2, -v4, v23, v2
	s_waitcnt lgkmcnt(0)
	v_mul_f32_e32 v3, v2, v14
	s_clause 0x1
	global_store_b32 v[0:1], v34, off
	global_store_b128 v[19:20], v[3:6], off offset:-44
.LBB17_48:
	s_cmp_lt_i32 s4, 0
	s_cbranch_scc1 .LBB17_65
; %bb.49:
	s_add_i32 s3, s4, 1
	s_mov_b32 s6, s4
	s_and_b32 s3, s3, 3
	s_delay_alu instid0(SALU_CYCLE_1)
	s_cmp_eq_u32 s3, 0
	s_cbranch_scc1 .LBB17_54
; %bb.50:
	s_lshl_b32 s5, s2, 6
	s_lshl_b32 s6, s4, 2
	s_ashr_i32 s9, s8, 31
	s_add_i32 s5, s5, s6
	s_lshl_b64 s[6:7], s[8:9], 2
	s_sub_i32 s5, s5, 64
	s_add_u32 s6, s12, s6
	s_addc_u32 s7, s13, s7
	s_add_u32 s6, s6, s0
	s_addc_u32 s7, s7, s1
	v_add_co_u32 v0, vcc_lo, s6, v17
	v_add_co_ci_u32_e32 v1, vcc_lo, s7, v18, vcc_lo
	s_mov_b32 s7, 0
	s_mov_b32 s6, s4
	;; [unrolled: 1-line block ×3, first 2 shown]
	s_set_inst_prefetch_distance 0x1
	s_branch .LBB17_52
	.p2align	6
.LBB17_51:                              ;   in Loop: Header=BB17_52 Depth=1
	s_mul_i32 s10, s6, 0x44
	s_ashr_i32 s11, s6, 31
	v_mov_b32_e32 v2, s10
	s_mov_b32 s10, s6
	s_add_i32 s9, s9, 1
	s_lshl_b64 s[10:11], s[10:11], 2
	s_add_i32 s6, s6, -1
	ds_load_b32 v5, v2
	v_add_co_u32 v2, vcc_lo, v15, s10
	v_add_co_ci_u32_e32 v3, vcc_lo, s11, v16, vcc_lo
	s_add_i32 s5, s5, -4
	s_cmp_lg_u32 s9, s3
	s_waitcnt lgkmcnt(0)
	v_mul_f32_e32 v4, v4, v5
	global_store_b32 v[2:3], v4, off
	s_cbranch_scc0 .LBB17_54
.LBB17_52:                              ; =>This Loop Header: Depth=1
                                        ;     Child Loop BB17_53 Depth 2
	s_lshl_b64 s[10:11], s[6:7], 2
	s_cmp_le_i32 s8, s6
	v_add_co_u32 v2, vcc_lo, v15, s10
	v_add_co_ci_u32_e32 v3, vcc_lo, s11, v16, vcc_lo
	s_mov_b32 s10, s5
	s_mov_b32 s11, s8
	global_load_b32 v2, v[2:3], off
	s_waitcnt vmcnt(0)
	v_dual_mul_f32 v4, s15, v2 :: v_dual_mov_b32 v3, v1
	v_mov_b32_e32 v2, v0
	s_cbranch_scc1 .LBB17_51
.LBB17_53:                              ;   Parent Loop BB17_52 Depth=1
                                        ; =>  This Inner Loop Header: Depth=2
	global_load_b32 v5, v[2:3], off
	v_mov_b32_e32 v6, s10
	v_add_co_u32 v2, vcc_lo, v2, -4
	v_add_co_ci_u32_e32 v3, vcc_lo, -1, v3, vcc_lo
	ds_load_b32 v6, v6
	s_add_i32 s11, s11, -1
	s_sub_i32 s10, s10, 64
	s_cmp_gt_i32 s11, s6
	s_waitcnt vmcnt(0) lgkmcnt(0)
	v_fma_f32 v4, -v5, v6, v4
	s_cbranch_scc1 .LBB17_53
	s_branch .LBB17_51
.LBB17_54:
	s_set_inst_prefetch_distance 0x2
	s_cmp_lt_u32 s4, 3
	s_cbranch_scc1 .LBB17_65
; %bb.55:
	s_lshl_b32 s3, s2, 6
	s_lshl_b32 s4, s6, 2
	s_ashr_i32 s9, s8, 31
	s_add_i32 s7, s3, s4
	s_lshl_b64 s[4:5], s[8:9], 2
	s_sub_i32 s3, s7, 64
	s_add_u32 s4, s12, s4
	s_addc_u32 s5, s13, s5
	s_add_u32 s0, s4, s0
	s_addc_u32 s1, s5, s1
	v_add_co_u32 v0, vcc_lo, s0, v17
	v_add_co_ci_u32_e32 v1, vcc_lo, s1, v18, vcc_lo
	s_add_i32 s4, s7, 0xffffffbc
	s_add_i32 s5, s7, 0xffffffb8
	;; [unrolled: 1-line block ×3, first 2 shown]
	s_mov_b32 s7, 0
	s_branch .LBB17_57
.LBB17_56:                              ;   in Loop: Header=BB17_57 Depth=1
	s_add_i32 s0, s1, 0xffffffbc
	s_add_i32 s3, s3, -16
	v_mov_b32_e32 v4, s0
	s_add_i32 s0, s6, -4
	s_add_i32 s4, s4, -16
	;; [unrolled: 1-line block ×4, first 2 shown]
	ds_load_b32 v4, v4
	s_cmp_lt_i32 s6, 4
	s_mov_b32 s6, s0
	s_waitcnt lgkmcnt(0)
	v_mul_f32_e32 v4, v6, v4
	global_store_b32 v[2:3], v4, off offset:-12
	s_cbranch_scc1 .LBB17_65
.LBB17_57:                              ; =>This Loop Header: Depth=1
                                        ;     Child Loop BB17_58 Depth 2
                                        ;     Child Loop BB17_60 Depth 2
                                        ;     Child Loop BB17_62 Depth 2
                                        ;     Child Loop BB17_64 Depth 2
	s_lshl_b64 s[0:1], s[6:7], 2
	s_cmp_le_i32 s8, s6
	v_add_co_u32 v2, vcc_lo, v15, s0
	v_add_co_ci_u32_e32 v3, vcc_lo, s1, v16, vcc_lo
	s_mov_b32 s0, s3
	s_mov_b32 s1, s8
	global_load_b32 v2, v[2:3], off
	s_waitcnt vmcnt(0)
	v_dual_mul_f32 v4, s15, v2 :: v_dual_mov_b32 v3, v1
	v_mov_b32_e32 v2, v0
	s_cbranch_scc1 .LBB17_59
.LBB17_58:                              ;   Parent Loop BB17_57 Depth=1
                                        ; =>  This Inner Loop Header: Depth=2
	global_load_b32 v5, v[2:3], off
	v_mov_b32_e32 v6, s0
	v_add_co_u32 v2, vcc_lo, v2, -4
	v_add_co_ci_u32_e32 v3, vcc_lo, -1, v3, vcc_lo
	ds_load_b32 v6, v6
	s_add_i32 s1, s1, -1
	s_sub_i32 s0, s0, 64
	s_cmp_gt_i32 s1, s6
	s_waitcnt vmcnt(0) lgkmcnt(0)
	v_fma_f32 v4, -v5, v6, v4
	s_cbranch_scc1 .LBB17_58
.LBB17_59:                              ;   in Loop: Header=BB17_57 Depth=1
	s_add_i32 s0, s6, -1
	s_mov_b32 s1, s7
	s_mul_i32 s10, s6, 0x44
	s_lshl_b64 s[0:1], s[0:1], 2
	s_delay_alu instid0(SALU_CYCLE_1)
	v_add_co_u32 v2, vcc_lo, v15, s0
	v_add_co_ci_u32_e32 v3, vcc_lo, s1, v16, vcc_lo
	s_ashr_i32 s1, s6, 31
	s_mov_b32 s0, s6
	global_load_b32 v5, v[2:3], off
	v_mov_b32_e32 v2, s10
	s_lshl_b64 s[0:1], s[0:1], 2
	s_cmp_lt_i32 s8, s6
	ds_load_b32 v6, v2
	v_add_co_u32 v2, vcc_lo, v15, s0
	v_add_co_ci_u32_e32 v3, vcc_lo, s1, v16, vcc_lo
	s_mov_b32 s0, s4
	s_mov_b32 s1, s2
	s_waitcnt lgkmcnt(0)
	v_mul_f32_e32 v7, v4, v6
	global_store_b32 v[2:3], v7, off
	s_waitcnt vmcnt(0)
	v_dual_mul_f32 v6, s15, v5 :: v_dual_mov_b32 v5, v1
	v_mov_b32_e32 v4, v0
	s_cbranch_scc1 .LBB17_61
.LBB17_60:                              ;   Parent Loop BB17_57 Depth=1
                                        ; =>  This Inner Loop Header: Depth=2
	global_load_b32 v7, v[4:5], off
	v_mov_b32_e32 v8, s0
	v_add_co_u32 v4, vcc_lo, v4, -4
	v_add_co_ci_u32_e32 v5, vcc_lo, -1, v5, vcc_lo
	ds_load_b32 v8, v8
	s_add_i32 s1, s1, -1
	s_sub_i32 s0, s0, 64
	s_cmp_gt_i32 s1, s6
	s_waitcnt vmcnt(0) lgkmcnt(0)
	v_fma_f32 v6, -v7, v8, v6
	s_cbranch_scc1 .LBB17_60
.LBB17_61:                              ;   in Loop: Header=BB17_57 Depth=1
	s_add_i32 s0, s6, -2
	s_mov_b32 s1, s7
	s_addk_i32 s10, 0xffbc
	s_lshl_b64 s[12:13], s[0:1], 2
	s_cmp_le_i32 s8, s0
	v_add_co_u32 v4, vcc_lo, v15, s12
	v_add_co_ci_u32_e32 v5, vcc_lo, s13, v16, vcc_lo
	s_mov_b32 s1, s5
	s_mov_b32 s11, s8
	global_load_b32 v4, v[4:5], off
	v_mov_b32_e32 v5, s10
	ds_load_b32 v5, v5
	s_waitcnt vmcnt(0) lgkmcnt(0)
	v_dual_mul_f32 v7, v6, v5 :: v_dual_mul_f32 v6, s15, v4
	v_dual_mov_b32 v5, v1 :: v_dual_mov_b32 v4, v0
	global_store_b32 v[2:3], v7, off offset:-4
	s_cbranch_scc1 .LBB17_63
.LBB17_62:                              ;   Parent Loop BB17_57 Depth=1
                                        ; =>  This Inner Loop Header: Depth=2
	global_load_b32 v7, v[4:5], off
	v_mov_b32_e32 v8, s1
	v_add_co_u32 v4, vcc_lo, v4, -4
	v_add_co_ci_u32_e32 v5, vcc_lo, -1, v5, vcc_lo
	ds_load_b32 v8, v8
	s_add_i32 s11, s11, -1
	s_sub_i32 s1, s1, 64
	s_cmp_gt_i32 s11, s0
	s_waitcnt vmcnt(0) lgkmcnt(0)
	v_fma_f32 v6, -v7, v8, v6
	s_cbranch_scc1 .LBB17_62
.LBB17_63:                              ;   in Loop: Header=BB17_57 Depth=1
	s_add_i32 s0, s6, -3
	s_mov_b32 s1, s7
	s_mov_b32 s11, s8
	s_lshl_b64 s[12:13], s[0:1], 2
	s_add_i32 s1, s10, 0xffffffbc
	v_add_co_u32 v4, vcc_lo, v15, s12
	v_add_co_ci_u32_e32 v5, vcc_lo, s13, v16, vcc_lo
	s_cmp_le_i32 s8, s0
	s_mov_b32 s10, s9
	global_load_b32 v4, v[4:5], off
	v_mov_b32_e32 v5, s1
	ds_load_b32 v5, v5
	s_waitcnt vmcnt(0) lgkmcnt(0)
	v_dual_mul_f32 v7, v6, v5 :: v_dual_mul_f32 v6, s15, v4
	v_dual_mov_b32 v5, v1 :: v_dual_mov_b32 v4, v0
	global_store_b32 v[2:3], v7, off offset:-8
	s_cbranch_scc1 .LBB17_56
.LBB17_64:                              ;   Parent Loop BB17_57 Depth=1
                                        ; =>  This Inner Loop Header: Depth=2
	global_load_b32 v7, v[4:5], off
	v_mov_b32_e32 v8, s10
	v_add_co_u32 v4, vcc_lo, v4, -4
	v_add_co_ci_u32_e32 v5, vcc_lo, -1, v5, vcc_lo
	ds_load_b32 v8, v8
	s_add_i32 s11, s11, -1
	s_sub_i32 s10, s10, 64
	s_cmp_gt_i32 s11, s0
	s_waitcnt vmcnt(0) lgkmcnt(0)
	v_fma_f32 v6, -v7, v8, v6
	s_cbranch_scc1 .LBB17_64
	s_branch .LBB17_56
.LBB17_65:
	s_nop 0
	s_sendmsg sendmsg(MSG_DEALLOC_VGPRS)
	s_endpgm
	.section	.rodata,"a",@progbits
	.p2align	6, 0x0
	.amdhsa_kernel _ZL30rocblas_trsm_small_left_deviceILi16ELi16ELb0EffPKPKfPKPfEv13rocblas_fill_18rocblas_operation_17rocblas_diagonal_iiT3_T4_lilT5_lili
		.amdhsa_group_segment_fixed_size 1024
		.amdhsa_private_segment_fixed_size 0
		.amdhsa_kernarg_size 352
		.amdhsa_user_sgpr_count 14
		.amdhsa_user_sgpr_dispatch_ptr 0
		.amdhsa_user_sgpr_queue_ptr 0
		.amdhsa_user_sgpr_kernarg_segment_ptr 1
		.amdhsa_user_sgpr_dispatch_id 0
		.amdhsa_user_sgpr_private_segment_size 0
		.amdhsa_wavefront_size32 1
		.amdhsa_uses_dynamic_stack 0
		.amdhsa_enable_private_segment 0
		.amdhsa_system_sgpr_workgroup_id_x 1
		.amdhsa_system_sgpr_workgroup_id_y 0
		.amdhsa_system_sgpr_workgroup_id_z 1
		.amdhsa_system_sgpr_workgroup_info 0
		.amdhsa_system_vgpr_workitem_id 0
		.amdhsa_next_free_vgpr 109
		.amdhsa_next_free_sgpr 75
		.amdhsa_reserve_vcc 1
		.amdhsa_float_round_mode_32 0
		.amdhsa_float_round_mode_16_64 0
		.amdhsa_float_denorm_mode_32 3
		.amdhsa_float_denorm_mode_16_64 3
		.amdhsa_dx10_clamp 1
		.amdhsa_ieee_mode 1
		.amdhsa_fp16_overflow 0
		.amdhsa_workgroup_processor_mode 1
		.amdhsa_memory_ordered 1
		.amdhsa_forward_progress 0
		.amdhsa_shared_vgpr_count 0
		.amdhsa_exception_fp_ieee_invalid_op 0
		.amdhsa_exception_fp_denorm_src 0
		.amdhsa_exception_fp_ieee_div_zero 0
		.amdhsa_exception_fp_ieee_overflow 0
		.amdhsa_exception_fp_ieee_underflow 0
		.amdhsa_exception_fp_ieee_inexact 0
		.amdhsa_exception_int_div_zero 0
	.end_amdhsa_kernel
	.section	.text._ZL30rocblas_trsm_small_left_deviceILi16ELi16ELb0EffPKPKfPKPfEv13rocblas_fill_18rocblas_operation_17rocblas_diagonal_iiT3_T4_lilT5_lili,"axG",@progbits,_ZL30rocblas_trsm_small_left_deviceILi16ELi16ELb0EffPKPKfPKPfEv13rocblas_fill_18rocblas_operation_17rocblas_diagonal_iiT3_T4_lilT5_lili,comdat
.Lfunc_end17:
	.size	_ZL30rocblas_trsm_small_left_deviceILi16ELi16ELb0EffPKPKfPKPfEv13rocblas_fill_18rocblas_operation_17rocblas_diagonal_iiT3_T4_lilT5_lili, .Lfunc_end17-_ZL30rocblas_trsm_small_left_deviceILi16ELi16ELb0EffPKPKfPKPfEv13rocblas_fill_18rocblas_operation_17rocblas_diagonal_iiT3_T4_lilT5_lili
                                        ; -- End function
	.section	.AMDGPU.csdata,"",@progbits
; Kernel info:
; codeLenInByte = 11136
; NumSgprs: 77
; NumVgprs: 109
; ScratchSize: 0
; MemoryBound: 0
; FloatMode: 240
; IeeeMode: 1
; LDSByteSize: 1024 bytes/workgroup (compile time only)
; SGPRBlocks: 9
; VGPRBlocks: 13
; NumSGPRsForWavesPerEU: 77
; NumVGPRsForWavesPerEU: 109
; Occupancy: 12
; WaveLimiterHint : 1
; COMPUTE_PGM_RSRC2:SCRATCH_EN: 0
; COMPUTE_PGM_RSRC2:USER_SGPR: 14
; COMPUTE_PGM_RSRC2:TRAP_HANDLER: 0
; COMPUTE_PGM_RSRC2:TGID_X_EN: 1
; COMPUTE_PGM_RSRC2:TGID_Y_EN: 0
; COMPUTE_PGM_RSRC2:TGID_Z_EN: 1
; COMPUTE_PGM_RSRC2:TIDIG_COMP_CNT: 0
	.section	.text._ZL38rocblas_trsm_small_left_device_sharedBILi16ELi16ELb1EffPKPKfPKPfEv13rocblas_fill_18rocblas_operation_17rocblas_diagonal_iiT3_T4_lilT5_lili,"axG",@progbits,_ZL38rocblas_trsm_small_left_device_sharedBILi16ELi16ELb1EffPKPKfPKPfEv13rocblas_fill_18rocblas_operation_17rocblas_diagonal_iiT3_T4_lilT5_lili,comdat
	.globl	_ZL38rocblas_trsm_small_left_device_sharedBILi16ELi16ELb1EffPKPKfPKPfEv13rocblas_fill_18rocblas_operation_17rocblas_diagonal_iiT3_T4_lilT5_lili ; -- Begin function _ZL38rocblas_trsm_small_left_device_sharedBILi16ELi16ELb1EffPKPKfPKPfEv13rocblas_fill_18rocblas_operation_17rocblas_diagonal_iiT3_T4_lilT5_lili
	.p2align	8
	.type	_ZL38rocblas_trsm_small_left_device_sharedBILi16ELi16ELb1EffPKPKfPKPfEv13rocblas_fill_18rocblas_operation_17rocblas_diagonal_iiT3_T4_lilT5_lili,@function
_ZL38rocblas_trsm_small_left_device_sharedBILi16ELi16ELb1EffPKPKfPKPfEv13rocblas_fill_18rocblas_operation_17rocblas_diagonal_iiT3_T4_lilT5_lili: ; @_ZL38rocblas_trsm_small_left_device_sharedBILi16ELi16ELb1EffPKPKfPKPfEv13rocblas_fill_18rocblas_operation_17rocblas_diagonal_iiT3_T4_lilT5_lili
; %bb.0:
	s_clause 0x1
	s_load_b128 s[8:11], s[0:1], 0x38
	s_load_b128 s[4:7], s[0:1], 0x4
	s_mov_b32 s12, s15
	s_mov_b32 s13, 0
	s_delay_alu instid0(SALU_CYCLE_1)
	s_lshl_b64 s[20:21], s[12:13], 3
	s_mov_b32 s12, exec_lo
	s_waitcnt lgkmcnt(0)
	s_add_u32 s2, s8, s20
	s_addc_u32 s3, s9, s21
	s_load_b32 s27, s[0:1], 0x14
	s_load_b64 s[2:3], s[2:3], 0x0
	s_min_i32 s15, s6, 16
	s_delay_alu instid0(SALU_CYCLE_1)
	s_add_i32 s26, s15, -1
	v_cmpx_gt_i32_e64 s15, v0
	s_cbranch_execz .LBB18_10
; %bb.1:
	s_clause 0x1
	s_load_b32 s8, s[0:1], 0x28
	s_load_b128 s[16:19], s[0:1], 0x18
	s_waitcnt lgkmcnt(0)
	s_ashr_i32 s9, s8, 31
	s_add_u32 s16, s16, s20
	s_addc_u32 s17, s17, s21
	s_cmp_lt_u32 s26, 3
	s_load_b64 s[16:17], s[16:17], 0x0
	s_cbranch_scc1 .LBB18_4
; %bb.2:
	v_lshlrev_b32_e32 v3, 2, v0
	s_lshl_b64 s[20:21], s[18:19], 2
	s_mul_hi_i32 s28, s8, 12
	s_waitcnt lgkmcnt(0)
	s_add_u32 s13, s16, s20
	s_addc_u32 s20, s17, s21
	v_add_co_u32 v1, s13, s13, v3
	s_delay_alu instid0(VALU_DEP_1)
	v_add_co_ci_u32_e64 v2, null, s20, 0, s13
	s_and_b32 s13, s15, -4
	s_mul_i32 s29, s8, 12
	s_lshl_b64 s[20:21], s[8:9], 4
	s_lshl_b64 s[22:23], s[8:9], 3
	;; [unrolled: 1-line block ×3, first 2 shown]
	s_mov_b32 s30, 0
	.p2align	6
.LBB18_3:                               ; =>This Inner Loop Header: Depth=1
	v_add_co_u32 v4, vcc_lo, v1, s24
	v_add_co_ci_u32_e32 v5, vcc_lo, s25, v2, vcc_lo
	v_add_co_u32 v6, vcc_lo, v1, s22
	v_add_co_ci_u32_e32 v7, vcc_lo, s23, v2, vcc_lo
	;; [unrolled: 2-line block ×3, first 2 shown]
	s_clause 0x3
	global_load_b32 v10, v[1:2], off
	global_load_b32 v4, v[4:5], off
	;; [unrolled: 1-line block ×4, first 2 shown]
	v_add_co_u32 v1, vcc_lo, v1, s20
	v_add_co_ci_u32_e32 v2, vcc_lo, s21, v2, vcc_lo
	s_add_i32 s30, s30, 4
	s_waitcnt vmcnt(2)
	ds_store_2addr_b32 v3, v10, v4 offset1:16
	s_waitcnt vmcnt(0)
	ds_store_2addr_b32 v3, v5, v6 offset0:32 offset1:48
	v_add_nc_u32_e32 v3, 0x100, v3
	s_cmp_eq_u32 s13, s30
	s_cbranch_scc0 .LBB18_3
.LBB18_4:
	s_and_b32 s20, s15, 3
	s_delay_alu instid0(SALU_CYCLE_1)
	s_cmp_eq_u32 s20, 0
	s_cbranch_scc1 .LBB18_7
; %bb.5:
	s_mul_i32 s21, s9, s13
	s_mul_hi_u32 s22, s8, s13
	v_lshlrev_b32_e32 v1, 2, v0
	s_add_i32 s23, s22, s21
	s_mul_i32 s22, s8, s13
	s_lshl_b64 s[18:19], s[18:19], 2
	s_lshl_b64 s[22:23], s[22:23], 2
	v_lshl_or_b32 v3, s13, 6, v1
	s_add_u32 s13, s22, s18
	s_addc_u32 s18, s23, s19
	s_waitcnt lgkmcnt(0)
	s_add_u32 s13, s16, s13
	s_addc_u32 s16, s17, s18
	v_add_co_u32 v1, s13, s13, v1
	s_delay_alu instid0(VALU_DEP_1)
	v_add_co_ci_u32_e64 v2, null, s16, 0, s13
	s_lshl_b64 s[8:9], s[8:9], 2
.LBB18_6:                               ; =>This Inner Loop Header: Depth=1
	global_load_b32 v4, v[1:2], off
	v_add_co_u32 v1, vcc_lo, v1, s8
	v_add_co_ci_u32_e32 v2, vcc_lo, s9, v2, vcc_lo
	s_add_i32 s20, s20, -1
	s_delay_alu instid0(SALU_CYCLE_1)
	s_cmp_lg_u32 s20, 0
	s_waitcnt vmcnt(0)
	ds_store_b32 v3, v4
	v_add_nc_u32_e32 v3, 64, v3
	s_cbranch_scc1 .LBB18_6
.LBB18_7:
	v_mul_u32_u24_e32 v1, 17, v0
	s_cmpk_lg_i32 s5, 0x84
	s_delay_alu instid0(VALU_DEP_1)
	v_dual_mov_b32 v2, 1.0 :: v_dual_lshlrev_b32 v1, 2, v1
	s_cbranch_scc0 .LBB18_9
; %bb.8:
	ds_load_b32 v2, v1
	s_waitcnt lgkmcnt(0)
	v_div_scale_f32 v3, null, v2, v2, 1.0
	s_delay_alu instid0(VALU_DEP_1) | instskip(SKIP_2) | instid1(VALU_DEP_1)
	v_rcp_f32_e32 v4, v3
	s_waitcnt_depctr 0xfff
	v_fma_f32 v5, -v3, v4, 1.0
	v_fmac_f32_e32 v4, v5, v4
	v_div_scale_f32 v5, vcc_lo, 1.0, v2, 1.0
	s_delay_alu instid0(VALU_DEP_1) | instskip(NEXT) | instid1(VALU_DEP_1)
	v_mul_f32_e32 v6, v5, v4
	v_fma_f32 v7, -v3, v6, v5
	s_delay_alu instid0(VALU_DEP_1) | instskip(NEXT) | instid1(VALU_DEP_1)
	v_fmac_f32_e32 v6, v7, v4
	v_fma_f32 v3, -v3, v6, v5
	s_delay_alu instid0(VALU_DEP_1) | instskip(NEXT) | instid1(VALU_DEP_1)
	v_div_fmas_f32 v3, v3, v4, v6
	v_div_fixup_f32 v2, v3, v2, 1.0
.LBB18_9:
	ds_store_b32 v1, v2
.LBB18_10:
	s_or_b32 exec_lo, exec_lo, s12
	s_load_b32 s5, s[0:1], 0x60
	s_waitcnt lgkmcnt(0)
	s_load_b32 s16, s[0:1], 0x48
	s_lshl_b64 s[0:1], s[10:11], 2
	s_waitcnt lgkmcnt(0)
	s_ashr_i32 s17, s16, 31
	s_add_u32 s12, s2, s0
	s_addc_u32 s13, s3, s1
	s_lshl_b32 s8, s14, 4
	s_add_i32 s5, s5, -1
	s_sub_i32 s7, s7, s8
	s_mul_hi_i32 s11, s16, s8
	s_cmp_ge_u32 s14, s5
	s_mul_i32 s10, s16, s8
	s_cselect_b32 s14, s7, 16
	s_lshl_b64 s[10:11], s[10:11], 2
	s_ashr_i32 s9, s8, 31
	s_add_u32 s5, s12, s10
	s_addc_u32 s7, s13, s11
	v_cmp_gt_i32_e32 vcc_lo, s14, v0
	s_cmp_gt_i32 s6, 0
	s_mov_b32 s10, 0
	s_cselect_b32 s11, -1, 0
	s_delay_alu instid0(SALU_CYCLE_1) | instskip(NEXT) | instid1(SALU_CYCLE_1)
	s_and_b32 s14, vcc_lo, s11
	s_and_saveexec_b32 s18, s14
	s_cbranch_execz .LBB18_17
; %bb.11:
	s_cmp_lt_i32 s6, 8
	s_cbranch_scc1 .LBB18_14
; %bb.12:
	v_mad_i64_i32 v[1:2], null, s16, v0, 0
	v_lshl_or_b32 v3, v0, 2, 0x400
	s_lshl_b32 s10, s15, 2
	s_mov_b64 s[12:13], 0
	s_and_b32 s11, s10, 0x60
	s_mov_b32 s10, 0
	s_delay_alu instid0(VALU_DEP_2) | instskip(NEXT) | instid1(VALU_DEP_1)
	v_lshlrev_b64 v[1:2], 2, v[1:2]
	v_add_co_u32 v1, vcc_lo, s5, v1
	s_delay_alu instid0(VALU_DEP_2)
	v_add_co_ci_u32_e32 v2, vcc_lo, s7, v2, vcc_lo
	.p2align	6
.LBB18_13:                              ; =>This Inner Loop Header: Depth=1
	s_delay_alu instid0(VALU_DEP_2) | instskip(NEXT) | instid1(VALU_DEP_2)
	v_add_co_u32 v8, vcc_lo, v1, s12
	v_add_co_ci_u32_e32 v9, vcc_lo, s13, v2, vcc_lo
	s_add_i32 s10, s10, 8
	s_add_u32 s12, s12, 32
	s_addc_u32 s13, s13, 0
	s_clause 0x1
	global_load_b128 v[4:7], v[8:9], off
	global_load_b128 v[8:11], v[8:9], off offset:16
	s_cmp_lg_u32 s11, s12
	s_waitcnt vmcnt(1)
	v_dual_mul_f32 v4, s27, v4 :: v_dual_mul_f32 v5, s27, v5
	v_dual_mul_f32 v6, s27, v6 :: v_dual_mul_f32 v7, s27, v7
	s_waitcnt vmcnt(0)
	v_dual_mul_f32 v8, s27, v8 :: v_dual_mul_f32 v9, s27, v9
	v_dual_mul_f32 v10, s27, v10 :: v_dual_mul_f32 v11, s27, v11
	ds_store_2addr_b32 v3, v4, v5 offset1:16
	ds_store_2addr_b32 v3, v6, v7 offset0:32 offset1:48
	ds_store_2addr_b32 v3, v8, v9 offset0:64 offset1:80
	ds_store_2addr_b32 v3, v10, v11 offset0:96 offset1:112
	v_add_nc_u32_e32 v3, 0x200, v3
	s_cbranch_scc1 .LBB18_13
.LBB18_14:
	s_and_b32 s12, s15, 7
	s_mov_b32 s11, 0
	s_cmp_eq_u32 s12, 0
	s_cbranch_scc1 .LBB18_17
; %bb.15:
	v_lshlrev_b32_e32 v3, 2, v0
	s_lshl_b64 s[20:21], s[8:9], 2
	s_lshl_b64 s[22:23], s[10:11], 2
	s_delay_alu instid0(VALU_DEP_1) | instskip(NEXT) | instid1(VALU_DEP_1)
	v_add_co_u32 v4, s11, s20, v3
	v_add_co_ci_u32_e64 v5, null, s21, 0, s11
	s_add_u32 s11, s2, s22
	s_addc_u32 s13, s3, s23
	s_add_u32 s20, s11, s0
	s_addc_u32 s21, s13, s1
	v_mul_lo_u32 v5, v5, s16
	v_mad_u64_u32 v[1:2], null, v4, s16, s[20:21]
	v_mul_lo_u32 v4, v4, s17
	v_lshl_or_b32 v3, s10, 6, v3
	s_delay_alu instid0(VALU_DEP_1) | instskip(NEXT) | instid1(VALU_DEP_3)
	v_add_nc_u32_e32 v3, 0x400, v3
	v_add3_u32 v2, v5, v2, v4
.LBB18_16:                              ; =>This Inner Loop Header: Depth=1
	global_load_b32 v4, v[1:2], off
	v_add_co_u32 v1, vcc_lo, v1, 4
	v_add_co_ci_u32_e32 v2, vcc_lo, 0, v2, vcc_lo
	s_add_i32 s12, s12, -1
	s_delay_alu instid0(SALU_CYCLE_1)
	s_cmp_lg_u32 s12, 0
	s_waitcnt vmcnt(0)
	v_mul_f32_e32 v4, s27, v4
	ds_store_b32 v3, v4
	v_add_nc_u32_e32 v3, 64, v3
	s_cbranch_scc1 .LBB18_16
.LBB18_17:
	s_or_b32 exec_lo, exec_lo, s18
	s_cmpk_eq_i32 s4, 0x6f
	s_mov_b32 s4, -1
	s_waitcnt vmcnt(0) lgkmcnt(0)
	s_waitcnt_vscnt null, 0x0
	; wave barrier
	s_waitcnt lgkmcnt(0)
	buffer_gl0_inv
	s_cbranch_scc1 .LBB18_40
; %bb.18:
	s_cmp_gt_i32 s6, 15
	s_cbranch_scc0 .LBB18_20
; %bb.19:
	s_lshl_b32 s19, s15, 4
	s_mul_i32 s11, s26, 0x44
	s_sub_i32 s4, s19, 32
	s_sub_i32 s10, s19, 48
	v_or_b32_e32 v3, s4, v0
	s_sub_i32 s4, s19, 64
	v_or_b32_e32 v4, s10, v0
	v_or_b32_e32 v5, s4, v0
	s_add_i32 s12, s11, 0xffffffbc
	s_add_i32 s10, s10, s26
	v_dual_mov_b32 v12, s12 :: v_dual_lshlrev_b32 v1, 2, v0
	v_mov_b32_e32 v11, s11
	s_lshl_b32 s10, s10, 2
	v_lshlrev_b32_e32 v9, 2, v3
	s_add_i32 s12, s11, 0xffffff78
	s_delay_alu instid0(SALU_CYCLE_1)
	v_dual_mov_b32 v14, s12 :: v_dual_lshlrev_b32 v3, 2, v4
	v_lshlrev_b32_e32 v4, 2, v5
	s_add_i32 s21, s19, 0xffffffb0
	s_add_i32 s22, s19, 0xffffffa0
	;; [unrolled: 1-line block ×4, first 2 shown]
	v_or_b32_e32 v6, s21, v0
	v_lshl_or_b32 v2, s26, 6, v1
	v_or_b32_e32 v7, s22, v0
	v_or_b32_e32 v8, s23, v0
	;; [unrolled: 1-line block ×3, first 2 shown]
	ds_load_b32 v11, v11
	s_add_i32 s4, s4, s26
	v_lshlrev_b32_e32 v5, 2, v6
	s_lshl_b32 s4, s4, 2
	v_lshlrev_b32_e32 v6, 2, v7
	s_add_i32 s4, s4, -4
	v_lshlrev_b32_e32 v7, 2, v8
	v_lshlrev_b32_e32 v8, 2, v10
	ds_load_b32 v13, v2 offset:1024
	ds_load_b32 v19, v9 offset:1024
	;; [unrolled: 1-line block ×8, first 2 shown]
	ds_load_2addr_b32 v[15:16], v12 offset1:1
	v_mov_b32_e32 v12, s10
	s_add_i32 s25, s19, 0xffffff70
	ds_load_b32 v22, v12
	ds_load_2addr_b32 v[17:18], v14 offset1:1
	v_or_b32_e32 v10, s25, v0
	s_add_i32 s20, s19, 0xffffff60
	v_mov_b32_e32 v12, s4
	s_add_i32 s21, s21, s26
	s_add_i32 s18, s19, 0xffffff50
	v_lshlrev_b32_e32 v9, 2, v10
	v_or_b32_e32 v10, s20, v0
	s_waitcnt lgkmcnt(10)
	v_mul_f32_e32 v14, v13, v11
	s_lshl_b32 s10, s21, 2
	s_add_i32 s13, s19, 0xffffff40
	s_add_i32 s4, s11, 0xffffff34
	v_lshlrev_b32_e32 v11, 2, v10
	v_or_b32_e32 v13, s18, v0
	s_waitcnt lgkmcnt(2)
	v_fma_f32 v10, -v14, v16, v19
	v_mov_b32_e32 v16, s10
	ds_load_2addr_b32 v[19:20], v12 offset1:1
	v_or_b32_e32 v23, s13, v0
	s_add_i32 s22, s22, s26
	v_dual_mul_f32 v10, v10, v15 :: v_dual_mov_b32 v15, s4
	s_add_i32 s4, s10, -8
	s_add_i32 s21, s11, 0xfffffef0
	v_mov_b32_e32 v24, s4
	s_lshl_b32 s4, s22, 2
	s_add_i32 s10, s19, 0xffffff20
	s_add_i32 s22, s4, -4
	s_add_i32 s4, s4, -12
	v_lshlrev_b32_e32 v12, 2, v13
	v_lshlrev_b32_e32 v13, 2, v23
	s_waitcnt lgkmcnt(2)
	v_fma_f32 v23, -v14, v22, v21
	ds_load_2addr_b32 v[21:22], v15 offset1:1
	ds_load_b32 v28, v16
	s_add_i32 s23, s23, s26
	v_or_b32_e32 v29, s10, v0
	s_add_i32 s12, s19, 0xffffff30
	s_waitcnt lgkmcnt(3)
	v_fma_f32 v16, -v10, v18, v23
	s_waitcnt lgkmcnt(2)
	v_fma_f32 v18, -v14, v20, v25
	v_dual_mov_b32 v20, s21 :: v_dual_mov_b32 v25, s22
	s_lshl_b32 s21, s23, 2
	v_mul_f32_e32 v17, v16, v17
	ds_load_2addr_b32 v[23:24], v24 offset1:1
	v_fma_f32 v18, -v10, v19, v18
	ds_load_2addr_b32 v[19:20], v20 offset1:1
	ds_load_2addr_b32 v[25:26], v25 offset1:1
	v_or_b32_e32 v15, s12, v0
	s_add_i32 s22, s11, 0xfffffeac
	s_add_i32 s24, s24, s26
	;; [unrolled: 1-line block ×4, first 2 shown]
	v_lshlrev_b32_e32 v15, 2, v15
	s_waitcnt lgkmcnt(4)
	v_fma_f32 v18, -v17, v22, v18
	s_waitcnt lgkmcnt(3)
	v_fma_f32 v22, -v14, v28, v27
	v_mov_b32_e32 v27, s4
	s_add_i32 s4, s21, -4
	s_delay_alu instid0(SALU_CYCLE_1)
	v_dual_mov_b32 v29, s4 :: v_dual_lshlrev_b32 v16, 2, v29
	s_add_i32 s4, s19, 0xffffff10
	ds_load_2addr_b32 v[27:28], v27 offset1:1
	s_addk_i32 s19, 0xff00
	s_add_i32 s20, s20, s26
	ds_load_2addr_b32 v[29:30], v29 offset1:1
	s_waitcnt lgkmcnt(4)
	v_fma_f32 v22, -v10, v24, v22
	v_mov_b32_e32 v24, s22
	s_add_i32 s22, s21, -12
	s_sub_i32 s21, s21, 20
	v_mul_f32_e32 v18, v18, v21
	v_fma_f32 v33, -v17, v23, v22
	s_waitcnt lgkmcnt(2)
	v_fma_f32 v23, -v14, v26, v31
	v_mov_b32_e32 v31, s21
	ds_load_2addr_b32 v[21:22], v24 offset1:1
	s_lshl_b32 s18, s18, 2
	v_fma_f32 v20, -v18, v20, v33
	v_fma_f32 v25, -v10, v25, v23
	v_mov_b32_e32 v24, s22
	s_lshl_b32 s22, s24, 2
	s_lshl_b32 s20, s20, 2
	v_mul_f32_e32 v19, v20, v19
	s_add_i32 s21, s22, -8
	s_waitcnt lgkmcnt(2)
	v_fma_f32 v28, -v17, v28, v25
	v_mov_b32_e32 v36, s21
	s_add_i32 s21, s22, -16
	v_mov_b32_e32 v26, s22
	ds_load_2addr_b32 v[23:24], v24 offset1:1
	v_fma_f32 v20, -v18, v27, v28
	v_mov_b32_e32 v27, s21
	s_waitcnt lgkmcnt(2)
	v_fma_f32 v32, -v14, v30, v32
	ds_load_b32 v35, v26
	s_sub_i32 s21, s22, 24
	s_add_i32 s13, s13, s26
	ds_load_2addr_b32 v[27:28], v27 offset1:1
	v_fma_f32 v29, -v10, v29, v32
	v_mov_b32_e32 v32, s21
	s_waitcnt lgkmcnt(3)
	v_fma_f32 v20, -v19, v22, v20
	s_add_i32 s21, s11, 0xfffffe68
	s_lshl_b32 s13, s13, 2
	s_add_i32 s12, s12, s26
	ds_load_2addr_b32 v[32:33], v32 offset1:1
	ds_load_2addr_b32 v[25:26], v31 offset1:1
	v_mul_f32_e32 v48, v20, v21
	s_lshl_b32 s12, s12, 2
	s_add_i32 s10, s10, s26
	v_mov_b32_e32 v41, s18
	s_waitcnt lgkmcnt(4)
	v_fma_f32 v22, -v17, v24, v29
	v_or_b32_e32 v29, s19, v0
	s_lshl_b32 s19, s25, 2
	s_lshl_b32 s10, s10, 2
	s_waitcnt lgkmcnt(3)
	v_fma_f32 v24, -v14, v35, v34
	v_mov_b32_e32 v34, s21
	s_add_i32 s21, s19, -4
	v_fma_f32 v20, -v18, v23, v22
	v_mov_b32_e32 v23, s21
	ds_load_2addr_b32 v[30:31], v36 offset1:1
	ds_load_b32 v22, v34
	v_or_b32_e32 v36, s4, v0
	s_add_i32 s21, s19, -12
	s_add_i32 s4, s4, s26
	s_waitcnt lgkmcnt(2)
	v_fma_f32 v20, -v19, v26, v20
	v_lshlrev_b32_e32 v49, 2, v36
	s_lshl_b32 s4, s4, 2
	s_delay_alu instid0(VALU_DEP_2)
	v_fma_f32 v25, -v48, v25, v20
	s_waitcnt lgkmcnt(1)
	v_fma_f32 v21, -v10, v31, v24
	v_lshlrev_b32_e32 v24, 2, v29
	s_waitcnt lgkmcnt(0)
	v_mul_f32_e32 v50, v25, v22
	v_mov_b32_e32 v22, s21
	s_sub_i32 s21, s19, 20
	v_fma_f32 v21, -v17, v30, v21
	s_sub_i32 s19, s19, 28
	v_mov_b32_e32 v25, s21
	s_sub_i32 s21, s20, 24
	s_delay_alu instid0(VALU_DEP_2)
	v_fma_f32 v26, -v18, v28, v21
	ds_load_2addr_b32 v[20:21], v23 offset1:1
	ds_load_b32 v28, v9 offset:1024
	ds_load_b32 v34, v11 offset:1024
	;; [unrolled: 1-line block ×8, first 2 shown]
	v_mov_b32_e32 v24, s20
	v_fma_f32 v23, -v19, v27, v26
	v_mov_b32_e32 v26, s19
	s_add_i32 s19, s20, -8
	s_delay_alu instid0(SALU_CYCLE_1) | instskip(NEXT) | instid1(VALU_DEP_3)
	v_mov_b32_e32 v29, s19
	v_fma_f32 v30, -v48, v33, v23
	ds_load_2addr_b32 v[22:23], v22 offset1:1
	ds_load_b32 v33, v24
	ds_load_2addr_b32 v[24:25], v25 offset1:1
	ds_load_2addr_b32 v[26:27], v26 offset1:1
	s_waitcnt lgkmcnt(11)
	v_fma_f32 v21, -v14, v21, v28
	s_add_i32 s19, s11, 0xfffffe24
	v_fma_f32 v40, -v50, v32, v30
	v_mov_b32_e32 v32, s19
	s_add_i32 s19, s20, -16
	v_fma_f32 v20, -v10, v20, v21
	v_dual_mov_b32 v21, s19 :: v_dual_mov_b32 v30, s21
	s_add_i32 s19, s18, -8
	ds_load_2addr_b32 v[28:29], v29 offset1:1
	s_waitcnt lgkmcnt(4)
	v_fma_f32 v23, -v17, v23, v20
	ds_load_2addr_b32 v[20:21], v21 offset1:1
	ds_load_2addr_b32 v[30:31], v30 offset1:1
	s_waitcnt lgkmcnt(5)
	v_fma_f32 v33, -v14, v33, v34
	ds_load_b32 v34, v41
	ds_load_b32 v41, v32
	v_fma_f32 v22, -v18, v22, v23
	v_mov_b32_e32 v23, s19
	s_add_i32 s19, s11, 0xfffffde0
	s_delay_alu instid0(SALU_CYCLE_1)
	v_mov_b32_e32 v32, s19
	s_waitcnt lgkmcnt(6)
	v_fma_f32 v25, -v19, v25, v22
	ds_load_2addr_b32 v[22:23], v23 offset1:1
	s_waitcnt lgkmcnt(5)
	v_fma_f32 v29, -v10, v29, v33
	s_sub_i32 s19, s20, 32
	s_add_i32 s20, s18, -16
	v_mov_b32_e32 v33, s19
	s_sub_i32 s19, s18, 24
	v_fma_f32 v28, -v17, v28, v29
	v_mov_b32_e32 v29, s20
	v_mov_b32_e32 v43, s19
	s_add_i32 s19, s13, -4
	v_fma_f32 v44, -v48, v24, v25
	s_waitcnt lgkmcnt(2)
	v_fma_f32 v34, -v14, v34, v35
	v_fma_f32 v21, -v18, v21, v28
	s_waitcnt lgkmcnt(1)
	v_mul_f32_e32 v51, v40, v41
	s_delay_alu instid0(VALU_DEP_2) | instskip(SKIP_3) | instid1(VALU_DEP_3)
	v_fma_f32 v20, -v19, v20, v21
	v_fma_f32 v21, -v50, v27, v44
	s_waitcnt lgkmcnt(0)
	v_fma_f32 v23, -v10, v23, v34
	v_fma_f32 v20, -v48, v31, v20
	s_delay_alu instid0(VALU_DEP_3) | instskip(NEXT) | instid1(VALU_DEP_3)
	v_fma_f32 v21, -v51, v26, v21
	v_fma_f32 v22, -v17, v22, v23
	v_mov_b32_e32 v23, s19
	ds_load_b32 v42, v32
	ds_load_2addr_b32 v[28:29], v29 offset1:1
	ds_load_2addr_b32 v[32:33], v33 offset1:1
	;; [unrolled: 1-line block ×3, first 2 shown]
	v_fma_f32 v20, -v50, v30, v20
	s_add_i32 s19, s11, 0xfffffd9c
	s_sub_i32 s11, s18, 32
	s_add_i32 s18, s13, -12
	v_mov_b32_e32 v30, s19
	s_add_i32 s19, s12, -8
	s_waitcnt lgkmcnt(2)
	v_fma_f32 v22, -v18, v29, v22
	v_mul_f32_e32 v52, v21, v42
	s_waitcnt lgkmcnt(1)
	v_fma_f32 v29, -v51, v33, v20
	ds_load_2addr_b32 v[20:21], v23 offset1:1
	v_mov_b32_e32 v23, s11
	s_mul_i32 s11, s15, 0x44
	v_fma_f32 v22, -v19, v28, v22
	s_add_i32 s20, s11, 0xfffffd14
	s_delay_alu instid0(SALU_CYCLE_1)
	v_dual_mov_b32 v26, s18 :: v_dual_mov_b32 v27, s20
	v_fma_f32 v40, -v52, v32, v29
	s_waitcnt lgkmcnt(1)
	v_fma_f32 v31, -v48, v25, v22
	ds_load_2addr_b32 v[22:23], v23 offset1:1
	ds_load_2addr_b32 v[25:26], v26 offset1:1
	;; [unrolled: 1-line block ×3, first 2 shown]
	v_mov_b32_e32 v29, s12
	s_sub_i32 s18, s13, 20
	ds_load_b32 v41, v30
	v_mov_b32_e32 v30, s18
	s_sub_i32 s18, s13, 28
	v_fma_f32 v24, -v50, v24, v31
	v_mov_b32_e32 v31, s19
	ds_load_b32 v33, v29
	v_mov_b32_e32 v34, s18
	s_add_i32 s18, s12, -16
	s_waitcnt lgkmcnt(5)
	v_fma_f32 v21, -v14, v21, v36
	s_sub_i32 s13, s13, 36
	s_add_i32 s19, s11, 0xfffffcd0
	s_delay_alu instid0(SALU_CYCLE_1) | instskip(NEXT) | instid1(VALU_DEP_2)
	v_dual_mov_b32 v35, s13 :: v_dual_mov_b32 v36, s19
	v_fma_f32 v32, -v10, v20, v21
	ds_load_2addr_b32 v[20:21], v30 offset1:1
	s_waitcnt lgkmcnt(5)
	v_fma_f32 v42, -v51, v23, v24
	ds_load_2addr_b32 v[23:24], v34 offset1:1
	ds_load_2addr_b32 v[29:30], v31 offset1:1
	v_mov_b32_e32 v31, s18
	s_waitcnt lgkmcnt(6)
	v_fma_f32 v26, -v17, v26, v32
	s_sub_i32 s18, s12, 24
	s_waitcnt lgkmcnt(4)
	v_dual_mul_f32 v53, v40, v41 :: v_dual_mov_b32 v34, s18
	ds_load_2addr_b32 v[31:32], v31 offset1:1
	v_fma_f32 v43, -v18, v25, v26
	s_waitcnt lgkmcnt(4)
	v_fma_f32 v37, -v14, v33, v37
	v_fma_f32 v22, -v52, v22, v42
	ds_load_2addr_b32 v[25:26], v34 offset1:1
	s_sub_i32 s13, s12, 32
	ds_load_2addr_b32 v[33:34], v35 offset1:1
	ds_load_2addr_b32 v[35:36], v36 offset1:1
	s_sub_i32 s12, s12, 40
	v_fma_f32 v28, -v53, v28, v22
	s_sub_i32 s18, s4, 40
	s_waitcnt lgkmcnt(6)
	v_fma_f32 v21, -v19, v21, v43
	s_delay_alu instid0(VALU_DEP_2)
	v_mul_f32_e32 v54, v28, v27
	s_waitcnt lgkmcnt(4)
	v_fma_f32 v30, -v10, v30, v37
	v_mov_b32_e32 v27, s12
	v_fma_f32 v20, -v48, v20, v21
	s_add_i32 s12, s10, -12
	s_delay_alu instid0(VALU_DEP_3) | instskip(SKIP_1) | instid1(VALU_DEP_3)
	v_fma_f32 v21, -v17, v29, v30
	v_mov_b32_e32 v29, s13
	v_fma_f32 v24, -v50, v24, v20
	s_add_i32 s13, s10, -4
	s_waitcnt lgkmcnt(3)
	v_fma_f32 v30, -v18, v32, v21
	ds_load_2addr_b32 v[20:21], v29 offset1:1
	v_mov_b32_e32 v29, s13
	v_fma_f32 v24, -v51, v23, v24
	s_add_i32 s13, s11, 0xfffffc8c
	v_fma_f32 v30, -v19, v31, v30
	v_mov_b32_e32 v28, s13
	ds_load_2addr_b32 v[22:23], v29 offset1:1
	s_waitcnt lgkmcnt(3)
	v_fma_f32 v24, -v52, v34, v24
	s_sub_i32 s13, s10, 44
	v_fma_f32 v26, -v48, v26, v30
	s_delay_alu instid0(VALU_DEP_2) | instskip(NEXT) | instid1(VALU_DEP_2)
	v_fma_f32 v29, -v53, v33, v24
	v_fma_f32 v30, -v50, v25, v26
	s_waitcnt lgkmcnt(1)
	s_delay_alu instid0(VALU_DEP_1) | instskip(NEXT) | instid1(VALU_DEP_1)
	v_fma_f32 v21, -v51, v21, v30
	v_fma_f32 v47, -v52, v20, v21
	v_mov_b32_e32 v20, s12
	ds_load_2addr_b32 v[24:25], v27 offset1:1
	ds_load_2addr_b32 v[26:27], v28 offset1:1
	v_fma_f32 v28, -v54, v36, v29
	s_add_i32 s12, s11, 0xfffffc48
	s_waitcnt lgkmcnt(2)
	v_fma_f32 v23, -v14, v23, v38
	v_mov_b32_e32 v30, s12
	s_add_i32 s12, s4, -8
	v_dual_mul_f32 v55, v28, v35 :: v_dual_mov_b32 v28, s13
	s_add_i32 s13, s4, -16
	s_delay_alu instid0(SALU_CYCLE_1)
	v_dual_mov_b32 v32, s4 :: v_dual_mov_b32 v41, s13
	ds_load_2addr_b32 v[20:21], v20 offset1:1
	v_mov_b32_e32 v33, s12
	ds_load_2addr_b32 v[28:29], v28 offset1:1
	ds_load_2addr_b32 v[30:31], v30 offset1:1
	ds_load_b32 v38, v32
	s_sub_i32 s12, s10, 20
	v_fma_f32 v40, -v10, v22, v23
	v_mov_b32_e32 v32, s12
	s_sub_i32 s12, s10, 28
	ds_load_2addr_b32 v[22:23], v33 offset1:1
	v_mov_b32_e32 v34, s12
	s_add_i32 s12, s15, -16
	s_sub_i32 s10, s10, 36
	s_lshl_b32 s12, s12, 4
	v_mov_b32_e32 v36, s10
	s_add_i32 s10, s12, s26
	ds_load_2addr_b32 v[32:33], v32 offset1:1
	ds_load_2addr_b32 v[34:35], v34 offset1:1
	;; [unrolled: 1-line block ×3, first 2 shown]
	s_lshl_b32 s10, s10, 2
	s_waitcnt lgkmcnt(9)
	v_fma_f32 v25, -v53, v25, v47
	s_add_i32 s13, s10, -4
	s_delay_alu instid0(SALU_CYCLE_1)
	v_mov_b32_e32 v42, s13
	s_waitcnt lgkmcnt(7)
	v_fma_f32 v21, -v17, v21, v40
	s_waitcnt lgkmcnt(4)
	v_fma_f32 v43, -v14, v38, v39
	ds_load_2addr_b32 v[38:39], v41 offset1:1
	s_sub_i32 s13, s4, 24
	ds_load_2addr_b32 v[40:41], v42 offset1:1
	v_mov_b32_e32 v42, s13
	s_add_i32 s13, s10, -12
	s_waitcnt lgkmcnt(5)
	v_fma_f32 v23, -v10, v23, v43
	v_mov_b32_e32 v44, s13
	v_fma_f32 v43, -v18, v20, v21
	ds_load_2addr_b32 v[20:21], v42 offset1:1
	s_sub_i32 s13, s4, 32
	v_fma_f32 v56, -v17, v22, v23
	ds_load_2addr_b32 v[22:23], v44 offset1:1
	v_mov_b32_e32 v42, s13
	s_sub_i32 s13, s10, 20
	s_delay_alu instid0(SALU_CYCLE_1)
	v_dual_mov_b32 v44, s18 :: v_dual_mov_b32 v57, s13
	s_waitcnt lgkmcnt(6)
	v_fma_f32 v33, -v19, v33, v43
	ds_load_2addr_b32 v[42:43], v42 offset1:1
	ds_load_2addr_b32 v[44:45], v44 offset1:1
	s_sub_i32 s13, s10, 28
	s_waitcnt lgkmcnt(5)
	v_fma_f32 v39, -v18, v39, v56
	v_fma_f32 v32, -v48, v32, v33
	s_waitcnt lgkmcnt(4)
	v_fma_f32 v41, -v14, v41, v46
	ds_load_2addr_b32 v[46:47], v57 offset1:1
	v_fma_f32 v25, -v54, v24, v25
	v_fma_f32 v33, -v19, v38, v39
	v_mov_b32_e32 v39, s13
	v_fma_f32 v38, -v10, v40, v41
	s_sub_i32 s13, s10, 36
	s_sub_i32 s18, s10, 44
	s_waitcnt lgkmcnt(4)
	v_fma_f32 v21, -v48, v21, v33
	v_fma_f32 v32, -v50, v35, v32
	s_waitcnt lgkmcnt(3)
	v_fma_f32 v33, -v17, v23, v38
	ds_load_2addr_b32 v[23:24], v39 offset1:1
	v_dual_mov_b32 v35, s13 :: v_dual_mov_b32 v38, s18
	v_fma_f32 v34, -v51, v34, v32
	v_fma_f32 v22, -v18, v22, v33
	;; [unrolled: 1-line block ×3, first 2 shown]
	ds_load_2addr_b32 v[20:21], v35 offset1:1
	ds_load_2addr_b32 v[32:33], v38 offset1:1
	s_sub_i32 s4, s4, 48
	s_add_i32 s13, s11, 0xfffffc04
	v_mov_b32_e32 v35, s4
	s_waitcnt lgkmcnt(3)
	v_fma_f32 v22, -v19, v47, v22
	v_mov_b32_e32 v38, s13
	v_fma_f32 v40, -v52, v37, v34
	v_fma_f32 v39, -v51, v43, v39
	ds_load_2addr_b32 v[34:35], v35 offset1:1
	ds_load_2addr_b32 v[37:38], v38 offset1:1
	v_fma_f32 v22, -v48, v46, v22
	s_sub_i32 s4, s10, 52
	s_waitcnt lgkmcnt(4)
	s_delay_alu instid0(VALU_DEP_1) | instskip(SKIP_3) | instid1(VALU_DEP_4)
	v_fma_f32 v22, -v50, v24, v22
	v_fma_f32 v24, -v55, v27, v25
	;; [unrolled: 1-line block ×5, first 2 shown]
	v_mov_b32_e32 v23, s4
	s_delay_alu instid0(VALU_DEP_4) | instskip(NEXT) | instid1(VALU_DEP_4)
	v_fma_f32 v25, -v54, v29, v25
	v_fma_f32 v27, -v53, v45, v27
	v_mul_f32_e32 v26, v24, v26
	s_waitcnt lgkmcnt(3)
	v_fma_f32 v24, -v52, v21, v22
	ds_load_2addr_b32 v[21:22], v23 offset1:1
	s_add_i32 s4, s11, 0xfffffbc0
	v_fma_f32 v23, -v55, v28, v25
	v_fma_f32 v25, -v54, v44, v27
	;; [unrolled: 1-line block ×3, first 2 shown]
	v_mov_b32_e32 v24, s4
	s_lshl_b32 s4, s15, 6
	v_fma_f32 v27, -v26, v31, v23
	s_waitcnt lgkmcnt(2)
	v_fma_f32 v25, -v55, v35, v25
	v_fma_f32 v20, -v54, v33, v20
	ds_load_2addr_b32 v[23:24], v24 offset1:1
	s_addk_i32 s4, 0xff80
	v_mul_f32_e32 v27, v27, v30
	v_fma_f32 v25, -v26, v34, v25
	v_fma_f32 v20, -v55, v32, v20
	v_or_b32_e32 v1, s4, v1
	ds_store_b32 v2, v14 offset:1024
	ds_store_b32 v3, v17 offset:1024
	;; [unrolled: 1-line block ×8, first 2 shown]
	s_sub_i32 s4, s15, 17
	s_waitcnt lgkmcnt(10)
	v_fma_f32 v25, -v27, v38, v25
	s_waitcnt lgkmcnt(9)
	v_fma_f32 v20, -v26, v22, v20
	s_delay_alu instid0(VALU_DEP_2)
	v_mul_f32_e32 v22, v25, v37
	ds_store_b32 v11, v53 offset:1024
	ds_store_b32 v12, v54 offset:1024
	;; [unrolled: 1-line block ×6, first 2 shown]
	v_fma_f32 v20, -v27, v21, v20
	v_or_b32_e32 v21, s12, v0
	s_waitcnt lgkmcnt(14)
	s_delay_alu instid0(VALU_DEP_2) | instskip(NEXT) | instid1(VALU_DEP_1)
	v_fma_f32 v20, -v22, v24, v20
	v_dual_mul_f32 v2, v20, v23 :: v_dual_lshlrev_b32 v3, 2, v21
	ds_store_b32 v1, v10 offset:1024
	ds_store_b32 v3, v2 offset:1024
	s_cmp_gt_i32 s4, -1
	s_cbranch_scc1 .LBB18_21
	s_branch .LBB18_39
.LBB18_20:
	s_mov_b32 s4, s26
	s_delay_alu instid0(SALU_CYCLE_1)
	s_cmp_gt_i32 s4, -1
	s_cbranch_scc0 .LBB18_39
.LBB18_21:
	s_cmp_lt_u32 s4, 11
	s_cbranch_scc1 .LBB18_26
; %bb.22:
	s_lshl_b32 s11, s4, 4
	s_delay_alu instid0(SALU_CYCLE_1)
	s_add_i32 s10, s11, -16
	s_sub_i32 s23, s11, 32
	s_sub_i32 s22, s11, 48
	;; [unrolled: 1-line block ×3, first 2 shown]
	s_add_i32 s20, s11, 0xffffffb0
	s_add_i32 s19, s11, 0xffffffa0
	v_or_b32_e32 v1, s11, v0
	v_or_b32_e32 v2, s10, v0
	;; [unrolled: 1-line block ×7, first 2 shown]
	s_add_i32 s18, s11, 0xffffff90
	s_add_i32 s13, s11, 0xffffff80
	;; [unrolled: 1-line block ×4, first 2 shown]
	s_addk_i32 s11, 0xff50
	v_lshlrev_b32_e32 v12, 2, v1
	v_lshlrev_b32_e32 v10, 2, v2
	;; [unrolled: 1-line block ×7, first 2 shown]
	v_or_b32_e32 v6, s18, v0
	v_or_b32_e32 v7, s13, v0
	v_or_b32_e32 v8, s12, v0
	v_or_b32_e32 v9, s10, v0
	v_or_b32_e32 v11, s11, v0
	v_lshlrev_b32_e32 v6, 2, v6
	v_lshlrev_b32_e32 v7, 2, v7
	;; [unrolled: 1-line block ×5, first 2 shown]
	ds_load_b32 v22, v12 offset:1024
	ds_load_b32 v21, v10 offset:1024
	;; [unrolled: 1-line block ×12, first 2 shown]
	s_cmp_le_i32 s26, s4
	s_cbranch_scc1 .LBB18_25
; %bb.23:
	v_lshlrev_b32_e32 v23, 2, v0
	s_lshl_b32 s11, s4, 6
	s_lshl_b32 s24, s15, 2
	s_delay_alu instid0(SALU_CYCLE_1) | instskip(NEXT) | instid1(VALU_DEP_1)
	s_add_i32 s11, s11, s24
	v_lshl_or_b32 v23, s15, 6, v23
	s_addk_i32 s11, 0xfd3c
	s_mov_b32 s24, s26
	s_delay_alu instid0(VALU_DEP_1)
	v_add_nc_u32_e32 v23, 0x3c0, v23
	s_set_inst_prefetch_distance 0x1
	.p2align	6
.LBB18_24:                              ; =>This Inner Loop Header: Depth=1
	v_mov_b32_e32 v34, s11
	s_add_i32 s24, s24, -1
	s_add_i32 s11, s11, -4
	s_cmp_gt_i32 s24, s4
	ds_load_b32 v36, v23
	ds_load_2addr_b32 v[24:25], v34 offset0:160 offset1:176
	ds_load_2addr_b32 v[26:27], v34 offset0:128 offset1:144
	;; [unrolled: 1-line block ×5, first 2 shown]
	ds_load_2addr_b32 v[34:35], v34 offset1:16
	v_subrev_nc_u32_e32 v23, 64, v23
	s_waitcnt lgkmcnt(5)
	v_fma_f32 v22, -v36, v25, v22
	v_fma_f32 v21, -v36, v24, v21
	s_waitcnt lgkmcnt(4)
	v_fma_f32 v20, -v36, v27, v20
	v_fma_f32 v19, -v36, v26, v19
	;; [unrolled: 3-line block ×6, first 2 shown]
	s_cbranch_scc1 .LBB18_24
.LBB18_25:
	s_set_inst_prefetch_distance 0x2
	s_mul_i32 s11, s4, 0x44
	s_add_i32 s23, s23, s4
	s_add_i32 s24, s11, 0xffffffbc
	s_lshl_b32 s23, s23, 2
	v_dual_mov_b32 v23, s11 :: v_dual_add_nc_u32 v12, 0x400, v12
	s_add_i32 s22, s22, s4
	v_dual_mov_b32 v24, s24 :: v_dual_mov_b32 v25, s23
	s_lshl_b32 s22, s22, 2
	s_add_i32 s21, s21, s4
	s_add_i32 s22, s22, -4
	ds_load_b32 v29, v23
	ds_load_b32 v33, v25
	s_add_i32 s24, s11, 0xffffff78
	s_lshl_b32 s21, s21, 2
	s_add_i32 s23, s11, 0xffffff34
	s_delay_alu instid0(SALU_CYCLE_1) | instskip(SKIP_2) | instid1(SALU_CYCLE_1)
	v_dual_mov_b32 v25, s22 :: v_dual_mov_b32 v30, s23
	v_mov_b32_e32 v31, s21
	s_add_i32 s21, s21, -8
	v_dual_mov_b32 v27, s24 :: v_dual_mov_b32 v32, s21
	ds_load_2addr_b32 v[23:24], v24 offset1:1
	ds_load_2addr_b32 v[25:26], v25 offset1:1
	;; [unrolled: 1-line block ×3, first 2 shown]
	s_add_i32 s20, s20, s4
	s_add_i32 s19, s19, s4
	s_lshl_b32 s20, s20, 2
	s_lshl_b32 s19, s19, 2
	s_add_i32 s21, s20, -4
	s_add_i32 s20, s20, -12
	s_waitcnt lgkmcnt(4)
	v_mul_f32_e32 v35, v22, v29
	s_add_i32 s18, s18, s4
	s_add_i32 s13, s13, s4
	ds_load_2addr_b32 v[29:30], v30 offset1:1
	s_lshl_b32 s18, s18, 2
	s_lshl_b32 s13, s13, 2
	s_add_i32 s12, s12, s4
	s_add_i32 s10, s10, s4
	s_lshl_b32 s12, s12, 2
	s_lshl_b32 s10, s10, 2
	s_waitcnt lgkmcnt(2)
	v_fma_f32 v19, -v35, v26, v19
	v_mov_b32_e32 v26, s20
	v_fma_f32 v22, -v35, v24, v21
	v_mov_b32_e32 v21, s21
	s_add_i32 s21, s11, 0xfffffef0
	v_fma_f32 v33, -v35, v33, v20
	v_mov_b32_e32 v24, s21
	v_mul_f32_e32 v36, v22, v23
	ds_load_b32 v34, v31
	ds_load_2addr_b32 v[31:32], v32 offset1:1
	ds_load_2addr_b32 v[20:21], v21 offset1:1
	;; [unrolled: 1-line block ×3, first 2 shown]
	s_waitcnt lgkmcnt(5)
	v_fma_f32 v24, -v36, v28, v33
	s_add_i32 s20, s11, 0xfffffeac
	v_fma_f32 v25, -v36, v25, v19
	s_delay_alu instid0(VALU_DEP_2) | instskip(SKIP_2) | instid1(VALU_DEP_1)
	v_dual_mul_f32 v33, v24, v27 :: v_dual_mov_b32 v24, s20
	s_add_i32 s20, s19, -4
	s_waitcnt lgkmcnt(4)
	v_fma_f32 v27, -v33, v30, v25
	ds_load_2addr_b32 v[24:25], v24 offset1:1
	s_waitcnt lgkmcnt(4)
	v_fma_f32 v28, -v35, v34, v18
	ds_load_2addr_b32 v[18:19], v26 offset1:1
	s_waitcnt lgkmcnt(3)
	v_fma_f32 v17, -v35, v21, v17
	v_mov_b32_e32 v21, s20
	s_add_i32 s20, s19, -12
	v_fma_f32 v26, -v36, v32, v28
	v_mul_f32_e32 v32, v27, v29
	v_fma_f32 v17, -v36, v20, v17
	ds_load_2addr_b32 v[20:21], v21 offset1:1
	s_sub_i32 s19, s19, 20
	v_fma_f32 v26, -v33, v31, v26
	s_waitcnt lgkmcnt(3)
	s_delay_alu instid0(VALU_DEP_1) | instskip(NEXT) | instid1(VALU_DEP_1)
	v_fma_f32 v23, -v32, v23, v26
	v_mul_f32_e32 v34, v23, v22
	s_waitcnt lgkmcnt(1)
	v_fma_f32 v17, -v33, v19, v17
	v_dual_mov_b32 v19, s18 :: v_dual_mov_b32 v22, s20
	v_mov_b32_e32 v23, s19
	s_add_i32 s19, s18, -8
	s_delay_alu instid0(VALU_DEP_3)
	v_fma_f32 v28, -v32, v18, v17
	ds_load_b32 v37, v19
	v_mov_b32_e32 v19, s19
	s_add_i32 s19, s18, -16
	s_sub_i32 s18, s18, 24
	ds_load_2addr_b32 v[17:18], v22 offset1:1
	ds_load_2addr_b32 v[22:23], v23 offset1:1
	v_mov_b32_e32 v30, s18
	ds_load_2addr_b32 v[26:27], v19 offset1:1
	s_add_i32 s20, s13, -4
	s_waitcnt lgkmcnt(4)
	v_fma_f32 v16, -v35, v21, v16
	v_mov_b32_e32 v19, s20
	v_mov_b32_e32 v21, s19
	v_fma_f32 v25, -v34, v25, v28
	s_add_i32 s18, s13, -12
	v_fma_f32 v16, -v36, v20, v16
	ds_load_2addr_b32 v[19:20], v19 offset1:1
	ds_load_2addr_b32 v[28:29], v21 offset1:1
	;; [unrolled: 1-line block ×3, first 2 shown]
	v_mov_b32_e32 v21, s18
	s_add_i32 s18, s11, 0xfffffe68
	s_sub_i32 s19, s13, 20
	s_sub_i32 s13, s13, 28
	v_mov_b32_e32 v38, s18
	s_waitcnt lgkmcnt(6)
	v_fma_f32 v15, -v35, v37, v15
	v_mul_f32_e32 v37, v25, v24
	s_sub_i32 s18, s12, 24
	s_waitcnt lgkmcnt(5)
	v_fma_f32 v18, -v33, v18, v16
	s_sub_i32 s20, s10, 32
	v_mov_b32_e32 v25, s13
	s_waitcnt lgkmcnt(3)
	v_fma_f32 v24, -v36, v27, v15
	ds_load_2addr_b32 v[15:16], v21 offset1:1
	v_mov_b32_e32 v21, s19
	v_fma_f32 v27, -v32, v17, v18
	s_add_i32 s13, s11, 0xfffffe24
	v_fma_f32 v26, -v33, v26, v24
	s_waitcnt lgkmcnt(3)
	v_fma_f32 v14, -v35, v20, v14
	ds_load_2addr_b32 v[17:18], v21 offset1:1
	ds_load_2addr_b32 v[24:25], v25 offset1:1
	ds_load_b32 v20, v38
	v_fma_f32 v21, -v34, v23, v27
	s_waitcnt lgkmcnt(5)
	v_fma_f32 v23, -v32, v29, v26
	v_fma_f32 v14, -v36, v19, v14
	v_dual_mov_b32 v19, s12 :: v_dual_mov_b32 v26, s13
	s_add_i32 s13, s12, -8
	ds_load_b32 v27, v19
	ds_load_b32 v26, v26
	s_add_i32 s19, s10, -16
	s_waitcnt lgkmcnt(5)
	v_fma_f32 v14, -v33, v16, v14
	v_mov_b32_e32 v16, s13
	v_fma_f32 v19, -v37, v22, v21
	v_fma_f32 v21, -v34, v28, v23
	s_add_i32 s13, s12, -16
	v_fma_f32 v22, -v32, v15, v14
	ds_load_2addr_b32 v[14:15], v16 offset1:1
	s_waitcnt lgkmcnt(3)
	v_mul_f32_e32 v38, v19, v20
	v_fma_f32 v16, -v37, v31, v21
	v_mov_b32_e32 v19, s13
	v_fma_f32 v18, -v34, v18, v22
	v_mov_b32_e32 v20, s18
	s_add_i32 s18, s4, -11
	v_fma_f32 v21, -v38, v30, v16
	s_lshl_b32 s18, s18, 4
	v_fma_f32 v22, -v37, v17, v18
	s_waitcnt lgkmcnt(2)
	v_fma_f32 v13, -v35, v27, v13
	ds_load_2addr_b32 v[16:17], v19 offset1:1
	ds_load_2addr_b32 v[18:19], v20 offset1:1
	s_waitcnt lgkmcnt(3)
	v_dual_mul_f32 v39, v21, v26 :: v_dual_mov_b32 v26, s19
	v_fma_f32 v20, -v38, v25, v22
	s_add_i32 s13, s10, -8
	s_add_i32 s21, s18, s4
	v_mov_b32_e32 v21, s13
	s_add_i32 s13, s11, 0xfffffde0
	v_fma_f32 v40, -v39, v24, v20
	s_waitcnt lgkmcnt(2)
	v_fma_f32 v13, -v36, v15, v13
	v_dual_mov_b32 v15, s10 :: v_dual_mov_b32 v20, s20
	s_lshl_b32 s20, s21, 2
	s_sub_i32 s10, s10, 24
	s_delay_alu instid0(VALU_DEP_2)
	v_fma_f32 v28, -v33, v14, v13
	v_mov_b32_e32 v29, s10
	s_add_i32 s10, s20, -12
	s_add_i32 s21, s11, 0xfffffd58
	v_mov_b32_e32 v30, s10
	ds_load_b32 v15, v15
	ds_load_2addr_b32 v[13:14], v21 offset1:1
	s_add_i32 s22, s20, -4
	v_mov_b32_e32 v22, s21
	v_mov_b32_e32 v24, s22
	ds_load_2addr_b32 v[20:21], v20 offset1:1
	ds_load_2addr_b32 v[22:23], v22 offset1:1
	;; [unrolled: 1-line block ×3, first 2 shown]
	v_mov_b32_e32 v41, s13
	ds_load_2addr_b32 v[26:27], v26 offset1:1
	s_waitcnt lgkmcnt(7)
	v_fma_f32 v17, -v32, v17, v28
	ds_load_2addr_b32 v[28:29], v29 offset1:1
	s_sub_i32 s10, s12, 32
	ds_load_2addr_b32 v[30:31], v30 offset1:1
	ds_load_b32 v41, v41
	v_fma_f32 v16, -v34, v16, v17
	s_waitcnt lgkmcnt(8)
	v_fma_f32 v11, -v35, v15, v11
	v_mov_b32_e32 v15, s10
	s_sub_i32 s10, s20, 20
	v_fma_f32 v19, -v37, v19, v16
	v_mov_b32_e32 v17, s10
	s_waitcnt lgkmcnt(7)
	v_fma_f32 v11, -v36, v14, v11
	ds_load_2addr_b32 v[14:15], v15 offset1:1
	s_waitcnt lgkmcnt(5)
	v_fma_f32 v25, -v35, v25, v10
	s_add_i32 s10, s11, 0xfffffd9c
	s_addk_i32 s11, 0xfd14
	v_fma_f32 v13, -v33, v13, v11
	ds_load_2addr_b32 v[10:11], v17 offset1:1
	v_mov_b32_e32 v17, s10
	s_sub_i32 s10, s20, 28
	v_fma_f32 v24, -v36, v24, v25
	v_mov_b32_e32 v25, s10
	s_waitcnt lgkmcnt(5)
	v_fma_f32 v13, -v32, v27, v13
	ds_load_b32 v27, v17
	s_sub_i32 s10, s20, 36
	s_waitcnt lgkmcnt(4)
	v_fma_f32 v24, -v33, v31, v24
	ds_load_2addr_b32 v[16:17], v25 offset1:1
	v_fma_f32 v13, -v34, v26, v13
	v_dual_mov_b32 v25, s10 :: v_dual_mov_b32 v26, s11
	v_fma_f32 v30, -v32, v30, v24
	v_fma_f32 v31, -v38, v18, v19
	s_delay_alu instid0(VALU_DEP_4)
	v_fma_f32 v13, -v37, v29, v13
	ds_load_2addr_b32 v[18:19], v25 offset1:1
	ds_load_2addr_b32 v[24:25], v26 offset1:1
	s_waitcnt lgkmcnt(6)
	v_mul_f32_e32 v26, v40, v41
	s_lshl_b32 s10, s4, 6
	s_waitcnt lgkmcnt(5)
	v_fma_f32 v15, -v39, v15, v31
	s_waitcnt lgkmcnt(4)
	v_fma_f32 v11, -v34, v11, v30
	v_fma_f32 v13, -v38, v28, v13
	s_sub_i32 s10, s10, 64
	ds_store_b32 v12, v35
	v_lshl_or_b32 v12, v0, 2, s10
	v_fma_f32 v10, -v37, v10, v11
	v_fma_f32 v11, -v26, v14, v15
	;; [unrolled: 1-line block ×3, first 2 shown]
	v_or_b32_e32 v14, s18, v0
	s_add_i32 s4, s4, -12
	s_waitcnt lgkmcnt(3)
	v_fma_f32 v10, -v38, v17, v10
	v_mul_f32_e32 v11, v11, v27
	v_fma_f32 v13, -v26, v20, v13
	v_lshlrev_b32_e32 v14, 2, v14
	s_delay_alu instid0(VALU_DEP_4) | instskip(NEXT) | instid1(VALU_DEP_3)
	v_fma_f32 v10, -v39, v16, v10
	v_fma_f32 v13, -v11, v23, v13
	s_waitcnt lgkmcnt(2)
	s_delay_alu instid0(VALU_DEP_2) | instskip(NEXT) | instid1(VALU_DEP_2)
	v_fma_f32 v10, -v26, v19, v10
	v_mul_f32_e32 v13, v13, v22
	ds_store_b32 v1, v33 offset:1024
	ds_store_b32 v2, v32 offset:1024
	;; [unrolled: 1-line block ×9, first 2 shown]
	v_fma_f32 v10, -v11, v18, v10
	s_waitcnt lgkmcnt(10)
	s_delay_alu instid0(VALU_DEP_1) | instskip(NEXT) | instid1(VALU_DEP_1)
	v_fma_f32 v10, -v13, v25, v10
	v_mul_f32_e32 v10, v10, v24
	ds_store_b32 v12, v36 offset:1024
	ds_store_b32 v14, v10 offset:1024
.LBB18_26:
	s_cmp_lt_i32 s4, 0
	s_cbranch_scc1 .LBB18_39
; %bb.27:
	s_bitcmp1_b32 s4, 0
	s_cselect_b32 s10, -1, 0
	s_delay_alu instid0(SALU_CYCLE_1)
	s_and_b32 vcc_lo, exec_lo, s10
	s_mov_b32 s10, s4
	s_cbranch_vccnz .LBB18_32
; %bb.28:
	v_lshlrev_b32_e32 v3, 2, v0
	s_cmp_le_i32 s26, s4
	s_delay_alu instid0(VALU_DEP_1)
	v_lshl_or_b32 v2, s4, 6, v3
	ds_load_b32 v1, v2 offset:1024
	s_cbranch_scc1 .LBB18_31
; %bb.29:
	v_lshl_or_b32 v3, s15, 6, v3
	s_lshl_b32 s10, s4, 6
	s_lshl_b32 s11, s15, 2
	s_delay_alu instid0(SALU_CYCLE_1) | instskip(NEXT) | instid1(VALU_DEP_1)
	s_add_i32 s10, s10, s11
	v_add_nc_u32_e32 v3, 0x3c0, v3
	s_add_i32 s10, s10, -4
	s_mov_b32 s11, s26
.LBB18_30:                              ; =>This Inner Loop Header: Depth=1
	v_mov_b32_e32 v4, s10
	s_add_i32 s11, s11, -1
	s_add_i32 s10, s10, -4
	s_cmp_gt_i32 s11, s4
	ds_load_b32 v5, v3
	ds_load_b32 v4, v4
	v_subrev_nc_u32_e32 v3, 64, v3
	s_waitcnt lgkmcnt(0)
	v_fma_f32 v1, -v5, v4, v1
	s_cbranch_scc1 .LBB18_30
.LBB18_31:
	s_mul_i32 s10, s4, 0x44
	s_delay_alu instid0(SALU_CYCLE_1)
	v_dual_mov_b32 v3, s10 :: v_dual_add_nc_u32 v2, 0x400, v2
	s_add_i32 s10, s4, -1
	ds_load_b32 v3, v3
	s_waitcnt lgkmcnt(0)
	v_mul_f32_e32 v1, v1, v3
	ds_store_b32 v2, v1
.LBB18_32:
	s_cmp_eq_u32 s4, 0
	s_cbranch_scc1 .LBB18_39
; %bb.33:
	v_lshlrev_b32_e32 v1, 2, v0
	s_lshl_b32 s4, s10, 6
	s_lshl_b32 s11, s15, 2
	s_delay_alu instid0(SALU_CYCLE_1) | instskip(NEXT) | instid1(VALU_DEP_1)
	s_add_i32 s11, s4, s11
	v_lshl_or_b32 v2, s15, 6, v1
	s_add_i32 s4, s11, -4
	s_addk_i32 s11, 0xffbc
	s_delay_alu instid0(VALU_DEP_1)
	v_add_nc_u32_e32 v2, 0x3c0, v2
	s_branch .LBB18_35
.LBB18_34:                              ;   in Loop: Header=BB18_35 Depth=1
	s_addk_i32 s12, 0xffbc
	v_add_nc_u32_e32 v3, 0x400, v5
	v_mov_b32_e32 v5, s12
	s_add_i32 s12, s10, -2
	s_addk_i32 s4, 0xff80
	s_addk_i32 s11, 0xff80
	s_cmp_lt_i32 s10, 2
	ds_load_b32 v5, v5
	s_mov_b32 s10, s12
	s_waitcnt lgkmcnt(0)
	v_mul_f32_e32 v4, v4, v5
	ds_store_b32 v3, v4
	s_cbranch_scc1 .LBB18_39
.LBB18_35:                              ; =>This Loop Header: Depth=1
                                        ;     Child Loop BB18_36 Depth 2
                                        ;     Child Loop BB18_38 Depth 2
	v_lshl_or_b32 v4, s10, 6, v1
	s_delay_alu instid0(VALU_DEP_2)
	v_mov_b32_e32 v5, v2
	s_cmp_le_i32 s26, s10
	s_mov_b32 s12, s4
	s_mov_b32 s13, s26
	ds_load_b32 v3, v4 offset:1024
	s_cbranch_scc1 .LBB18_37
.LBB18_36:                              ;   Parent Loop BB18_35 Depth=1
                                        ; =>  This Inner Loop Header: Depth=2
	v_mov_b32_e32 v6, s12
	s_add_i32 s13, s13, -1
	s_add_i32 s12, s12, -4
	s_cmp_gt_i32 s13, s10
	ds_load_b32 v7, v5
	ds_load_b32 v6, v6
	v_subrev_nc_u32_e32 v5, 64, v5
	s_waitcnt lgkmcnt(0)
	v_fma_f32 v3, -v7, v6, v3
	s_cbranch_scc1 .LBB18_36
.LBB18_37:                              ;   in Loop: Header=BB18_35 Depth=1
	s_mul_i32 s12, s10, 0x44
	v_add_nc_u32_e32 v6, 0x400, v4
	v_mov_b32_e32 v4, s12
	s_lshl_b32 s13, s10, 6
	s_mov_b32 s18, s15
	s_sub_i32 s13, s13, 64
	s_cmp_lt_i32 s26, s10
	ds_load_b32 v7, v4
	v_lshl_or_b32 v5, v0, 2, s13
	s_mov_b32 s13, s11
	ds_load_b32 v4, v5 offset:1024
	s_waitcnt lgkmcnt(1)
	v_mul_f32_e32 v7, v3, v7
	v_mov_b32_e32 v3, v2
	ds_store_b32 v6, v7
	s_cbranch_scc1 .LBB18_34
.LBB18_38:                              ;   Parent Loop BB18_35 Depth=1
                                        ; =>  This Inner Loop Header: Depth=2
	v_mov_b32_e32 v6, s13
	s_add_i32 s18, s18, -1
	s_add_i32 s13, s13, -4
	s_cmp_gt_i32 s18, s10
	ds_load_b32 v7, v3
	ds_load_b32 v6, v6
	v_subrev_nc_u32_e32 v3, 64, v3
	s_waitcnt lgkmcnt(0)
	v_fma_f32 v4, -v7, v6, v4
	s_cbranch_scc1 .LBB18_38
	s_branch .LBB18_34
.LBB18_39:
	s_mov_b32 s4, 0
.LBB18_40:
	s_delay_alu instid0(SALU_CYCLE_1)
	s_and_b32 vcc_lo, exec_lo, s4
	s_cbranch_vccz .LBB18_65
; %bb.41:
	s_cmp_gt_i32 s6, 15
	s_cselect_b32 s11, -1, 0
	s_delay_alu instid0(SALU_CYCLE_1)
	s_and_b32 vcc_lo, exec_lo, s11
	s_cbranch_vccz .LBB18_43
; %bb.42:
	v_lshlrev_b32_e32 v1, 2, v0
	v_mov_b32_e32 v89, 0
	s_mov_b32 s4, 16
	s_delay_alu instid0(VALU_DEP_2)
	v_add_nc_u32_e32 v90, 0x400, v1
	ds_load_b128 v[1:4], v89
	ds_load_b128 v[5:8], v89 offset:16
	ds_load_2addr_b32 v[44:45], v90 offset1:16
	ds_load_2addr_b64 v[9:12], v89 offset0:17 offset1:18
	ds_load_2addr_b64 v[13:16], v89 offset0:19 offset1:20
	ds_load_2addr_b32 v[49:50], v89 offset0:17 offset1:18
	ds_load_2addr_b32 v[51:52], v89 offset0:19 offset1:20
	;; [unrolled: 1-line block ×4, first 2 shown]
	ds_load_b128 v[17:20], v89 offset:272
	ds_load_b128 v[21:24], v89 offset:288
	ds_load_2addr_b32 v[57:58], v90 offset0:32 offset1:48
	ds_load_b128 v[25:28], v89 offset:544
	ds_load_2addr_b32 v[59:60], v89 offset0:51 offset1:52
	ds_load_2addr_b32 v[61:62], v89 offset0:53 offset1:54
	;; [unrolled: 1-line block ×5, first 2 shown]
	ds_load_2addr_b64 v[29:32], v89 offset0:51 offset1:52
	ds_load_2addr_b64 v[33:36], v89 offset0:53 offset1:54
	ds_load_2addr_b32 v[69:70], v89 offset0:59 offset1:60
	ds_load_2addr_b32 v[71:72], v90 offset0:64 offset1:80
	s_waitcnt lgkmcnt(19)
	v_mul_f32_e32 v91, v44, v1
	ds_load_2addr_b32 v[73:74], v89 offset0:121 offset1:122
	ds_load_2addr_b32 v[75:76], v89 offset0:123 offset1:124
	;; [unrolled: 1-line block ×3, first 2 shown]
	ds_load_b128 v[37:40], v89 offset:32
	ds_load_b128 v[41:44], v89 offset:48
	v_fma_f32 v1, -v91, v2, v45
	ds_load_2addr_b32 v[79:80], v89 offset0:85 offset1:86
	ds_load_b128 v[45:48], v89 offset:304
	s_waitcnt lgkmcnt(17)
	v_fma_f32 v2, -v91, v3, v57
	v_mul_f32_e32 v92, v1, v49
	v_fma_f32 v3, -v91, v4, v58
	ds_load_2addr_b32 v[57:58], v89 offset0:87 offset1:88
	ds_load_2addr_b32 v[81:82], v89 offset0:89 offset1:90
	;; [unrolled: 1-line block ×5, first 2 shown]
	v_fma_f32 v1, -v92, v50, v2
	v_fma_f32 v3, -v92, v51, v3
	ds_load_2addr_b32 v[49:50], v90 offset0:160 offset1:176
	s_waitcnt lgkmcnt(13)
	v_fma_f32 v2, -v91, v5, v71
	v_mul_f32_e32 v71, v1, v9
	v_fma_f32 v4, -v91, v6, v72
	s_waitcnt lgkmcnt(10)
	v_fma_f32 v1, -v91, v7, v77
	v_fma_f32 v7, -v91, v8, v78
	;; [unrolled: 1-line block ×3, first 2 shown]
	s_delay_alu instid0(VALU_DEP_1)
	v_mul_f32_e32 v59, v3, v59
	v_fma_f32 v2, -v92, v52, v2
	v_fma_f32 v4, -v92, v53, v4
	ds_load_2addr_b32 v[5:6], v89 offset0:25 offset1:26
	ds_load_2addr_b32 v[9:10], v89 offset0:27 offset1:28
	;; [unrolled: 1-line block ×3, first 2 shown]
	ds_load_b32 v72, v89 offset:124
	s_waitcnt lgkmcnt(5)
	v_fma_f32 v37, -v91, v37, v87
	v_fma_f32 v7, -v92, v55, v7
	;; [unrolled: 1-line block ×5, first 2 shown]
	ds_load_2addr_b64 v[1:4], v89 offset0:21 offset1:22
	ds_load_b64 v[53:54], v89 offset:184
	v_fma_f32 v38, -v91, v38, v88
	v_fma_f32 v8, -v59, v60, v8
	;; [unrolled: 1-line block ×6, first 2 shown]
	v_mul_f32_e32 v55, v8, v17
	v_fma_f32 v11, -v59, v62, v11
	s_waitcnt lgkmcnt(6)
	v_fma_f32 v8, -v91, v39, v49
	v_fma_f32 v13, -v71, v15, v13
	s_waitcnt lgkmcnt(5)
	v_fma_f32 v5, -v92, v5, v38
	v_fma_f32 v12, -v55, v18, v12
	;; [unrolled: 1-line block ×6, first 2 shown]
	v_mul_f32_e32 v37, v12, v79
	ds_load_2addr_b32 v[11:12], v89 offset0:119 offset1:120
	ds_load_b64 v[15:16], v89 offset:440
	v_fma_f32 v8, -v59, v64, v13
	v_fma_f32 v7, -v55, v20, v7
	;; [unrolled: 1-line block ×3, first 2 shown]
	s_waitcnt lgkmcnt(3)
	v_fma_f32 v1, -v71, v1, v6
	v_fma_f32 v5, -v59, v65, v5
	v_fma_f32 v6, -v55, v21, v8
	v_fma_f32 v7, -v37, v57, v7
	v_mul_f32_e32 v29, v13, v29
	v_fma_f32 v1, -v59, v66, v1
	ds_load_2addr_b32 v[13:14], v90 offset0:192 offset1:208
	v_fma_f32 v5, -v55, v22, v5
	v_fma_f32 v6, -v37, v58, v6
	;; [unrolled: 1-line block ×4, first 2 shown]
	s_delay_alu instid0(VALU_DEP_4) | instskip(NEXT) | instid1(VALU_DEP_4)
	v_fma_f32 v17, -v37, v81, v5
	v_fma_f32 v18, -v29, v31, v6
	s_waitcnt lgkmcnt(2)
	v_mul_f32_e32 v30, v7, v11
	v_fma_f32 v11, -v91, v40, v50
	v_fma_f32 v1, -v37, v82, v1
	;; [unrolled: 1-line block ×3, first 2 shown]
	ds_load_2addr_b64 v[5:8], v89 offset0:85 offset1:86
	v_fma_f32 v12, -v30, v12, v18
	v_fma_f32 v9, -v92, v9, v11
	;; [unrolled: 1-line block ×4, first 2 shown]
	ds_load_2addr_b32 v[19:20], v90 offset0:224 offset1:240
	v_mul_f32_e32 v31, v12, v25
	v_fma_f32 v9, -v71, v2, v9
	v_fma_f32 v1, -v30, v74, v1
	s_waitcnt lgkmcnt(2)
	v_fma_f32 v12, -v91, v41, v13
	ds_load_2addr_b32 v[17:18], v89 offset0:125 offset1:126
	v_fma_f32 v13, -v31, v26, v11
	v_fma_f32 v22, -v59, v69, v9
	;; [unrolled: 1-line block ×3, first 2 shown]
	ds_load_2addr_b32 v[1:2], v89 offset0:61 offset1:62
	v_fma_f32 v23, -v92, v10, v12
	ds_load_b128 v[9:12], v89 offset:560
	v_mul_f32_e32 v32, v13, v67
	v_fma_f32 v22, -v55, v24, v22
	v_fma_f32 v24, -v91, v42, v14
	;; [unrolled: 1-line block ×3, first 2 shown]
	ds_load_b64 v[13:14], v89 offset:696
	v_fma_f32 v21, -v32, v68, v21
	v_fma_f32 v23, -v37, v83, v22
	v_fma_f32 v25, -v92, v51, v24
	s_waitcnt lgkmcnt(4)
	v_fma_f32 v19, -v91, v43, v19
	v_fma_f32 v3, -v59, v70, v3
	;; [unrolled: 1-line block ×4, first 2 shown]
	ds_load_2addr_b32 v[25:26], v89 offset0:187 offset1:188
	v_mul_f32_e32 v33, v21, v5
	ds_load_2addr_b32 v[21:22], v89 offset0:155 offset1:156
	v_fma_f32 v5, -v29, v34, v23
	ds_load_2addr_b32 v[23:24], v89 offset0:63 offset1:95
	v_fma_f32 v19, -v92, v52, v19
	v_fma_f32 v3, -v55, v45, v3
	s_waitcnt lgkmcnt(5)
	v_fma_f32 v1, -v59, v1, v4
	v_fma_f32 v5, -v30, v75, v5
	;; [unrolled: 1-line block ×4, first 2 shown]
	s_delay_alu instid0(VALU_DEP_4) | instskip(NEXT) | instid1(VALU_DEP_4)
	v_fma_f32 v1, -v55, v46, v1
	v_fma_f32 v4, -v31, v28, v5
	;; [unrolled: 1-line block ×3, first 2 shown]
	ds_load_2addr_b32 v[19:20], v89 offset0:157 offset1:158
	v_fma_f32 v3, -v29, v35, v3
	v_fma_f32 v1, -v37, v85, v1
	;; [unrolled: 1-line block ×4, first 2 shown]
	ds_load_2addr_b32 v[27:28], v89 offset0:127 offset1:159
	s_waitcnt lgkmcnt(3)
	v_fma_f32 v4, -v32, v21, v4
	v_fma_f32 v3, -v30, v76, v3
	v_fma_f32 v2, -v55, v47, v2
	s_waitcnt lgkmcnt(2)
	v_fma_f32 v5, -v59, v23, v5
	v_fma_f32 v21, -v33, v6, v4
	;; [unrolled: 1-line block ×4, first 2 shown]
	s_delay_alu instid0(VALU_DEP_4)
	v_fma_f32 v34, -v55, v48, v5
	v_fma_f32 v9, -v31, v9, v3
	ds_load_b128 v[1:4], v89 offset:816
	v_fma_f32 v17, -v30, v17, v6
	ds_load_2addr_b32 v[5:6], v89 offset0:189 offset1:190
	v_fma_f32 v15, -v29, v15, v23
	v_fma_f32 v23, -v37, v24, v34
	v_fma_f32 v9, -v32, v22, v9
	v_fma_f32 v10, -v31, v10, v17
	v_mul_f32_e32 v17, v21, v25
	v_fma_f32 v15, -v30, v18, v15
	v_fma_f32 v16, -v29, v16, v23
	;; [unrolled: 1-line block ×3, first 2 shown]
	s_waitcnt lgkmcnt(3)
	v_fma_f32 v18, -v32, v19, v10
	ds_load_2addr_b32 v[9:10], v89 offset0:221 offset1:222
	v_fma_f32 v11, -v31, v11, v15
	s_waitcnt lgkmcnt(3)
	v_fma_f32 v19, -v30, v27, v16
	ds_load_2addr_b32 v[15:16], v89 offset0:191 offset1:223
	v_fma_f32 v7, -v17, v26, v7
	v_fma_f32 v8, -v33, v8, v18
	;; [unrolled: 1-line block ×4, first 2 shown]
	s_waitcnt lgkmcnt(3)
	v_mul_f32_e32 v1, v7, v1
	s_waitcnt lgkmcnt(2)
	v_fma_f32 v5, -v17, v5, v8
	ds_load_b64 v[7:8], v89 offset:952
	v_fma_f32 v11, -v33, v13, v11
	v_fma_f32 v12, -v32, v28, v12
	;; [unrolled: 1-line block ×3, first 2 shown]
	s_delay_alu instid0(VALU_DEP_3) | instskip(NEXT) | instid1(VALU_DEP_3)
	v_fma_f32 v5, -v17, v6, v11
	v_fma_f32 v6, -v33, v14, v12
	s_delay_alu instid0(VALU_DEP_2) | instskip(SKIP_1) | instid1(VALU_DEP_2)
	v_fma_f32 v3, -v1, v3, v5
	s_waitcnt lgkmcnt(1)
	v_fma_f32 v5, -v17, v15, v6
	ds_load_b32 v6, v89 offset:1020
	v_mul_f32_e32 v2, v2, v9
	v_fma_f32 v4, -v1, v4, v5
	s_delay_alu instid0(VALU_DEP_2) | instskip(NEXT) | instid1(VALU_DEP_2)
	v_fma_f32 v3, -v2, v10, v3
	v_fma_f32 v4, -v2, v16, v4
	s_waitcnt lgkmcnt(1)
	s_delay_alu instid0(VALU_DEP_2) | instskip(NEXT) | instid1(VALU_DEP_1)
	v_mul_f32_e32 v3, v3, v7
	v_fma_f32 v4, -v3, v8, v4
	s_waitcnt lgkmcnt(0)
	s_delay_alu instid0(VALU_DEP_1)
	v_mul_f32_e32 v4, v4, v6
	ds_store_2addr_b32 v90, v91, v92 offset1:16
	ds_store_2addr_b32 v90, v71, v59 offset0:32 offset1:48
	ds_store_2addr_b32 v90, v55, v37 offset0:64 offset1:80
	;; [unrolled: 1-line block ×7, first 2 shown]
	s_cmp_lt_i32 s4, s15
	s_cbranch_scc1 .LBB18_44
	s_branch .LBB18_65
.LBB18_43:
	s_mov_b32 s4, 0
	s_delay_alu instid0(SALU_CYCLE_1)
	s_cmp_lt_i32 s4, s15
	s_cbranch_scc0 .LBB18_65
.LBB18_44:
	s_or_b32 s10, s4, 11
	s_delay_alu instid0(SALU_CYCLE_1)
	s_cmp_ge_u32 s10, s15
	s_cbranch_scc1 .LBB18_54
; %bb.45:
	v_lshlrev_b32_e32 v11, 2, v0
	s_and_not1_b32 vcc_lo, exec_lo, s11
	s_delay_alu instid0(VALU_DEP_1) | instskip(SKIP_1) | instid1(VALU_DEP_2)
	v_lshl_or_b32 v14, s4, 6, v11
	v_lshl_or_b32 v16, s10, 6, v11
	v_add_nc_u32_e32 v1, 0x400, v14
	ds_load_2addr_b32 v[9:10], v1 offset1:16
	ds_load_2addr_b32 v[7:8], v1 offset0:32 offset1:48
	ds_load_2addr_b32 v[5:6], v1 offset0:64 offset1:80
	;; [unrolled: 1-line block ×4, first 2 shown]
	ds_load_b32 v13, v14 offset:1664
	ds_load_b32 v12, v16 offset:1024
	s_cbranch_vccnz .LBB18_53
; %bb.46:
	s_max_u32 s11, s4, 1
	s_delay_alu instid0(SALU_CYCLE_1)
	s_cmp_eq_u32 s11, 1
	s_cbranch_scc1 .LBB18_50
; %bb.47:
	v_lshl_or_b32 v15, v0, 2, 0x400
	s_and_b32 s12, s11, 16
	s_lshl_b32 s13, s4, 2
	s_mov_b32 s18, 0
.LBB18_48:                              ; =>This Inner Loop Header: Depth=1
	v_mov_b32_e32 v37, s13
	ds_load_2addr_b32 v[41:42], v15 offset1:16
	v_add_nc_u32_e32 v15, 0x80, v15
	s_add_i32 s18, s18, 2
	s_addk_i32 s13, 0x80
	ds_load_b128 v[17:20], v37
	ds_load_b128 v[21:24], v37 offset:16
	ds_load_b128 v[25:28], v37 offset:32
	;; [unrolled: 1-line block ×5, first 2 shown]
	s_cmp_lg_u32 s12, s18
	s_waitcnt lgkmcnt(5)
	v_fma_f32 v9, -v41, v17, v9
	v_fma_f32 v10, -v41, v18, v10
	v_fma_f32 v7, -v41, v19, v7
	v_fma_f32 v8, -v41, v20, v8
	s_waitcnt lgkmcnt(4)
	v_fma_f32 v5, -v41, v21, v5
	v_fma_f32 v6, -v41, v22, v6
	v_fma_f32 v3, -v41, v23, v3
	v_fma_f32 v4, -v41, v24, v4
	;; [unrolled: 5-line block ×6, first 2 shown]
	s_cbranch_scc1 .LBB18_48
; %bb.49:
	s_lshl_b32 s12, s12, 4
	s_branch .LBB18_51
.LBB18_50:
	s_mov_b32 s12, 0
.LBB18_51:
	s_bitcmp0_b32 s11, 0
	s_cbranch_scc1 .LBB18_53
; %bb.52:
	s_add_i32 s11, s12, s4
	v_add_lshl_u32 v15, s12, v0, 2
	s_lshl_b32 s11, s11, 2
	s_delay_alu instid0(SALU_CYCLE_1)
	v_mov_b32_e32 v25, s11
	ds_load_b32 v15, v15 offset:1024
	ds_load_b128 v[17:20], v25
	ds_load_b128 v[21:24], v25 offset:16
	ds_load_b128 v[25:28], v25 offset:32
	s_waitcnt lgkmcnt(2)
	v_fma_f32 v9, -v15, v17, v9
	v_fma_f32 v10, -v15, v18, v10
	v_fma_f32 v7, -v15, v19, v7
	v_fma_f32 v8, -v15, v20, v8
	s_waitcnt lgkmcnt(1)
	v_fma_f32 v5, -v15, v21, v5
	v_fma_f32 v6, -v15, v22, v6
	v_fma_f32 v3, -v15, v23, v3
	v_fma_f32 v4, -v15, v24, v4
	s_waitcnt lgkmcnt(0)
	v_fma_f32 v1, -v15, v25, v1
	v_fma_f32 v2, -v15, v26, v2
	v_fma_f32 v13, -v15, v27, v13
	v_fma_f32 v12, -v15, v28, v12
.LBB18_53:
	s_mul_i32 s11, s4, 0x44
	s_lshl_b32 s20, s4, 4
	v_mov_b32_e32 v47, s11
	s_or_b32 s11, s20, 16
	s_or_b32 s12, s20, 32
	;; [unrolled: 1-line block ×3, first 2 shown]
	s_add_i32 s23, s4, s11
	s_add_i32 s24, s4, s12
	;; [unrolled: 1-line block ×3, first 2 shown]
	s_lshl_b32 s23, s23, 2
	s_delay_alu instid0(SALU_CYCLE_1)
	v_dual_mov_b32 v48, s23 :: v_dual_add_nc_u32 v15, 0x400, v14
	s_lshl_b32 s23, s24, 2
	s_lshl_b32 s24, s25, 2
	v_dual_mov_b32 v51, s23 :: v_dual_add_nc_u32 v14, 0x400, v16
	v_mov_b32_e32 v50, s24
	ds_load_b128 v[16:19], v47
	ds_load_2addr_b32 v[35:36], v47 offset0:17 offset1:18
	ds_load_b128 v[20:23], v47 offset:16
	ds_load_2addr_b64 v[24:27], v47 offset0:17 offset1:18
	ds_load_2addr_b32 v[37:38], v48 offset0:3 offset1:4
	s_or_b32 s18, s20, 64
	s_or_b32 s19, s20, 0x50
	s_add_i32 s26, s4, s18
	s_add_i32 s27, s4, s19
	s_lshl_b32 s25, s26, 2
	s_lshl_b32 s26, s27, 2
	ds_load_b128 v[28:31], v47 offset:32
	s_or_b32 s22, s20, 0x70
	s_or_b32 s21, s20, 0x60
	s_add_i32 s23, s4, s22
	s_bitset1_b32 s20, 7
	s_lshl_b32 s23, s23, 2
	s_add_i32 s28, s4, s21
	s_mulk_i32 s10, 0x44
	s_lshl_b32 s27, s28, 2
	s_waitcnt lgkmcnt(5)
	v_mul_f32_e32 v49, v9, v16
	s_delay_alu instid0(VALU_DEP_1)
	v_fma_f32 v9, -v49, v17, v10
	s_waitcnt lgkmcnt(3)
	v_fma_f32 v5, -v49, v20, v5
	ds_load_2addr_b32 v[16:17], v48 offset0:5 offset1:6
	v_mul_f32_e32 v52, v9, v35
	ds_load_2addr_b32 v[39:40], v47 offset0:51 offset1:52
	ds_load_2addr_b32 v[41:42], v50 offset0:5 offset1:6
	ds_load_2addr_b64 v[32:35], v51 offset0:3 offset1:4
	s_waitcnt lgkmcnt(5)
	v_fma_f32 v5, -v52, v38, v5
	v_mov_b32_e32 v38, s26
	v_fma_f32 v7, -v49, v18, v7
	v_fma_f32 v8, -v49, v19, v8
	ds_load_2addr_b32 v[18:19], v48 offset0:7 offset1:8
	ds_load_2addr_b32 v[43:44], v48 offset0:9 offset1:10
	v_fma_f32 v6, -v49, v21, v6
	v_fma_f32 v3, -v49, v22, v3
	;; [unrolled: 1-line block ×4, first 2 shown]
	s_waitcnt lgkmcnt(6)
	v_fma_f32 v1, -v49, v28, v1
	v_fma_f32 v29, -v49, v29, v2
	;; [unrolled: 1-line block ×3, first 2 shown]
	v_mul_f32_e32 v53, v7, v24
	v_fma_f32 v20, -v52, v37, v8
	ds_load_b128 v[7:10], v47 offset:272
	ds_load_2addr_b32 v[36:37], v47 offset0:85 offset1:86
	ds_load_2addr_b32 v[45:46], v47 offset0:102 offset1:119
	s_waitcnt lgkmcnt(8)
	v_fma_f32 v6, -v52, v16, v6
	v_fma_f32 v3, -v52, v17, v3
	;; [unrolled: 1-line block ×4, first 2 shown]
	s_delay_alu instid0(VALU_DEP_4) | instskip(SKIP_2) | instid1(VALU_DEP_3)
	v_fma_f32 v6, -v53, v27, v6
	s_waitcnt lgkmcnt(5)
	v_fma_f32 v3, -v53, v32, v3
	v_mul_f32_e32 v26, v20, v39
	ds_load_2addr_b32 v[20:21], v50 offset0:7 offset1:8
	ds_load_2addr_b32 v[24:25], v50 offset0:9 offset1:10
	ds_load_b32 v27, v48 offset:44
	ds_load_b32 v39, v50 offset:44
	ds_load_2addr_b32 v[16:17], v38 offset0:7 offset1:8
	s_waitcnt lgkmcnt(9)
	v_fma_f32 v1, -v52, v19, v1
	v_fma_f32 v5, -v26, v40, v5
	s_waitcnt lgkmcnt(8)
	v_fma_f32 v29, -v52, v43, v29
	s_delay_alu instid0(VALU_DEP_3)
	v_fma_f32 v1, -v53, v34, v1
	s_waitcnt lgkmcnt(7)
	v_dual_mul_f32 v32, v5, v7 :: v_dual_mov_b32 v5, s25
	v_fma_f32 v6, -v26, v41, v6
	v_fma_f32 v3, -v26, v42, v3
	;; [unrolled: 1-line block ×3, first 2 shown]
	s_delay_alu instid0(VALU_DEP_3) | instskip(NEXT) | instid1(VALU_DEP_3)
	v_fma_f32 v6, -v32, v8, v6
	v_fma_f32 v8, -v32, v9, v3
	v_mov_b32_e32 v9, s23
	s_add_i32 s23, s4, s20
	v_fma_f32 v7, -v53, v33, v7
	s_lshl_b32 s23, s23, 2
	s_waitcnt lgkmcnt(6)
	v_mul_f32_e32 v28, v6, v36
	ds_load_b128 v[3:6], v5 offset:32
	s_waitcnt lgkmcnt(5)
	v_fma_f32 v23, -v26, v21, v1
	v_fma_f32 v7, -v26, v20, v7
	s_waitcnt lgkmcnt(3)
	v_fma_f32 v12, -v52, v27, v12
	v_fma_f32 v8, -v28, v37, v8
	v_mov_b32_e32 v40, s27
	v_fma_f32 v22, -v32, v10, v7
	s_delay_alu instid0(VALU_DEP_3)
	v_mul_f32_e32 v33, v8, v45
	ds_load_2addr_b32 v[18:19], v40 offset0:7 offset1:8
	ds_load_b128 v[7:10], v9 offset:32
	ds_load_2addr_b32 v[1:2], v38 offset0:9 offset1:10
	ds_load_b32 v34, v38 offset:44
	ds_load_b64 v[20:21], v51 offset:40
	s_waitcnt lgkmcnt(6)
	v_fma_f32 v16, -v28, v16, v22
	ds_load_b32 v36, v47 offset:544
	s_waitcnt lgkmcnt(6)
	v_fma_f32 v3, -v32, v3, v23
	ds_load_2addr_b32 v[22:23], v40 offset0:9 offset1:10
	ds_load_b32 v37, v40 offset:44
	ds_store_b32 v15, v49
	v_fma_f32 v3, -v28, v17, v3
	v_fma_f32 v17, -v53, v35, v29
	s_waitcnt lgkmcnt(8)
	v_fma_f32 v16, -v33, v18, v16
	s_delay_alu instid0(VALU_DEP_3) | instskip(NEXT) | instid1(VALU_DEP_3)
	v_fma_f32 v3, -v33, v19, v3
	v_fma_f32 v17, -v26, v24, v17
	s_waitcnt lgkmcnt(4)
	v_fma_f32 v19, -v53, v21, v12
	v_mul_f32_e32 v16, v16, v46
	s_delay_alu instid0(VALU_DEP_3) | instskip(NEXT) | instid1(VALU_DEP_3)
	v_fma_f32 v4, -v32, v4, v17
	v_fma_f32 v19, -v26, v39, v19
	s_delay_alu instid0(VALU_DEP_3) | instskip(SKIP_2) | instid1(VALU_DEP_2)
	v_fma_f32 v3, -v16, v7, v3
	v_fma_f32 v7, -v49, v30, v13
	s_waitcnt lgkmcnt(3)
	v_mul_f32_e32 v17, v3, v36
	s_delay_alu instid0(VALU_DEP_2) | instskip(SKIP_3) | instid1(SALU_CYCLE_1)
	v_fma_f32 v3, -v52, v44, v7
	v_mov_b32_e32 v7, s23
	v_fma_f32 v1, -v28, v1, v4
	s_or_b32 s23, s4, 9
	s_lshl_b32 s24, s23, 4
	s_mulk_i32 s23, 0x44
	s_waitcnt lgkmcnt(2)
	v_fma_f32 v18, -v33, v22, v1
	v_fma_f32 v1, -v53, v20, v3
	v_mov_b32_e32 v13, s23
	s_or_b32 s23, s4, 10
	ds_load_2addr_b32 v[3:4], v7 offset0:9 offset1:10
	s_mul_i32 s25, s23, 0x44
	v_fma_f32 v1, -v26, v25, v1
	ds_load_2addr_b32 v[12:13], v13 offset1:1
	v_fma_f32 v8, -v16, v8, v18
	v_lshl_or_b32 v11, s23, 6, v11
	v_fma_f32 v1, -v32, v5, v1
	v_mov_b32_e32 v5, s25
	s_add_i32 s25, s4, s24
	s_or_b32 s4, s4, 12
	s_lshl_b32 s25, s25, 2
	v_fma_f32 v20, -v28, v2, v1
	ds_load_b64 v[1:2], v5
	v_fma_f32 v5, -v32, v6, v19
	ds_load_b32 v6, v7 offset:44
	v_fma_f32 v18, -v33, v23, v20
	v_fma_f32 v5, -v28, v34, v5
	s_waitcnt lgkmcnt(3)
	v_fma_f32 v3, -v17, v3, v8
	s_delay_alu instid0(VALU_DEP_3) | instskip(SKIP_2) | instid1(VALU_DEP_3)
	v_fma_f32 v8, -v16, v9, v18
	v_mov_b32_e32 v9, s10
	v_fma_f32 v5, -v33, v37, v5
	v_fma_f32 v4, -v17, v4, v8
	ds_load_b32 v8, v9
	v_fma_f32 v5, -v16, v10, v5
	v_or_b32_e32 v10, s22, v0
	s_waitcnt lgkmcnt(3)
	v_mul_f32_e32 v3, v3, v12
	v_or_b32_e32 v12, s20, v0
	v_or_b32_e32 v9, s21, v0
	v_lshlrev_b32_e32 v10, 2, v10
	s_waitcnt lgkmcnt(1)
	v_fma_f32 v5, -v17, v6, v5
	v_or_b32_e32 v6, s13, v0
	v_mov_b32_e32 v7, s25
	v_fma_f32 v4, -v3, v13, v4
	v_lshlrev_b32_e32 v12, 2, v12
	v_or_b32_e32 v13, s24, v0
	v_lshlrev_b32_e32 v6, 2, v6
	ds_load_b32 v7, v7 offset:44
	v_mul_f32_e32 v1, v4, v1
	v_lshlrev_b32_e32 v9, 2, v9
	v_lshlrev_b32_e32 v13, 2, v13
	s_waitcnt lgkmcnt(0)
	v_fma_f32 v4, -v3, v7, v5
	v_or_b32_e32 v5, s12, v0
	v_or_b32_e32 v7, s18, v0
	s_delay_alu instid0(VALU_DEP_3) | instskip(SKIP_1) | instid1(VALU_DEP_4)
	v_fma_f32 v2, -v1, v2, v4
	v_or_b32_e32 v4, s11, v0
	v_lshlrev_b32_e32 v5, 2, v5
	s_delay_alu instid0(VALU_DEP_3) | instskip(SKIP_1) | instid1(VALU_DEP_4)
	v_dual_mul_f32 v2, v2, v8 :: v_dual_lshlrev_b32 v7, 2, v7
	v_or_b32_e32 v8, s19, v0
	v_lshlrev_b32_e32 v4, 2, v4
	s_delay_alu instid0(VALU_DEP_2)
	v_lshlrev_b32_e32 v8, 2, v8
	ds_store_b32 v5, v53 offset:1024
	ds_store_b32 v6, v26 offset:1024
	;; [unrolled: 1-line block ×10, first 2 shown]
	ds_store_b32 v14, v2
.LBB18_54:
	s_cmp_ge_i32 s4, s15
	s_cbranch_scc1 .LBB18_65
; %bb.55:
	v_lshl_or_b32 v1, v0, 2, 0x400
	v_lshlrev_b32_e32 v2, 2, v0
	s_add_i32 s10, s4, -1
	s_lshl_b32 s11, s4, 2
	s_mov_b32 s12, 0
	s_mov_b32 s13, s4
	s_branch .LBB18_57
.LBB18_56:                              ;   in Loop: Header=BB18_57 Depth=1
	s_mul_i32 s18, s4, 0x44
	v_add_nc_u16 v6, s13, 1
	v_mov_b32_e32 v5, s18
	s_add_i32 s4, s4, 1
	s_add_i32 s12, s12, 1
	s_add_i32 s11, s11, 4
	v_readfirstlane_b32 s13, v6
	ds_load_b32 v5, v5
	v_add_nc_u32_e32 v3, 0x400, v3
	s_cmp_ge_i32 s4, s15
	s_waitcnt lgkmcnt(0)
	v_mul_f32_e32 v4, v4, v5
	ds_store_b32 v3, v4
	s_cbranch_scc1 .LBB18_65
.LBB18_57:                              ; =>This Loop Header: Depth=1
                                        ;     Child Loop BB18_60 Depth 2
                                        ;     Child Loop BB18_64 Depth 2
	v_lshl_or_b32 v3, s4, 6, v2
	s_cmp_eq_u32 s4, 0
	ds_load_b32 v4, v3 offset:1024
	s_cbranch_scc1 .LBB18_56
; %bb.58:                               ;   in Loop: Header=BB18_57 Depth=1
	s_add_i32 s18, s10, s12
	s_delay_alu instid0(SALU_CYCLE_1)
	s_cmp_lt_u32 s18, 7
	s_cbranch_scc1 .LBB18_62
; %bb.59:                               ;   in Loop: Header=BB18_57 Depth=1
	v_mov_b32_e32 v5, v1
	s_and_b32 s18, s4, -8
	s_mov_b32 s19, 0
	s_mov_b32 s20, s11
	s_set_inst_prefetch_distance 0x1
	.p2align	6
.LBB18_60:                              ;   Parent Loop BB18_57 Depth=1
                                        ; =>  This Inner Loop Header: Depth=2
	v_mov_b32_e32 v18, s20
	s_add_i32 s19, s19, 8
	s_addk_i32 s20, 0x200
	s_cmp_lg_u32 s18, s19
	ds_load_2addr_b32 v[6:7], v5 offset1:16
	ds_load_2addr_b32 v[8:9], v18 offset1:16
	ds_load_2addr_b32 v[10:11], v5 offset0:32 offset1:48
	ds_load_2addr_b32 v[12:13], v18 offset0:32 offset1:48
	;; [unrolled: 1-line block ×4, first 2 shown]
	s_waitcnt lgkmcnt(4)
	v_fma_f32 v4, -v6, v8, v4
	s_delay_alu instid0(VALU_DEP_1)
	v_fma_f32 v4, -v7, v9, v4
	ds_load_2addr_b32 v[6:7], v5 offset0:96 offset1:112
	ds_load_2addr_b32 v[8:9], v18 offset0:96 offset1:112
	v_add_nc_u32_e32 v5, 0x200, v5
	s_waitcnt lgkmcnt(4)
	v_fma_f32 v4, -v10, v12, v4
	s_delay_alu instid0(VALU_DEP_1) | instskip(SKIP_1) | instid1(VALU_DEP_1)
	v_fma_f32 v4, -v11, v13, v4
	s_waitcnt lgkmcnt(2)
	v_fma_f32 v4, -v14, v16, v4
	s_delay_alu instid0(VALU_DEP_1) | instskip(SKIP_1) | instid1(VALU_DEP_1)
	v_fma_f32 v4, -v15, v17, v4
	s_waitcnt lgkmcnt(0)
	v_fma_f32 v4, -v6, v8, v4
	s_delay_alu instid0(VALU_DEP_1)
	v_fma_f32 v4, -v7, v9, v4
	s_cbranch_scc1 .LBB18_60
; %bb.61:                               ;   in Loop: Header=BB18_57 Depth=1
	s_set_inst_prefetch_distance 0x2
	s_and_b32 s19, s4, 7
	s_delay_alu instid0(SALU_CYCLE_1)
	s_cmp_eq_u32 s19, 0
	s_cbranch_scc0 .LBB18_63
	s_branch .LBB18_56
.LBB18_62:                              ;   in Loop: Header=BB18_57 Depth=1
	s_mov_b32 s18, 0
	s_and_b32 s19, s4, 7
	s_delay_alu instid0(SALU_CYCLE_1)
	s_cmp_eq_u32 s19, 0
	s_cbranch_scc1 .LBB18_56
.LBB18_63:                              ;   in Loop: Header=BB18_57 Depth=1
	s_and_b32 s19, s13, 7
	s_lshl_b32 s18, s18, 6
.LBB18_64:                              ;   Parent Loop BB18_57 Depth=1
                                        ; =>  This Inner Loop Header: Depth=2
	s_delay_alu instid0(SALU_CYCLE_1) | instskip(NEXT) | instid1(SALU_CYCLE_1)
	s_add_i32 s20, s11, s18
	v_dual_mov_b32 v6, s20 :: v_dual_add_nc_u32 v5, s18, v1
	s_add_i32 s19, s19, -1
	s_add_i32 s18, s18, 64
	s_cmp_lg_u32 s19, 0
	ds_load_b32 v5, v5
	ds_load_b32 v6, v6
	s_waitcnt lgkmcnt(0)
	v_fma_f32 v4, -v5, v6, v4
	s_cbranch_scc1 .LBB18_64
	s_branch .LBB18_56
.LBB18_65:
	s_waitcnt vmcnt(0) lgkmcnt(0)
	s_waitcnt_vscnt null, 0x0
	; wave barrier
	s_waitcnt lgkmcnt(0)
	buffer_gl0_inv
	s_and_saveexec_b32 s4, s14
	s_cbranch_execz .LBB18_72
; %bb.66:
	s_cmp_lt_i32 s6, 8
	s_mov_b32 s4, 0
	s_cbranch_scc1 .LBB18_69
; %bb.67:
	v_mad_i64_i32 v[1:2], null, s16, v0, 0
	v_lshl_or_b32 v3, v0, 2, 0x400
	s_lshl_b32 s4, s15, 2
	s_delay_alu instid0(VALU_DEP_2) | instskip(NEXT) | instid1(VALU_DEP_1)
	v_lshlrev_b64 v[1:2], 2, v[1:2]
	v_add_co_u32 v1, vcc_lo, s5, v1
	s_delay_alu instid0(VALU_DEP_2)
	v_add_co_ci_u32_e32 v2, vcc_lo, s7, v2, vcc_lo
	s_and_b32 s5, s4, 0x60
	s_mov_b32 s4, 0
	s_mov_b64 s[6:7], 0
	.p2align	6
.LBB18_68:                              ; =>This Inner Loop Header: Depth=1
	ds_load_2addr_b32 v[4:5], v3 offset1:16
	ds_load_2addr_b32 v[6:7], v3 offset0:32 offset1:48
	ds_load_2addr_b32 v[8:9], v3 offset0:64 offset1:80
	;; [unrolled: 1-line block ×3, first 2 shown]
	v_add_co_u32 v12, vcc_lo, v1, s6
	v_add_co_ci_u32_e32 v13, vcc_lo, s7, v2, vcc_lo
	s_add_i32 s4, s4, 8
	v_add_nc_u32_e32 v3, 0x200, v3
	s_add_u32 s6, s6, 32
	s_addc_u32 s7, s7, 0
	s_cmp_lg_u32 s5, s6
	s_waitcnt lgkmcnt(2)
	global_store_b128 v[12:13], v[4:7], off
	s_waitcnt lgkmcnt(0)
	global_store_b128 v[12:13], v[8:11], off offset:16
	s_cbranch_scc1 .LBB18_68
.LBB18_69:
	s_and_b32 s6, s15, 7
	s_mov_b32 s5, 0
	s_cmp_eq_u32 s6, 0
	s_cbranch_scc1 .LBB18_72
; %bb.70:
	v_lshlrev_b32_e32 v2, 2, v0
	s_lshl_b64 s[8:9], s[8:9], 2
	s_lshl_b64 s[10:11], s[4:5], 2
	s_delay_alu instid0(SALU_CYCLE_1) | instskip(NEXT) | instid1(VALU_DEP_1)
	s_add_u32 s2, s2, s10
	v_add_co_u32 v3, s5, s8, v2
	s_delay_alu instid0(VALU_DEP_1) | instskip(SKIP_3) | instid1(VALU_DEP_1)
	v_add_co_ci_u32_e64 v4, null, s9, 0, s5
	s_addc_u32 s3, s3, s11
	s_add_u32 s0, s2, s0
	s_addc_u32 s1, s3, s1
	v_mul_lo_u32 v4, v4, s16
	v_mad_u64_u32 v[0:1], null, v3, s16, s[0:1]
	v_mul_lo_u32 v3, v3, s17
	v_lshl_or_b32 v2, s4, 6, v2
	s_delay_alu instid0(VALU_DEP_1) | instskip(NEXT) | instid1(VALU_DEP_3)
	v_add_nc_u32_e32 v2, 0x400, v2
	v_add3_u32 v1, v4, v1, v3
.LBB18_71:                              ; =>This Inner Loop Header: Depth=1
	ds_load_b32 v3, v2
	v_add_nc_u32_e32 v2, 64, v2
	s_add_i32 s6, s6, -1
	s_delay_alu instid0(SALU_CYCLE_1)
	s_cmp_lg_u32 s6, 0
	s_waitcnt lgkmcnt(0)
	global_store_b32 v[0:1], v3, off
	v_add_co_u32 v0, vcc_lo, v0, 4
	v_add_co_ci_u32_e32 v1, vcc_lo, 0, v1, vcc_lo
	s_cbranch_scc1 .LBB18_71
.LBB18_72:
	s_nop 0
	s_sendmsg sendmsg(MSG_DEALLOC_VGPRS)
	s_endpgm
	.section	.rodata,"a",@progbits
	.p2align	6, 0x0
	.amdhsa_kernel _ZL38rocblas_trsm_small_left_device_sharedBILi16ELi16ELb1EffPKPKfPKPfEv13rocblas_fill_18rocblas_operation_17rocblas_diagonal_iiT3_T4_lilT5_lili
		.amdhsa_group_segment_fixed_size 2048
		.amdhsa_private_segment_fixed_size 0
		.amdhsa_kernarg_size 352
		.amdhsa_user_sgpr_count 14
		.amdhsa_user_sgpr_dispatch_ptr 0
		.amdhsa_user_sgpr_queue_ptr 0
		.amdhsa_user_sgpr_kernarg_segment_ptr 1
		.amdhsa_user_sgpr_dispatch_id 0
		.amdhsa_user_sgpr_private_segment_size 0
		.amdhsa_wavefront_size32 1
		.amdhsa_uses_dynamic_stack 0
		.amdhsa_enable_private_segment 0
		.amdhsa_system_sgpr_workgroup_id_x 1
		.amdhsa_system_sgpr_workgroup_id_y 0
		.amdhsa_system_sgpr_workgroup_id_z 1
		.amdhsa_system_sgpr_workgroup_info 0
		.amdhsa_system_vgpr_workitem_id 0
		.amdhsa_next_free_vgpr 93
		.amdhsa_next_free_sgpr 31
		.amdhsa_reserve_vcc 1
		.amdhsa_float_round_mode_32 0
		.amdhsa_float_round_mode_16_64 0
		.amdhsa_float_denorm_mode_32 3
		.amdhsa_float_denorm_mode_16_64 3
		.amdhsa_dx10_clamp 1
		.amdhsa_ieee_mode 1
		.amdhsa_fp16_overflow 0
		.amdhsa_workgroup_processor_mode 1
		.amdhsa_memory_ordered 1
		.amdhsa_forward_progress 0
		.amdhsa_shared_vgpr_count 0
		.amdhsa_exception_fp_ieee_invalid_op 0
		.amdhsa_exception_fp_denorm_src 0
		.amdhsa_exception_fp_ieee_div_zero 0
		.amdhsa_exception_fp_ieee_overflow 0
		.amdhsa_exception_fp_ieee_underflow 0
		.amdhsa_exception_fp_ieee_inexact 0
		.amdhsa_exception_int_div_zero 0
	.end_amdhsa_kernel
	.section	.text._ZL38rocblas_trsm_small_left_device_sharedBILi16ELi16ELb1EffPKPKfPKPfEv13rocblas_fill_18rocblas_operation_17rocblas_diagonal_iiT3_T4_lilT5_lili,"axG",@progbits,_ZL38rocblas_trsm_small_left_device_sharedBILi16ELi16ELb1EffPKPKfPKPfEv13rocblas_fill_18rocblas_operation_17rocblas_diagonal_iiT3_T4_lilT5_lili,comdat
.Lfunc_end18:
	.size	_ZL38rocblas_trsm_small_left_device_sharedBILi16ELi16ELb1EffPKPKfPKPfEv13rocblas_fill_18rocblas_operation_17rocblas_diagonal_iiT3_T4_lilT5_lili, .Lfunc_end18-_ZL38rocblas_trsm_small_left_device_sharedBILi16ELi16ELb1EffPKPKfPKPfEv13rocblas_fill_18rocblas_operation_17rocblas_diagonal_iiT3_T4_lilT5_lili
                                        ; -- End function
	.section	.AMDGPU.csdata,"",@progbits
; Kernel info:
; codeLenInByte = 11884
; NumSgprs: 33
; NumVgprs: 93
; ScratchSize: 0
; MemoryBound: 0
; FloatMode: 240
; IeeeMode: 1
; LDSByteSize: 2048 bytes/workgroup (compile time only)
; SGPRBlocks: 4
; VGPRBlocks: 11
; NumSGPRsForWavesPerEU: 33
; NumVGPRsForWavesPerEU: 93
; Occupancy: 16
; WaveLimiterHint : 1
; COMPUTE_PGM_RSRC2:SCRATCH_EN: 0
; COMPUTE_PGM_RSRC2:USER_SGPR: 14
; COMPUTE_PGM_RSRC2:TRAP_HANDLER: 0
; COMPUTE_PGM_RSRC2:TGID_X_EN: 1
; COMPUTE_PGM_RSRC2:TGID_Y_EN: 0
; COMPUTE_PGM_RSRC2:TGID_Z_EN: 1
; COMPUTE_PGM_RSRC2:TIDIG_COMP_CNT: 0
	.section	.text._ZL30rocblas_trsm_small_left_deviceILi16ELi16ELb1EffPKPKfPKPfEv13rocblas_fill_18rocblas_operation_17rocblas_diagonal_iiT3_T4_lilT5_lili,"axG",@progbits,_ZL30rocblas_trsm_small_left_deviceILi16ELi16ELb1EffPKPKfPKPfEv13rocblas_fill_18rocblas_operation_17rocblas_diagonal_iiT3_T4_lilT5_lili,comdat
	.globl	_ZL30rocblas_trsm_small_left_deviceILi16ELi16ELb1EffPKPKfPKPfEv13rocblas_fill_18rocblas_operation_17rocblas_diagonal_iiT3_T4_lilT5_lili ; -- Begin function _ZL30rocblas_trsm_small_left_deviceILi16ELi16ELb1EffPKPKfPKPfEv13rocblas_fill_18rocblas_operation_17rocblas_diagonal_iiT3_T4_lilT5_lili
	.p2align	8
	.type	_ZL30rocblas_trsm_small_left_deviceILi16ELi16ELb1EffPKPKfPKPfEv13rocblas_fill_18rocblas_operation_17rocblas_diagonal_iiT3_T4_lilT5_lili,@function
_ZL30rocblas_trsm_small_left_deviceILi16ELi16ELb1EffPKPKfPKPfEv13rocblas_fill_18rocblas_operation_17rocblas_diagonal_iiT3_T4_lilT5_lili: ; @_ZL30rocblas_trsm_small_left_deviceILi16ELi16ELb1EffPKPKfPKPfEv13rocblas_fill_18rocblas_operation_17rocblas_diagonal_iiT3_T4_lilT5_lili
; %bb.0:
	s_clause 0x1
	s_load_b128 s[8:11], s[0:1], 0x38
	s_load_b128 s[4:7], s[0:1], 0x4
	s_mov_b32 s2, s15
	s_mov_b32 s3, 0
	s_mov_b32 s13, exec_lo
	s_lshl_b64 s[22:23], s[2:3], 3
	s_waitcnt lgkmcnt(0)
	s_add_u32 s8, s8, s22
	s_addc_u32 s9, s9, s23
	s_load_b32 s15, s[0:1], 0x14
	s_load_b64 s[8:9], s[8:9], 0x0
	s_min_i32 s2, s6, 16
	s_delay_alu instid0(SALU_CYCLE_1)
	s_add_i32 s12, s2, -1
	v_cmpx_gt_i32_e64 s2, v0
	s_cbranch_execz .LBB19_10
; %bb.1:
	s_clause 0x1
	s_load_b32 s20, s[0:1], 0x28
	s_load_b128 s[16:19], s[0:1], 0x18
	v_lshlrev_b32_e32 v3, 2, v0
	s_waitcnt lgkmcnt(0)
	s_ashr_i32 s21, s20, 31
	s_add_u32 s16, s16, s22
	s_addc_u32 s17, s17, s23
	s_cmp_lt_u32 s12, 3
	s_load_b64 s[16:17], s[16:17], 0x0
	s_cbranch_scc1 .LBB19_4
; %bb.2:
	s_lshl_b64 s[22:23], s[18:19], 2
	v_mov_b32_e32 v4, v3
	s_waitcnt lgkmcnt(0)
	s_add_u32 s3, s16, s22
	s_addc_u32 s22, s17, s23
	v_add_co_u32 v1, s3, s3, v3
	s_delay_alu instid0(VALU_DEP_1)
	v_add_co_ci_u32_e64 v2, null, s22, 0, s3
	s_and_b32 s3, s2, -4
	s_mul_hi_i32 s28, s20, 12
	s_mul_i32 s29, s20, 12
	s_lshl_b64 s[22:23], s[20:21], 4
	s_lshl_b64 s[24:25], s[20:21], 3
	;; [unrolled: 1-line block ×3, first 2 shown]
	s_mov_b32 s30, 0
	.p2align	6
.LBB19_3:                               ; =>This Inner Loop Header: Depth=1
	v_add_co_u32 v5, vcc_lo, v1, s26
	v_add_co_ci_u32_e32 v6, vcc_lo, s27, v2, vcc_lo
	v_add_co_u32 v7, vcc_lo, v1, s24
	v_add_co_ci_u32_e32 v8, vcc_lo, s25, v2, vcc_lo
	;; [unrolled: 2-line block ×3, first 2 shown]
	s_clause 0x3
	global_load_b32 v11, v[1:2], off
	global_load_b32 v5, v[5:6], off
	;; [unrolled: 1-line block ×4, first 2 shown]
	v_add_co_u32 v1, vcc_lo, v1, s22
	v_add_co_ci_u32_e32 v2, vcc_lo, s23, v2, vcc_lo
	s_add_i32 s30, s30, 4
	s_waitcnt vmcnt(2)
	ds_store_2addr_b32 v4, v11, v5 offset1:16
	s_waitcnt vmcnt(0)
	ds_store_2addr_b32 v4, v6, v7 offset0:32 offset1:48
	v_add_nc_u32_e32 v4, 0x100, v4
	s_cmp_eq_u32 s3, s30
	s_cbranch_scc0 .LBB19_3
.LBB19_4:
	s_and_b32 s22, s2, 3
	s_delay_alu instid0(SALU_CYCLE_1)
	s_cmp_eq_u32 s22, 0
	s_cbranch_scc1 .LBB19_7
; %bb.5:
	s_mul_i32 s23, s21, s3
	s_mul_hi_u32 s25, s20, s3
	s_mul_i32 s24, s20, s3
	s_add_i32 s25, s25, s23
	s_lshl_b64 s[18:19], s[18:19], 2
	s_lshl_b64 s[24:25], s[24:25], 2
	v_lshl_or_b32 v4, s3, 6, v3
	s_add_u32 s3, s24, s18
	s_addc_u32 s18, s25, s19
	s_waitcnt lgkmcnt(0)
	s_add_u32 s3, s16, s3
	s_addc_u32 s16, s17, s18
	v_add_co_u32 v1, s3, s3, v3
	s_delay_alu instid0(VALU_DEP_1)
	v_add_co_ci_u32_e64 v2, null, s16, 0, s3
	s_lshl_b64 s[16:17], s[20:21], 2
.LBB19_6:                               ; =>This Inner Loop Header: Depth=1
	global_load_b32 v3, v[1:2], off
	v_add_co_u32 v1, vcc_lo, v1, s16
	v_add_co_ci_u32_e32 v2, vcc_lo, s17, v2, vcc_lo
	s_add_i32 s22, s22, -1
	s_delay_alu instid0(SALU_CYCLE_1)
	s_cmp_lg_u32 s22, 0
	s_waitcnt vmcnt(0)
	ds_store_b32 v4, v3
	v_add_nc_u32_e32 v4, 64, v4
	s_cbranch_scc1 .LBB19_6
.LBB19_7:
	v_mul_u32_u24_e32 v1, 17, v0
	s_cmpk_lg_i32 s5, 0x84
	s_delay_alu instid0(VALU_DEP_1)
	v_dual_mov_b32 v2, 1.0 :: v_dual_lshlrev_b32 v1, 2, v1
	s_cbranch_scc0 .LBB19_9
; %bb.8:
	ds_load_b32 v2, v1
	s_waitcnt lgkmcnt(0)
	v_div_scale_f32 v3, null, v2, v2, 1.0
	s_delay_alu instid0(VALU_DEP_1) | instskip(SKIP_2) | instid1(VALU_DEP_1)
	v_rcp_f32_e32 v4, v3
	s_waitcnt_depctr 0xfff
	v_fma_f32 v5, -v3, v4, 1.0
	v_fmac_f32_e32 v4, v5, v4
	v_div_scale_f32 v5, vcc_lo, 1.0, v2, 1.0
	s_delay_alu instid0(VALU_DEP_1) | instskip(NEXT) | instid1(VALU_DEP_1)
	v_mul_f32_e32 v6, v5, v4
	v_fma_f32 v7, -v3, v6, v5
	s_delay_alu instid0(VALU_DEP_1) | instskip(NEXT) | instid1(VALU_DEP_1)
	v_fmac_f32_e32 v6, v7, v4
	v_fma_f32 v3, -v3, v6, v5
	s_delay_alu instid0(VALU_DEP_1) | instskip(NEXT) | instid1(VALU_DEP_1)
	v_div_fmas_f32 v3, v3, v4, v6
	v_div_fixup_f32 v2, v3, v2, 1.0
.LBB19_9:
	ds_store_b32 v1, v2
.LBB19_10:
	s_or_b32 exec_lo, exec_lo, s13
	s_load_b32 s3, s[0:1], 0x60
	s_lshl_b32 s5, s14, 4
	s_waitcnt lgkmcnt(0)
	s_sub_i32 s7, s7, s5
	; wave barrier
	buffer_gl0_inv
	s_add_i32 s3, s3, -1
	s_delay_alu instid0(SALU_CYCLE_1) | instskip(SKIP_1) | instid1(SALU_CYCLE_1)
	s_cmp_ge_u32 s14, s3
	s_cselect_b32 s3, s7, 16
	v_cmp_gt_i32_e32 vcc_lo, s3, v0
	s_mov_b32 s3, -1
	s_and_saveexec_b32 s7, vcc_lo
	s_cbranch_execz .LBB19_61
; %bb.11:
	s_load_b32 s0, s[0:1], 0x48
	v_add_nc_u32_e32 v2, s5, v0
	s_waitcnt lgkmcnt(0)
	s_delay_alu instid0(VALU_DEP_1) | instskip(SKIP_1) | instid1(SALU_CYCLE_1)
	v_mad_i64_i32 v[0:1], null, s0, v2, 0
	s_lshl_b64 s[0:1], s[10:11], 2
	s_add_u32 s5, s8, s0
	s_addc_u32 s7, s9, s1
	s_cmpk_eq_i32 s4, 0x6f
	s_delay_alu instid0(VALU_DEP_1) | instskip(NEXT) | instid1(VALU_DEP_1)
	v_lshlrev_b64 v[2:3], 2, v[0:1]
	v_add_co_u32 v0, vcc_lo, s5, v2
	s_delay_alu instid0(VALU_DEP_2)
	v_add_co_ci_u32_e32 v1, vcc_lo, s7, v3, vcc_lo
	s_cbranch_scc1 .LBB19_38
; %bb.12:
	s_cmp_gt_i32 s6, 15
	s_cbranch_scc0 .LBB19_14
; %bb.13:
	s_ashr_i32 s13, s12, 31
	s_mov_b32 s3, 0
	s_lshl_b64 s[4:5], s[12:13], 2
	s_delay_alu instid0(SALU_CYCLE_1)
	v_add_co_u32 v4, vcc_lo, v0, s4
	v_add_co_ci_u32_e32 v5, vcc_lo, s5, v1, vcc_lo
	s_lshl_b64 s[4:5], s[2:3], 2
	s_mul_i32 s3, s12, 0x44
	v_add_co_u32 v6, vcc_lo, v0, s4
	global_load_b32 v60, v[4:5], off
	v_add_co_ci_u32_e32 v7, vcc_lo, s5, v1, vcc_lo
	s_clause 0x2
	global_load_b128 v[8:11], v[6:7], off offset:-32
	global_load_b128 v[12:15], v[6:7], off offset:-48
	;; [unrolled: 1-line block ×3, first 2 shown]
	s_lshl_b32 s4, s2, 4
	s_add_i32 s5, s3, 0xffffffbc
	s_add_i32 s4, s4, s12
	v_dual_mov_b32 v20, s3 :: v_dual_mov_b32 v21, s5
	s_lshl_b32 s4, s4, 2
	s_add_i32 s7, s3, 0xffffff78
	s_add_i32 s20, s4, 0xfffffdf0
	;; [unrolled: 1-line block ×4, first 2 shown]
	v_mov_b32_e32 v40, s20
	v_dual_mov_b32 v22, s7 :: v_dual_mov_b32 v23, s5
	v_mov_b32_e32 v30, s10
	s_add_i32 s7, s4, 0xfffffec0
	s_add_i32 s10, s4, 0xfffffeb8
	;; [unrolled: 1-line block ×3, first 2 shown]
	v_mov_b32_e32 v25, s10
	s_add_i32 s13, s4, 0xfffffe74
	s_add_i32 s14, s4, 0xfffffe3c
	;; [unrolled: 1-line block ×25, first 2 shown]
	v_dual_mov_b32 v24, s7 :: v_dual_mov_b32 v39, s19
	v_dual_mov_b32 v26, s11 :: v_dual_mov_b32 v53, s27
	v_dual_mov_b32 v28, s13 :: v_dual_mov_b32 v61, s31
	v_dual_mov_b32 v32, s14 :: v_dual_mov_b32 v75, s40
	v_dual_mov_b32 v34, s16 :: v_dual_mov_b32 v79, s43
	v_dual_mov_b32 v36, s17 :: v_dual_mov_b32 v77, s44
	v_dual_mov_b32 v38, s18 :: v_dual_mov_b32 v81, s46
	v_mov_b32_e32 v42, s21
	v_mov_b32_e32 v44, s22
	;; [unrolled: 1-line block ×9, first 2 shown]
	s_add_i32 s35, s4, 0xfffffcfc
	s_add_i32 s7, s4, 0xfffffefc
	v_mov_b32_e32 v64, s34
	s_add_i32 s36, s4, 0xfffffcf4
	s_add_i32 s41, s4, 0xfffffc7c
	v_mov_b32_e32 v66, s35
	s_add_i32 s37, s4, 0xfffffcec
	s_add_i32 s38, s4, 0xfffffce4
	;; [unrolled: 1-line block ×3, first 2 shown]
	v_mov_b32_e32 v76, s41
	s_add_i32 s39, s4, 0xfffffcc0
	v_mov_b32_e32 v70, s37
	v_mov_b32_e32 v72, s38
	;; [unrolled: 1-line block ×3, first 2 shown]
	s_add_i32 s42, s4, 0xfffffc74
	s_add_i32 s45, s4, 0xfffffc38
	;; [unrolled: 1-line block ×3, first 2 shown]
	v_mov_b32_e32 v78, s42
	v_mov_b32_e32 v80, s45
	v_mov_b32_e32 v82, s47
	s_add_i32 s18, s4, 0xfffffc20
	s_add_i32 s49, s4, 0xfffffbf4
	;; [unrolled: 1-line block ×7, first 2 shown]
	v_mov_b32_e32 v96, s17
	s_add_i32 s21, s4, 0xfffffbdc
	v_mov_b32_e32 v97, s18
	v_dual_mov_b32 v99, s22 :: v_dual_mov_b32 v98, s21
	s_waitcnt vmcnt(3)
	v_mul_f32_e32 v71, s15, v60
	ds_load_b32 v69, v20
	ds_load_2addr_b32 v[20:21], v21 offset1:1
	ds_load_b32 v88, v23
	ds_load_2addr_b32 v[22:23], v22 offset1:1
	;; [unrolled: 2-line block ×3, first 2 shown]
	ds_load_2addr_b32 v[26:27], v26 offset1:1
	ds_load_2addr_b32 v[28:29], v28 offset1:1
	;; [unrolled: 1-line block ×6, first 2 shown]
	ds_load_b32 v84, v38
	ds_load_2addr_b32 v[38:39], v39 offset1:1
	ds_load_2addr_b32 v[40:41], v40 offset1:1
	;; [unrolled: 1-line block ×7, first 2 shown]
	ds_load_b32 v85, v52
	ds_load_2addr_b32 v[52:53], v53 offset1:1
	ds_load_2addr_b32 v[54:55], v54 offset1:1
	;; [unrolled: 1-line block ×4, first 2 shown]
	v_mov_b32_e32 v68, s36
	s_waitcnt lgkmcnt(24)
	v_mul_f32_e32 v90, v71, v69
	v_mov_b32_e32 v62, s33
	ds_load_2addr_b32 v[60:61], v61 offset1:1
	ds_load_2addr_b32 v[62:63], v62 offset1:1
	;; [unrolled: 1-line block ×7, first 2 shown]
	ds_load_b32 v86, v74
	ds_load_2addr_b32 v[74:75], v75 offset1:1
	ds_load_b32 v87, v77
	ds_load_2addr_b32 v[76:77], v76 offset1:1
	s_waitcnt lgkmcnt(23)
	v_mul_f32_e32 v84, v90, v84
	v_mul_f32_e32 v83, v90, v83
	;; [unrolled: 1-line block ×4, first 2 shown]
	s_waitcnt lgkmcnt(19)
	v_mul_f32_e32 v45, v90, v45
	s_waitcnt lgkmcnt(15)
	v_mul_f32_e32 v85, v90, v85
	s_waitcnt vmcnt(2)
	v_fma_f32 v92, v8, s15, -v84
	v_fma_f32 v91, v11, s15, -v83
	s_waitcnt lgkmcnt(11)
	v_mul_f32_e32 v59, v90, v59
	v_fma_f32 v27, v10, s15, -v27
	v_fma_f32 v9, v9, s15, -v33
	ds_load_2addr_b32 v[10:11], v78 offset1:1
	ds_load_2addr_b32 v[78:79], v79 offset1:1
	s_waitcnt vmcnt(1)
	v_fma_f32 v33, v15, s15, -v45
	v_fma_f32 v45, v14, s15, -v85
	;; [unrolled: 1-line block ×3, first 2 shown]
	s_waitcnt lgkmcnt(9)
	v_dual_mov_b32 v83, s48 :: v_dual_mul_f32 v8, v90, v67
	s_waitcnt lgkmcnt(2)
	v_mul_f32_e32 v77, v90, v77
	s_delay_alu instid0(VALU_DEP_2)
	v_fma_f32 v67, v12, s15, -v8
	ds_load_2addr_b32 v[12:13], v80 offset1:1
	ds_load_2addr_b32 v[14:15], v81 offset1:1
	;; [unrolled: 1-line block ×3, first 2 shown]
	v_mul_f32_e32 v82, v90, v87
	s_waitcnt vmcnt(0)
	v_fma_f32 v77, v18, s15, -v77
	v_mul_f32_e32 v8, v90, v86
	v_mov_b32_e32 v86, s5
	s_add_i32 s5, s3, 0xffffff34
	v_fma_f32 v94, v17, s15, -v82
	ds_load_2addr_b32 v[17:18], v83 offset1:1
	v_fma_f32 v93, v19, s15, -v8
	v_dual_mov_b32 v8, s49 :: v_dual_mov_b32 v19, s50
	ds_load_2addr_b32 v[82:83], v8 offset1:1
	ds_load_2addr_b32 v[84:85], v19 offset1:1
	;; [unrolled: 1-line block ×3, first 2 shown]
	v_mul_f32_e32 v19, v90, v21
	v_mov_b32_e32 v21, s5
	s_mul_i32 s5, s2, 0x44
	s_delay_alu instid0(SALU_CYCLE_1)
	s_add_i32 s11, s5, 0xfffffc8c
	s_add_i32 s10, s5, 0xfffffcd0
	;; [unrolled: 1-line block ×4, first 2 shown]
	s_addk_i32 s5, 0xfbc0
	s_waitcnt lgkmcnt(3)
	v_mul_f32_e32 v8, v90, v18
	v_mul_f32_e32 v18, v90, v88
	ds_load_2addr_b32 v[88:89], v21 offset1:1
	v_mov_b32_e32 v21, s11
	s_add_i32 s11, s3, 0xfffffde0
	v_fma_f32 v16, v16, s15, -v8
	global_load_b96 v[6:8], v[6:7], off offset:-16
	s_waitcnt vmcnt(0)
	v_fma_f32 v18, v7, s15, -v18
	v_mov_b32_e32 v7, s7
	v_fma_f32 v19, v8, s15, -v19
	s_add_i32 s7, s3, 0xfffffef0
	ds_load_2addr_b32 v[7:8], v7 offset1:1
	v_mul_f32_e32 v20, v19, v20
	s_delay_alu instid0(VALU_DEP_1)
	v_fma_f32 v9, -v20, v32, v9
	v_fma_f32 v58, -v20, v58, v59
	;; [unrolled: 1-line block ×5, first 2 shown]
	v_mov_b32_e32 v91, s5
	s_add_i32 s5, s4, 0xfffffd1c
	s_waitcnt lgkmcnt(0)
	v_mul_f32_e32 v8, v90, v8
	s_delay_alu instid0(VALU_DEP_1) | instskip(SKIP_3) | instid1(VALU_DEP_3)
	v_fma_f32 v6, v6, s15, -v8
	v_fma_f32 v8, -v20, v23, v18
	v_mov_b32_e32 v23, s10
	s_add_i32 s10, s3, 0xfffffe24
	v_fma_f32 v6, -v20, v7, v6
	s_delay_alu instid0(VALU_DEP_3) | instskip(SKIP_1) | instid1(VALU_DEP_2)
	v_mul_f32_e32 v19, v8, v22
	v_fma_f32 v8, -v20, v26, v27
	v_fma_f32 v6, -v19, v89, v6
	;; [unrolled: 1-line block ×3, first 2 shown]
	s_delay_alu instid0(VALU_DEP_3)
	v_fma_f32 v8, -v19, v29, v8
	v_mov_b32_e32 v89, s14
	s_add_i32 s14, s4, 0xfffffc64
	v_mul_f32_e32 v18, v6, v88
	v_mov_b32_e32 v6, s7
	ds_load_2addr_b32 v[6:7], v6 offset1:1
	ds_load_2addr_b32 v[21:22], v21 offset1:1
	s_add_i32 s7, s4, 0xfffffcdc
	v_fma_f32 v88, -v20, v17, v16
	v_mov_b32_e32 v26, s7
	ds_load_2addr_b32 v[26:27], v26 offset1:1
	ds_load_2addr_b32 v[32:33], v23 offset1:1
	v_fma_f32 v23, -v20, v66, v67
	v_fma_f32 v17, -v19, v24, v25
	;; [unrolled: 1-line block ×6, first 2 shown]
	s_add_i32 s7, s3, 0xfffffe68
	s_addk_i32 s3, 0xfd58
	v_mov_b32_e32 v59, s7
	s_add_i32 s7, s4, 0xfffffcb0
	v_mov_b32_e32 v16, s3
	s_add_i32 s3, s4, 0xfffffd60
	v_fma_f32 v67, -v20, v76, v77
	v_mov_b32_e32 v45, s5
	v_fma_f32 v53, -v20, v75, v93
	v_fma_f32 v39, -v19, v52, v39
	v_mov_b32_e32 v52, s7
	v_fma_f32 v93, -v19, v12, v13
	v_fma_f32 v12, -v19, v47, v44
	;; [unrolled: 1-line block ×4, first 2 shown]
	s_waitcnt lgkmcnt(3)
	v_fma_f32 v7, -v18, v7, v17
	v_mov_b32_e32 v66, s10
	v_fma_f32 v24, -v19, v38, v24
	v_mov_b32_e32 v38, s3
	v_dual_mov_b32 v76, s11 :: v_dual_mov_b32 v77, s13
	v_fma_f32 v8, -v18, v28, v8
	v_fma_f32 v61, -v18, v46, v12
	ds_load_b32 v59, v59
	ds_load_b32 v66, v66
	;; [unrolled: 1-line block ×5, first 2 shown]
	ds_load_2addr_b32 v[12:13], v38 offset1:1
	v_fma_f32 v11, -v19, v11, v67
	v_fma_f32 v67, -v18, v68, v9
	ds_load_2addr_b32 v[16:17], v45 offset1:1
	v_mul_f32_e32 v9, v7, v6
	ds_load_2addr_b32 v[6:7], v52 offset1:1
	s_add_i32 s10, s4, 0xfffffca8
	s_add_i32 s11, s4, 0xfffffca0
	;; [unrolled: 1-line block ×3, first 2 shown]
	v_fma_f32 v8, -v9, v31, v8
	v_mov_b32_e32 v75, s10
	v_fma_f32 v23, -v19, v83, v88
	v_fma_f32 v35, -v18, v41, v24
	;; [unrolled: 1-line block ×3, first 2 shown]
	v_mul_f32_e32 v8, v8, v30
	v_fma_f32 v74, -v19, v74, v53
	v_dual_mov_b32 v53, s11 :: v_dual_mov_b32 v92, s13
	v_mov_b32_e32 v25, s16
	s_add_i32 s16, s4, 0xfffffc5c
	v_mov_b32_e32 v94, s14
	v_fma_f32 v41, -v18, v10, v11
	v_fma_f32 v68, -v18, v82, v23
	ds_load_2addr_b32 v[10:11], v75 offset1:1
	ds_load_2addr_b32 v[23:24], v53 offset1:1
	;; [unrolled: 1-line block ×3, first 2 shown]
	v_fma_f32 v44, -v18, v55, v39
	v_fma_f32 v75, -v9, v40, v35
	;; [unrolled: 1-line block ×3, first 2 shown]
	v_mov_b32_e32 v95, s16
	v_dual_mov_b32 v47, s19 :: v_dual_mov_b32 v58, s20
	ds_load_2addr_b32 v[30:31], v94 offset1:1
	ds_load_2addr_b32 v[34:35], v95 offset1:1
	;; [unrolled: 1-line block ×4, first 2 shown]
	v_fma_f32 v82, -v9, v54, v44
	ds_load_2addr_b32 v[44:45], v97 offset1:1
	ds_load_2addr_b32 v[46:47], v47 offset1:1
	;; [unrolled: 1-line block ×4, first 2 shown]
	s_waitcnt lgkmcnt(11)
	v_fma_f32 v25, -v18, v7, v74
	v_fma_f32 v49, -v9, v49, v61
	;; [unrolled: 1-line block ×3, first 2 shown]
	v_mul_f32_e32 v7, v36, v59
	v_fma_f32 v15, -v18, v15, v93
	v_fma_f32 v25, -v9, v6, v25
	;; [unrolled: 1-line block ×9, first 2 shown]
	v_mul_f32_e32 v6, v42, v66
	v_fma_f32 v36, -v8, v62, v36
	v_fma_f32 v15, -v7, v56, v15
	v_fma_f32 v41, -v9, v79, v41
	v_fma_f32 v42, -v9, v85, v68
	v_fma_f32 v43, -v6, v50, v43
	v_fma_f32 v48, -v8, v70, v58
	v_fma_f32 v36, -v7, v65, v36
	v_fma_f32 v15, -v6, v13, v15
	s_waitcnt lgkmcnt(10)
	v_fma_f32 v11, -v8, v11, v25
	v_mul_f32_e32 v13, v43, v76
	v_fma_f32 v25, -v8, v78, v41
	v_fma_f32 v41, -v8, v84, v42
	;; [unrolled: 1-line block ×7, first 2 shown]
	s_waitcnt lgkmcnt(7)
	v_fma_f32 v11, -v7, v31, v25
	v_fma_f32 v25, -v6, v72, v42
	v_fma_f32 v17, -v13, v17, v36
	v_mul_f32_e32 v12, v12, v77
	v_fma_f32 v31, -v7, v80, v14
	v_fma_f32 v10, -v6, v24, v10
	ds_load_2addr_b32 v[14:15], v98 offset1:1
	v_fma_f32 v24, -v13, v27, v25
	v_fma_f32 v16, -v12, v16, v17
	;; [unrolled: 1-line block ×6, first 2 shown]
	ds_load_2addr_b32 v[23:24], v99 offset1:1
	v_mul_f32_e32 v11, v16, v69
	s_waitcnt lgkmcnt(5)
	v_fma_f32 v16, -v6, v45, v31
	v_fma_f32 v25, -v13, v35, v25
	;; [unrolled: 1-line block ×3, first 2 shown]
	s_addk_i32 s4, 0xfbcc
	v_fma_f32 v26, -v11, v33, v26
	v_fma_f32 v17, -v6, v86, v17
	v_fma_f32 v16, -v13, v44, v16
	v_fma_f32 v29, -v12, v34, v25
	v_fma_f32 v30, -v11, v28, v10
	v_mul_f32_e32 v10, v26, v32
	v_mov_b32_e32 v100, s4
	s_waitcnt lgkmcnt(1)
	v_fma_f32 v15, -v13, v15, v17
	v_fma_f32 v16, -v12, v47, v16
	;; [unrolled: 1-line block ×4, first 2 shown]
	ds_load_2addr_b32 v[25:26], v100 offset1:1
	ds_load_2addr_b32 v[27:28], v91 offset1:1
	v_fma_f32 v14, -v12, v14, v15
	v_fma_f32 v15, -v11, v46, v16
	;; [unrolled: 1-line block ×3, first 2 shown]
	v_mul_f32_e32 v17, v22, v21
	s_ashr_i32 s3, s2, 31
	s_waitcnt lgkmcnt(2)
	v_fma_f32 v14, -v11, v24, v14
	v_fma_f32 v15, -v10, v53, v15
	s_lshl_b64 s[4:5], s[2:3], 2
	v_fma_f32 v16, -v17, v40, v16
	v_add_co_u32 v21, vcc_lo, v0, s4
	v_fma_f32 v14, -v10, v23, v14
	v_fma_f32 v15, -v17, v52, v15
	s_delay_alu instid0(VALU_DEP_4)
	v_mul_f32_e32 v16, v16, v39
	v_add_co_ci_u32_e32 v22, vcc_lo, s5, v1, vcc_lo
	s_sub_i32 s4, s2, 17
	global_store_b32 v[4:5], v90, off
	s_waitcnt lgkmcnt(1)
	v_fma_f32 v14, -v17, v26, v14
	v_fma_f32 v15, -v16, v55, v15
	s_delay_alu instid0(VALU_DEP_2) | instskip(NEXT) | instid1(VALU_DEP_2)
	v_fma_f32 v14, -v16, v25, v14
	v_mul_f32_e32 v15, v15, v54
	s_clause 0x1
	global_store_b96 v[21:22], v[18:20], off offset:-16
	global_store_b128 v[21:22], v[6:9], off offset:-32
	s_waitcnt lgkmcnt(0)
	v_fma_f32 v14, -v15, v28, v14
	s_delay_alu instid0(VALU_DEP_1)
	v_mul_f32_e32 v14, v14, v27
	s_clause 0x1
	global_store_b128 v[21:22], v[10:13], off offset:-48
	global_store_b128 v[21:22], v[14:17], off offset:-64
	s_cmp_gt_i32 s4, -1
	s_cbranch_scc1 .LBB19_15
	s_branch .LBB19_37
.LBB19_14:
	s_mov_b32 s4, s12
	s_delay_alu instid0(SALU_CYCLE_1)
	s_cmp_gt_i32 s4, -1
	s_cbranch_scc0 .LBB19_37
.LBB19_15:
	s_cmp_lt_u32 s4, 11
	s_cbranch_scc1 .LBB19_20
; %bb.16:
	s_mov_b32 s5, 0
	s_delay_alu instid0(SALU_CYCLE_1)
	s_lshl_b64 s[10:11], s[4:5], 2
	s_cmp_le_i32 s12, s4
	v_add_co_u32 v4, vcc_lo, v0, s10
	v_add_co_ci_u32_e32 v5, vcc_lo, s11, v1, vcc_lo
	s_clause 0x2
	global_load_b128 v[6:9], v[4:5], off offset:-12
	global_load_b128 v[10:13], v[4:5], off offset:-28
	;; [unrolled: 1-line block ×3, first 2 shown]
	s_waitcnt vmcnt(2)
	v_dual_mul_f32 v19, s15, v9 :: v_dual_mul_f32 v18, s15, v8
	v_dual_mul_f32 v17, s15, v7 :: v_dual_mul_f32 v16, s15, v6
	s_waitcnt vmcnt(1)
	v_dual_mul_f32 v15, s15, v13 :: v_dual_mul_f32 v14, s15, v12
	v_dual_mul_f32 v13, s15, v11 :: v_dual_mul_f32 v12, s15, v10
	;; [unrolled: 3-line block ×3, first 2 shown]
	s_cbranch_scc1 .LBB19_19
; %bb.17:
	s_lshl_b32 s3, s4, 6
	s_lshl_b32 s5, s2, 2
	s_ashr_i32 s13, s12, 31
	s_add_i32 s3, s3, s5
	s_lshl_b64 s[10:11], s[12:13], 2
	s_addk_i32 s3, 0xfd3c
	s_add_u32 s5, s8, s10
	s_addc_u32 s7, s9, s11
	s_add_u32 s5, s5, s0
	s_addc_u32 s7, s7, s1
	v_add_co_u32 v6, vcc_lo, s5, v2
	v_add_co_ci_u32_e32 v7, vcc_lo, s7, v3, vcc_lo
	s_mov_b32 s5, s12
	s_set_inst_prefetch_distance 0x1
	.p2align	6
.LBB19_18:                              ; =>This Inner Loop Header: Depth=1
	global_load_b32 v32, v[6:7], off
	v_mov_b32_e32 v30, s3
	v_add_co_u32 v6, vcc_lo, v6, -4
	v_add_co_ci_u32_e32 v7, vcc_lo, -1, v7, vcc_lo
	ds_load_2addr_b32 v[20:21], v30 offset0:160 offset1:176
	ds_load_2addr_b32 v[22:23], v30 offset0:128 offset1:144
	;; [unrolled: 1-line block ×5, first 2 shown]
	ds_load_2addr_b32 v[30:31], v30 offset1:16
	s_add_i32 s5, s5, -1
	s_add_i32 s3, s3, -4
	s_cmp_gt_i32 s5, s4
	s_waitcnt vmcnt(0) lgkmcnt(5)
	v_fma_f32 v19, -v32, v21, v19
	v_fma_f32 v18, -v32, v20, v18
	s_waitcnt lgkmcnt(4)
	v_fma_f32 v17, -v32, v23, v17
	v_fma_f32 v16, -v32, v22, v16
	s_waitcnt lgkmcnt(3)
	v_fma_f32 v15, -v32, v25, v15
	v_fma_f32 v14, -v32, v24, v14
	s_waitcnt lgkmcnt(2)
	v_fma_f32 v13, -v32, v27, v13
	v_fma_f32 v12, -v32, v26, v12
	s_waitcnt lgkmcnt(1)
	v_fma_f32 v11, -v32, v29, v11
	v_fma_f32 v10, -v32, v28, v10
	s_waitcnt lgkmcnt(0)
	v_fma_f32 v9, -v32, v31, v9
	v_fma_f32 v8, -v32, v30, v8
	s_cbranch_scc1 .LBB19_18
.LBB19_19:
	s_set_inst_prefetch_distance 0x2
	s_lshl_b32 s5, s4, 4
	s_mul_i32 s3, s4, 0x44
	s_add_i32 s5, s5, s4
	s_add_i32 s7, s3, 0xffffffbc
	s_delay_alu instid0(SALU_CYCLE_1)
	v_dual_mov_b32 v6, s3 :: v_dual_mov_b32 v7, s7
	s_lshl_b32 s5, s5, 2
	s_add_i32 s7, s3, 0xffffff78
	s_add_i32 s10, s5, 0xffffff80
	ds_load_b32 v26, v6
	v_mov_b32_e32 v20, s10
	s_add_i32 s10, s5, 0xffffff3c
	s_add_i32 s11, s3, 0xffffff34
	v_dual_mov_b32 v21, s10 :: v_dual_mov_b32 v22, s7
	ds_load_b32 v30, v20
	ds_load_2addr_b32 v[6:7], v7 offset1:1
	s_add_i32 s7, s5, 0xffffff00
	s_add_i32 s10, s3, 0xfffffef0
	v_mov_b32_e32 v27, s7
	s_add_i32 s7, s5, 0xfffffef8
	v_mov_b32_e32 v24, s11
	ds_load_2addr_b32 v[20:21], v21 offset1:1
	ds_load_2addr_b32 v[22:23], v22 offset1:1
	;; [unrolled: 1-line block ×3, first 2 shown]
	ds_load_b32 v31, v27
	v_mov_b32_e32 v27, s7
	s_add_i32 s7, s5, 0xfffffebc
	s_add_i32 s11, s5, 0xfffffe7c
	s_waitcnt lgkmcnt(6)
	v_dual_mul_f32 v34, v19, v26 :: v_dual_mov_b32 v19, s10
	ds_load_2addr_b32 v[26:27], v27 offset1:1
	s_add_i32 s10, s5, 0xfffffeb4
	s_waitcnt lgkmcnt(6)
	v_fma_f32 v30, -v34, v30, v17
	s_waitcnt lgkmcnt(5)
	v_fma_f32 v7, -v34, v7, v18
	v_mov_b32_e32 v28, s7
	s_add_i32 s7, s3, 0xfffffeac
	s_delay_alu instid0(VALU_DEP_2)
	v_mul_f32_e32 v17, v7, v6
	ds_load_2addr_b32 v[18:19], v19 offset1:1
	ds_load_2addr_b32 v[28:29], v28 offset1:1
	v_mov_b32_e32 v6, s10
	s_waitcnt lgkmcnt(6)
	v_fma_f32 v16, -v34, v21, v16
	s_waitcnt lgkmcnt(3)
	v_fma_f32 v15, -v34, v31, v15
	v_fma_f32 v21, -v17, v23, v30
	v_mov_b32_e32 v23, s11
	ds_load_2addr_b32 v[6:7], v6 offset1:1
	v_fma_f32 v30, -v17, v20, v16
	s_add_i32 s10, s5, 0xfffffdfc
	v_mul_f32_e32 v16, v21, v22
	ds_load_2addr_b32 v[20:21], v23 offset1:1
	v_mov_b32_e32 v22, s7
	s_add_i32 s7, s5, 0xfffffe74
	s_waitcnt lgkmcnt(4)
	v_fma_f32 v15, -v17, v27, v15
	v_mov_b32_e32 v27, s7
	v_fma_f32 v25, -v16, v25, v30
	s_add_i32 s7, s5, 0xfffffe6c
	s_add_i32 s11, s5, 0xfffffe28
	v_fma_f32 v26, -v16, v26, v15
	s_delay_alu instid0(VALU_DEP_2)
	v_mul_f32_e32 v15, v25, v24
	s_waitcnt lgkmcnt(2)
	v_fma_f32 v14, -v34, v29, v14
	ds_load_2addr_b32 v[22:23], v22 offset1:1
	ds_load_2addr_b32 v[24:25], v27 offset1:1
	v_mov_b32_e32 v27, s7
	s_add_i32 s7, s5, 0xfffffe40
	v_fma_f32 v14, -v17, v28, v14
	v_mov_b32_e32 v28, s7
	v_fma_f32 v19, -v15, v19, v26
	ds_load_2addr_b32 v[26:27], v27 offset1:1
	s_waitcnt lgkmcnt(3)
	v_fma_f32 v13, -v34, v21, v13
	v_fma_f32 v7, -v16, v7, v14
	ds_load_b32 v28, v28
	s_add_i32 s7, s5, 0xfffffe38
	v_mul_f32_e32 v14, v19, v18
	v_fma_f32 v13, -v17, v20, v13
	v_fma_f32 v6, -v15, v6, v7
	v_mov_b32_e32 v7, s7
	s_add_i32 s7, s3, 0xfffffe68
	s_delay_alu instid0(SALU_CYCLE_1)
	v_dual_mov_b32 v19, s10 :: v_dual_mov_b32 v18, s7
	s_add_i32 s7, s5, 0xfffffe30
	s_waitcnt lgkmcnt(3)
	v_fma_f32 v29, -v14, v23, v6
	ds_load_2addr_b32 v[6:7], v7 offset1:1
	s_waitcnt lgkmcnt(3)
	v_fma_f32 v13, -v16, v25, v13
	v_dual_mov_b32 v20, s7 :: v_dual_mov_b32 v23, s11
	s_add_i32 s7, s5, 0xfffffdf4
	s_add_i32 s10, s5, 0xfffffde4
	s_delay_alu instid0(VALU_DEP_2)
	v_fma_f32 v25, -v15, v24, v13
	ds_load_b32 v30, v18
	ds_load_2addr_b32 v[18:19], v19 offset1:1
	ds_load_2addr_b32 v[20:21], v20 offset1:1
	;; [unrolled: 1-line block ×3, first 2 shown]
	v_mul_f32_e32 v13, v29, v22
	s_waitcnt lgkmcnt(5)
	v_fma_f32 v12, -v34, v28, v12
	v_mov_b32_e32 v28, s7
	v_fma_f32 v22, -v14, v27, v25
	s_add_i32 s7, s5, 0xfffffdec
	v_mov_b32_e32 v25, s10
	s_add_i32 s10, s3, 0xfffffe24
	ds_load_2addr_b32 v[27:28], v28 offset1:1
	v_fma_f32 v22, -v13, v26, v22
	s_waitcnt lgkmcnt(5)
	v_fma_f32 v7, -v17, v7, v12
	v_mov_b32_e32 v12, s7
	s_add_i32 s7, s5, 0xfffffdc0
	s_waitcnt lgkmcnt(3)
	v_fma_f32 v11, -v34, v19, v11
	v_fma_f32 v29, -v16, v6, v7
	ds_load_2addr_b32 v[6:7], v12 offset1:1
	ds_load_2addr_b32 v[25:26], v25 offset1:1
	v_mul_f32_e32 v12, v22, v30
	v_fma_f32 v11, -v17, v18, v11
	v_mov_b32_e32 v18, s7
	s_waitcnt lgkmcnt(4)
	v_fma_f32 v19, -v15, v21, v29
	v_mov_b32_e32 v21, s10
	s_add_i32 s7, s5, 0xfffffdb8
	s_waitcnt lgkmcnt(2)
	v_fma_f32 v11, -v16, v28, v11
	v_mov_b32_e32 v22, s7
	ds_load_b32 v28, v18
	ds_load_b32 v29, v21
	s_add_i32 s7, s3, 0xfffffde0
	v_fma_f32 v20, -v14, v20, v19
	v_fma_f32 v11, -v15, v27, v11
	v_mov_b32_e32 v21, s7
	s_add_i32 s7, s5, 0xfffffdb0
	s_add_i32 s10, s5, 0xfffffd74
	s_waitcnt lgkmcnt(3)
	v_fma_f32 v7, -v14, v7, v11
	v_mov_b32_e32 v11, s7
	ds_load_2addr_b32 v[18:19], v22 offset1:1
	v_fma_f32 v22, -v13, v24, v20
	ds_load_b32 v24, v21
	s_add_i32 s7, s5, 0xfffffda8
	ds_load_2addr_b32 v[20:21], v11 offset1:1
	v_mov_b32_e32 v27, s7
	v_fma_f32 v11, -v12, v23, v22
	v_fma_f32 v22, -v13, v6, v7
	s_waitcnt lgkmcnt(4)
	v_fma_f32 v10, -v34, v28, v10
	s_add_i32 s7, s5, 0xfffffd7c
	s_waitcnt lgkmcnt(3)
	v_mul_f32_e32 v11, v11, v29
	v_fma_f32 v22, -v12, v26, v22
	s_waitcnt lgkmcnt(2)
	v_fma_f32 v10, -v17, v19, v10
	s_delay_alu instid0(VALU_DEP_2)
	v_fma_f32 v19, -v11, v25, v22
	v_mov_b32_e32 v22, s7
	s_add_i32 s7, s4, -11
	ds_load_2addr_b32 v[6:7], v27 offset1:1
	s_lshl_b32 s7, s7, 4
	v_fma_f32 v23, -v16, v18, v10
	s_add_i32 s7, s7, s4
	s_delay_alu instid0(SALU_CYCLE_1) | instskip(NEXT) | instid1(SALU_CYCLE_1)
	s_lshl_b32 s7, s7, 2
	s_add_i32 s11, s7, -4
	s_waitcnt lgkmcnt(2)
	v_mul_f32_e32 v10, v19, v24
	s_waitcnt lgkmcnt(1)
	v_fma_f32 v21, -v15, v21, v23
	v_mov_b32_e32 v23, s11
	ds_load_2addr_b32 v[18:19], v22 offset1:1
	v_mov_b32_e32 v22, s10
	s_add_i32 s10, s5, 0xfffffd6c
	v_fma_f32 v35, -v14, v20, v21
	ds_load_2addr_b32 v[20:21], v23 offset1:1
	ds_load_2addr_b32 v[22:23], v22 offset1:1
	v_mov_b32_e32 v24, s10
	s_add_i32 s10, s5, 0xfffffd64
	s_add_i32 s11, s5, 0xfffffda0
	v_mov_b32_e32 v26, s10
	s_add_i32 s10, s7, -12
	s_addk_i32 s5, 0xfd5c
	v_mov_b32_e32 v30, s11
	s_sub_i32 s11, s7, 28
	s_waitcnt lgkmcnt(3)
	v_fma_f32 v7, -v13, v7, v35
	v_mov_b32_e32 v32, s11
	s_waitcnt lgkmcnt(2)
	v_fma_f32 v9, -v34, v19, v9
	s_waitcnt lgkmcnt(1)
	v_fma_f32 v8, -v34, v21, v8
	s_delay_alu instid0(VALU_DEP_2) | instskip(NEXT) | instid1(VALU_DEP_2)
	v_fma_f32 v9, -v17, v18, v9
	v_fma_f32 v8, -v17, v20, v8
	v_mov_b32_e32 v20, s5
	s_add_i32 s5, s3, 0xfffffd58
	v_mov_b32_e32 v28, s10
	s_sub_i32 s10, s7, 20
	s_waitcnt lgkmcnt(0)
	v_fma_f32 v9, -v16, v23, v9
	v_mov_b32_e32 v19, s10
	s_add_i32 s10, s3, 0xfffffd9c
	s_addk_i32 s3, 0xfd14
	v_mov_b32_e32 v21, s10
	ds_load_2addr_b32 v[24:25], v24 offset1:1
	ds_load_2addr_b32 v[26:27], v26 offset1:1
	;; [unrolled: 1-line block ×6, first 2 shown]
	v_fma_f32 v9, -v15, v22, v9
	v_fma_f32 v22, -v12, v6, v7
	ds_load_b32 v23, v21
	v_mov_b32_e32 v21, s5
	s_sub_i32 s7, s7, 36
	ds_load_2addr_b32 v[6:7], v20 offset1:1
	s_ashr_i32 s5, s4, 31
	s_delay_alu instid0(SALU_CYCLE_1)
	s_lshl_b64 s[10:11], s[4:5], 2
	s_add_i32 s4, s4, -12
	s_waitcnt lgkmcnt(7)
	v_fma_f32 v9, -v14, v25, v9
	s_waitcnt lgkmcnt(5)
	v_fma_f32 v8, -v16, v29, v8
	s_waitcnt lgkmcnt(4)
	v_fma_f32 v22, -v11, v31, v22
	v_fma_f32 v9, -v13, v24, v9
	ds_load_b32 v24, v21
	v_fma_f32 v8, -v15, v28, v8
	v_fma_f32 v25, -v10, v30, v22
	;; [unrolled: 1-line block ×3, first 2 shown]
	s_waitcnt lgkmcnt(4)
	s_delay_alu instid0(VALU_DEP_3) | instskip(NEXT) | instid1(VALU_DEP_2)
	v_fma_f32 v8, -v14, v19, v8
	v_fma_f32 v26, -v11, v26, v9
	s_waitcnt lgkmcnt(2)
	v_mul_f32_e32 v9, v25, v23
	s_delay_alu instid0(VALU_DEP_3) | instskip(SKIP_1) | instid1(VALU_DEP_2)
	v_fma_f32 v8, -v13, v18, v8
	v_mov_b32_e32 v18, s3
	v_fma_f32 v8, -v12, v33, v8
	ds_load_2addr_b32 v[21:22], v18 offset1:1
	v_mov_b32_e32 v20, s7
	s_waitcnt lgkmcnt(2)
	v_fma_f32 v7, -v10, v7, v26
	v_add_co_u32 v18, vcc_lo, v0, s10
	v_fma_f32 v8, -v11, v32, v8
	ds_load_2addr_b32 v[19:20], v20 offset1:1
	v_fma_f32 v6, -v9, v6, v7
	s_waitcnt lgkmcnt(0)
	v_fma_f32 v7, -v10, v20, v8
	s_delay_alu instid0(VALU_DEP_2) | instskip(NEXT) | instid1(VALU_DEP_2)
	v_mul_f32_e32 v8, v6, v24
	v_fma_f32 v6, -v9, v19, v7
	v_add_co_ci_u32_e32 v19, vcc_lo, s11, v1, vcc_lo
	s_clause 0x1
	global_store_b96 v[18:19], v[15:17], off offset:-12
	global_store_b128 v[18:19], v[11:14], off offset:-28
	v_fma_f32 v6, -v8, v22, v6
	s_delay_alu instid0(VALU_DEP_1)
	v_mul_f32_e32 v7, v6, v21
	s_clause 0x1
	global_store_b32 v[4:5], v34, off
	global_store_b128 v[18:19], v[7:10], off offset:-44
.LBB19_20:
	s_cmp_lt_i32 s4, 0
	s_cbranch_scc1 .LBB19_37
; %bb.21:
	s_add_i32 s3, s4, 1
	s_mov_b32 s10, s4
	s_and_b32 s3, s3, 3
	s_delay_alu instid0(SALU_CYCLE_1)
	s_cmp_eq_u32 s3, 0
	s_cbranch_scc1 .LBB19_26
; %bb.22:
	s_lshl_b32 s5, s4, 6
	s_lshl_b32 s7, s2, 2
	s_ashr_i32 s13, s12, 31
	s_add_i32 s5, s5, s7
	s_lshl_b64 s[10:11], s[12:13], 2
	s_add_i32 s5, s5, -4
	s_add_u32 s7, s8, s10
	s_addc_u32 s10, s9, s11
	s_add_u32 s7, s7, s0
	s_addc_u32 s10, s10, s1
	v_add_co_u32 v4, vcc_lo, s7, v2
	v_add_co_ci_u32_e32 v5, vcc_lo, s10, v3, vcc_lo
	s_mov_b32 s11, 0
	s_mov_b32 s10, s4
	;; [unrolled: 1-line block ×3, first 2 shown]
	s_set_inst_prefetch_distance 0x1
	s_branch .LBB19_24
	.p2align	6
.LBB19_23:                              ;   in Loop: Header=BB19_24 Depth=1
	s_mul_i32 s13, s10, 0x44
	s_ashr_i32 s17, s10, 31
	v_mov_b32_e32 v6, s13
	s_mov_b32 s16, s10
	s_add_i32 s7, s7, 1
	s_lshl_b64 s[16:17], s[16:17], 2
	s_add_i32 s10, s10, -1
	ds_load_b32 v9, v6
	v_add_co_u32 v6, vcc_lo, v0, s16
	v_add_co_ci_u32_e32 v7, vcc_lo, s17, v1, vcc_lo
	s_sub_i32 s5, s5, 64
	s_cmp_lg_u32 s7, s3
	s_waitcnt lgkmcnt(0)
	v_mul_f32_e32 v8, v8, v9
	global_store_b32 v[6:7], v8, off
	s_cbranch_scc0 .LBB19_26
.LBB19_24:                              ; =>This Loop Header: Depth=1
                                        ;     Child Loop BB19_25 Depth 2
	s_lshl_b64 s[16:17], s[10:11], 2
	s_cmp_le_i32 s12, s10
	v_add_co_u32 v6, vcc_lo, v0, s16
	v_add_co_ci_u32_e32 v7, vcc_lo, s17, v1, vcc_lo
	s_mov_b32 s13, s5
	s_mov_b32 s14, s12
	global_load_b32 v6, v[6:7], off
	s_waitcnt vmcnt(0)
	v_dual_mul_f32 v8, s15, v6 :: v_dual_mov_b32 v7, v5
	v_mov_b32_e32 v6, v4
	s_cbranch_scc1 .LBB19_23
.LBB19_25:                              ;   Parent Loop BB19_24 Depth=1
                                        ; =>  This Inner Loop Header: Depth=2
	global_load_b32 v9, v[6:7], off
	v_mov_b32_e32 v10, s13
	v_add_co_u32 v6, vcc_lo, v6, -4
	v_add_co_ci_u32_e32 v7, vcc_lo, -1, v7, vcc_lo
	ds_load_b32 v10, v10
	s_add_i32 s14, s14, -1
	s_add_i32 s13, s13, -4
	s_cmp_gt_i32 s14, s10
	s_waitcnt vmcnt(0) lgkmcnt(0)
	v_fma_f32 v8, -v9, v10, v8
	s_cbranch_scc1 .LBB19_25
	s_branch .LBB19_23
.LBB19_26:
	s_set_inst_prefetch_distance 0x2
	s_cmp_lt_u32 s4, 3
	s_cbranch_scc1 .LBB19_37
; %bb.27:
	s_lshl_b32 s3, s10, 6
	s_lshl_b32 s4, s2, 2
	s_ashr_i32 s13, s12, 31
	s_add_i32 s11, s3, s4
	s_lshl_b64 s[4:5], s[12:13], 2
	s_add_i32 s3, s11, -4
	s_add_u32 s4, s8, s4
	s_addc_u32 s5, s9, s5
	s_add_u32 s4, s4, s0
	s_addc_u32 s5, s5, s1
	v_add_co_u32 v4, vcc_lo, s4, v2
	v_add_co_ci_u32_e32 v5, vcc_lo, s5, v3, vcc_lo
	s_add_i32 s7, s11, 0xffffffbc
	s_add_i32 s13, s11, 0xffffff7c
	s_add_i32 s14, s11, 0xffffff3c
	s_mov_b32 s11, 0
	s_branch .LBB19_29
.LBB19_28:                              ;   in Loop: Header=BB19_29 Depth=1
	s_add_i32 s4, s5, 0xffffffbc
	s_addk_i32 s3, 0xff00
	v_mov_b32_e32 v8, s4
	s_add_i32 s4, s10, -4
	s_addk_i32 s7, 0xff00
	s_addk_i32 s13, 0xff00
	;; [unrolled: 1-line block ×3, first 2 shown]
	ds_load_b32 v8, v8
	s_cmp_lt_i32 s10, 4
	s_mov_b32 s10, s4
	s_waitcnt lgkmcnt(0)
	v_mul_f32_e32 v8, v10, v8
	global_store_b32 v[6:7], v8, off offset:-12
	s_cbranch_scc1 .LBB19_37
.LBB19_29:                              ; =>This Loop Header: Depth=1
                                        ;     Child Loop BB19_30 Depth 2
                                        ;     Child Loop BB19_32 Depth 2
                                        ;     Child Loop BB19_34 Depth 2
                                        ;     Child Loop BB19_36 Depth 2
	s_lshl_b64 s[4:5], s[10:11], 2
	s_cmp_le_i32 s12, s10
	v_add_co_u32 v6, vcc_lo, v0, s4
	v_add_co_ci_u32_e32 v7, vcc_lo, s5, v1, vcc_lo
	s_mov_b32 s4, s3
	s_mov_b32 s5, s12
	global_load_b32 v6, v[6:7], off
	s_waitcnt vmcnt(0)
	v_dual_mul_f32 v8, s15, v6 :: v_dual_mov_b32 v7, v5
	v_mov_b32_e32 v6, v4
	s_cbranch_scc1 .LBB19_31
.LBB19_30:                              ;   Parent Loop BB19_29 Depth=1
                                        ; =>  This Inner Loop Header: Depth=2
	global_load_b32 v9, v[6:7], off
	v_mov_b32_e32 v10, s4
	v_add_co_u32 v6, vcc_lo, v6, -4
	v_add_co_ci_u32_e32 v7, vcc_lo, -1, v7, vcc_lo
	ds_load_b32 v10, v10
	s_add_i32 s5, s5, -1
	s_add_i32 s4, s4, -4
	s_cmp_gt_i32 s5, s10
	s_waitcnt vmcnt(0) lgkmcnt(0)
	v_fma_f32 v8, -v9, v10, v8
	s_cbranch_scc1 .LBB19_30
.LBB19_31:                              ;   in Loop: Header=BB19_29 Depth=1
	s_add_i32 s4, s10, -1
	s_mov_b32 s5, s11
	s_mul_i32 s16, s10, 0x44
	s_lshl_b64 s[4:5], s[4:5], 2
	s_delay_alu instid0(SALU_CYCLE_1)
	v_add_co_u32 v6, vcc_lo, v0, s4
	v_add_co_ci_u32_e32 v7, vcc_lo, s5, v1, vcc_lo
	s_ashr_i32 s5, s10, 31
	s_mov_b32 s4, s10
	global_load_b32 v9, v[6:7], off
	v_mov_b32_e32 v6, s16
	s_lshl_b64 s[4:5], s[4:5], 2
	s_cmp_lt_i32 s12, s10
	ds_load_b32 v10, v6
	v_add_co_u32 v6, vcc_lo, v0, s4
	v_add_co_ci_u32_e32 v7, vcc_lo, s5, v1, vcc_lo
	s_mov_b32 s4, s7
	s_mov_b32 s5, s2
	s_waitcnt lgkmcnt(0)
	v_mul_f32_e32 v11, v8, v10
	global_store_b32 v[6:7], v11, off
	s_waitcnt vmcnt(0)
	v_dual_mul_f32 v10, s15, v9 :: v_dual_mov_b32 v9, v5
	v_mov_b32_e32 v8, v4
	s_cbranch_scc1 .LBB19_33
.LBB19_32:                              ;   Parent Loop BB19_29 Depth=1
                                        ; =>  This Inner Loop Header: Depth=2
	global_load_b32 v11, v[8:9], off
	v_mov_b32_e32 v12, s4
	v_add_co_u32 v8, vcc_lo, v8, -4
	v_add_co_ci_u32_e32 v9, vcc_lo, -1, v9, vcc_lo
	ds_load_b32 v12, v12
	s_add_i32 s5, s5, -1
	s_add_i32 s4, s4, -4
	s_cmp_gt_i32 s5, s10
	s_waitcnt vmcnt(0) lgkmcnt(0)
	v_fma_f32 v10, -v11, v12, v10
	s_cbranch_scc1 .LBB19_32
.LBB19_33:                              ;   in Loop: Header=BB19_29 Depth=1
	s_add_i32 s4, s10, -2
	s_mov_b32 s5, s11
	s_addk_i32 s16, 0xffbc
	s_lshl_b64 s[18:19], s[4:5], 2
	s_cmp_le_i32 s12, s4
	v_add_co_u32 v8, vcc_lo, v0, s18
	v_add_co_ci_u32_e32 v9, vcc_lo, s19, v1, vcc_lo
	s_mov_b32 s5, s13
	s_mov_b32 s17, s12
	global_load_b32 v8, v[8:9], off
	v_mov_b32_e32 v9, s16
	ds_load_b32 v9, v9
	s_waitcnt vmcnt(0) lgkmcnt(0)
	v_dual_mul_f32 v11, v10, v9 :: v_dual_mul_f32 v10, s15, v8
	v_dual_mov_b32 v9, v5 :: v_dual_mov_b32 v8, v4
	global_store_b32 v[6:7], v11, off offset:-4
	s_cbranch_scc1 .LBB19_35
.LBB19_34:                              ;   Parent Loop BB19_29 Depth=1
                                        ; =>  This Inner Loop Header: Depth=2
	global_load_b32 v11, v[8:9], off
	v_mov_b32_e32 v12, s5
	v_add_co_u32 v8, vcc_lo, v8, -4
	v_add_co_ci_u32_e32 v9, vcc_lo, -1, v9, vcc_lo
	ds_load_b32 v12, v12
	s_add_i32 s17, s17, -1
	s_add_i32 s5, s5, -4
	s_cmp_gt_i32 s17, s4
	s_waitcnt vmcnt(0) lgkmcnt(0)
	v_fma_f32 v10, -v11, v12, v10
	s_cbranch_scc1 .LBB19_34
.LBB19_35:                              ;   in Loop: Header=BB19_29 Depth=1
	s_add_i32 s4, s10, -3
	s_mov_b32 s5, s11
	s_mov_b32 s17, s12
	s_lshl_b64 s[18:19], s[4:5], 2
	s_add_i32 s5, s16, 0xffffffbc
	v_add_co_u32 v8, vcc_lo, v0, s18
	v_add_co_ci_u32_e32 v9, vcc_lo, s19, v1, vcc_lo
	s_cmp_le_i32 s12, s4
	s_mov_b32 s16, s14
	global_load_b32 v8, v[8:9], off
	v_mov_b32_e32 v9, s5
	ds_load_b32 v9, v9
	s_waitcnt vmcnt(0) lgkmcnt(0)
	v_dual_mul_f32 v11, v10, v9 :: v_dual_mul_f32 v10, s15, v8
	v_dual_mov_b32 v9, v5 :: v_dual_mov_b32 v8, v4
	global_store_b32 v[6:7], v11, off offset:-8
	s_cbranch_scc1 .LBB19_28
.LBB19_36:                              ;   Parent Loop BB19_29 Depth=1
                                        ; =>  This Inner Loop Header: Depth=2
	global_load_b32 v11, v[8:9], off
	v_mov_b32_e32 v12, s16
	v_add_co_u32 v8, vcc_lo, v8, -4
	v_add_co_ci_u32_e32 v9, vcc_lo, -1, v9, vcc_lo
	ds_load_b32 v12, v12
	s_add_i32 s17, s17, -1
	s_add_i32 s16, s16, -4
	s_cmp_gt_i32 s17, s4
	s_waitcnt vmcnt(0) lgkmcnt(0)
	v_fma_f32 v10, -v11, v12, v10
	s_cbranch_scc1 .LBB19_36
	s_branch .LBB19_28
.LBB19_37:
	s_mov_b32 s3, 0
.LBB19_38:
	s_delay_alu instid0(SALU_CYCLE_1)
	s_and_b32 vcc_lo, exec_lo, s3
	s_cbranch_vccz .LBB19_61
; %bb.39:
	s_cmp_gt_i32 s6, 15
	s_cselect_b32 s5, -1, 0
	s_delay_alu instid0(SALU_CYCLE_1)
	s_and_b32 vcc_lo, exec_lo, s5
	s_cbranch_vccz .LBB19_41
; %bb.40:
	s_clause 0x3
	global_load_b128 v[4:7], v[0:1], off
	global_load_b128 v[8:11], v[0:1], off offset:16
	global_load_b128 v[12:15], v[0:1], off offset:32
	;; [unrolled: 1-line block ×3, first 2 shown]
	v_mov_b32_e32 v88, 0
	s_mov_b32 s4, 16
	ds_load_b128 v[20:23], v88
	ds_load_b128 v[24:27], v88 offset:16
	ds_load_2addr_b64 v[28:31], v88 offset0:17 offset1:18
	ds_load_2addr_b64 v[32:35], v88 offset0:19 offset1:20
	ds_load_2addr_b32 v[64:65], v88 offset0:17 offset1:18
	ds_load_2addr_b32 v[66:67], v88 offset0:19 offset1:20
	ds_load_2addr_b32 v[68:69], v88 offset0:21 offset1:22
	ds_load_2addr_b32 v[70:71], v88 offset0:23 offset1:24
	ds_load_b128 v[36:39], v88 offset:272
	ds_load_b128 v[40:43], v88 offset:288
	ds_load_b128 v[44:47], v88 offset:32
	ds_load_b128 v[48:51], v88 offset:48
	s_waitcnt vmcnt(3)
	v_mul_f32_e32 v4, s15, v4
	s_waitcnt lgkmcnt(11)
	s_delay_alu instid0(VALU_DEP_1) | instskip(NEXT) | instid1(VALU_DEP_1)
	v_mul_f32_e32 v4, v4, v20
	v_mul_f32_e32 v84, v4, v21
	;; [unrolled: 1-line block ×3, first 2 shown]
	ds_load_2addr_b32 v[72:73], v88 offset0:51 offset1:52
	ds_load_2addr_b32 v[74:75], v88 offset0:53 offset1:54
	ds_load_2addr_b32 v[76:77], v88 offset0:55 offset1:56
	ds_load_2addr_b32 v[78:79], v88 offset0:57 offset1:58
	ds_load_2addr_b64 v[52:55], v88 offset0:21 offset1:22
	ds_load_2addr_b64 v[56:59], v88 offset0:51 offset1:52
	;; [unrolled: 1-line block ×3, first 2 shown]
	ds_load_2addr_b32 v[80:81], v88 offset0:121 offset1:122
	ds_load_2addr_b32 v[82:83], v88 offset0:123 offset1:124
	v_mul_f32_e32 v86, v4, v23
	s_waitcnt lgkmcnt(19)
	v_mul_f32_e32 v24, v4, v24
	v_mul_f32_e32 v87, v4, v25
	;; [unrolled: 1-line block ×4, first 2 shown]
	s_waitcnt lgkmcnt(10)
	v_mul_f32_e32 v90, v4, v44
	v_mul_f32_e32 v91, v4, v45
	;; [unrolled: 1-line block ×4, first 2 shown]
	ds_load_2addr_b32 v[25:26], v88 offset0:85 offset1:86
	ds_load_b128 v[20:23], v88 offset:304
	v_fma_f32 v5, v5, s15, -v84
	v_fma_f32 v84, v6, s15, -v85
	;; [unrolled: 1-line block ×3, first 2 shown]
	s_waitcnt vmcnt(2)
	v_fma_f32 v24, v8, s15, -v24
	v_fma_f32 v86, v9, s15, -v87
	;; [unrolled: 1-line block ×4, first 2 shown]
	ds_load_2addr_b32 v[44:45], v88 offset0:153 offset1:154
	ds_load_b128 v[8:11], v88 offset:560
	s_waitcnt vmcnt(1)
	v_fma_f32 v89, v12, s15, -v90
	v_fma_f32 v90, v13, s15, -v91
	;; [unrolled: 1-line block ×4, first 2 shown]
	ds_load_2addr_b32 v[6:7], v88 offset0:25 offset1:26
	ds_load_2addr_b32 v[12:13], v88 offset0:27 offset1:28
	ds_load_2addr_b32 v[14:15], v88 offset0:29 offset1:30
	s_waitcnt lgkmcnt(16)
	v_mul_f32_e32 v48, v4, v48
	v_mul_f32_e32 v49, v4, v49
	v_dual_mul_f32 v50, v4, v50 :: v_dual_mul_f32 v5, v5, v64
	v_mul_f32_e32 v51, v4, v51
	s_waitcnt vmcnt(0)
	v_fma_f32 v16, v16, s15, -v48
	v_fma_f32 v17, v17, s15, -v49
	;; [unrolled: 1-line block ×3, first 2 shown]
	ds_load_2addr_b32 v[46:47], v88 offset0:59 offset1:60
	ds_load_2addr_b32 v[48:49], v88 offset0:61 offset1:62
	ds_load_b32 v93, v88 offset:124
	v_fma_f32 v84, -v5, v65, v84
	v_fma_f32 v19, v19, s15, -v51
	v_fma_f32 v85, -v5, v66, v85
	v_fma_f32 v24, -v5, v67, v24
	;; [unrolled: 1-line block ×6, first 2 shown]
	ds_load_2addr_b32 v[50:51], v88 offset0:87 offset1:88
	ds_load_2addr_b32 v[64:65], v88 offset0:89 offset1:90
	;; [unrolled: 1-line block ×4, first 2 shown]
	s_waitcnt lgkmcnt(9)
	v_fma_f32 v90, -v5, v6, v90
	s_waitcnt lgkmcnt(8)
	v_fma_f32 v92, -v5, v12, v92
	v_fma_f32 v16, -v5, v13, v16
	s_waitcnt lgkmcnt(7)
	v_fma_f32 v17, -v5, v14, v17
	v_fma_f32 v96, -v5, v15, v18
	v_mul_f32_e32 v6, v84, v28
	ds_load_b128 v[12:15], v88 offset:544
	ds_load_2addr_b32 v[70:71], v88 offset0:125 offset1:126
	ds_load_b64 v[27:28], v88 offset:184
	v_fma_f32 v91, -v5, v7, v91
	v_fma_f32 v7, -v6, v29, v85
	;; [unrolled: 1-line block ×3, first 2 shown]
	s_waitcnt lgkmcnt(7)
	v_fma_f32 v93, -v5, v93, v19
	v_fma_f32 v24, -v6, v31, v86
	;; [unrolled: 1-line block ×3, first 2 shown]
	v_mul_f32_e32 v7, v7, v72
	v_fma_f32 v30, -v6, v33, v95
	v_fma_f32 v31, -v6, v34, v89
	;; [unrolled: 1-line block ×8, first 2 shown]
	ds_load_2addr_b32 v[84:85], v88 offset0:155 offset1:156
	ds_load_2addr_b32 v[86:87], v88 offset0:157 offset1:158
	ds_load_2addr_b32 v[32:33], v88 offset0:187 offset1:188
	ds_load_2addr_b32 v[34:35], v88 offset0:189 offset1:190
	v_fma_f32 v91, -v6, v54, v16
	s_waitcnt lgkmcnt(4)
	v_fma_f32 v93, -v6, v28, v93
	v_fma_f32 v28, -v7, v74, v24
	v_mul_f32_e32 v24, v73, v36
	v_fma_f32 v74, -v7, v77, v31
	v_fma_f32 v77, -v7, v46, v90
	;; [unrolled: 1-line block ×3, first 2 shown]
	ds_load_b128 v[16:19], v88 offset:816
	ds_load_2addr_b32 v[52:53], v88 offset0:221 offset1:222
	v_fma_f32 v28, -v24, v37, v28
	v_fma_f32 v46, -v24, v38, v29
	ds_load_2addr_b32 v[54:55], v88 offset0:63 offset1:95
	v_fma_f32 v76, -v7, v79, v72
	ds_load_2addr_b32 v[36:37], v88 offset0:119 offset1:120
	ds_load_b64 v[72:73], v88 offset:440
	v_mul_f32_e32 v25, v28, v25
	v_fma_f32 v79, -v24, v39, v30
	v_fma_f32 v27, -v6, v27, v96
	;; [unrolled: 1-line block ×9, first 2 shown]
	v_mul_f32_e32 v26, v26, v56
	v_fma_f32 v42, -v24, v42, v76
	v_fma_f32 v78, -v7, v47, v91
	;; [unrolled: 1-line block ×8, first 2 shown]
	ds_load_2addr_b64 v[28:31], v88 offset0:85 offset1:86
	ds_load_b64 v[38:39], v88 offset:696
	s_waitcnt lgkmcnt(3)
	v_mul_f32_e32 v27, v41, v36
	v_fma_f32 v36, -v25, v65, v42
	v_fma_f32 v41, -v26, v59, v50
	;; [unrolled: 1-line block ×8, first 2 shown]
	ds_load_2addr_b32 v[46:47], v88 offset0:127 offset1:159
	v_mul_f32_e32 v12, v37, v12
	v_fma_f32 v37, -v26, v61, v40
	v_fma_f32 v36, -v27, v81, v36
	;; [unrolled: 1-line block ×9, first 2 shown]
	v_mul_f32_e32 v13, v13, v44
	v_fma_f32 v23, -v24, v23, v54
	v_fma_f32 v22, -v25, v69, v22
	v_fma_f32 v21, -v26, v63, v21
	v_fma_f32 v20, -v27, v83, v20
	v_fma_f32 v15, -v12, v15, v37
	v_fma_f32 v14, -v13, v45, v14
	s_waitcnt lgkmcnt(3)
	v_fma_f32 v22, -v26, v72, v22
	v_fma_f32 v21, -v27, v70, v21
	;; [unrolled: 1-line block ×4, first 2 shown]
	s_waitcnt lgkmcnt(2)
	v_mul_f32_e32 v14, v14, v28
	v_fma_f32 v20, -v25, v55, v23
	v_fma_f32 v22, -v27, v71, v22
	;; [unrolled: 1-line block ×9, first 2 shown]
	v_mul_f32_e32 v15, v15, v32
	ds_load_2addr_b32 v[20:21], v88 offset0:191 offset1:223
	s_waitcnt lgkmcnt(1)
	v_fma_f32 v22, -v27, v46, v23
	v_fma_f32 v10, -v13, v87, v10
	;; [unrolled: 1-line block ×4, first 2 shown]
	s_delay_alu instid0(VALU_DEP_4) | instskip(NEXT) | instid1(VALU_DEP_4)
	v_fma_f32 v22, -v12, v11, v22
	v_fma_f32 v23, -v14, v38, v10
	s_delay_alu instid0(VALU_DEP_4) | instskip(NEXT) | instid1(VALU_DEP_4)
	v_fma_f32 v9, -v15, v34, v9
	v_mul_f32_e32 v8, v8, v16
	ds_load_b64 v[10:11], v88 offset:952
	v_fma_f32 v16, -v13, v47, v22
	v_fma_f32 v22, -v15, v35, v23
	;; [unrolled: 1-line block ×3, first 2 shown]
	ds_load_b32 v17, v88 offset:1020
	v_fma_f32 v16, -v14, v39, v16
	v_fma_f32 v18, -v8, v18, v22
	v_mul_f32_e32 v9, v9, v52
	s_waitcnt lgkmcnt(2)
	s_delay_alu instid0(VALU_DEP_3) | instskip(NEXT) | instid1(VALU_DEP_2)
	v_fma_f32 v16, -v15, v20, v16
	v_fma_f32 v18, -v9, v53, v18
	s_delay_alu instid0(VALU_DEP_2) | instskip(SKIP_1) | instid1(VALU_DEP_2)
	v_fma_f32 v16, -v8, v19, v16
	s_waitcnt lgkmcnt(1)
	v_mul_f32_e32 v10, v18, v10
	s_delay_alu instid0(VALU_DEP_2) | instskip(NEXT) | instid1(VALU_DEP_1)
	v_fma_f32 v16, -v9, v21, v16
	v_fma_f32 v11, -v10, v11, v16
	s_waitcnt lgkmcnt(0)
	s_delay_alu instid0(VALU_DEP_1)
	v_mul_f32_e32 v11, v11, v17
	s_clause 0x3
	global_store_b128 v[0:1], v[4:7], off
	global_store_b128 v[0:1], v[24:27], off offset:16
	global_store_b128 v[0:1], v[12:15], off offset:32
	;; [unrolled: 1-line block ×3, first 2 shown]
	s_cmp_lt_i32 s4, s2
	s_cbranch_scc1 .LBB19_42
	s_branch .LBB19_61
.LBB19_41:
	s_mov_b32 s4, 0
	s_delay_alu instid0(SALU_CYCLE_1)
	s_cmp_lt_i32 s4, s2
	s_cbranch_scc0 .LBB19_61
.LBB19_42:
	s_or_b32 s3, s4, 11
	s_delay_alu instid0(SALU_CYCLE_1)
	s_cmp_ge_u32 s3, s2
	s_cbranch_scc1 .LBB19_50
; %bb.43:
	s_lshl_b32 s6, s4, 2
	s_delay_alu instid0(SALU_CYCLE_1)
	v_add_co_u32 v4, vcc_lo, v0, s6
	v_add_co_ci_u32_e32 v5, vcc_lo, 0, v1, vcc_lo
	s_and_not1_b32 vcc_lo, exec_lo, s5
	s_mov_b32 s5, 0
	s_clause 0x2
	global_load_b128 v[6:9], v[4:5], off
	global_load_b128 v[20:23], v[4:5], off offset:16
	global_load_b128 v[24:27], v[4:5], off offset:32
	s_waitcnt vmcnt(2)
	v_dual_mul_f32 v19, s15, v6 :: v_dual_mul_f32 v18, s15, v7
	v_dual_mul_f32 v17, s15, v8 :: v_dual_mul_f32 v16, s15, v9
	s_waitcnt vmcnt(1)
	v_dual_mul_f32 v15, s15, v20 :: v_dual_mul_f32 v14, s15, v21
	v_dual_mul_f32 v13, s15, v22 :: v_dual_mul_f32 v12, s15, v23
	;; [unrolled: 3-line block ×3, first 2 shown]
	s_cbranch_vccnz .LBB19_49
; %bb.44:
	s_max_u32 s7, s4, 1
	s_delay_alu instid0(SALU_CYCLE_1)
	s_cmp_eq_u32 s7, 1
	s_cbranch_scc1 .LBB19_47
; %bb.45:
	s_and_b32 s5, s7, 16
	s_add_u32 s10, s8, s0
	s_addc_u32 s11, s9, s1
	v_add_co_u32 v6, vcc_lo, s10, v2
	v_add_co_ci_u32_e32 v7, vcc_lo, s11, v3, vcc_lo
	s_mov_b32 s10, 0
	s_delay_alu instid0(VALU_DEP_2) | instskip(NEXT) | instid1(VALU_DEP_2)
	v_add_co_u32 v6, vcc_lo, v6, 4
	v_add_co_ci_u32_e32 v7, vcc_lo, 0, v7, vcc_lo
.LBB19_46:                              ; =>This Inner Loop Header: Depth=1
	global_load_b64 v[44:45], v[6:7], off offset:-4
	v_mov_b32_e32 v40, s6
	v_add_co_u32 v6, vcc_lo, v6, 8
	v_add_co_ci_u32_e32 v7, vcc_lo, 0, v7, vcc_lo
	ds_load_b128 v[20:23], v40
	ds_load_b128 v[24:27], v40 offset:16
	ds_load_b128 v[28:31], v40 offset:32
	;; [unrolled: 1-line block ×5, first 2 shown]
	s_add_i32 s10, s10, 2
	s_addk_i32 s6, 0x80
	s_cmp_lg_u32 s5, s10
	s_waitcnt vmcnt(0) lgkmcnt(5)
	v_fma_f32 v19, -v44, v20, v19
	v_fma_f32 v18, -v44, v21, v18
	v_fma_f32 v17, -v44, v22, v17
	v_fma_f32 v16, -v44, v23, v16
	s_waitcnt lgkmcnt(4)
	v_fma_f32 v15, -v44, v24, v15
	v_fma_f32 v14, -v44, v25, v14
	v_fma_f32 v13, -v44, v26, v13
	v_fma_f32 v12, -v44, v27, v12
	s_waitcnt lgkmcnt(3)
	v_fma_f32 v11, -v44, v28, v11
	v_fma_f32 v10, -v44, v29, v10
	v_fma_f32 v9, -v44, v30, v9
	v_fma_f32 v8, -v44, v31, v8
	s_waitcnt lgkmcnt(2)
	v_fma_f32 v19, -v45, v32, v19
	v_fma_f32 v18, -v45, v33, v18
	v_fma_f32 v17, -v45, v34, v17
	v_fma_f32 v16, -v45, v35, v16
	s_waitcnt lgkmcnt(1)
	v_fma_f32 v15, -v45, v36, v15
	v_fma_f32 v14, -v45, v37, v14
	v_fma_f32 v13, -v45, v38, v13
	v_fma_f32 v12, -v45, v39, v12
	s_waitcnt lgkmcnt(0)
	v_fma_f32 v11, -v45, v40, v11
	v_fma_f32 v10, -v45, v41, v10
	;; [unrolled: 1-line block ×4, first 2 shown]
	s_cbranch_scc1 .LBB19_46
.LBB19_47:
	s_bitcmp0_b32 s7, 0
	s_cbranch_scc1 .LBB19_49
; %bb.48:
	s_lshl_b32 s6, s5, 2
	s_lshl_b32 s5, s5, 4
	v_add_co_u32 v6, vcc_lo, v0, s6
	v_add_co_ci_u32_e32 v7, vcc_lo, 0, v1, vcc_lo
	s_add_i32 s5, s5, s4
	s_delay_alu instid0(SALU_CYCLE_1)
	s_lshl_b32 s5, s5, 2
	global_load_b32 v6, v[6:7], off
	v_mov_b32_e32 v7, s5
	ds_load_b128 v[20:23], v7
	ds_load_b128 v[24:27], v7 offset:16
	ds_load_b128 v[28:31], v7 offset:32
	s_waitcnt vmcnt(0) lgkmcnt(2)
	v_fma_f32 v19, -v6, v20, v19
	v_fma_f32 v18, -v6, v21, v18
	;; [unrolled: 1-line block ×4, first 2 shown]
	s_waitcnt lgkmcnt(1)
	v_fma_f32 v15, -v6, v24, v15
	v_fma_f32 v14, -v6, v25, v14
	;; [unrolled: 1-line block ×4, first 2 shown]
	s_waitcnt lgkmcnt(0)
	v_fma_f32 v11, -v6, v28, v11
	v_fma_f32 v10, -v6, v29, v10
	;; [unrolled: 1-line block ×4, first 2 shown]
.LBB19_49:
	s_mul_i32 s5, s4, 0x44
	s_or_b32 s6, s4, 9
	v_mov_b32_e32 v40, s5
	s_lshl_b32 s5, s4, 4
	s_mul_i32 s10, s6, 0x44
	s_add_i32 s5, s4, s5
	s_lshl_b32 s6, s6, 4
	s_lshl_b32 s5, s5, 2
	s_add_i32 s6, s4, s6
	v_mov_b32_e32 v79, s5
	ds_load_b128 v[20:23], v40
	ds_load_b128 v[24:27], v40 offset:16
	ds_load_2addr_b32 v[6:7], v40 offset0:17 offset1:18
	ds_load_2addr_b64 v[28:31], v40 offset0:17 offset1:18
	ds_load_2addr_b32 v[48:49], v40 offset0:51 offset1:52
	ds_load_b128 v[32:35], v40 offset:272
	ds_load_2addr_b32 v[50:51], v40 offset0:85 offset1:86
	ds_load_2addr_b32 v[52:53], v40 offset0:102 offset1:119
	ds_load_b128 v[36:39], v40 offset:32
	ds_load_b32 v80, v40 offset:544
	ds_load_2addr_b32 v[54:55], v79 offset0:19 offset1:20
	v_mov_b32_e32 v78, s10
	ds_load_2addr_b32 v[56:57], v79 offset0:87 offset1:88
	ds_load_b128 v[40:43], v79 offset:288
	ds_load_2addr_b32 v[58:59], v79 offset0:21 offset1:22
	ds_load_2addr_b32 v[60:61], v79 offset0:23 offset1:24
	;; [unrolled: 1-line block ×9, first 2 shown]
	ds_load_b128 v[44:47], v79 offset:480
	ds_load_2addr_b32 v[76:77], v79 offset0:137 offset1:138
	s_lshl_b32 s5, s6, 2
	s_or_b32 s7, s4, 10
	s_mulk_i32 s3, 0x44
	s_mulk_i32 s7, 0x44
	s_or_b32 s4, s4, 12
	s_waitcnt lgkmcnt(23)
	v_mul_f32_e32 v19, v19, v20
	s_delay_alu instid0(VALU_DEP_1)
	v_fma_f32 v18, -v19, v21, v18
	v_fma_f32 v17, -v19, v22, v17
	s_waitcnt lgkmcnt(22)
	v_fma_f32 v22, -v19, v24, v15
	v_fma_f32 v13, -v19, v26, v13
	s_waitcnt lgkmcnt(15)
	v_fma_f32 v11, -v19, v36, v11
	v_mul_f32_e32 v20, v18, v6
	v_fma_f32 v6, -v19, v23, v16
	v_fma_f32 v10, -v19, v37, v10
	;; [unrolled: 1-line block ×3, first 2 shown]
	s_delay_alu instid0(VALU_DEP_4)
	v_fma_f32 v7, -v20, v7, v17
	ds_load_2addr_b64 v[15:18], v79 offset0:19 offset1:20
	v_mul_f32_e32 v21, v7, v28
	s_waitcnt lgkmcnt(14)
	v_fma_f32 v6, -v20, v54, v6
	v_fma_f32 v7, -v19, v25, v14
	;; [unrolled: 1-line block ×3, first 2 shown]
	ds_load_b32 v54, v79 offset:108
	ds_load_b64 v[23:24], v79 offset:168
	s_waitcnt lgkmcnt(12)
	v_fma_f32 v11, -v20, v61, v11
	v_fma_f32 v6, -v21, v29, v6
	;; [unrolled: 1-line block ×4, first 2 shown]
	s_waitcnt lgkmcnt(11)
	v_fma_f32 v10, -v20, v62, v10
	ds_load_2addr_b32 v[28:29], v79 offset0:59 offset1:91
	v_mul_f32_e32 v22, v6, v48
	v_fma_f32 v6, -v19, v27, v12
	v_fma_f32 v12, -v20, v59, v13
	;; [unrolled: 1-line block ×6, first 2 shown]
	s_waitcnt lgkmcnt(3)
	v_fma_f32 v12, -v21, v15, v12
	v_fma_f32 v7, -v22, v64, v7
	;; [unrolled: 1-line block ×3, first 2 shown]
	v_mul_f32_e32 v6, v13, v32
	v_fma_f32 v13, -v21, v16, v14
	v_fma_f32 v14, -v19, v39, v8
	;; [unrolled: 1-line block ×3, first 2 shown]
	s_waitcnt lgkmcnt(1)
	v_fma_f32 v9, -v21, v23, v9
	v_fma_f32 v7, -v6, v33, v7
	v_mov_b32_e32 v23, s5
	s_delay_alu instid0(VALU_DEP_2) | instskip(SKIP_4) | instid1(VALU_DEP_4)
	v_mul_f32_e32 v7, v7, v50
	v_fma_f32 v12, -v22, v65, v12
	v_fma_f32 v13, -v22, v66, v13
	;; [unrolled: 1-line block ×5, first 2 shown]
	s_delay_alu instid0(VALU_DEP_4) | instskip(SKIP_1) | instid1(VALU_DEP_3)
	v_fma_f32 v11, -v6, v35, v13
	v_fma_f32 v13, -v22, v68, v8
	;; [unrolled: 1-line block ×3, first 2 shown]
	s_delay_alu instid0(VALU_DEP_3) | instskip(NEXT) | instid1(VALU_DEP_2)
	v_fma_f32 v11, -v7, v56, v11
	v_mul_f32_e32 v8, v12, v52
	v_fma_f32 v12, -v20, v54, v14
	s_delay_alu instid0(VALU_DEP_2) | instskip(NEXT) | instid1(VALU_DEP_2)
	v_fma_f32 v11, -v8, v72, v11
	v_fma_f32 v14, -v21, v24, v12
	s_delay_alu instid0(VALU_DEP_2)
	v_mul_f32_e32 v9, v11, v53
	v_fma_f32 v10, -v6, v40, v10
	v_fma_f32 v13, -v6, v41, v13
	ds_load_2addr_b32 v[11:12], v79 offset0:107 offset1:139
	s_waitcnt lgkmcnt(1)
	v_fma_f32 v16, -v22, v28, v14
	v_fma_f32 v15, -v6, v42, v15
	;; [unrolled: 1-line block ×4, first 2 shown]
	s_delay_alu instid0(VALU_DEP_4) | instskip(NEXT) | instid1(VALU_DEP_4)
	v_fma_f32 v16, -v6, v43, v16
	v_fma_f32 v15, -v7, v75, v15
	s_delay_alu instid0(VALU_DEP_4) | instskip(NEXT) | instid1(VALU_DEP_4)
	v_fma_f32 v10, -v8, v73, v10
	v_fma_f32 v17, -v8, v70, v13
	ds_load_2addr_b32 v[13:14], v78 offset1:1
	v_mov_b32_e32 v18, s7
	v_fma_f32 v24, -v8, v71, v15
	v_fma_f32 v10, -v9, v44, v10
	;; [unrolled: 1-line block ×4, first 2 shown]
	ds_load_b64 v[15:16], v18
	ds_load_b32 v18, v23 offset:44
	v_dual_mov_b32 v23, s3 :: v_dual_mul_f32 v10, v10, v80
	v_fma_f32 v24, -v9, v46, v24
	s_waitcnt lgkmcnt(3)
	v_fma_f32 v25, -v8, v11, v25
	ds_load_b32 v23, v23
	v_fma_f32 v17, -v10, v76, v17
	s_clause 0x1
	global_store_b128 v[4:5], v[19:22], off
	global_store_b128 v[4:5], v[6:9], off offset:16
	s_waitcnt lgkmcnt(3)
	v_mul_f32_e32 v11, v17, v13
	v_fma_f32 v13, -v10, v77, v24
	v_fma_f32 v17, -v9, v47, v25
	s_delay_alu instid0(VALU_DEP_2) | instskip(NEXT) | instid1(VALU_DEP_2)
	v_fma_f32 v13, -v11, v14, v13
	v_fma_f32 v14, -v10, v12, v17
	s_waitcnt lgkmcnt(2)
	s_delay_alu instid0(VALU_DEP_2) | instskip(SKIP_1) | instid1(VALU_DEP_2)
	v_mul_f32_e32 v12, v13, v15
	s_waitcnt lgkmcnt(1)
	v_fma_f32 v13, -v11, v18, v14
	s_delay_alu instid0(VALU_DEP_1) | instskip(SKIP_1) | instid1(VALU_DEP_1)
	v_fma_f32 v13, -v12, v16, v13
	s_waitcnt lgkmcnt(0)
	v_mul_f32_e32 v13, v13, v23
	global_store_b128 v[4:5], v[10:13], off offset:32
.LBB19_50:
	s_cmp_ge_i32 s4, s2
	s_cbranch_scc1 .LBB19_61
; %bb.51:
	s_add_i32 s3, s4, -1
	s_lshl_b32 s6, s4, 2
	s_add_u32 s0, s8, s0
	s_addc_u32 s1, s9, s1
	v_add_co_u32 v8, vcc_lo, s0, v2
	v_add_co_ci_u32_e32 v9, vcc_lo, s1, v3, vcc_lo
	s_mov_b32 s1, 0
	s_delay_alu instid0(VALU_DEP_2) | instskip(NEXT) | instid1(VALU_DEP_2)
	v_add_co_u32 v2, vcc_lo, v8, 28
	v_add_co_ci_u32_e32 v3, vcc_lo, 0, v9, vcc_lo
	s_mov_b32 s8, s4
	s_mov_b32 s7, 0
	s_branch .LBB19_53
.LBB19_52:                              ;   in Loop: Header=BB19_53 Depth=1
	s_mul_i32 s0, s4, 0x44
	v_add_nc_u16 v7, s8, 1
	v_mov_b32_e32 v6, s0
	s_add_i32 s4, s4, 1
	s_add_i32 s7, s7, 1
	s_add_i32 s6, s6, 4
	v_readfirstlane_b32 s8, v7
	ds_load_b32 v6, v6
	s_cmp_ge_i32 s4, s2
	s_waitcnt lgkmcnt(0)
	v_mul_f32_e32 v6, v10, v6
	global_store_b32 v[4:5], v6, off
	s_cbranch_scc1 .LBB19_61
.LBB19_53:                              ; =>This Loop Header: Depth=1
                                        ;     Child Loop BB19_56 Depth 2
                                        ;     Child Loop BB19_60 Depth 2
	s_ashr_i32 s5, s4, 31
	s_delay_alu instid0(SALU_CYCLE_1)
	s_lshl_b64 s[10:11], s[4:5], 2
	s_cmp_eq_u32 s4, 0
	v_add_co_u32 v4, vcc_lo, v0, s10
	v_add_co_ci_u32_e32 v5, vcc_lo, s11, v1, vcc_lo
	global_load_b32 v6, v[4:5], off
	s_waitcnt vmcnt(0)
	v_mul_f32_e32 v10, s15, v6
	s_cbranch_scc1 .LBB19_52
; %bb.54:                               ;   in Loop: Header=BB19_53 Depth=1
	s_add_i32 s0, s3, s7
	s_delay_alu instid0(SALU_CYCLE_1)
	s_cmp_lt_u32 s0, 7
	s_cbranch_scc1 .LBB19_58
; %bb.55:                               ;   in Loop: Header=BB19_53 Depth=1
	v_dual_mov_b32 v7, v3 :: v_dual_mov_b32 v6, v2
	s_and_b32 s0, s4, -8
	s_mov_b32 s5, 0
	s_mov_b32 s9, s6
	s_set_inst_prefetch_distance 0x1
	.p2align	6
.LBB19_56:                              ;   Parent Loop BB19_53 Depth=1
                                        ; =>  This Inner Loop Header: Depth=2
	s_clause 0x1
	global_load_b128 v[11:14], v[6:7], off offset:-28
	global_load_b128 v[15:18], v[6:7], off offset:-12
	v_mov_b32_e32 v25, s9
	v_add_co_u32 v6, vcc_lo, v6, 32
	v_add_co_ci_u32_e32 v7, vcc_lo, 0, v7, vcc_lo
	ds_load_2addr_b32 v[19:20], v25 offset1:16
	ds_load_2addr_b32 v[21:22], v25 offset0:32 offset1:48
	ds_load_2addr_b32 v[23:24], v25 offset0:64 offset1:80
	s_add_i32 s5, s5, 8
	s_addk_i32 s9, 0x200
	s_cmp_lg_u32 s0, s5
	s_waitcnt vmcnt(1) lgkmcnt(2)
	v_fma_f32 v10, -v11, v19, v10
	s_delay_alu instid0(VALU_DEP_1) | instskip(SKIP_3) | instid1(VALU_DEP_1)
	v_fma_f32 v12, -v12, v20, v10
	ds_load_2addr_b32 v[10:11], v25 offset0:96 offset1:112
	s_waitcnt lgkmcnt(2)
	v_fma_f32 v12, -v13, v21, v12
	v_fma_f32 v12, -v14, v22, v12
	s_waitcnt vmcnt(0) lgkmcnt(1)
	s_delay_alu instid0(VALU_DEP_1) | instskip(NEXT) | instid1(VALU_DEP_1)
	v_fma_f32 v12, -v15, v23, v12
	v_fma_f32 v12, -v16, v24, v12
	s_waitcnt lgkmcnt(0)
	s_delay_alu instid0(VALU_DEP_1) | instskip(NEXT) | instid1(VALU_DEP_1)
	v_fma_f32 v10, -v17, v10, v12
	v_fma_f32 v10, -v18, v11, v10
	s_cbranch_scc1 .LBB19_56
; %bb.57:                               ;   in Loop: Header=BB19_53 Depth=1
	s_set_inst_prefetch_distance 0x2
	s_and_b32 s5, s4, 7
	s_delay_alu instid0(SALU_CYCLE_1)
	s_cmp_eq_u32 s5, 0
	s_cbranch_scc0 .LBB19_59
	s_branch .LBB19_52
.LBB19_58:                              ;   in Loop: Header=BB19_53 Depth=1
	s_mov_b32 s0, 0
	s_and_b32 s5, s4, 7
	s_delay_alu instid0(SALU_CYCLE_1)
	s_cmp_eq_u32 s5, 0
	s_cbranch_scc1 .LBB19_52
.LBB19_59:                              ;   in Loop: Header=BB19_53 Depth=1
	s_lshl_b64 s[10:11], s[0:1], 2
	s_and_b32 s5, s8, 7
	v_add_co_u32 v6, vcc_lo, v8, s10
	v_add_co_ci_u32_e32 v7, vcc_lo, s11, v9, vcc_lo
	s_lshl_b32 s0, s0, 6
.LBB19_60:                              ;   Parent Loop BB19_53 Depth=1
                                        ; =>  This Inner Loop Header: Depth=2
	global_load_b32 v11, v[6:7], off
	s_add_i32 s9, s6, s0
	v_add_co_u32 v6, vcc_lo, v6, 4
	v_mov_b32_e32 v12, s9
	v_add_co_ci_u32_e32 v7, vcc_lo, 0, v7, vcc_lo
	s_add_i32 s5, s5, -1
	s_add_i32 s0, s0, 64
	ds_load_b32 v12, v12
	s_cmp_lg_u32 s5, 0
	s_waitcnt vmcnt(0) lgkmcnt(0)
	v_fma_f32 v10, -v11, v12, v10
	s_cbranch_scc1 .LBB19_60
	s_branch .LBB19_52
.LBB19_61:
	s_nop 0
	s_sendmsg sendmsg(MSG_DEALLOC_VGPRS)
	s_endpgm
	.section	.rodata,"a",@progbits
	.p2align	6, 0x0
	.amdhsa_kernel _ZL30rocblas_trsm_small_left_deviceILi16ELi16ELb1EffPKPKfPKPfEv13rocblas_fill_18rocblas_operation_17rocblas_diagonal_iiT3_T4_lilT5_lili
		.amdhsa_group_segment_fixed_size 1024
		.amdhsa_private_segment_fixed_size 0
		.amdhsa_kernarg_size 352
		.amdhsa_user_sgpr_count 14
		.amdhsa_user_sgpr_dispatch_ptr 0
		.amdhsa_user_sgpr_queue_ptr 0
		.amdhsa_user_sgpr_kernarg_segment_ptr 1
		.amdhsa_user_sgpr_dispatch_id 0
		.amdhsa_user_sgpr_private_segment_size 0
		.amdhsa_wavefront_size32 1
		.amdhsa_uses_dynamic_stack 0
		.amdhsa_enable_private_segment 0
		.amdhsa_system_sgpr_workgroup_id_x 1
		.amdhsa_system_sgpr_workgroup_id_y 0
		.amdhsa_system_sgpr_workgroup_id_z 1
		.amdhsa_system_sgpr_workgroup_info 0
		.amdhsa_system_vgpr_workitem_id 0
		.amdhsa_next_free_vgpr 101
		.amdhsa_next_free_sgpr 51
		.amdhsa_reserve_vcc 1
		.amdhsa_float_round_mode_32 0
		.amdhsa_float_round_mode_16_64 0
		.amdhsa_float_denorm_mode_32 3
		.amdhsa_float_denorm_mode_16_64 3
		.amdhsa_dx10_clamp 1
		.amdhsa_ieee_mode 1
		.amdhsa_fp16_overflow 0
		.amdhsa_workgroup_processor_mode 1
		.amdhsa_memory_ordered 1
		.amdhsa_forward_progress 0
		.amdhsa_shared_vgpr_count 0
		.amdhsa_exception_fp_ieee_invalid_op 0
		.amdhsa_exception_fp_denorm_src 0
		.amdhsa_exception_fp_ieee_div_zero 0
		.amdhsa_exception_fp_ieee_overflow 0
		.amdhsa_exception_fp_ieee_underflow 0
		.amdhsa_exception_fp_ieee_inexact 0
		.amdhsa_exception_int_div_zero 0
	.end_amdhsa_kernel
	.section	.text._ZL30rocblas_trsm_small_left_deviceILi16ELi16ELb1EffPKPKfPKPfEv13rocblas_fill_18rocblas_operation_17rocblas_diagonal_iiT3_T4_lilT5_lili,"axG",@progbits,_ZL30rocblas_trsm_small_left_deviceILi16ELi16ELb1EffPKPKfPKPfEv13rocblas_fill_18rocblas_operation_17rocblas_diagonal_iiT3_T4_lilT5_lili,comdat
.Lfunc_end19:
	.size	_ZL30rocblas_trsm_small_left_deviceILi16ELi16ELb1EffPKPKfPKPfEv13rocblas_fill_18rocblas_operation_17rocblas_diagonal_iiT3_T4_lilT5_lili, .Lfunc_end19-_ZL30rocblas_trsm_small_left_deviceILi16ELi16ELb1EffPKPKfPKPfEv13rocblas_fill_18rocblas_operation_17rocblas_diagonal_iiT3_T4_lilT5_lili
                                        ; -- End function
	.section	.AMDGPU.csdata,"",@progbits
; Kernel info:
; codeLenInByte = 10896
; NumSgprs: 53
; NumVgprs: 101
; ScratchSize: 0
; MemoryBound: 0
; FloatMode: 240
; IeeeMode: 1
; LDSByteSize: 1024 bytes/workgroup (compile time only)
; SGPRBlocks: 6
; VGPRBlocks: 12
; NumSGPRsForWavesPerEU: 53
; NumVGPRsForWavesPerEU: 101
; Occupancy: 12
; WaveLimiterHint : 1
; COMPUTE_PGM_RSRC2:SCRATCH_EN: 0
; COMPUTE_PGM_RSRC2:USER_SGPR: 14
; COMPUTE_PGM_RSRC2:TRAP_HANDLER: 0
; COMPUTE_PGM_RSRC2:TGID_X_EN: 1
; COMPUTE_PGM_RSRC2:TGID_Y_EN: 0
; COMPUTE_PGM_RSRC2:TGID_Z_EN: 1
; COMPUTE_PGM_RSRC2:TIDIG_COMP_CNT: 0
	.section	.text._ZL31rocblas_trsm_small_right_deviceIffPKPKfPKPfLi16EEv13rocblas_fill_18rocblas_operation_17rocblas_diagonal_iiT0_T1_lilT2_lili,"axG",@progbits,_ZL31rocblas_trsm_small_right_deviceIffPKPKfPKPfLi16EEv13rocblas_fill_18rocblas_operation_17rocblas_diagonal_iiT0_T1_lilT2_lili,comdat
	.globl	_ZL31rocblas_trsm_small_right_deviceIffPKPKfPKPfLi16EEv13rocblas_fill_18rocblas_operation_17rocblas_diagonal_iiT0_T1_lilT2_lili ; -- Begin function _ZL31rocblas_trsm_small_right_deviceIffPKPKfPKPfLi16EEv13rocblas_fill_18rocblas_operation_17rocblas_diagonal_iiT0_T1_lilT2_lili
	.p2align	8
	.type	_ZL31rocblas_trsm_small_right_deviceIffPKPKfPKPfLi16EEv13rocblas_fill_18rocblas_operation_17rocblas_diagonal_iiT0_T1_lilT2_lili,@function
_ZL31rocblas_trsm_small_right_deviceIffPKPKfPKPfLi16EEv13rocblas_fill_18rocblas_operation_17rocblas_diagonal_iiT0_T1_lilT2_lili: ; @_ZL31rocblas_trsm_small_right_deviceIffPKPKfPKPfLi16EEv13rocblas_fill_18rocblas_operation_17rocblas_diagonal_iiT0_T1_lilT2_lili
; %bb.0:
	s_clause 0x1
	s_load_b128 s[8:11], s[0:1], 0x38
	s_load_b64 s[12:13], s[0:1], 0x10
	s_mov_b32 s20, s15
	s_mov_b32 s21, 0
	s_mov_b32 s15, exec_lo
	s_lshl_b64 s[22:23], s[20:21], 3
	s_waitcnt lgkmcnt(0)
	s_add_u32 s2, s8, s22
	s_addc_u32 s3, s9, s23
	s_load_b128 s[4:7], s[0:1], 0x0
	s_load_b64 s[2:3], s[2:3], 0x0
	s_min_i32 s20, s12, 16
	s_delay_alu instid0(SALU_CYCLE_1)
	s_add_i32 s28, s20, -1
	v_cmpx_gt_i32_e64 s20, v0
	s_cbranch_execz .LBB20_9
; %bb.1:
	s_clause 0x1
	s_load_b32 s8, s[0:1], 0x28
	s_load_b128 s[16:19], s[0:1], 0x18
	s_waitcnt lgkmcnt(0)
	s_ashr_i32 s9, s8, 31
	s_add_u32 s16, s16, s22
	s_addc_u32 s17, s17, s23
	s_cmp_lt_u32 s28, 3
	s_load_b64 s[16:17], s[16:17], 0x0
	s_cbranch_scc1 .LBB20_4
; %bb.2:
	v_lshlrev_b32_e32 v3, 2, v0
	s_lshl_b64 s[22:23], s[18:19], 2
	s_mul_hi_i32 s29, s8, 12
	s_waitcnt lgkmcnt(0)
	s_add_u32 s21, s16, s22
	s_addc_u32 s22, s17, s23
	v_add_co_u32 v1, s21, s21, v3
	s_delay_alu instid0(VALU_DEP_1)
	v_add_co_ci_u32_e64 v2, null, s22, 0, s21
	s_and_b32 s21, s20, -4
	s_mul_i32 s30, s8, 12
	s_lshl_b64 s[22:23], s[8:9], 4
	s_lshl_b64 s[24:25], s[8:9], 3
	;; [unrolled: 1-line block ×3, first 2 shown]
	s_mov_b32 s31, 0
	.p2align	6
.LBB20_3:                               ; =>This Inner Loop Header: Depth=1
	v_add_co_u32 v4, vcc_lo, v1, s26
	v_add_co_ci_u32_e32 v5, vcc_lo, s27, v2, vcc_lo
	v_add_co_u32 v6, vcc_lo, v1, s24
	v_add_co_ci_u32_e32 v7, vcc_lo, s25, v2, vcc_lo
	;; [unrolled: 2-line block ×3, first 2 shown]
	s_clause 0x3
	global_load_b32 v10, v[1:2], off
	global_load_b32 v4, v[4:5], off
	;; [unrolled: 1-line block ×4, first 2 shown]
	v_add_co_u32 v1, vcc_lo, v1, s22
	v_add_co_ci_u32_e32 v2, vcc_lo, s23, v2, vcc_lo
	s_add_i32 s31, s31, 4
	s_waitcnt vmcnt(2)
	ds_store_2addr_b32 v3, v10, v4 offset1:16
	s_waitcnt vmcnt(0)
	ds_store_2addr_b32 v3, v5, v6 offset0:32 offset1:48
	v_add_nc_u32_e32 v3, 0x100, v3
	s_cmp_eq_u32 s21, s31
	s_cbranch_scc0 .LBB20_3
.LBB20_4:
	s_and_b32 s22, s20, 3
	s_delay_alu instid0(SALU_CYCLE_1)
	s_cmp_eq_u32 s22, 0
	s_cbranch_scc1 .LBB20_7
; %bb.5:
	s_mul_i32 s23, s9, s21
	s_mul_hi_u32 s24, s8, s21
	s_lshl_b64 s[18:19], s[18:19], 2
	s_add_i32 s25, s24, s23
	s_mul_i32 s24, s8, s21
	v_lshlrev_b32_e32 v1, 2, v0
	s_lshl_b64 s[24:25], s[24:25], 2
	s_delay_alu instid0(SALU_CYCLE_1)
	s_add_u32 s18, s24, s18
	s_addc_u32 s19, s25, s19
	s_waitcnt lgkmcnt(0)
	s_add_u32 s16, s16, s18
	v_lshl_or_b32 v3, s21, 6, v1
	s_addc_u32 s17, s17, s19
	v_add_co_u32 v1, s16, s16, v1
	s_delay_alu instid0(VALU_DEP_1)
	v_add_co_ci_u32_e64 v2, null, s17, 0, s16
	s_lshl_b64 s[8:9], s[8:9], 2
.LBB20_6:                               ; =>This Inner Loop Header: Depth=1
	global_load_b32 v4, v[1:2], off
	v_add_co_u32 v1, vcc_lo, v1, s8
	v_add_co_ci_u32_e32 v2, vcc_lo, s9, v2, vcc_lo
	s_add_i32 s22, s22, -1
	s_delay_alu instid0(SALU_CYCLE_1)
	s_cmp_lg_u32 s22, 0
	s_waitcnt vmcnt(0)
	ds_store_b32 v3, v4
	v_add_nc_u32_e32 v3, 64, v3
	s_cbranch_scc1 .LBB20_6
.LBB20_7:
	s_cmpk_eq_i32 s6, 0x84
	s_cbranch_scc0 .LBB20_9
; %bb.8:
	v_mul_u32_u24_e32 v1, 17, v0
	s_delay_alu instid0(VALU_DEP_1)
	v_dual_mov_b32 v2, 1.0 :: v_dual_lshlrev_b32 v1, 2, v1
	ds_store_b32 v1, v2
.LBB20_9:
	s_or_b32 exec_lo, exec_lo, s15
	s_waitcnt lgkmcnt(0)
	s_load_b32 s6, s[0:1], 0x60
	s_lshl_b64 s[8:9], s[10:11], 2
	s_load_b32 s0, s[0:1], 0x48
	s_add_u32 s1, s2, s8
	s_addc_u32 s10, s3, s9
	s_lshl_b32 s11, s14, 4
	s_mov_b32 s23, 0
	s_sub_i32 s7, s7, s11
	s_waitcnt lgkmcnt(0)
	s_add_i32 s6, s6, -1
	s_delay_alu instid0(SALU_CYCLE_1) | instskip(SKIP_4) | instid1(SALU_CYCLE_1)
	s_cmp_ge_u32 s14, s6
	s_cselect_b32 s11, s7, 16
	s_ashr_i32 s15, s14, 31
	v_cmp_gt_i32_e32 vcc_lo, s11, v0
	s_lshl_b64 s[6:7], s[14:15], 6
	s_add_u32 s18, s1, s6
	s_addc_u32 s19, s10, s7
	s_cmp_gt_i32 s12, 0
	s_cselect_b32 s1, -1, 0
	s_delay_alu instid0(SALU_CYCLE_1) | instskip(NEXT) | instid1(SALU_CYCLE_1)
	s_and_b32 s21, vcc_lo, s1
	s_and_saveexec_b32 s22, s21
	s_cbranch_execz .LBB20_16
; %bb.10:
	s_ashr_i32 s1, s0, 31
	s_cmp_lt_u32 s12, 4
	s_cbranch_scc1 .LBB20_13
; %bb.11:
	v_lshlrev_b32_e32 v1, 2, v0
	v_lshl_or_b32 v3, v0, 2, 0x400
	s_and_b32 s23, s12, 0x7ffffffc
	s_mul_hi_i32 s24, s0, 12
	s_mul_i32 s25, s0, 12
	v_add_co_u32 v1, s10, s18, v1
	s_delay_alu instid0(VALU_DEP_1)
	v_add_co_ci_u32_e64 v2, null, s19, 0, s10
	s_lshl_b64 s[10:11], s[0:1], 4
	s_lshl_b64 s[14:15], s[0:1], 3
	;; [unrolled: 1-line block ×3, first 2 shown]
	s_mov_b32 s26, 0
	s_set_inst_prefetch_distance 0x1
	.p2align	6
.LBB20_12:                              ; =>This Inner Loop Header: Depth=1
	v_add_co_u32 v4, vcc_lo, v1, s16
	v_add_co_ci_u32_e32 v5, vcc_lo, s17, v2, vcc_lo
	v_add_co_u32 v6, vcc_lo, v1, s14
	v_add_co_ci_u32_e32 v7, vcc_lo, s15, v2, vcc_lo
	;; [unrolled: 2-line block ×3, first 2 shown]
	s_clause 0x3
	global_load_b32 v10, v[1:2], off
	global_load_b32 v4, v[4:5], off
	;; [unrolled: 1-line block ×4, first 2 shown]
	v_add_co_u32 v1, vcc_lo, v1, s10
	v_add_co_ci_u32_e32 v2, vcc_lo, s11, v2, vcc_lo
	s_add_i32 s26, s26, 4
	s_delay_alu instid0(SALU_CYCLE_1)
	s_cmp_lg_u32 s23, s26
	s_waitcnt vmcnt(2)
	v_dual_mul_f32 v7, s13, v10 :: v_dual_mul_f32 v4, s13, v4
	s_waitcnt vmcnt(0)
	v_dual_mul_f32 v5, s13, v5 :: v_dual_mul_f32 v6, s13, v6
	ds_store_2addr_b32 v3, v7, v4 offset1:16
	ds_store_2addr_b32 v3, v5, v6 offset0:32 offset1:48
	v_add_nc_u32_e32 v3, 0x100, v3
	s_cbranch_scc1 .LBB20_12
.LBB20_13:
	s_set_inst_prefetch_distance 0x2
	s_and_b32 s14, s12, 3
	s_delay_alu instid0(SALU_CYCLE_1)
	s_cmp_eq_u32 s14, 0
	s_cbranch_scc1 .LBB20_16
; %bb.14:
	s_mul_hi_i32 s11, s0, s23
	s_mul_i32 s10, s0, s23
	v_lshlrev_b32_e32 v1, 2, v0
	s_lshl_b64 s[10:11], s[10:11], 2
	s_delay_alu instid0(SALU_CYCLE_1)
	s_add_u32 s10, s10, s6
	s_addc_u32 s11, s11, s7
	s_add_u32 s10, s10, s8
	v_lshl_or_b32 v2, s23, 6, v1
	s_addc_u32 s11, s11, s9
	s_add_u32 s10, s2, s10
	s_addc_u32 s11, s3, s11
	v_add_co_u32 v1, s10, s10, v1
	v_add_nc_u32_e32 v3, 0x400, v2
	v_add_co_ci_u32_e64 v2, null, s11, 0, s10
	s_lshl_b64 s[10:11], s[0:1], 2
.LBB20_15:                              ; =>This Inner Loop Header: Depth=1
	global_load_b32 v4, v[1:2], off
	v_add_co_u32 v1, vcc_lo, v1, s10
	v_add_co_ci_u32_e32 v2, vcc_lo, s11, v2, vcc_lo
	s_add_i32 s14, s14, -1
	s_delay_alu instid0(SALU_CYCLE_1)
	s_cmp_lg_u32 s14, 0
	s_waitcnt vmcnt(0)
	v_mul_f32_e32 v4, s13, v4
	ds_store_b32 v3, v4
	v_add_nc_u32_e32 v3, 64, v3
	s_cbranch_scc1 .LBB20_15
.LBB20_16:
	s_or_b32 exec_lo, exec_lo, s22
	s_cmpk_eq_i32 s5, 0x6f
	s_waitcnt lgkmcnt(0)
	s_cselect_b32 s1, -1, 0
	s_cmpk_eq_i32 s4, 0x79
	; wave barrier
	buffer_gl0_inv
	s_cselect_b32 s10, -1, 0
	s_cmpk_lg_i32 s4, 0x79
	s_cselect_b32 s5, -1, 0
	s_and_b32 s10, s10, s1
	s_delay_alu instid0(SALU_CYCLE_1)
	s_and_not1_b32 vcc_lo, exec_lo, s10
	s_mov_b32 s10, -1
	s_cbranch_vccz .LBB20_80
; %bb.17:
	s_cmpk_lg_i32 s4, 0x7a
	s_cselect_b32 s4, -1, 0
	s_xor_b32 s1, s1, -1
	s_delay_alu instid0(SALU_CYCLE_1)
	s_or_b32 s4, s4, s1
	s_cmp_gt_i32 s12, 3
	s_cselect_b32 s1, -1, 0
	s_and_b32 vcc_lo, exec_lo, s4
	s_mov_b32 s4, -1
	s_cbranch_vccz .LBB20_59
; %bb.18:
	s_and_not1_b32 vcc_lo, exec_lo, s5
	s_cbranch_vccnz .LBB20_38
; %bb.19:
	s_and_not1_b32 vcc_lo, exec_lo, s1
	s_mov_b32 s10, 0
	s_cbranch_vccnz .LBB20_26
; %bb.20:
	v_lshl_or_b32 v3, v0, 2, 0x400
	s_mov_b32 s4, 0
	s_mov_b32 s5, 0
.LBB20_21:                              ; =>This Loop Header: Depth=1
                                        ;     Child Loop BB20_23 Depth 2
	s_delay_alu instid0(SALU_CYCLE_1)
	s_lshl_b32 s11, s5, 4
	s_lshl_b32 s13, s5, 6
	s_or_b32 s10, s11, 16
	v_or_b32_e32 v1, s11, v0
	v_or_b32_e32 v2, s10, v0
	v_lshl_or_b32 v7, v0, 2, s13
	s_cmp_eq_u32 s5, 0
	s_delay_alu instid0(VALU_DEP_3) | instskip(NEXT) | instid1(VALU_DEP_3)
	v_lshlrev_b32_e32 v4, 2, v1
	v_lshlrev_b32_e32 v5, 2, v2
	s_delay_alu instid0(VALU_DEP_3)
	v_add_nc_u32_e32 v1, 0x400, v7
	ds_load_b32 v9, v4 offset:1024
	ds_load_b32 v8, v5 offset:1024
	ds_load_2addr_b32 v[1:2], v1 offset0:32 offset1:48
	s_cbranch_scc1 .LBB20_24
; %bb.22:                               ;   in Loop: Header=BB20_21 Depth=1
	v_mov_b32_e32 v6, v3
	s_mov_b32 s11, 0
	s_mov_b32 s13, s4
.LBB20_23:                              ;   Parent Loop BB20_21 Depth=1
                                        ; =>  This Inner Loop Header: Depth=2
	s_delay_alu instid0(SALU_CYCLE_1)
	v_mov_b32_e32 v22, s13
	s_add_i32 s11, s11, 4
	s_addk_i32 s13, 0x100
	s_cmp_ge_u32 s11, s5
	ds_load_2addr_b32 v[26:27], v6 offset1:16
	ds_load_b128 v[10:13], v22
	ds_load_b128 v[14:17], v22 offset:64
	ds_load_2addr_b32 v[28:29], v6 offset0:32 offset1:48
	ds_load_b128 v[18:21], v22 offset:128
	ds_load_b128 v[22:25], v22 offset:192
	v_add_nc_u32_e32 v6, 0x100, v6
	s_waitcnt lgkmcnt(4)
	v_fma_f32 v9, -v26, v10, v9
	v_fma_f32 v8, -v26, v11, v8
	v_fma_f32 v1, -v26, v12, v1
	v_fma_f32 v2, -v26, v13, v2
	s_waitcnt lgkmcnt(3)
	v_fma_f32 v9, -v27, v14, v9
	v_fma_f32 v8, -v27, v15, v8
	v_fma_f32 v1, -v27, v16, v1
	v_fma_f32 v2, -v27, v17, v2
	s_waitcnt lgkmcnt(1)
	v_fma_f32 v9, -v28, v18, v9
	v_fma_f32 v8, -v28, v19, v8
	v_fma_f32 v1, -v28, v20, v1
	v_fma_f32 v2, -v28, v21, v2
	s_waitcnt lgkmcnt(0)
	v_fma_f32 v9, -v29, v22, v9
	v_fma_f32 v8, -v29, v23, v8
	v_fma_f32 v1, -v29, v24, v1
	v_fma_f32 v2, -v29, v25, v2
	s_cbranch_scc0 .LBB20_23
.LBB20_24:                              ;   in Loop: Header=BB20_21 Depth=1
	s_mul_i32 s11, s5, 0x44
	s_delay_alu instid0(SALU_CYCLE_1)
	v_dual_mov_b32 v16, s11 :: v_dual_add_nc_u32 v5, 0x400, v5
	s_add_i32 s10, s10, s5
	s_add_i32 s4, s4, 16
	s_lshl_b32 s10, s10, 2
	ds_load_b128 v[10:13], v16
	ds_load_2addr_b32 v[14:15], v16 offset0:17 offset1:18
	s_waitcnt lgkmcnt(1)
	v_div_scale_f32 v17, null, v10, v10, v9
	v_div_scale_f32 v20, vcc_lo, v9, v10, v9
	s_delay_alu instid0(VALU_DEP_2) | instskip(SKIP_2) | instid1(VALU_DEP_1)
	v_rcp_f32_e32 v18, v17
	s_waitcnt_depctr 0xfff
	v_fma_f32 v19, -v17, v18, 1.0
	v_fmac_f32_e32 v18, v19, v18
	s_delay_alu instid0(VALU_DEP_1) | instskip(NEXT) | instid1(VALU_DEP_1)
	v_dual_mul_f32 v19, v20, v18 :: v_dual_add_nc_u32 v4, 0x400, v4
	v_fma_f32 v21, -v17, v19, v20
	s_delay_alu instid0(VALU_DEP_1) | instskip(NEXT) | instid1(VALU_DEP_1)
	v_dual_fmac_f32 v19, v21, v18 :: v_dual_add_nc_u32 v6, 0x480, v7
	v_fma_f32 v17, -v17, v19, v20
	s_delay_alu instid0(VALU_DEP_1) | instskip(NEXT) | instid1(VALU_DEP_1)
	v_div_fmas_f32 v17, v17, v18, v19
	v_div_fixup_f32 v10, v17, v10, v9
	s_delay_alu instid0(VALU_DEP_1)
	v_fma_f32 v11, -v10, v11, v8
	v_fma_f32 v1, -v10, v12, v1
	;; [unrolled: 1-line block ×3, first 2 shown]
	ds_load_b32 v12, v16 offset:204
	s_waitcnt lgkmcnt(1)
	v_div_scale_f32 v17, null, v14, v14, v11
	v_div_scale_f32 v19, vcc_lo, v11, v14, v11
	s_delay_alu instid0(VALU_DEP_2) | instskip(SKIP_2) | instid1(VALU_DEP_1)
	v_rcp_f32_e32 v18, v17
	s_waitcnt_depctr 0xfff
	v_fma_f32 v8, -v17, v18, 1.0
	v_dual_fmac_f32 v18, v8, v18 :: v_dual_add_nc_u32 v7, 0x4c0, v7
	s_delay_alu instid0(VALU_DEP_1) | instskip(NEXT) | instid1(VALU_DEP_1)
	v_mul_f32_e32 v20, v19, v18
	v_fma_f32 v8, -v17, v20, v19
	s_delay_alu instid0(VALU_DEP_1) | instskip(SKIP_2) | instid1(VALU_DEP_1)
	v_fmac_f32_e32 v20, v8, v18
	ds_load_b64 v[8:9], v16 offset:136
	v_fma_f32 v17, -v17, v20, v19
	v_div_fmas_f32 v17, v17, v18, v20
	s_delay_alu instid0(VALU_DEP_1) | instskip(NEXT) | instid1(VALU_DEP_1)
	v_div_fixup_f32 v11, v17, v14, v11
	v_fma_f32 v1, -v11, v15, v1
	s_waitcnt lgkmcnt(0)
	s_delay_alu instid0(VALU_DEP_1) | instskip(SKIP_1) | instid1(VALU_DEP_2)
	v_div_scale_f32 v14, null, v8, v8, v1
	v_div_scale_f32 v17, vcc_lo, v1, v8, v1
	v_rcp_f32_e32 v15, v14
	s_waitcnt_depctr 0xfff
	v_fma_f32 v16, -v14, v15, 1.0
	s_delay_alu instid0(VALU_DEP_1) | instskip(SKIP_2) | instid1(SALU_CYCLE_1)
	v_dual_fmac_f32 v15, v16, v15 :: v_dual_mov_b32 v16, s10
	s_add_i32 s10, s5, 4
	s_add_i32 s5, s5, 7
	s_cmp_ge_i32 s5, s20
	s_delay_alu instid0(VALU_DEP_1) | instskip(SKIP_2) | instid1(VALU_DEP_1)
	v_mul_f32_e32 v18, v17, v15
	ds_load_b32 v16, v16 offset:12
	v_fma_f32 v19, -v14, v18, v17
	v_fmac_f32_e32 v18, v19, v15
	s_delay_alu instid0(VALU_DEP_1) | instskip(NEXT) | instid1(VALU_DEP_1)
	v_fma_f32 v14, -v14, v18, v17
	v_div_fmas_f32 v13, v14, v15, v18
	s_waitcnt lgkmcnt(0)
	v_fma_f32 v2, -v11, v16, v2
	s_delay_alu instid0(VALU_DEP_2) | instskip(NEXT) | instid1(VALU_DEP_1)
	v_div_fixup_f32 v1, v13, v8, v1
	v_fma_f32 v2, -v1, v9, v2
	s_delay_alu instid0(VALU_DEP_1) | instskip(SKIP_1) | instid1(VALU_DEP_2)
	v_div_scale_f32 v8, null, v12, v12, v2
	v_div_scale_f32 v14, vcc_lo, v2, v12, v2
	v_rcp_f32_e32 v9, v8
	s_waitcnt_depctr 0xfff
	v_fma_f32 v13, -v8, v9, 1.0
	s_delay_alu instid0(VALU_DEP_1) | instskip(NEXT) | instid1(VALU_DEP_1)
	v_fmac_f32_e32 v9, v13, v9
	v_mul_f32_e32 v13, v14, v9
	s_delay_alu instid0(VALU_DEP_1) | instskip(NEXT) | instid1(VALU_DEP_1)
	v_fma_f32 v15, -v8, v13, v14
	v_fmac_f32_e32 v13, v15, v9
	s_delay_alu instid0(VALU_DEP_1) | instskip(NEXT) | instid1(VALU_DEP_1)
	v_fma_f32 v8, -v8, v13, v14
	v_div_fmas_f32 v8, v8, v9, v13
	s_delay_alu instid0(VALU_DEP_1)
	v_div_fixup_f32 v2, v8, v12, v2
	ds_store_b32 v4, v10
	ds_store_b32 v5, v11
	;; [unrolled: 1-line block ×4, first 2 shown]
	s_cbranch_scc1 .LBB20_26
; %bb.25:                               ;   in Loop: Header=BB20_21 Depth=1
	s_mov_b32 s5, s10
	s_branch .LBB20_21
.LBB20_26:
	s_cmp_ge_i32 s10, s20
	s_cbranch_scc1 .LBB20_37
; %bb.27:
	v_lshl_or_b32 v1, v0, 2, 0x400
	v_lshlrev_b32_e32 v2, 2, v0
	s_add_i32 s4, s10, -1
	s_lshl_b32 s5, s10, 2
	s_mov_b32 s11, 0
	s_mov_b32 s13, s10
	s_branch .LBB20_29
.LBB20_28:                              ;   in Loop: Header=BB20_29 Depth=1
	s_mul_i32 s14, s10, 0x44
	s_delay_alu instid0(SALU_CYCLE_1)
	v_dual_mov_b32 v5, s14 :: v_dual_add_nc_u32 v4, 0x400, v4
	s_add_i32 s10, s10, 1
	s_add_i32 s11, s11, 1
	;; [unrolled: 1-line block ×3, first 2 shown]
	s_cmp_ge_i32 s10, s20
	ds_load_b32 v5, v5
	s_waitcnt lgkmcnt(0)
	v_div_scale_f32 v6, null, v5, v5, v3
	v_div_scale_f32 v9, vcc_lo, v3, v5, v3
	s_delay_alu instid0(VALU_DEP_2) | instskip(SKIP_2) | instid1(VALU_DEP_1)
	v_rcp_f32_e32 v7, v6
	s_waitcnt_depctr 0xfff
	v_fma_f32 v8, -v6, v7, 1.0
	v_fmac_f32_e32 v7, v8, v7
	s_delay_alu instid0(VALU_DEP_1) | instskip(NEXT) | instid1(VALU_DEP_1)
	v_mul_f32_e32 v8, v9, v7
	v_fma_f32 v10, -v6, v8, v9
	s_delay_alu instid0(VALU_DEP_1) | instskip(NEXT) | instid1(VALU_DEP_1)
	v_fmac_f32_e32 v8, v10, v7
	v_fma_f32 v6, -v6, v8, v9
	s_delay_alu instid0(VALU_DEP_1) | instskip(SKIP_1) | instid1(VALU_DEP_2)
	v_div_fmas_f32 v6, v6, v7, v8
	v_add_nc_u16 v7, s13, 1
	v_div_fixup_f32 v3, v6, v5, v3
	s_delay_alu instid0(VALU_DEP_2)
	v_readfirstlane_b32 s13, v7
	ds_store_b32 v4, v3
	s_cbranch_scc1 .LBB20_37
.LBB20_29:                              ; =>This Loop Header: Depth=1
                                        ;     Child Loop BB20_32 Depth 2
                                        ;     Child Loop BB20_36 Depth 2
	v_lshl_or_b32 v4, s10, 6, v2
	s_cmp_eq_u32 s10, 0
	ds_load_b32 v3, v4 offset:1024
	s_cbranch_scc1 .LBB20_28
; %bb.30:                               ;   in Loop: Header=BB20_29 Depth=1
	s_add_i32 s14, s4, s11
	s_delay_alu instid0(SALU_CYCLE_1)
	s_cmp_lt_u32 s14, 7
	s_cbranch_scc1 .LBB20_34
; %bb.31:                               ;   in Loop: Header=BB20_29 Depth=1
	v_mov_b32_e32 v5, v1
	s_and_b32 s14, s10, -8
	s_mov_b32 s15, 0
	s_mov_b32 s16, s5
	s_set_inst_prefetch_distance 0x1
	.p2align	6
.LBB20_32:                              ;   Parent Loop BB20_29 Depth=1
                                        ; =>  This Inner Loop Header: Depth=2
	v_mov_b32_e32 v18, s16
	s_add_i32 s15, s15, 8
	s_addk_i32 s16, 0x200
	s_cmp_eq_u32 s14, s15
	ds_load_2addr_b32 v[6:7], v5 offset1:16
	ds_load_2addr_b32 v[8:9], v18 offset1:16
	ds_load_2addr_b32 v[10:11], v5 offset0:32 offset1:48
	ds_load_2addr_b32 v[12:13], v18 offset0:32 offset1:48
	;; [unrolled: 1-line block ×4, first 2 shown]
	s_waitcnt lgkmcnt(4)
	v_fma_f32 v3, -v6, v8, v3
	s_delay_alu instid0(VALU_DEP_1)
	v_fma_f32 v3, -v7, v9, v3
	ds_load_2addr_b32 v[6:7], v5 offset0:96 offset1:112
	ds_load_2addr_b32 v[8:9], v18 offset0:96 offset1:112
	v_add_nc_u32_e32 v5, 0x200, v5
	s_waitcnt lgkmcnt(4)
	v_fma_f32 v3, -v10, v12, v3
	s_delay_alu instid0(VALU_DEP_1) | instskip(SKIP_1) | instid1(VALU_DEP_1)
	v_fma_f32 v3, -v11, v13, v3
	s_waitcnt lgkmcnt(2)
	v_fma_f32 v3, -v14, v16, v3
	s_delay_alu instid0(VALU_DEP_1) | instskip(SKIP_1) | instid1(VALU_DEP_1)
	v_fma_f32 v3, -v15, v17, v3
	s_waitcnt lgkmcnt(0)
	v_fma_f32 v3, -v6, v8, v3
	s_delay_alu instid0(VALU_DEP_1)
	v_fma_f32 v3, -v7, v9, v3
	s_cbranch_scc0 .LBB20_32
; %bb.33:                               ;   in Loop: Header=BB20_29 Depth=1
	s_set_inst_prefetch_distance 0x2
	s_and_b32 s15, s10, 7
	s_delay_alu instid0(SALU_CYCLE_1)
	s_cmp_eq_u32 s15, 0
	s_cbranch_scc0 .LBB20_35
	s_branch .LBB20_28
.LBB20_34:                              ;   in Loop: Header=BB20_29 Depth=1
	s_mov_b32 s14, 0
	s_and_b32 s15, s10, 7
	s_delay_alu instid0(SALU_CYCLE_1)
	s_cmp_eq_u32 s15, 0
	s_cbranch_scc1 .LBB20_28
.LBB20_35:                              ;   in Loop: Header=BB20_29 Depth=1
	s_and_b32 s15, s13, 7
	s_lshl_b32 s14, s14, 6
.LBB20_36:                              ;   Parent Loop BB20_29 Depth=1
                                        ; =>  This Inner Loop Header: Depth=2
	s_delay_alu instid0(SALU_CYCLE_1) | instskip(NEXT) | instid1(SALU_CYCLE_1)
	s_add_i32 s16, s5, s14
	v_dual_mov_b32 v6, s16 :: v_dual_add_nc_u32 v5, s14, v1
	s_add_i32 s15, s15, -1
	s_add_i32 s14, s14, 64
	s_cmp_lg_u32 s15, 0
	ds_load_b32 v5, v5
	ds_load_b32 v6, v6
	s_waitcnt lgkmcnt(0)
	v_fma_f32 v3, -v5, v6, v3
	s_cbranch_scc1 .LBB20_36
	s_branch .LBB20_28
.LBB20_37:
	s_mov_b32 s4, 0
.LBB20_38:
	s_delay_alu instid0(SALU_CYCLE_1)
	s_and_b32 vcc_lo, exec_lo, s4
	s_cbranch_vccz .LBB20_58
; %bb.39:
	s_and_not1_b32 vcc_lo, exec_lo, s1
	s_mov_b32 s10, s28
	s_cbranch_vccnz .LBB20_45
; %bb.40:
	v_lshlrev_b32_e32 v1, 2, v0
	s_mul_i32 s4, s20, 0x44
	s_mov_b32 s5, s28
	s_addk_i32 s4, 0xfef0
	s_delay_alu instid0(VALU_DEP_1) | instskip(NEXT) | instid1(VALU_DEP_1)
	v_lshl_or_b32 v2, s20, 6, v1
	v_add_nc_u32_e32 v2, 0x300, v2
.LBB20_41:                              ; =>This Loop Header: Depth=1
                                        ;     Child Loop BB20_42 Depth 2
	s_add_i32 s15, s5, -1
	s_lshl_b32 s13, s5, 4
	s_lshl_b32 s14, s15, 4
	v_or_b32_e32 v3, s13, v0
	s_sub_i32 s10, s13, 32
	v_or_b32_e32 v4, s14, v0
	v_or_b32_e32 v5, s10, v0
	s_add_i32 s11, s5, -3
	v_lshlrev_b32_e32 v7, 2, v3
	v_lshl_or_b32 v10, s11, 6, v1
	v_dual_mov_b32 v11, v2 :: v_dual_lshlrev_b32 v8, 2, v4
	v_lshlrev_b32_e32 v9, 2, v5
	ds_load_b32 v6, v7 offset:1024
	ds_load_b32 v5, v8 offset:1024
	;; [unrolled: 1-line block ×4, first 2 shown]
	s_cmp_le_i32 s28, s5
	s_mov_b32 s16, s4
	s_mov_b32 s17, s28
	s_cbranch_scc1 .LBB20_43
.LBB20_42:                              ;   Parent Loop BB20_41 Depth=1
                                        ; =>  This Inner Loop Header: Depth=2
	v_mov_b32_e32 v30, s16
	s_add_i32 s17, s17, -4
	s_addk_i32 s16, 0xff00
	s_cmp_le_i32 s17, s5
	ds_load_2addr_b32 v[12:13], v11 offset0:32 offset1:48
	ds_load_2addr_b32 v[14:15], v30 offset0:50 offset1:51
	;; [unrolled: 1-line block ×5, first 2 shown]
	ds_load_2addr_b32 v[22:23], v11 offset1:16
	ds_load_2addr_b32 v[24:25], v30 offset0:18 offset1:19
	ds_load_2addr_b32 v[26:27], v30 offset0:16 offset1:17
	;; [unrolled: 1-line block ×3, first 2 shown]
	ds_load_2addr_b32 v[30:31], v30 offset1:1
	v_add_nc_u32_e32 v11, 0xffffff00, v11
	s_waitcnt lgkmcnt(8)
	v_fma_f32 v6, -v13, v15, v6
	v_fma_f32 v5, -v13, v14, v5
	s_waitcnt lgkmcnt(7)
	v_fma_f32 v4, -v13, v17, v4
	v_fma_f32 v3, -v13, v16, v3
	;; [unrolled: 3-line block ×8, first 2 shown]
	s_cbranch_scc0 .LBB20_42
.LBB20_43:                              ;   in Loop: Header=BB20_41 Depth=1
	s_add_i32 s15, s13, s15
	s_add_i32 s14, s14, s11
	s_lshl_b32 s15, s15, 2
	s_delay_alu instid0(SALU_CYCLE_1)
	v_dual_mov_b32 v11, s15 :: v_dual_add_nc_u32 v8, 0x400, v8
	s_mul_i32 s15, s5, 0x44
	s_lshl_b32 s14, s14, 2
	s_add_i32 s13, s13, s11
	s_add_i32 s16, s15, 0xffffffbc
	ds_load_2addr_b32 v[11:12], v11 offset1:1
	s_lshl_b32 s13, s13, 2
	v_dual_mov_b32 v13, s16 :: v_dual_add_nc_u32 v10, 0x400, v10
	v_dual_mov_b32 v14, s13 :: v_dual_add_nc_u32 v7, 0x400, v7
	s_add_i32 s10, s10, s11
	s_add_i32 s4, s4, -16
	s_lshl_b32 s10, s10, 2
	s_waitcnt lgkmcnt(0)
	v_div_scale_f32 v18, null, v12, v12, v6
	v_div_scale_f32 v21, vcc_lo, v6, v12, v6
	s_delay_alu instid0(VALU_DEP_2) | instskip(SKIP_2) | instid1(VALU_DEP_1)
	v_rcp_f32_e32 v19, v18
	s_waitcnt_depctr 0xfff
	v_fma_f32 v20, -v18, v19, 1.0
	v_fmac_f32_e32 v19, v20, v19
	s_delay_alu instid0(VALU_DEP_1) | instskip(NEXT) | instid1(VALU_DEP_1)
	v_dual_mul_f32 v20, v21, v19 :: v_dual_add_nc_u32 v9, 0x400, v9
	v_fma_f32 v22, -v18, v20, v21
	s_delay_alu instid0(VALU_DEP_1) | instskip(SKIP_4) | instid1(VALU_DEP_1)
	v_dual_mov_b32 v15, s14 :: v_dual_fmac_f32 v20, v22, v19
	ds_load_b32 v17, v13
	ds_load_2addr_b32 v[13:14], v14 offset1:1
	ds_load_2addr_b32 v[15:16], v15 offset1:1
	v_fma_f32 v18, -v18, v20, v21
	v_div_fmas_f32 v18, v18, v19, v20
	s_delay_alu instid0(VALU_DEP_1) | instskip(NEXT) | instid1(VALU_DEP_1)
	v_div_fixup_f32 v12, v18, v12, v6
	v_fma_f32 v11, -v12, v11, v5
	s_waitcnt lgkmcnt(1)
	v_fma_f32 v4, -v12, v14, v4
	v_fma_f32 v3, -v12, v13, v3
	s_delay_alu instid0(VALU_DEP_3) | instskip(SKIP_1) | instid1(VALU_DEP_2)
	v_div_scale_f32 v5, null, v17, v17, v11
	v_div_scale_f32 v19, vcc_lo, v11, v17, v11
	v_rcp_f32_e32 v18, v5
	s_waitcnt_depctr 0xfff
	v_fma_f32 v6, -v5, v18, 1.0
	s_delay_alu instid0(VALU_DEP_1) | instskip(NEXT) | instid1(VALU_DEP_1)
	v_fmac_f32_e32 v18, v6, v18
	v_mul_f32_e32 v20, v19, v18
	s_delay_alu instid0(VALU_DEP_1) | instskip(NEXT) | instid1(VALU_DEP_1)
	v_fma_f32 v6, -v5, v20, v19
	v_fmac_f32_e32 v20, v6, v18
	v_mov_b32_e32 v6, s10
	s_add_i32 s10, s15, 0xffffff34
	s_delay_alu instid0(SALU_CYCLE_1) | instskip(NEXT) | instid1(VALU_DEP_3)
	v_mov_b32_e32 v14, s10
	v_fma_f32 v19, -v5, v20, v19
	ds_load_2addr_b32 v[5:6], v6 offset1:1
	s_add_i32 s10, s5, -4
	s_cmp_lt_i32 s5, 7
	ds_load_b32 v14, v14
	v_div_fmas_f32 v18, v19, v18, v20
	s_delay_alu instid0(VALU_DEP_1) | instskip(SKIP_1) | instid1(VALU_DEP_1)
	v_div_fixup_f32 v11, v18, v17, v11
	s_waitcnt lgkmcnt(2)
	v_fma_f32 v4, -v11, v16, v4
	v_fma_f32 v3, -v11, v15, v3
	s_waitcnt lgkmcnt(1)
	s_delay_alu instid0(VALU_DEP_2) | instskip(SKIP_1) | instid1(VALU_DEP_2)
	v_div_scale_f32 v16, null, v6, v6, v4
	v_div_scale_f32 v19, vcc_lo, v4, v6, v4
	v_rcp_f32_e32 v17, v16
	s_waitcnt_depctr 0xfff
	v_fma_f32 v18, -v16, v17, 1.0
	s_delay_alu instid0(VALU_DEP_1) | instskip(NEXT) | instid1(VALU_DEP_1)
	v_fmac_f32_e32 v17, v18, v17
	v_mul_f32_e32 v18, v19, v17
	s_delay_alu instid0(VALU_DEP_1) | instskip(NEXT) | instid1(VALU_DEP_1)
	v_fma_f32 v20, -v16, v18, v19
	v_fmac_f32_e32 v18, v20, v17
	s_delay_alu instid0(VALU_DEP_1) | instskip(NEXT) | instid1(VALU_DEP_1)
	v_fma_f32 v16, -v16, v18, v19
	v_div_fmas_f32 v13, v16, v17, v18
	s_delay_alu instid0(VALU_DEP_1) | instskip(NEXT) | instid1(VALU_DEP_1)
	v_div_fixup_f32 v4, v13, v6, v4
	v_fma_f32 v3, -v4, v5, v3
	s_waitcnt lgkmcnt(0)
	s_delay_alu instid0(VALU_DEP_1) | instskip(SKIP_1) | instid1(VALU_DEP_2)
	v_div_scale_f32 v5, null, v14, v14, v3
	v_div_scale_f32 v15, vcc_lo, v3, v14, v3
	v_rcp_f32_e32 v6, v5
	s_waitcnt_depctr 0xfff
	v_fma_f32 v13, -v5, v6, 1.0
	s_delay_alu instid0(VALU_DEP_1) | instskip(NEXT) | instid1(VALU_DEP_1)
	v_fmac_f32_e32 v6, v13, v6
	v_mul_f32_e32 v13, v15, v6
	s_delay_alu instid0(VALU_DEP_1) | instskip(NEXT) | instid1(VALU_DEP_1)
	v_fma_f32 v16, -v5, v13, v15
	v_fmac_f32_e32 v13, v16, v6
	s_delay_alu instid0(VALU_DEP_1) | instskip(NEXT) | instid1(VALU_DEP_1)
	v_fma_f32 v5, -v5, v13, v15
	v_div_fmas_f32 v5, v5, v6, v13
	s_delay_alu instid0(VALU_DEP_1)
	v_div_fixup_f32 v3, v5, v14, v3
	ds_store_b32 v7, v12
	ds_store_b32 v8, v11
	;; [unrolled: 1-line block ×4, first 2 shown]
	s_cbranch_scc1 .LBB20_45
; %bb.44:                               ;   in Loop: Header=BB20_41 Depth=1
	s_mov_b32 s5, s10
	s_branch .LBB20_41
.LBB20_45:
	s_cmp_lt_i32 s10, 0
	s_cbranch_scc1 .LBB20_58
; %bb.46:
	s_bitcmp1_b32 s10, 0
	s_cselect_b32 s4, -1, 0
	s_delay_alu instid0(SALU_CYCLE_1)
	s_and_b32 vcc_lo, exec_lo, s4
	s_mov_b32 s4, s10
	s_cbranch_vccnz .LBB20_51
; %bb.47:
	v_lshlrev_b32_e32 v1, 2, v0
	s_cmp_le_i32 s28, s10
	s_delay_alu instid0(VALU_DEP_1)
	v_lshl_or_b32 v2, s10, 6, v1
	ds_load_b32 v1, v2 offset:1024
	s_cbranch_scc1 .LBB20_50
; %bb.48:
	s_lshl_b32 s4, s20, 6
	s_lshl_b32 s5, s10, 2
	v_lshl_or_b32 v3, v0, 2, s4
	s_add_i32 s4, s4, s5
	s_mov_b32 s5, s28
	s_sub_i32 s4, s4, 64
	s_delay_alu instid0(VALU_DEP_1)
	v_add_nc_u32_e32 v3, 0x3c0, v3
.LBB20_49:                              ; =>This Inner Loop Header: Depth=1
	v_mov_b32_e32 v4, s4
	s_add_i32 s5, s5, -1
	s_sub_i32 s4, s4, 64
	s_cmp_gt_i32 s5, s10
	ds_load_b32 v5, v3
	ds_load_b32 v4, v4
	v_subrev_nc_u32_e32 v3, 64, v3
	s_waitcnt lgkmcnt(0)
	v_fma_f32 v1, -v5, v4, v1
	s_cbranch_scc1 .LBB20_49
.LBB20_50:
	s_mul_i32 s4, s10, 0x44
	s_delay_alu instid0(SALU_CYCLE_1) | instskip(SKIP_4) | instid1(VALU_DEP_1)
	v_dual_mov_b32 v3, s4 :: v_dual_add_nc_u32 v2, 0x400, v2
	s_add_i32 s4, s10, -1
	ds_load_b32 v3, v3
	s_waitcnt lgkmcnt(0)
	v_div_scale_f32 v4, null, v3, v3, v1
	v_rcp_f32_e32 v5, v4
	s_waitcnt_depctr 0xfff
	v_fma_f32 v6, -v4, v5, 1.0
	s_delay_alu instid0(VALU_DEP_1) | instskip(SKIP_1) | instid1(VALU_DEP_1)
	v_fmac_f32_e32 v5, v6, v5
	v_div_scale_f32 v6, vcc_lo, v1, v3, v1
	v_mul_f32_e32 v7, v6, v5
	s_delay_alu instid0(VALU_DEP_1) | instskip(NEXT) | instid1(VALU_DEP_1)
	v_fma_f32 v8, -v4, v7, v6
	v_fmac_f32_e32 v7, v8, v5
	s_delay_alu instid0(VALU_DEP_1) | instskip(NEXT) | instid1(VALU_DEP_1)
	v_fma_f32 v4, -v4, v7, v6
	v_div_fmas_f32 v4, v4, v5, v7
	s_delay_alu instid0(VALU_DEP_1)
	v_div_fixup_f32 v1, v4, v3, v1
	ds_store_b32 v2, v1
.LBB20_51:
	s_cmp_eq_u32 s10, 0
	s_cbranch_scc1 .LBB20_58
; %bb.52:
	s_lshl_b32 s5, s20, 6
	s_lshl_b32 s10, s4, 2
	v_lshl_or_b32 v1, v0, 2, s5
	v_lshlrev_b32_e32 v2, 2, v0
	s_add_i32 s10, s5, s10
	s_delay_alu instid0(SALU_CYCLE_1) | instskip(NEXT) | instid1(VALU_DEP_2)
	s_sub_i32 s5, s10, 64
	v_add_nc_u32_e32 v1, 0x3c0, v1
	s_addk_i32 s10, 0xffbc
	s_branch .LBB20_54
.LBB20_53:                              ;   in Loop: Header=BB20_54 Depth=1
	s_addk_i32 s11, 0xffbc
	v_add_nc_u32_e32 v3, 0x400, v5
	v_mov_b32_e32 v5, s11
	s_add_i32 s11, s4, -2
	s_add_i32 s5, s5, -8
	;; [unrolled: 1-line block ×3, first 2 shown]
	s_cmp_lt_i32 s4, 2
	ds_load_b32 v5, v5
	s_mov_b32 s4, s11
	s_waitcnt lgkmcnt(0)
	v_div_scale_f32 v6, null, v5, v5, v4
	v_div_scale_f32 v9, vcc_lo, v4, v5, v4
	s_delay_alu instid0(VALU_DEP_2) | instskip(SKIP_2) | instid1(VALU_DEP_1)
	v_rcp_f32_e32 v7, v6
	s_waitcnt_depctr 0xfff
	v_fma_f32 v8, -v6, v7, 1.0
	v_fmac_f32_e32 v7, v8, v7
	s_delay_alu instid0(VALU_DEP_1) | instskip(NEXT) | instid1(VALU_DEP_1)
	v_mul_f32_e32 v8, v9, v7
	v_fma_f32 v10, -v6, v8, v9
	s_delay_alu instid0(VALU_DEP_1) | instskip(NEXT) | instid1(VALU_DEP_1)
	v_fmac_f32_e32 v8, v10, v7
	v_fma_f32 v6, -v6, v8, v9
	s_delay_alu instid0(VALU_DEP_1) | instskip(NEXT) | instid1(VALU_DEP_1)
	v_div_fmas_f32 v6, v6, v7, v8
	v_div_fixup_f32 v4, v6, v5, v4
	ds_store_b32 v3, v4
	s_cbranch_scc1 .LBB20_58
.LBB20_54:                              ; =>This Loop Header: Depth=1
                                        ;     Child Loop BB20_55 Depth 2
                                        ;     Child Loop BB20_57 Depth 2
	v_lshl_or_b32 v4, s4, 6, v2
	s_delay_alu instid0(VALU_DEP_2)
	v_mov_b32_e32 v5, v1
	s_cmp_le_i32 s28, s4
	s_mov_b32 s11, s5
	s_mov_b32 s13, s28
	ds_load_b32 v3, v4 offset:1024
	s_cbranch_scc1 .LBB20_56
.LBB20_55:                              ;   Parent Loop BB20_54 Depth=1
                                        ; =>  This Inner Loop Header: Depth=2
	v_mov_b32_e32 v6, s11
	s_add_i32 s13, s13, -1
	s_sub_i32 s11, s11, 64
	s_cmp_le_i32 s13, s4
	ds_load_b32 v7, v5
	ds_load_b32 v6, v6
	v_subrev_nc_u32_e32 v5, 64, v5
	s_waitcnt lgkmcnt(0)
	v_fma_f32 v3, -v7, v6, v3
	s_cbranch_scc0 .LBB20_55
.LBB20_56:                              ;   in Loop: Header=BB20_54 Depth=1
	s_mul_i32 s11, s4, 0x44
	v_add_nc_u32_e32 v6, 0x400, v4
	v_mov_b32_e32 v4, s11
	s_lshl_b32 s13, s4, 6
	s_mov_b32 s14, s20
	s_sub_i32 s13, s13, 64
	s_cmp_lt_i32 s28, s4
	ds_load_b32 v7, v4
	v_lshl_or_b32 v5, v0, 2, s13
	s_mov_b32 s13, s10
	ds_load_b32 v4, v5 offset:1024
	s_waitcnt lgkmcnt(1)
	v_div_scale_f32 v8, null, v7, v7, v3
	s_delay_alu instid0(VALU_DEP_1) | instskip(SKIP_2) | instid1(VALU_DEP_1)
	v_rcp_f32_e32 v9, v8
	s_waitcnt_depctr 0xfff
	v_fma_f32 v10, -v8, v9, 1.0
	v_fmac_f32_e32 v9, v10, v9
	v_div_scale_f32 v10, vcc_lo, v3, v7, v3
	s_delay_alu instid0(VALU_DEP_1) | instskip(NEXT) | instid1(VALU_DEP_1)
	v_mul_f32_e32 v11, v10, v9
	v_fma_f32 v12, -v8, v11, v10
	s_delay_alu instid0(VALU_DEP_1) | instskip(NEXT) | instid1(VALU_DEP_1)
	v_fmac_f32_e32 v11, v12, v9
	v_fma_f32 v8, -v8, v11, v10
	s_delay_alu instid0(VALU_DEP_1) | instskip(NEXT) | instid1(VALU_DEP_1)
	v_div_fmas_f32 v8, v8, v9, v11
	v_div_fixup_f32 v7, v8, v7, v3
	v_mov_b32_e32 v3, v1
	ds_store_b32 v6, v7
	s_cbranch_scc1 .LBB20_53
.LBB20_57:                              ;   Parent Loop BB20_54 Depth=1
                                        ; =>  This Inner Loop Header: Depth=2
	v_mov_b32_e32 v6, s13
	s_add_i32 s14, s14, -1
	s_sub_i32 s13, s13, 64
	s_cmp_gt_i32 s14, s4
	ds_load_b32 v7, v3
	ds_load_b32 v6, v6
	v_subrev_nc_u32_e32 v3, 64, v3
	s_waitcnt lgkmcnt(0)
	v_fma_f32 v4, -v7, v6, v4
	s_cbranch_scc1 .LBB20_57
	s_branch .LBB20_53
.LBB20_58:
	s_mov_b32 s4, 0
.LBB20_59:
	s_delay_alu instid0(SALU_CYCLE_1)
	s_and_not1_b32 vcc_lo, exec_lo, s4
	s_cbranch_vccnz .LBB20_79
; %bb.60:
	s_and_not1_b32 vcc_lo, exec_lo, s1
	s_mov_b32 s5, s28
	s_cbranch_vccnz .LBB20_66
; %bb.61:
	v_lshlrev_b32_e32 v1, 2, v0
	s_mul_i32 s1, s20, 0x44
	s_mov_b32 s4, s28
	s_addk_i32 s1, 0xfef0
	s_delay_alu instid0(VALU_DEP_1) | instskip(NEXT) | instid1(VALU_DEP_1)
	v_lshl_or_b32 v2, s20, 6, v1
	v_add_nc_u32_e32 v2, 0x300, v2
.LBB20_62:                              ; =>This Loop Header: Depth=1
                                        ;     Child Loop BB20_63 Depth 2
	s_lshl_b32 s5, s4, 4
	s_add_i32 s10, s4, -1
	v_or_b32_e32 v3, s5, v0
	s_sub_i32 s11, s5, 32
	s_sub_i32 s5, s5, 48
	v_or_b32_e32 v4, s11, v0
	v_or_b32_e32 v5, s5, v0
	v_lshlrev_b32_e32 v7, 2, v3
	v_lshl_or_b32 v8, s10, 6, v1
	v_mov_b32_e32 v11, v2
	v_lshlrev_b32_e32 v9, 2, v4
	v_lshlrev_b32_e32 v10, 2, v5
	ds_load_b32 v6, v7 offset:1024
	ds_load_b32 v5, v8 offset:1024
	;; [unrolled: 1-line block ×4, first 2 shown]
	s_cmp_le_i32 s28, s4
	s_mov_b32 s13, s1
	s_mov_b32 s14, s28
	s_cbranch_scc1 .LBB20_64
.LBB20_63:                              ;   Parent Loop BB20_62 Depth=1
                                        ; =>  This Inner Loop Header: Depth=2
	v_mov_b32_e32 v30, s13
	s_add_i32 s14, s14, -4
	s_add_i32 s13, s13, -16
	s_cmp_le_i32 s14, s4
	ds_load_2addr_b32 v[12:13], v11 offset0:32 offset1:48
	ds_load_2addr_b32 v[14:15], v30 offset0:50 offset1:51
	ds_load_2addr_b32 v[16:17], v30 offset0:34 offset1:35
	ds_load_2addr_b32 v[18:19], v30 offset0:18 offset1:19
	ds_load_2addr_b32 v[20:21], v30 offset0:2 offset1:3
	ds_load_2addr_b32 v[22:23], v11 offset1:16
	ds_load_2addr_b32 v[24:25], v30 offset0:48 offset1:49
	ds_load_2addr_b32 v[26:27], v30 offset0:32 offset1:33
	;; [unrolled: 1-line block ×3, first 2 shown]
	ds_load_2addr_b32 v[30:31], v30 offset1:1
	v_add_nc_u32_e32 v11, 0xffffff00, v11
	s_waitcnt lgkmcnt(8)
	v_fma_f32 v6, -v13, v15, v6
	s_waitcnt lgkmcnt(7)
	v_fma_f32 v5, -v13, v17, v5
	;; [unrolled: 2-line block ×4, first 2 shown]
	v_fma_f32 v6, -v12, v14, v6
	v_fma_f32 v5, -v12, v16, v5
	;; [unrolled: 1-line block ×3, first 2 shown]
	s_delay_alu instid0(VALU_DEP_4)
	v_fma_f32 v3, -v12, v20, v3
	s_waitcnt lgkmcnt(3)
	v_fma_f32 v6, -v23, v25, v6
	s_waitcnt lgkmcnt(2)
	;; [unrolled: 2-line block ×4, first 2 shown]
	v_fma_f32 v3, -v23, v31, v3
	v_fma_f32 v6, -v22, v24, v6
	;; [unrolled: 1-line block ×4, first 2 shown]
	s_delay_alu instid0(VALU_DEP_4)
	v_fma_f32 v3, -v22, v30, v3
	s_cbranch_scc0 .LBB20_63
.LBB20_64:                              ;   in Loop: Header=BB20_62 Depth=1
	s_mul_i32 s13, s4, 0x44
	s_delay_alu instid0(SALU_CYCLE_1)
	v_dual_mov_b32 v11, s13 :: v_dual_add_nc_u32 v8, 0x400, v8
	s_add_i32 s11, s11, s4
	s_add_i32 s14, s13, 0xffffffbc
	s_lshl_b32 s11, s11, 2
	v_add_nc_u32_e32 v10, 0x400, v10
	ds_load_b32 v15, v11
	v_mov_b32_e32 v11, s14
	s_add_i32 s15, s13, 0xffffff78
	v_mov_b32_e32 v13, s11
	v_dual_mov_b32 v14, s15 :: v_dual_add_nc_u32 v7, 0x400, v7
	ds_load_2addr_b32 v[11:12], v11 offset1:1
	ds_load_b32 v16, v13
	ds_load_2addr_b32 v[13:14], v14 offset1:1
	s_add_i32 s5, s5, s10
	s_addk_i32 s1, 0xff00
	s_lshl_b32 s5, s5, 2
	s_waitcnt lgkmcnt(3)
	v_div_scale_f32 v17, null, v15, v15, v6
	v_div_scale_f32 v20, vcc_lo, v6, v15, v6
	s_delay_alu instid0(VALU_DEP_2) | instskip(SKIP_2) | instid1(VALU_DEP_1)
	v_rcp_f32_e32 v18, v17
	s_waitcnt_depctr 0xfff
	v_fma_f32 v19, -v17, v18, 1.0
	v_dual_fmac_f32 v18, v19, v18 :: v_dual_add_nc_u32 v9, 0x400, v9
	s_delay_alu instid0(VALU_DEP_1) | instskip(NEXT) | instid1(VALU_DEP_1)
	v_mul_f32_e32 v19, v20, v18
	v_fma_f32 v21, -v17, v19, v20
	s_delay_alu instid0(VALU_DEP_1) | instskip(NEXT) | instid1(VALU_DEP_1)
	v_fmac_f32_e32 v19, v21, v18
	v_fma_f32 v17, -v17, v19, v20
	s_delay_alu instid0(VALU_DEP_1) | instskip(NEXT) | instid1(VALU_DEP_1)
	v_div_fmas_f32 v17, v17, v18, v19
	v_div_fixup_f32 v6, v17, v15, v6
	s_waitcnt lgkmcnt(2)
	s_delay_alu instid0(VALU_DEP_1) | instskip(SKIP_2) | instid1(VALU_DEP_2)
	v_fma_f32 v5, -v6, v12, v5
	s_waitcnt lgkmcnt(1)
	v_fma_f32 v4, -v6, v16, v4
	v_div_scale_f32 v12, null, v11, v11, v5
	v_div_scale_f32 v18, vcc_lo, v5, v11, v5
	s_delay_alu instid0(VALU_DEP_2) | instskip(SKIP_2) | instid1(VALU_DEP_1)
	v_rcp_f32_e32 v15, v12
	s_waitcnt_depctr 0xfff
	v_fma_f32 v17, -v12, v15, 1.0
	v_fmac_f32_e32 v15, v17, v15
	s_delay_alu instid0(VALU_DEP_1) | instskip(NEXT) | instid1(VALU_DEP_1)
	v_mul_f32_e32 v17, v18, v15
	v_fma_f32 v19, -v12, v17, v18
	s_delay_alu instid0(VALU_DEP_1) | instskip(NEXT) | instid1(VALU_DEP_1)
	v_fmac_f32_e32 v17, v19, v15
	v_fma_f32 v12, -v12, v17, v18
	s_delay_alu instid0(VALU_DEP_1) | instskip(NEXT) | instid1(VALU_DEP_1)
	v_div_fmas_f32 v12, v12, v15, v17
	v_div_fixup_f32 v15, v12, v11, v5
	v_mov_b32_e32 v5, s5
	s_add_i32 s5, s13, 0xffffff34
	s_delay_alu instid0(SALU_CYCLE_1)
	v_mov_b32_e32 v11, s5
	s_waitcnt lgkmcnt(0)
	v_fma_f32 v14, -v15, v14, v4
	s_add_i32 s5, s4, -4
	s_cmp_lt_i32 s4, 7
	ds_load_2addr_b32 v[11:12], v11 offset1:1
	v_div_scale_f32 v16, null, v13, v13, v14
	v_div_scale_f32 v18, vcc_lo, v14, v13, v14
	s_delay_alu instid0(VALU_DEP_2) | instskip(SKIP_2) | instid1(VALU_DEP_1)
	v_rcp_f32_e32 v17, v16
	s_waitcnt_depctr 0xfff
	v_fma_f32 v4, -v16, v17, 1.0
	v_fmac_f32_e32 v17, v4, v17
	ds_load_2addr_b32 v[4:5], v5 offset1:1
	v_mul_f32_e32 v19, v18, v17
	s_delay_alu instid0(VALU_DEP_1) | instskip(NEXT) | instid1(VALU_DEP_1)
	v_fma_f32 v20, -v16, v19, v18
	v_fmac_f32_e32 v19, v20, v17
	s_delay_alu instid0(VALU_DEP_1) | instskip(SKIP_2) | instid1(VALU_DEP_2)
	v_fma_f32 v16, -v16, v19, v18
	s_waitcnt lgkmcnt(0)
	v_fma_f32 v3, -v6, v5, v3
	v_div_fmas_f32 v5, v16, v17, v19
	s_delay_alu instid0(VALU_DEP_2) | instskip(NEXT) | instid1(VALU_DEP_2)
	v_fma_f32 v3, -v15, v4, v3
	v_div_fixup_f32 v4, v5, v13, v14
	s_delay_alu instid0(VALU_DEP_1) | instskip(NEXT) | instid1(VALU_DEP_1)
	v_fma_f32 v3, -v4, v12, v3
	v_div_scale_f32 v5, null, v11, v11, v3
	v_div_scale_f32 v14, vcc_lo, v3, v11, v3
	s_delay_alu instid0(VALU_DEP_2) | instskip(SKIP_2) | instid1(VALU_DEP_1)
	v_rcp_f32_e32 v12, v5
	s_waitcnt_depctr 0xfff
	v_fma_f32 v13, -v5, v12, 1.0
	v_fmac_f32_e32 v12, v13, v12
	s_delay_alu instid0(VALU_DEP_1) | instskip(NEXT) | instid1(VALU_DEP_1)
	v_mul_f32_e32 v13, v14, v12
	v_fma_f32 v16, -v5, v13, v14
	s_delay_alu instid0(VALU_DEP_1) | instskip(NEXT) | instid1(VALU_DEP_1)
	v_fmac_f32_e32 v13, v16, v12
	v_fma_f32 v5, -v5, v13, v14
	s_delay_alu instid0(VALU_DEP_1) | instskip(NEXT) | instid1(VALU_DEP_1)
	v_div_fmas_f32 v5, v5, v12, v13
	v_div_fixup_f32 v3, v5, v11, v3
	ds_store_b32 v7, v6
	ds_store_b32 v8, v15
	;; [unrolled: 1-line block ×4, first 2 shown]
	s_cbranch_scc1 .LBB20_66
; %bb.65:                               ;   in Loop: Header=BB20_62 Depth=1
	s_mov_b32 s4, s5
	s_branch .LBB20_62
.LBB20_66:
	s_cmp_lt_i32 s5, 0
	s_cbranch_scc1 .LBB20_79
; %bb.67:
	s_bitcmp1_b32 s5, 0
	s_cselect_b32 s1, -1, 0
	s_delay_alu instid0(SALU_CYCLE_1)
	s_and_b32 vcc_lo, exec_lo, s1
	s_mov_b32 s1, s5
	s_cbranch_vccnz .LBB20_72
; %bb.68:
	v_lshlrev_b32_e32 v3, 2, v0
	s_cmp_le_i32 s28, s5
	s_delay_alu instid0(VALU_DEP_1)
	v_lshl_or_b32 v2, s5, 6, v3
	ds_load_b32 v1, v2 offset:1024
	s_cbranch_scc1 .LBB20_71
; %bb.69:
	v_lshl_or_b32 v3, s20, 6, v3
	s_lshl_b32 s1, s5, 6
	s_lshl_b32 s4, s20, 2
	s_delay_alu instid0(SALU_CYCLE_1) | instskip(NEXT) | instid1(VALU_DEP_1)
	s_add_i32 s1, s1, s4
	v_add_nc_u32_e32 v3, 0x3c0, v3
	s_add_i32 s1, s1, -4
	s_mov_b32 s4, s28
.LBB20_70:                              ; =>This Inner Loop Header: Depth=1
	v_mov_b32_e32 v4, s1
	s_add_i32 s4, s4, -1
	s_add_i32 s1, s1, -4
	s_cmp_gt_i32 s4, s5
	ds_load_b32 v5, v3
	ds_load_b32 v4, v4
	v_subrev_nc_u32_e32 v3, 64, v3
	s_waitcnt lgkmcnt(0)
	v_fma_f32 v1, -v5, v4, v1
	s_cbranch_scc1 .LBB20_70
.LBB20_71:
	s_mul_i32 s1, s5, 0x44
	s_delay_alu instid0(SALU_CYCLE_1) | instskip(SKIP_4) | instid1(VALU_DEP_1)
	v_dual_mov_b32 v3, s1 :: v_dual_add_nc_u32 v2, 0x400, v2
	s_add_i32 s1, s5, -1
	ds_load_b32 v3, v3
	s_waitcnt lgkmcnt(0)
	v_div_scale_f32 v4, null, v3, v3, v1
	v_rcp_f32_e32 v5, v4
	s_waitcnt_depctr 0xfff
	v_fma_f32 v6, -v4, v5, 1.0
	s_delay_alu instid0(VALU_DEP_1) | instskip(SKIP_1) | instid1(VALU_DEP_1)
	v_fmac_f32_e32 v5, v6, v5
	v_div_scale_f32 v6, vcc_lo, v1, v3, v1
	v_mul_f32_e32 v7, v6, v5
	s_delay_alu instid0(VALU_DEP_1) | instskip(NEXT) | instid1(VALU_DEP_1)
	v_fma_f32 v8, -v4, v7, v6
	v_fmac_f32_e32 v7, v8, v5
	s_delay_alu instid0(VALU_DEP_1) | instskip(NEXT) | instid1(VALU_DEP_1)
	v_fma_f32 v4, -v4, v7, v6
	v_div_fmas_f32 v4, v4, v5, v7
	s_delay_alu instid0(VALU_DEP_1)
	v_div_fixup_f32 v1, v4, v3, v1
	ds_store_b32 v2, v1
.LBB20_72:
	s_cmp_eq_u32 s5, 0
	s_cbranch_scc1 .LBB20_79
; %bb.73:
	v_lshlrev_b32_e32 v1, 2, v0
	s_lshl_b32 s4, s1, 6
	s_lshl_b32 s5, s20, 2
	s_delay_alu instid0(SALU_CYCLE_1) | instskip(NEXT) | instid1(VALU_DEP_1)
	s_add_i32 s5, s4, s5
	v_lshl_or_b32 v2, s20, 6, v1
	s_add_i32 s4, s5, -4
	s_addk_i32 s5, 0xffbc
	s_delay_alu instid0(VALU_DEP_1)
	v_add_nc_u32_e32 v2, 0x3c0, v2
	s_branch .LBB20_75
.LBB20_74:                              ;   in Loop: Header=BB20_75 Depth=1
	s_addk_i32 s10, 0xffbc
	v_add_nc_u32_e32 v3, 0x400, v5
	v_mov_b32_e32 v5, s10
	s_add_i32 s10, s1, -2
	s_addk_i32 s4, 0xff80
	s_addk_i32 s5, 0xff80
	s_cmp_lt_i32 s1, 2
	ds_load_b32 v5, v5
	s_mov_b32 s1, s10
	s_waitcnt lgkmcnt(0)
	v_div_scale_f32 v6, null, v5, v5, v4
	v_div_scale_f32 v9, vcc_lo, v4, v5, v4
	s_delay_alu instid0(VALU_DEP_2) | instskip(SKIP_2) | instid1(VALU_DEP_1)
	v_rcp_f32_e32 v7, v6
	s_waitcnt_depctr 0xfff
	v_fma_f32 v8, -v6, v7, 1.0
	v_fmac_f32_e32 v7, v8, v7
	s_delay_alu instid0(VALU_DEP_1) | instskip(NEXT) | instid1(VALU_DEP_1)
	v_mul_f32_e32 v8, v9, v7
	v_fma_f32 v10, -v6, v8, v9
	s_delay_alu instid0(VALU_DEP_1) | instskip(NEXT) | instid1(VALU_DEP_1)
	v_fmac_f32_e32 v8, v10, v7
	v_fma_f32 v6, -v6, v8, v9
	s_delay_alu instid0(VALU_DEP_1) | instskip(NEXT) | instid1(VALU_DEP_1)
	v_div_fmas_f32 v6, v6, v7, v8
	v_div_fixup_f32 v4, v6, v5, v4
	ds_store_b32 v3, v4
	s_cbranch_scc1 .LBB20_79
.LBB20_75:                              ; =>This Loop Header: Depth=1
                                        ;     Child Loop BB20_76 Depth 2
                                        ;     Child Loop BB20_78 Depth 2
	v_lshl_or_b32 v4, s1, 6, v1
	s_delay_alu instid0(VALU_DEP_2)
	v_mov_b32_e32 v5, v2
	s_cmp_le_i32 s28, s1
	s_mov_b32 s10, s4
	s_mov_b32 s11, s28
	ds_load_b32 v3, v4 offset:1024
	s_cbranch_scc1 .LBB20_77
.LBB20_76:                              ;   Parent Loop BB20_75 Depth=1
                                        ; =>  This Inner Loop Header: Depth=2
	v_mov_b32_e32 v6, s10
	s_add_i32 s11, s11, -1
	s_add_i32 s10, s10, -4
	s_cmp_le_i32 s11, s1
	ds_load_b32 v7, v5
	ds_load_b32 v6, v6
	v_subrev_nc_u32_e32 v5, 64, v5
	s_waitcnt lgkmcnt(0)
	v_fma_f32 v3, -v7, v6, v3
	s_cbranch_scc0 .LBB20_76
.LBB20_77:                              ;   in Loop: Header=BB20_75 Depth=1
	s_mul_i32 s10, s1, 0x44
	v_add_nc_u32_e32 v6, 0x400, v4
	v_mov_b32_e32 v4, s10
	s_lshl_b32 s11, s1, 6
	s_mov_b32 s13, s20
	s_sub_i32 s11, s11, 64
	s_cmp_lt_i32 s28, s1
	ds_load_b32 v7, v4
	v_lshl_or_b32 v5, v0, 2, s11
	s_mov_b32 s11, s5
	ds_load_b32 v4, v5 offset:1024
	s_waitcnt lgkmcnt(1)
	v_div_scale_f32 v8, null, v7, v7, v3
	s_delay_alu instid0(VALU_DEP_1) | instskip(SKIP_2) | instid1(VALU_DEP_1)
	v_rcp_f32_e32 v9, v8
	s_waitcnt_depctr 0xfff
	v_fma_f32 v10, -v8, v9, 1.0
	v_fmac_f32_e32 v9, v10, v9
	v_div_scale_f32 v10, vcc_lo, v3, v7, v3
	s_delay_alu instid0(VALU_DEP_1) | instskip(NEXT) | instid1(VALU_DEP_1)
	v_mul_f32_e32 v11, v10, v9
	v_fma_f32 v12, -v8, v11, v10
	s_delay_alu instid0(VALU_DEP_1) | instskip(NEXT) | instid1(VALU_DEP_1)
	v_fmac_f32_e32 v11, v12, v9
	v_fma_f32 v8, -v8, v11, v10
	s_delay_alu instid0(VALU_DEP_1) | instskip(NEXT) | instid1(VALU_DEP_1)
	v_div_fmas_f32 v8, v8, v9, v11
	v_div_fixup_f32 v7, v8, v7, v3
	v_mov_b32_e32 v3, v2
	ds_store_b32 v6, v7
	s_cbranch_scc1 .LBB20_74
.LBB20_78:                              ;   Parent Loop BB20_75 Depth=1
                                        ; =>  This Inner Loop Header: Depth=2
	v_mov_b32_e32 v6, s11
	s_add_i32 s13, s13, -1
	s_add_i32 s11, s11, -4
	s_cmp_gt_i32 s13, s1
	ds_load_b32 v7, v3
	ds_load_b32 v6, v6
	v_subrev_nc_u32_e32 v3, 64, v3
	s_waitcnt lgkmcnt(0)
	v_fma_f32 v4, -v7, v6, v4
	s_cbranch_scc1 .LBB20_78
	s_branch .LBB20_74
.LBB20_79:
	s_mov_b32 s10, 0
.LBB20_80:
	s_delay_alu instid0(SALU_CYCLE_1)
	s_and_not1_b32 vcc_lo, exec_lo, s10
	s_cbranch_vccnz .LBB20_99
; %bb.81:
	s_cmp_lt_i32 s12, 4
	s_mov_b32 s5, 0
	s_cbranch_scc1 .LBB20_88
; %bb.82:
	v_lshl_or_b32 v1, v0, 2, 0x400
	s_mov_b32 s1, 0
	s_mov_b32 s4, 0
.LBB20_83:                              ; =>This Loop Header: Depth=1
                                        ;     Child Loop BB20_85 Depth 2
	s_delay_alu instid0(SALU_CYCLE_1) | instskip(NEXT) | instid1(SALU_CYCLE_1)
	s_lshl_b32 s5, s4, 4
	s_or_b32 s11, s5, 16
	v_or_b32_e32 v2, s5, v0
	s_or_b32 s10, s5, 32
	v_or_b32_e32 v3, s11, v0
	s_or_b32 s5, s5, 48
	v_or_b32_e32 v4, s10, v0
	v_or_b32_e32 v5, s5, v0
	v_lshlrev_b32_e32 v6, 2, v2
	v_lshlrev_b32_e32 v7, 2, v3
	s_cmp_eq_u32 s4, 0
	v_lshlrev_b32_e32 v8, 2, v4
	v_lshlrev_b32_e32 v9, 2, v5
	ds_load_b32 v5, v6 offset:1024
	ds_load_b32 v4, v7 offset:1024
	;; [unrolled: 1-line block ×4, first 2 shown]
	s_cbranch_scc1 .LBB20_86
; %bb.84:                               ;   in Loop: Header=BB20_83 Depth=1
	v_mov_b32_e32 v10, v1
	s_mov_b32 s13, 0
	s_mov_b32 s14, s1
.LBB20_85:                              ;   Parent Loop BB20_83 Depth=1
                                        ; =>  This Inner Loop Header: Depth=2
	s_delay_alu instid0(SALU_CYCLE_1)
	v_mov_b32_e32 v23, s14
	s_add_i32 s13, s13, 4
	s_add_i32 s14, s14, 16
	s_cmp_ge_u32 s13, s4
	ds_load_2addr_b32 v[27:28], v10 offset1:16
	ds_load_b128 v[11:14], v23
	ds_load_b128 v[15:18], v23 offset:64
	ds_load_b128 v[19:22], v23 offset:128
	;; [unrolled: 1-line block ×3, first 2 shown]
	ds_load_2addr_b32 v[29:30], v10 offset0:32 offset1:48
	v_add_nc_u32_e32 v10, 0x100, v10
	s_waitcnt lgkmcnt(4)
	v_fma_f32 v5, -v27, v11, v5
	s_waitcnt lgkmcnt(3)
	v_fma_f32 v4, -v27, v15, v4
	;; [unrolled: 2-line block ×4, first 2 shown]
	v_fma_f32 v5, -v28, v12, v5
	v_fma_f32 v4, -v28, v16, v4
	;; [unrolled: 1-line block ×3, first 2 shown]
	s_delay_alu instid0(VALU_DEP_4)
	v_fma_f32 v2, -v28, v24, v2
	s_waitcnt lgkmcnt(0)
	v_fma_f32 v5, -v29, v13, v5
	v_fma_f32 v4, -v29, v17, v4
	;; [unrolled: 1-line block ×4, first 2 shown]
	s_delay_alu instid0(VALU_DEP_4) | instskip(NEXT) | instid1(VALU_DEP_4)
	v_fma_f32 v5, -v30, v14, v5
	v_fma_f32 v4, -v30, v18, v4
	s_delay_alu instid0(VALU_DEP_4) | instskip(NEXT) | instid1(VALU_DEP_4)
	v_fma_f32 v3, -v30, v22, v3
	v_fma_f32 v2, -v30, v26, v2
	s_cbranch_scc0 .LBB20_85
.LBB20_86:                              ;   in Loop: Header=BB20_83 Depth=1
	s_mul_i32 s13, s4, 0x44
	s_delay_alu instid0(SALU_CYCLE_1)
	v_dual_mov_b32 v10, s13 :: v_dual_add_nc_u32 v7, 0x400, v7
	s_add_i32 s11, s11, s4
	s_add_i32 s10, s10, s4
	s_lshl_b32 s11, s11, 2
	s_lshl_b32 s10, s10, 2
	ds_load_b32 v15, v10
	s_add_i32 s5, s5, s4
	v_dual_mov_b32 v10, s11 :: v_dual_add_nc_u32 v9, 0x400, v9
	s_lshl_b32 s5, s5, 2
	v_mov_b32_e32 v12, s10
	ds_load_b64 v[10:11], v10
	ds_load_b96 v[12:14], v12
	s_addk_i32 s1, 0x100
	s_waitcnt lgkmcnt(2)
	v_div_scale_f32 v16, null, v15, v15, v5
	v_div_scale_f32 v19, vcc_lo, v5, v15, v5
	s_delay_alu instid0(VALU_DEP_2) | instskip(SKIP_2) | instid1(VALU_DEP_1)
	v_rcp_f32_e32 v17, v16
	s_waitcnt_depctr 0xfff
	v_fma_f32 v18, -v16, v17, 1.0
	v_dual_fmac_f32 v17, v18, v17 :: v_dual_add_nc_u32 v6, 0x400, v6
	s_delay_alu instid0(VALU_DEP_1) | instskip(NEXT) | instid1(VALU_DEP_1)
	v_mul_f32_e32 v18, v19, v17
	v_fma_f32 v20, -v16, v18, v19
	s_delay_alu instid0(VALU_DEP_1) | instskip(NEXT) | instid1(VALU_DEP_1)
	v_fmac_f32_e32 v18, v20, v17
	v_fma_f32 v16, -v16, v18, v19
	s_delay_alu instid0(VALU_DEP_1) | instskip(NEXT) | instid1(VALU_DEP_1)
	v_div_fmas_f32 v16, v16, v17, v18
	v_div_fixup_f32 v5, v16, v15, v5
	s_waitcnt lgkmcnt(1)
	s_delay_alu instid0(VALU_DEP_1) | instskip(SKIP_2) | instid1(VALU_DEP_2)
	v_fma_f32 v4, -v5, v10, v4
	s_waitcnt lgkmcnt(0)
	v_fma_f32 v3, -v5, v12, v3
	v_div_scale_f32 v10, null, v11, v11, v4
	v_div_scale_f32 v17, vcc_lo, v4, v11, v4
	s_delay_alu instid0(VALU_DEP_2) | instskip(SKIP_2) | instid1(VALU_DEP_1)
	v_rcp_f32_e32 v15, v10
	s_waitcnt_depctr 0xfff
	v_fma_f32 v16, -v10, v15, 1.0
	v_dual_fmac_f32 v15, v16, v15 :: v_dual_add_nc_u32 v8, 0x400, v8
	s_delay_alu instid0(VALU_DEP_1) | instskip(NEXT) | instid1(VALU_DEP_1)
	v_mul_f32_e32 v16, v17, v15
	v_fma_f32 v18, -v10, v16, v17
	s_delay_alu instid0(VALU_DEP_1) | instskip(NEXT) | instid1(VALU_DEP_1)
	v_fmac_f32_e32 v16, v18, v15
	v_fma_f32 v10, -v10, v16, v17
	s_delay_alu instid0(VALU_DEP_1) | instskip(NEXT) | instid1(VALU_DEP_1)
	v_div_fmas_f32 v10, v10, v15, v16
	v_div_fixup_f32 v4, v10, v11, v4
	v_mov_b32_e32 v11, s5
	s_add_i32 s5, s4, 4
	s_add_i32 s4, s4, 7
	s_delay_alu instid0(SALU_CYCLE_1) | instskip(SKIP_1) | instid1(VALU_DEP_1)
	s_cmp_ge_i32 s4, s20
	v_fma_f32 v3, -v4, v13, v3
	v_div_scale_f32 v15, null, v14, v14, v3
	v_div_scale_f32 v17, vcc_lo, v3, v14, v3
	s_delay_alu instid0(VALU_DEP_2) | instskip(SKIP_2) | instid1(VALU_DEP_1)
	v_rcp_f32_e32 v16, v15
	s_waitcnt_depctr 0xfff
	v_fma_f32 v10, -v15, v16, 1.0
	v_fmac_f32_e32 v16, v10, v16
	ds_load_b128 v[10:13], v11
	v_mul_f32_e32 v18, v17, v16
	s_delay_alu instid0(VALU_DEP_1) | instskip(NEXT) | instid1(VALU_DEP_1)
	v_fma_f32 v19, -v15, v18, v17
	v_fmac_f32_e32 v18, v19, v16
	s_delay_alu instid0(VALU_DEP_1) | instskip(SKIP_2) | instid1(VALU_DEP_2)
	v_fma_f32 v15, -v15, v18, v17
	s_waitcnt lgkmcnt(0)
	v_fma_f32 v2, -v5, v10, v2
	v_div_fmas_f32 v10, v15, v16, v18
	s_delay_alu instid0(VALU_DEP_2) | instskip(NEXT) | instid1(VALU_DEP_2)
	v_fma_f32 v2, -v4, v11, v2
	v_div_fixup_f32 v3, v10, v14, v3
	s_delay_alu instid0(VALU_DEP_1) | instskip(NEXT) | instid1(VALU_DEP_1)
	v_fma_f32 v2, -v3, v12, v2
	v_div_scale_f32 v10, null, v13, v13, v2
	v_div_scale_f32 v14, vcc_lo, v2, v13, v2
	s_delay_alu instid0(VALU_DEP_2) | instskip(SKIP_2) | instid1(VALU_DEP_1)
	v_rcp_f32_e32 v11, v10
	s_waitcnt_depctr 0xfff
	v_fma_f32 v12, -v10, v11, 1.0
	v_fmac_f32_e32 v11, v12, v11
	s_delay_alu instid0(VALU_DEP_1) | instskip(NEXT) | instid1(VALU_DEP_1)
	v_mul_f32_e32 v12, v14, v11
	v_fma_f32 v15, -v10, v12, v14
	s_delay_alu instid0(VALU_DEP_1) | instskip(NEXT) | instid1(VALU_DEP_1)
	v_fmac_f32_e32 v12, v15, v11
	v_fma_f32 v10, -v10, v12, v14
	s_delay_alu instid0(VALU_DEP_1) | instskip(NEXT) | instid1(VALU_DEP_1)
	v_div_fmas_f32 v10, v10, v11, v12
	v_div_fixup_f32 v2, v10, v13, v2
	ds_store_b32 v6, v5
	ds_store_b32 v7, v4
	;; [unrolled: 1-line block ×4, first 2 shown]
	s_cbranch_scc1 .LBB20_88
; %bb.87:                               ;   in Loop: Header=BB20_83 Depth=1
	s_mov_b32 s4, s5
	s_branch .LBB20_83
.LBB20_88:
	s_cmp_ge_i32 s5, s20
	s_cbranch_scc1 .LBB20_99
; %bb.89:
	v_lshl_or_b32 v1, v0, 2, 0x400
	v_lshlrev_b32_e32 v2, 2, v0
	s_add_i32 s1, s5, -1
	s_lshl_b32 s4, s5, 6
	s_mov_b32 s10, 0
	s_mov_b32 s11, s5
	s_branch .LBB20_91
.LBB20_90:                              ;   in Loop: Header=BB20_91 Depth=1
	s_mul_i32 s13, s5, 0x44
	s_delay_alu instid0(SALU_CYCLE_1)
	v_dual_mov_b32 v5, s13 :: v_dual_add_nc_u32 v4, 0x400, v4
	s_add_i32 s5, s5, 1
	s_add_i32 s10, s10, 1
	;; [unrolled: 1-line block ×3, first 2 shown]
	s_cmp_ge_i32 s5, s20
	ds_load_b32 v5, v5
	s_waitcnt lgkmcnt(0)
	v_div_scale_f32 v6, null, v5, v5, v3
	v_div_scale_f32 v9, vcc_lo, v3, v5, v3
	s_delay_alu instid0(VALU_DEP_2) | instskip(SKIP_2) | instid1(VALU_DEP_1)
	v_rcp_f32_e32 v7, v6
	s_waitcnt_depctr 0xfff
	v_fma_f32 v8, -v6, v7, 1.0
	v_fmac_f32_e32 v7, v8, v7
	s_delay_alu instid0(VALU_DEP_1) | instskip(NEXT) | instid1(VALU_DEP_1)
	v_mul_f32_e32 v8, v9, v7
	v_fma_f32 v10, -v6, v8, v9
	s_delay_alu instid0(VALU_DEP_1) | instskip(NEXT) | instid1(VALU_DEP_1)
	v_fmac_f32_e32 v8, v10, v7
	v_fma_f32 v6, -v6, v8, v9
	s_delay_alu instid0(VALU_DEP_1) | instskip(SKIP_1) | instid1(VALU_DEP_2)
	v_div_fmas_f32 v6, v6, v7, v8
	v_add_nc_u16 v7, s11, 1
	v_div_fixup_f32 v3, v6, v5, v3
	s_delay_alu instid0(VALU_DEP_2)
	v_readfirstlane_b32 s11, v7
	ds_store_b32 v4, v3
	s_cbranch_scc1 .LBB20_99
.LBB20_91:                              ; =>This Loop Header: Depth=1
                                        ;     Child Loop BB20_94 Depth 2
                                        ;     Child Loop BB20_98 Depth 2
	v_lshl_or_b32 v4, s5, 6, v2
	s_cmp_eq_u32 s5, 0
	ds_load_b32 v3, v4 offset:1024
	s_cbranch_scc1 .LBB20_90
; %bb.92:                               ;   in Loop: Header=BB20_91 Depth=1
	s_add_i32 s13, s1, s10
	s_delay_alu instid0(SALU_CYCLE_1)
	s_cmp_lt_u32 s13, 7
	s_cbranch_scc1 .LBB20_96
; %bb.93:                               ;   in Loop: Header=BB20_91 Depth=1
	v_mov_b32_e32 v5, v1
	s_and_b32 s13, s5, -8
	s_mov_b32 s14, 0
	s_mov_b32 s15, s4
	s_set_inst_prefetch_distance 0x1
	.p2align	6
.LBB20_94:                              ;   Parent Loop BB20_91 Depth=1
                                        ; =>  This Inner Loop Header: Depth=2
	v_mov_b32_e32 v10, s15
	s_add_i32 s14, s14, 8
	s_add_i32 s15, s15, 32
	s_cmp_eq_u32 s13, s14
	ds_load_2addr_b32 v[14:15], v5 offset1:16
	ds_load_b128 v[6:9], v10
	ds_load_2addr_b32 v[16:17], v5 offset0:32 offset1:48
	ds_load_2addr_b32 v[18:19], v5 offset0:64 offset1:80
	ds_load_b128 v[10:13], v10 offset:16
	s_waitcnt lgkmcnt(3)
	v_fma_f32 v3, -v14, v6, v3
	s_delay_alu instid0(VALU_DEP_1) | instskip(SKIP_4) | instid1(VALU_DEP_1)
	v_fma_f32 v3, -v15, v7, v3
	ds_load_2addr_b32 v[6:7], v5 offset0:96 offset1:112
	v_add_nc_u32_e32 v5, 0x200, v5
	s_waitcnt lgkmcnt(3)
	v_fma_f32 v3, -v16, v8, v3
	v_fma_f32 v3, -v17, v9, v3
	s_waitcnt lgkmcnt(1)
	s_delay_alu instid0(VALU_DEP_1) | instskip(NEXT) | instid1(VALU_DEP_1)
	v_fma_f32 v3, -v18, v10, v3
	v_fma_f32 v3, -v19, v11, v3
	s_waitcnt lgkmcnt(0)
	s_delay_alu instid0(VALU_DEP_1) | instskip(NEXT) | instid1(VALU_DEP_1)
	v_fma_f32 v3, -v6, v12, v3
	v_fma_f32 v3, -v7, v13, v3
	s_cbranch_scc0 .LBB20_94
; %bb.95:                               ;   in Loop: Header=BB20_91 Depth=1
	s_set_inst_prefetch_distance 0x2
	s_and_b32 s14, s5, 7
	s_delay_alu instid0(SALU_CYCLE_1)
	s_cmp_eq_u32 s14, 0
	s_cbranch_scc0 .LBB20_97
	s_branch .LBB20_90
.LBB20_96:                              ;   in Loop: Header=BB20_91 Depth=1
	s_mov_b32 s13, 0
	s_and_b32 s14, s5, 7
	s_delay_alu instid0(SALU_CYCLE_1)
	s_cmp_eq_u32 s14, 0
	s_cbranch_scc1 .LBB20_90
.LBB20_97:                              ;   in Loop: Header=BB20_91 Depth=1
	v_lshl_add_u32 v5, s13, 6, v1
	s_and_b32 s14, s11, 7
	s_lshl_b32 s13, s13, 2
.LBB20_98:                              ;   Parent Loop BB20_91 Depth=1
                                        ; =>  This Inner Loop Header: Depth=2
	s_delay_alu instid0(SALU_CYCLE_1)
	s_add_i32 s15, s4, s13
	s_add_i32 s14, s14, -1
	v_mov_b32_e32 v6, s15
	s_add_i32 s13, s13, 4
	s_cmp_lg_u32 s14, 0
	ds_load_b32 v7, v5
	ds_load_b32 v6, v6
	v_add_nc_u32_e32 v5, 64, v5
	s_waitcnt lgkmcnt(0)
	v_fma_f32 v3, -v7, v6, v3
	s_cbranch_scc1 .LBB20_98
	s_branch .LBB20_90
.LBB20_99:
	s_and_saveexec_b32 s1, s21
	s_cbranch_execz .LBB20_106
; %bb.100:
	v_lshlrev_b32_e32 v3, 2, v0
	s_ashr_i32 s1, s0, 31
	s_cmp_lt_u32 s12, 4
	s_mov_b32 s13, 0
	s_cbranch_scc1 .LBB20_103
; %bb.101:
	v_add_co_u32 v1, s4, s18, v3
	s_delay_alu instid0(VALU_DEP_1)
	v_add_co_ci_u32_e64 v2, null, s19, 0, s4
	v_lshl_or_b32 v0, v0, 2, 0x400
	s_and_b32 s13, s12, 0x7ffffffc
	s_mul_hi_i32 s16, s0, 12
	s_mul_i32 s17, s0, 12
	s_lshl_b64 s[4:5], s[0:1], 4
	s_lshl_b64 s[10:11], s[0:1], 3
	;; [unrolled: 1-line block ×3, first 2 shown]
	s_mov_b32 s18, 0
	.p2align	6
.LBB20_102:                             ; =>This Inner Loop Header: Depth=1
	ds_load_2addr_b32 v[4:5], v0 offset1:16
	ds_load_2addr_b32 v[6:7], v0 offset0:32 offset1:48
	v_add_co_u32 v8, vcc_lo, v1, s14
	v_add_co_ci_u32_e32 v9, vcc_lo, s15, v2, vcc_lo
	v_add_co_u32 v10, vcc_lo, v1, s10
	v_add_co_ci_u32_e32 v11, vcc_lo, s11, v2, vcc_lo
	;; [unrolled: 2-line block ×3, first 2 shown]
	v_add_nc_u32_e32 v0, 0x100, v0
	s_add_i32 s18, s18, 4
	s_delay_alu instid0(SALU_CYCLE_1)
	s_cmp_lg_u32 s13, s18
	s_waitcnt lgkmcnt(1)
	global_store_b32 v[1:2], v4, off
	v_add_co_u32 v1, vcc_lo, v1, s4
	v_add_co_ci_u32_e32 v2, vcc_lo, s5, v2, vcc_lo
	global_store_b32 v[8:9], v5, off
	s_waitcnt lgkmcnt(0)
	s_clause 0x1
	global_store_b32 v[10:11], v6, off
	global_store_b32 v[12:13], v7, off
	s_cbranch_scc1 .LBB20_102
.LBB20_103:
	s_and_b32 s4, s12, 3
	s_delay_alu instid0(SALU_CYCLE_1)
	s_cmp_eq_u32 s4, 0
	s_cbranch_scc1 .LBB20_106
; %bb.104:
	s_mul_hi_i32 s11, s0, s13
	s_mul_i32 s10, s0, s13
	v_lshl_or_b32 v2, s13, 6, v3
	s_lshl_b64 s[10:11], s[10:11], 2
	s_delay_alu instid0(SALU_CYCLE_1)
	s_add_u32 s5, s10, s6
	s_addc_u32 s6, s11, s7
	s_add_u32 s5, s5, s8
	s_addc_u32 s6, s6, s9
	s_add_u32 s2, s2, s5
	s_addc_u32 s3, s3, s6
	v_add_co_u32 v0, s2, s2, v3
	s_delay_alu instid0(VALU_DEP_1)
	v_add_co_ci_u32_e64 v1, null, s3, 0, s2
	v_add_nc_u32_e32 v2, 0x400, v2
	s_lshl_b64 s[0:1], s[0:1], 2
.LBB20_105:                             ; =>This Inner Loop Header: Depth=1
	ds_load_b32 v3, v2
	v_add_nc_u32_e32 v2, 64, v2
	s_add_i32 s4, s4, -1
	s_delay_alu instid0(SALU_CYCLE_1)
	s_cmp_lg_u32 s4, 0
	s_waitcnt lgkmcnt(0)
	global_store_b32 v[0:1], v3, off
	v_add_co_u32 v0, vcc_lo, v0, s0
	v_add_co_ci_u32_e32 v1, vcc_lo, s1, v1, vcc_lo
	s_cbranch_scc1 .LBB20_105
.LBB20_106:
	s_nop 0
	s_sendmsg sendmsg(MSG_DEALLOC_VGPRS)
	s_endpgm
	.section	.rodata,"a",@progbits
	.p2align	6, 0x0
	.amdhsa_kernel _ZL31rocblas_trsm_small_right_deviceIffPKPKfPKPfLi16EEv13rocblas_fill_18rocblas_operation_17rocblas_diagonal_iiT0_T1_lilT2_lili
		.amdhsa_group_segment_fixed_size 2048
		.amdhsa_private_segment_fixed_size 0
		.amdhsa_kernarg_size 352
		.amdhsa_user_sgpr_count 14
		.amdhsa_user_sgpr_dispatch_ptr 0
		.amdhsa_user_sgpr_queue_ptr 0
		.amdhsa_user_sgpr_kernarg_segment_ptr 1
		.amdhsa_user_sgpr_dispatch_id 0
		.amdhsa_user_sgpr_private_segment_size 0
		.amdhsa_wavefront_size32 1
		.amdhsa_uses_dynamic_stack 0
		.amdhsa_enable_private_segment 0
		.amdhsa_system_sgpr_workgroup_id_x 1
		.amdhsa_system_sgpr_workgroup_id_y 0
		.amdhsa_system_sgpr_workgroup_id_z 1
		.amdhsa_system_sgpr_workgroup_info 0
		.amdhsa_system_vgpr_workitem_id 0
		.amdhsa_next_free_vgpr 32
		.amdhsa_next_free_sgpr 32
		.amdhsa_reserve_vcc 1
		.amdhsa_float_round_mode_32 0
		.amdhsa_float_round_mode_16_64 0
		.amdhsa_float_denorm_mode_32 3
		.amdhsa_float_denorm_mode_16_64 3
		.amdhsa_dx10_clamp 1
		.amdhsa_ieee_mode 1
		.amdhsa_fp16_overflow 0
		.amdhsa_workgroup_processor_mode 1
		.amdhsa_memory_ordered 1
		.amdhsa_forward_progress 0
		.amdhsa_shared_vgpr_count 0
		.amdhsa_exception_fp_ieee_invalid_op 0
		.amdhsa_exception_fp_denorm_src 0
		.amdhsa_exception_fp_ieee_div_zero 0
		.amdhsa_exception_fp_ieee_overflow 0
		.amdhsa_exception_fp_ieee_underflow 0
		.amdhsa_exception_fp_ieee_inexact 0
		.amdhsa_exception_int_div_zero 0
	.end_amdhsa_kernel
	.section	.text._ZL31rocblas_trsm_small_right_deviceIffPKPKfPKPfLi16EEv13rocblas_fill_18rocblas_operation_17rocblas_diagonal_iiT0_T1_lilT2_lili,"axG",@progbits,_ZL31rocblas_trsm_small_right_deviceIffPKPKfPKPfLi16EEv13rocblas_fill_18rocblas_operation_17rocblas_diagonal_iiT0_T1_lilT2_lili,comdat
.Lfunc_end20:
	.size	_ZL31rocblas_trsm_small_right_deviceIffPKPKfPKPfLi16EEv13rocblas_fill_18rocblas_operation_17rocblas_diagonal_iiT0_T1_lilT2_lili, .Lfunc_end20-_ZL31rocblas_trsm_small_right_deviceIffPKPKfPKPfLi16EEv13rocblas_fill_18rocblas_operation_17rocblas_diagonal_iiT0_T1_lilT2_lili
                                        ; -- End function
	.section	.AMDGPU.csdata,"",@progbits
; Kernel info:
; codeLenInByte = 8504
; NumSgprs: 34
; NumVgprs: 32
; ScratchSize: 0
; MemoryBound: 0
; FloatMode: 240
; IeeeMode: 1
; LDSByteSize: 2048 bytes/workgroup (compile time only)
; SGPRBlocks: 4
; VGPRBlocks: 3
; NumSGPRsForWavesPerEU: 34
; NumVGPRsForWavesPerEU: 32
; Occupancy: 16
; WaveLimiterHint : 0
; COMPUTE_PGM_RSRC2:SCRATCH_EN: 0
; COMPUTE_PGM_RSRC2:USER_SGPR: 14
; COMPUTE_PGM_RSRC2:TRAP_HANDLER: 0
; COMPUTE_PGM_RSRC2:TGID_X_EN: 1
; COMPUTE_PGM_RSRC2:TGID_Y_EN: 0
; COMPUTE_PGM_RSRC2:TGID_Z_EN: 1
; COMPUTE_PGM_RSRC2:TIDIG_COMP_CNT: 0
	.section	.text._ZL38rocblas_trsm_small_left_device_sharedBILi20ELi20ELb0EffPKPKfPKPfEv13rocblas_fill_18rocblas_operation_17rocblas_diagonal_iiT3_T4_lilT5_lili,"axG",@progbits,_ZL38rocblas_trsm_small_left_device_sharedBILi20ELi20ELb0EffPKPKfPKPfEv13rocblas_fill_18rocblas_operation_17rocblas_diagonal_iiT3_T4_lilT5_lili,comdat
	.globl	_ZL38rocblas_trsm_small_left_device_sharedBILi20ELi20ELb0EffPKPKfPKPfEv13rocblas_fill_18rocblas_operation_17rocblas_diagonal_iiT3_T4_lilT5_lili ; -- Begin function _ZL38rocblas_trsm_small_left_device_sharedBILi20ELi20ELb0EffPKPKfPKPfEv13rocblas_fill_18rocblas_operation_17rocblas_diagonal_iiT3_T4_lilT5_lili
	.p2align	8
	.type	_ZL38rocblas_trsm_small_left_device_sharedBILi20ELi20ELb0EffPKPKfPKPfEv13rocblas_fill_18rocblas_operation_17rocblas_diagonal_iiT3_T4_lilT5_lili,@function
_ZL38rocblas_trsm_small_left_device_sharedBILi20ELi20ELb0EffPKPKfPKPfEv13rocblas_fill_18rocblas_operation_17rocblas_diagonal_iiT3_T4_lilT5_lili: ; @_ZL38rocblas_trsm_small_left_device_sharedBILi20ELi20ELb0EffPKPKfPKPfEv13rocblas_fill_18rocblas_operation_17rocblas_diagonal_iiT3_T4_lilT5_lili
; %bb.0:
	s_clause 0x1
	s_load_b128 s[8:11], s[0:1], 0x38
	s_load_b128 s[4:7], s[0:1], 0x4
	s_mov_b32 s12, s15
	s_mov_b32 s13, 0
	s_delay_alu instid0(SALU_CYCLE_1)
	s_lshl_b64 s[20:21], s[12:13], 3
	s_mov_b32 s12, exec_lo
	s_waitcnt lgkmcnt(0)
	s_add_u32 s2, s8, s20
	s_addc_u32 s3, s9, s21
	s_load_b32 s27, s[0:1], 0x14
	s_load_b64 s[2:3], s[2:3], 0x0
	s_min_i32 s15, s6, 20
	s_delay_alu instid0(SALU_CYCLE_1)
	s_add_i32 s26, s15, -1
	v_cmpx_gt_i32_e64 s15, v0
	s_cbranch_execz .LBB21_10
; %bb.1:
	s_clause 0x1
	s_load_b32 s8, s[0:1], 0x28
	s_load_b128 s[16:19], s[0:1], 0x18
	s_waitcnt lgkmcnt(0)
	s_ashr_i32 s9, s8, 31
	s_add_u32 s16, s16, s20
	s_addc_u32 s17, s17, s21
	s_cmp_lt_u32 s26, 3
	s_load_b64 s[16:17], s[16:17], 0x0
	s_cbranch_scc1 .LBB21_4
; %bb.2:
	v_lshlrev_b32_e32 v3, 2, v0
	s_lshl_b64 s[20:21], s[18:19], 2
	s_mul_hi_i32 s28, s8, 12
	s_waitcnt lgkmcnt(0)
	s_add_u32 s13, s16, s20
	s_addc_u32 s20, s17, s21
	v_add_co_u32 v1, s13, s13, v3
	s_delay_alu instid0(VALU_DEP_1)
	v_add_co_ci_u32_e64 v2, null, s20, 0, s13
	s_and_b32 s13, s15, -4
	s_mul_i32 s29, s8, 12
	s_lshl_b64 s[20:21], s[8:9], 4
	s_lshl_b64 s[22:23], s[8:9], 3
	;; [unrolled: 1-line block ×3, first 2 shown]
	s_mov_b32 s30, 0
	.p2align	6
.LBB21_3:                               ; =>This Inner Loop Header: Depth=1
	v_add_co_u32 v4, vcc_lo, v1, s24
	v_add_co_ci_u32_e32 v5, vcc_lo, s25, v2, vcc_lo
	v_add_co_u32 v6, vcc_lo, v1, s22
	v_add_co_ci_u32_e32 v7, vcc_lo, s23, v2, vcc_lo
	;; [unrolled: 2-line block ×3, first 2 shown]
	s_clause 0x3
	global_load_b32 v10, v[1:2], off
	global_load_b32 v4, v[4:5], off
	;; [unrolled: 1-line block ×4, first 2 shown]
	v_add_co_u32 v1, vcc_lo, v1, s20
	v_add_co_ci_u32_e32 v2, vcc_lo, s21, v2, vcc_lo
	s_add_i32 s30, s30, 4
	s_waitcnt vmcnt(2)
	ds_store_2addr_b32 v3, v10, v4 offset1:20
	s_waitcnt vmcnt(0)
	ds_store_2addr_b32 v3, v5, v6 offset0:40 offset1:60
	v_add_nc_u32_e32 v3, 0x140, v3
	s_cmp_eq_u32 s13, s30
	s_cbranch_scc0 .LBB21_3
.LBB21_4:
	s_and_b32 s20, s15, 3
	s_delay_alu instid0(SALU_CYCLE_1)
	s_cmp_eq_u32 s20, 0
	s_cbranch_scc1 .LBB21_7
; %bb.5:
	s_mul_i32 s21, s9, s13
	s_mul_hi_u32 s22, s8, s13
	s_lshl_b64 s[18:19], s[18:19], 2
	s_add_i32 s23, s22, s21
	s_mul_i32 s22, s8, s13
	s_mulk_i32 s13, 0x50
	s_lshl_b64 s[22:23], s[22:23], 2
	v_lshlrev_b32_e32 v1, 2, v0
	v_lshl_add_u32 v3, v0, 2, s13
	s_add_u32 s13, s22, s18
	s_addc_u32 s18, s23, s19
	s_waitcnt lgkmcnt(0)
	s_add_u32 s13, s16, s13
	s_addc_u32 s16, s17, s18
	v_add_co_u32 v1, s13, s13, v1
	s_delay_alu instid0(VALU_DEP_1)
	v_add_co_ci_u32_e64 v2, null, s16, 0, s13
	s_lshl_b64 s[8:9], s[8:9], 2
.LBB21_6:                               ; =>This Inner Loop Header: Depth=1
	global_load_b32 v4, v[1:2], off
	v_add_co_u32 v1, vcc_lo, v1, s8
	v_add_co_ci_u32_e32 v2, vcc_lo, s9, v2, vcc_lo
	s_add_i32 s20, s20, -1
	s_delay_alu instid0(SALU_CYCLE_1)
	s_cmp_lg_u32 s20, 0
	s_waitcnt vmcnt(0)
	ds_store_b32 v3, v4
	v_add_nc_u32_e32 v3, 0x50, v3
	s_cbranch_scc1 .LBB21_6
.LBB21_7:
	v_mul_u32_u24_e32 v1, 21, v0
	s_cmpk_lg_i32 s5, 0x84
	s_delay_alu instid0(VALU_DEP_1)
	v_dual_mov_b32 v2, 1.0 :: v_dual_lshlrev_b32 v1, 2, v1
	s_cbranch_scc0 .LBB21_9
; %bb.8:
	ds_load_b32 v2, v1
	s_waitcnt lgkmcnt(0)
	v_div_scale_f32 v3, null, v2, v2, 1.0
	s_delay_alu instid0(VALU_DEP_1) | instskip(SKIP_2) | instid1(VALU_DEP_1)
	v_rcp_f32_e32 v4, v3
	s_waitcnt_depctr 0xfff
	v_fma_f32 v5, -v3, v4, 1.0
	v_fmac_f32_e32 v4, v5, v4
	v_div_scale_f32 v5, vcc_lo, 1.0, v2, 1.0
	s_delay_alu instid0(VALU_DEP_1) | instskip(NEXT) | instid1(VALU_DEP_1)
	v_mul_f32_e32 v6, v5, v4
	v_fma_f32 v7, -v3, v6, v5
	s_delay_alu instid0(VALU_DEP_1) | instskip(NEXT) | instid1(VALU_DEP_1)
	v_fmac_f32_e32 v6, v7, v4
	v_fma_f32 v3, -v3, v6, v5
	s_delay_alu instid0(VALU_DEP_1) | instskip(NEXT) | instid1(VALU_DEP_1)
	v_div_fmas_f32 v3, v3, v4, v6
	v_div_fixup_f32 v2, v3, v2, 1.0
.LBB21_9:
	ds_store_b32 v1, v2
.LBB21_10:
	s_or_b32 exec_lo, exec_lo, s12
	s_load_b32 s5, s[0:1], 0x60
	s_waitcnt lgkmcnt(0)
	s_load_b32 s16, s[0:1], 0x48
	s_lshl_b64 s[0:1], s[10:11], 2
	s_mul_i32 s9, s14, 0xffffffec
	s_mul_i32 s8, s14, 20
	s_waitcnt lgkmcnt(0)
	s_ashr_i32 s17, s16, 31
	s_add_u32 s12, s2, s0
	s_addc_u32 s13, s3, s1
	s_add_i32 s5, s5, -1
	s_add_i32 s9, s9, s7
	s_mul_hi_i32 s11, s16, s8
	s_cmp_ge_u32 s14, s5
	s_mul_i32 s10, s16, s8
	s_cselect_b32 s14, s9, 20
	s_lshl_b64 s[10:11], s[10:11], 2
	s_ashr_i32 s9, s8, 31
	s_add_u32 s5, s12, s10
	s_addc_u32 s7, s13, s11
	v_cmp_gt_i32_e32 vcc_lo, s14, v0
	s_cmp_gt_i32 s6, 0
	s_mov_b32 s10, 0
	s_cselect_b32 s11, -1, 0
	s_delay_alu instid0(SALU_CYCLE_1) | instskip(NEXT) | instid1(SALU_CYCLE_1)
	s_and_b32 s14, vcc_lo, s11
	s_and_saveexec_b32 s18, s14
	s_cbranch_execz .LBB21_17
; %bb.11:
	s_cmp_lt_i32 s6, 8
	s_cbranch_scc1 .LBB21_14
; %bb.12:
	v_mad_i64_i32 v[1:2], null, s16, v0, 0
	v_lshl_add_u32 v3, v0, 2, 0x640
	s_lshl_b32 s10, s15, 2
	s_mov_b64 s[12:13], 0
	s_and_b32 s11, s10, 0x60
	s_mov_b32 s10, 0
	s_delay_alu instid0(VALU_DEP_2) | instskip(NEXT) | instid1(VALU_DEP_1)
	v_lshlrev_b64 v[1:2], 2, v[1:2]
	v_add_co_u32 v1, vcc_lo, s5, v1
	s_delay_alu instid0(VALU_DEP_2)
	v_add_co_ci_u32_e32 v2, vcc_lo, s7, v2, vcc_lo
	.p2align	6
.LBB21_13:                              ; =>This Inner Loop Header: Depth=1
	s_delay_alu instid0(VALU_DEP_2) | instskip(NEXT) | instid1(VALU_DEP_2)
	v_add_co_u32 v8, vcc_lo, v1, s12
	v_add_co_ci_u32_e32 v9, vcc_lo, s13, v2, vcc_lo
	s_add_i32 s10, s10, 8
	s_add_u32 s12, s12, 32
	s_addc_u32 s13, s13, 0
	s_clause 0x1
	global_load_b128 v[4:7], v[8:9], off
	global_load_b128 v[8:11], v[8:9], off offset:16
	s_cmp_lg_u32 s11, s12
	s_waitcnt vmcnt(1)
	v_dual_mul_f32 v4, s27, v4 :: v_dual_mul_f32 v5, s27, v5
	v_dual_mul_f32 v6, s27, v6 :: v_dual_mul_f32 v7, s27, v7
	s_waitcnt vmcnt(0)
	v_dual_mul_f32 v8, s27, v8 :: v_dual_mul_f32 v9, s27, v9
	v_dual_mul_f32 v10, s27, v10 :: v_dual_mul_f32 v11, s27, v11
	ds_store_2addr_b32 v3, v4, v5 offset1:20
	ds_store_2addr_b32 v3, v6, v7 offset0:40 offset1:60
	ds_store_2addr_b32 v3, v8, v9 offset0:80 offset1:100
	;; [unrolled: 1-line block ×3, first 2 shown]
	v_add_nc_u32_e32 v3, 0x280, v3
	s_cbranch_scc1 .LBB21_13
.LBB21_14:
	s_and_b32 s12, s15, 7
	s_mov_b32 s11, 0
	s_cmp_eq_u32 s12, 0
	s_cbranch_scc1 .LBB21_17
; %bb.15:
	v_lshlrev_b32_e32 v3, 2, v0
	s_lshl_b64 s[20:21], s[8:9], 2
	s_lshl_b64 s[22:23], s[10:11], 2
	s_mulk_i32 s10, 0x50
	s_delay_alu instid0(VALU_DEP_1) | instskip(NEXT) | instid1(VALU_DEP_1)
	v_add_co_u32 v4, s11, s20, v3
	v_add_co_ci_u32_e64 v5, null, s21, 0, s11
	s_add_u32 s11, s2, s22
	s_addc_u32 s13, s3, s23
	s_add_u32 s20, s11, s0
	s_addc_u32 s21, s13, s1
	v_mul_lo_u32 v5, v5, s16
	v_mad_u64_u32 v[1:2], null, v4, s16, s[20:21]
	v_mul_lo_u32 v4, v4, s17
	v_add3_u32 v3, s10, v3, 0x640
	s_delay_alu instid0(VALU_DEP_2)
	v_add3_u32 v2, v5, v2, v4
.LBB21_16:                              ; =>This Inner Loop Header: Depth=1
	global_load_b32 v4, v[1:2], off
	v_add_co_u32 v1, vcc_lo, v1, 4
	v_add_co_ci_u32_e32 v2, vcc_lo, 0, v2, vcc_lo
	s_add_i32 s12, s12, -1
	s_delay_alu instid0(SALU_CYCLE_1)
	s_cmp_lg_u32 s12, 0
	s_waitcnt vmcnt(0)
	v_mul_f32_e32 v4, s27, v4
	ds_store_b32 v3, v4
	v_add_nc_u32_e32 v3, 0x50, v3
	s_cbranch_scc1 .LBB21_16
.LBB21_17:
	s_or_b32 exec_lo, exec_lo, s18
	s_cmpk_eq_i32 s4, 0x6f
	s_mov_b32 s4, -1
	s_waitcnt vmcnt(0) lgkmcnt(0)
	s_waitcnt_vscnt null, 0x0
	; wave barrier
	s_waitcnt lgkmcnt(0)
	buffer_gl0_inv
	s_cbranch_scc1 .LBB21_42
; %bb.18:
	s_cmp_gt_i32 s6, 19
	s_mov_b32 s4, 0
	s_cselect_b32 s12, -1, 0
	s_delay_alu instid0(SALU_CYCLE_1)
	s_and_b32 vcc_lo, exec_lo, s12
	s_cbranch_vccz .LBB21_20
; %bb.19:
	v_dual_mov_b32 v107, 0 :: v_dual_lshlrev_b32 v106, 2, v0
	s_mov_b32 s4, 20
	s_delay_alu instid0(VALU_DEP_1)
	v_add_nc_u32_e32 v108, 0x400, v106
	ds_load_b32 v49, v107
	ds_load_b64 v[68:69], v107 offset:80
	ds_load_b96 v[83:85], v107 offset:160
	ds_load_2addr_b32 v[56:57], v108 offset0:144 offset1:164
	ds_load_b128 v[1:4], v107 offset:240
	ds_load_b128 v[5:8], v107 offset:320
	ds_load_b32 v110, v107 offset:336
	ds_load_b128 v[9:12], v107 offset:400
	ds_load_b64 v[92:93], v107 offset:416
	ds_load_b128 v[13:16], v107 offset:480
	ds_load_b96 v[86:88], v107 offset:496
	ds_load_b128 v[17:20], v107 offset:560
	ds_load_2addr_b32 v[76:77], v108 offset0:184 offset1:204
	ds_load_b128 v[21:24], v107 offset:576
	ds_load_b128 v[25:28], v107 offset:640
	;; [unrolled: 1-line block ×3, first 2 shown]
	ds_load_b32 v111, v107 offset:672
	ds_load_b128 v[33:36], v107 offset:720
	ds_load_b128 v[37:40], v107 offset:736
	ds_load_b64 v[94:95], v107 offset:752
	ds_load_b128 v[41:44], v107 offset:800
	ds_load_b128 v[45:48], v107 offset:816
	ds_load_b96 v[89:91], v107 offset:832
	s_waitcnt lgkmcnt(19)
	v_dual_mul_f32 v112, v49, v56 :: v_dual_add_nc_u32 v109, 0x800, v106
	s_delay_alu instid0(VALU_DEP_1) | instskip(SKIP_3) | instid1(VALU_DEP_3)
	v_fma_f32 v70, -v112, v68, v57
	s_waitcnt lgkmcnt(10)
	v_fma_f32 v78, -v112, v83, v76
	v_fma_f32 v1, -v112, v1, v77
	v_mul_f32_e32 v113, v69, v70
	s_delay_alu instid0(VALU_DEP_1) | instskip(NEXT) | instid1(VALU_DEP_1)
	v_fma_f32 v115, -v113, v84, v78
	v_mul_f32_e32 v85, v85, v115
	ds_load_2addr_b32 v[96:97], v108 offset0:224 offset1:244
	ds_load_b128 v[49:52], v107 offset:880
	ds_load_b128 v[53:56], v107 offset:896
	ds_load_2addr_b32 v[98:99], v109 offset0:8 offset1:28
	ds_load_b128 v[57:60], v107 offset:912
	ds_load_b128 v[61:64], v107 offset:960
	;; [unrolled: 1-line block ×3, first 2 shown]
	ds_load_2addr_b32 v[100:101], v109 offset0:48 offset1:68
	ds_load_b32 v114, v107 offset:1008
	ds_load_b128 v[69:72], v107 offset:1040
	ds_load_b128 v[73:76], v107 offset:1056
	ds_load_2addr_b32 v[102:103], v109 offset0:88 offset1:108
	ds_load_b64 v[104:105], v107 offset:1088
	ds_load_b128 v[77:80], v107 offset:1120
	ds_load_b128 v[81:84], v107 offset:1136
	s_waitcnt lgkmcnt(14)
	v_fma_f32 v5, -v112, v5, v96
	v_fma_f32 v96, -v113, v2, v1
	v_fma_f32 v9, -v112, v9, v97
	s_waitcnt lgkmcnt(11)
	v_fma_f32 v13, -v112, v13, v98
	ds_load_2addr_b32 v[1:2], v109 offset0:128 offset1:148
	v_fma_f32 v3, -v85, v3, v96
	s_delay_alu instid0(VALU_DEP_1)
	v_mul_f32_e32 v96, v4, v3
	v_fma_f32 v5, -v113, v6, v5
	v_fma_f32 v9, -v113, v10, v9
	;; [unrolled: 1-line block ×3, first 2 shown]
	s_waitcnt lgkmcnt(8)
	v_fma_f32 v17, -v112, v25, v100
	v_fma_f32 v3, -v112, v33, v101
	;; [unrolled: 1-line block ×6, first 2 shown]
	s_waitcnt lgkmcnt(4)
	v_fma_f32 v4, -v112, v41, v102
	v_fma_f32 v5, -v96, v8, v5
	;; [unrolled: 1-line block ×6, first 2 shown]
	v_mul_f32_e32 v49, v110, v5
	v_fma_f32 v5, -v113, v26, v17
	v_fma_f32 v7, -v96, v16, v7
	;; [unrolled: 1-line block ×9, first 2 shown]
	v_mul_f32_e32 v86, v93, v9
	v_fma_f32 v3, -v85, v35, v3
	v_fma_f32 v5, -v96, v28, v5
	;; [unrolled: 1-line block ×3, first 2 shown]
	ds_load_2addr_b32 v[16:17], v109 offset0:168 offset1:188
	v_fma_f32 v7, -v86, v87, v7
	v_fma_f32 v3, -v96, v36, v3
	s_waitcnt lgkmcnt(1)
	v_fma_f32 v1, -v112, v61, v1
	v_fma_f32 v4, -v96, v44, v4
	;; [unrolled: 1-line block ×3, first 2 shown]
	v_mul_f32_e32 v50, v88, v7
	v_fma_f32 v6, -v49, v21, v6
	v_fma_f32 v5, -v49, v29, v5
	;; [unrolled: 1-line block ×15, first 2 shown]
	v_mul_f32_e32 v44, v24, v6
	v_fma_f32 v6, -v49, v53, v7
	s_waitcnt lgkmcnt(0)
	v_fma_f32 v9, -v112, v77, v16
	v_fma_f32 v1, -v85, v63, v1
	v_fma_f32 v5, -v44, v32, v5
	ds_load_2addr_b32 v[32:33], v109 offset0:208 offset1:228
	v_fma_f32 v9, -v113, v78, v9
	v_fma_f32 v10, -v96, v64, v1
	v_mul_f32_e32 v45, v111, v5
	v_fma_f32 v3, -v44, v40, v3
	v_fma_f32 v4, -v44, v48, v4
	v_fma_f32 v15, -v85, v79, v9
	v_fma_f32 v10, -v49, v65, v10
	s_delay_alu instid0(VALU_DEP_4) | instskip(NEXT) | instid1(VALU_DEP_4)
	v_fma_f32 v3, -v45, v94, v3
	v_fma_f32 v4, -v45, v89, v4
	s_delay_alu instid0(VALU_DEP_4) | instskip(NEXT) | instid1(VALU_DEP_3)
	v_fma_f32 v18, -v96, v80, v15
	v_mul_f32_e32 v46, v95, v3
	s_delay_alu instid0(VALU_DEP_2) | instskip(NEXT) | instid1(VALU_DEP_2)
	v_fma_f32 v22, -v49, v81, v18
	v_fma_f32 v12, -v46, v90, v4
	s_delay_alu instid0(VALU_DEP_1) | instskip(SKIP_3) | instid1(VALU_DEP_3)
	v_mul_f32_e32 v47, v91, v12
	v_fma_f32 v6, -v86, v54, v6
	v_fma_f32 v16, -v86, v66, v10
	;; [unrolled: 1-line block ×5, first 2 shown]
	ds_load_b96 v[35:37], v107 offset:1168
	ds_load_b128 v[1:4], v107 offset:1200
	v_fma_f32 v19, -v50, v67, v16
	ds_load_b64 v[42:43], v107 offset:1424
	v_fma_f32 v5, -v44, v56, v5
	v_fma_f32 v13, -v85, v71, v6
	;; [unrolled: 1-line block ×3, first 2 shown]
	s_delay_alu instid0(VALU_DEP_3)
	v_fma_f32 v11, -v45, v57, v5
	ds_load_b128 v[5:8], v107 offset:992
	v_fma_f32 v13, -v96, v72, v13
	v_fma_f32 v14, -v46, v58, v11
	ds_load_b128 v[9:12], v107 offset:1072
	v_fma_f32 v13, -v49, v73, v13
	v_fma_f32 v25, -v47, v59, v14
	s_delay_alu instid0(VALU_DEP_2)
	v_fma_f32 v21, -v86, v74, v13
	ds_load_b128 v[13:16], v107 offset:1152
	s_waitcnt lgkmcnt(4)
	v_fma_f32 v1, -v112, v1, v17
	ds_load_b128 v[17:20], v107 offset:1216
	v_mul_f32_e32 v51, v60, v25
	v_fma_f32 v26, -v50, v75, v21
	v_fma_f32 v1, -v113, v2, v1
	s_waitcnt lgkmcnt(3)
	v_fma_f32 v5, -v45, v5, v23
	ds_load_b128 v[21:24], v107 offset:1280
	v_fma_f32 v2, -v44, v76, v26
	v_fma_f32 v26, -v50, v83, v27
	;; [unrolled: 1-line block ×4, first 2 shown]
	s_waitcnt lgkmcnt(3)
	v_fma_f32 v2, -v45, v9, v2
	v_fma_f32 v3, -v44, v84, v26
	;; [unrolled: 1-line block ×4, first 2 shown]
	ds_load_b128 v[25:28], v107 offset:1360
	v_fma_f32 v7, -v46, v10, v2
	s_waitcnt lgkmcnt(3)
	v_fma_f32 v9, -v45, v13, v3
	ds_load_b128 v[1:4], v107 offset:1232
	v_fma_f32 v10, -v51, v8, v5
	s_waitcnt lgkmcnt(3)
	v_fma_f32 v13, -v49, v17, v6
	v_fma_f32 v11, -v47, v11, v7
	;; [unrolled: 1-line block ×3, first 2 shown]
	ds_load_b128 v[5:8], v107 offset:1296
	s_waitcnt lgkmcnt(3)
	v_fma_f32 v14, -v112, v21, v32
	ds_load_b128 v[29:32], v107 offset:1248
	v_mul_f32_e32 v52, v114, v10
	v_fma_f32 v17, -v51, v12, v11
	v_fma_f32 v13, -v86, v18, v13
	;; [unrolled: 1-line block ×4, first 2 shown]
	ds_load_b128 v[9:12], v107 offset:1440
	v_fma_f32 v17, -v52, v104, v17
	v_add_nc_u32_e32 v48, 0xa00, v106
	v_fma_f32 v13, -v50, v19, v13
	v_fma_f32 v14, -v85, v23, v14
	;; [unrolled: 1-line block ×3, first 2 shown]
	v_mul_f32_e32 v53, v105, v17
	ds_load_2addr_b32 v[40:41], v48 offset0:120 offset1:140
	v_fma_f32 v19, -v44, v20, v13
	v_fma_f32 v21, -v96, v24, v14
	ds_load_b128 v[13:16], v107 offset:1520
	v_fma_f32 v34, -v52, v35, v18
	s_waitcnt lgkmcnt(6)
	v_fma_f32 v25, -v112, v25, v33
	s_waitcnt lgkmcnt(5)
	;; [unrolled: 2-line block ×3, first 2 shown]
	v_fma_f32 v5, -v49, v5, v21
	ds_load_b128 v[21:24], v107 offset:1376
	v_fma_f32 v38, -v53, v36, v34
	ds_load_b128 v[33:36], v107 offset:1456
	v_fma_f32 v1, -v46, v2, v1
	v_fma_f32 v2, -v86, v6, v5
	;; [unrolled: 1-line block ×3, first 2 shown]
	ds_load_b128 v[17:20], v107 offset:1312
	v_mul_f32_e32 v54, v37, v38
	v_fma_f32 v1, -v47, v3, v1
	v_fma_f32 v2, -v50, v7, v2
	;; [unrolled: 1-line block ×3, first 2 shown]
	s_waitcnt lgkmcnt(4)
	v_fma_f32 v6, -v112, v9, v40
	ds_load_b128 v[37:40], v107 offset:1536
	v_fma_f32 v9, -v51, v4, v1
	v_fma_f32 v3, -v96, v28, v3
	;; [unrolled: 1-line block ×4, first 2 shown]
	s_waitcnt lgkmcnt(4)
	v_fma_f32 v6, -v112, v13, v41
	s_delay_alu instid0(VALU_DEP_2) | instskip(NEXT) | instid1(VALU_DEP_2)
	v_fma_f32 v5, -v85, v11, v5
	v_fma_f32 v6, -v113, v14, v6
	s_delay_alu instid0(VALU_DEP_2) | instskip(NEXT) | instid1(VALU_DEP_2)
	v_fma_f32 v10, -v96, v12, v5
	v_fma_f32 v12, -v85, v15, v6
	s_waitcnt lgkmcnt(2)
	s_delay_alu instid0(VALU_DEP_2)
	v_fma_f32 v10, -v49, v33, v10
	ds_load_b32 v33, v107 offset:1344
	v_fma_f32 v8, -v49, v21, v3
	ds_load_b128 v[1:4], v107 offset:1392
	v_fma_f32 v14, -v96, v16, v12
	v_fma_f32 v13, -v86, v22, v8
	;; [unrolled: 1-line block ×3, first 2 shown]
	s_delay_alu instid0(VALU_DEP_2)
	v_fma_f32 v21, -v50, v23, v13
	s_waitcnt lgkmcnt(2)
	v_fma_f32 v23, -v49, v37, v14
	ds_load_b128 v[13:16], v107 offset:1328
	v_fma_f32 v11, -v45, v17, v7
	ds_load_b128 v[5:8], v107 offset:1472
	v_fma_f32 v25, -v44, v24, v21
	v_fma_f32 v17, -v52, v29, v9
	;; [unrolled: 1-line block ×4, first 2 shown]
	ds_load_b128 v[9:12], v107 offset:1552
	v_fma_f32 v29, -v53, v30, v17
	v_fma_f32 v18, -v47, v19, v18
	;; [unrolled: 1-line block ×3, first 2 shown]
	ds_load_b128 v[21:24], v107 offset:1408
	s_waitcnt lgkmcnt(4)
	v_fma_f32 v1, -v45, v1, v25
	v_fma_f32 v25, -v44, v36, v26
	;; [unrolled: 1-line block ×4, first 2 shown]
	ds_load_b128 v[17:20], v107 offset:1488
	v_fma_f32 v1, -v46, v2, v1
	s_waitcnt lgkmcnt(3)
	v_fma_f32 v2, -v45, v5, v25
	v_fma_f32 v5, -v44, v40, v26
	s_delay_alu instid0(VALU_DEP_3)
	v_fma_f32 v1, -v47, v3, v1
	ds_load_b128 v[25:28], v107 offset:1568
	v_fma_f32 v2, -v46, v6, v2
	s_waitcnt lgkmcnt(3)
	v_fma_f32 v3, -v45, v9, v5
	v_fma_f32 v1, -v51, v4, v1
	;; [unrolled: 1-line block ×4, first 2 shown]
	s_delay_alu instid0(VALU_DEP_4) | instskip(NEXT) | instid1(VALU_DEP_3)
	v_fma_f32 v3, -v46, v10, v3
	v_mul_f32_e32 v9, v32, v4
	v_fma_f32 v5, -v52, v13, v30
	s_waitcnt lgkmcnt(2)
	v_fma_f32 v1, -v52, v21, v1
	v_fma_f32 v2, -v51, v8, v2
	;; [unrolled: 1-line block ×4, first 2 shown]
	s_delay_alu instid0(VALU_DEP_4)
	v_fma_f32 v1, -v53, v22, v1
	s_waitcnt lgkmcnt(1)
	v_fma_f32 v2, -v52, v17, v2
	v_fma_f32 v3, -v51, v12, v3
	;; [unrolled: 1-line block ×3, first 2 shown]
	ds_load_b96 v[5:7], v107 offset:1504
	v_fma_f32 v10, -v54, v23, v1
	v_fma_f32 v11, -v53, v18, v2
	s_waitcnt lgkmcnt(1)
	v_fma_f32 v12, -v52, v25, v3
	v_fma_f32 v8, -v9, v16, v4
	ds_load_b128 v[1:4], v107 offset:1584
	v_fma_f32 v10, -v9, v24, v10
	v_fma_f32 v11, -v54, v19, v11
	v_fma_f32 v12, -v53, v26, v12
	v_mul_f32_e32 v8, v33, v8
	ds_store_2addr_b32 v108, v112, v113 offset0:144 offset1:164
	ds_store_2addr_b32 v108, v85, v96 offset0:184 offset1:204
	;; [unrolled: 1-line block ×6, first 2 shown]
	v_fma_f32 v11, -v9, v20, v11
	v_fma_f32 v10, -v8, v42, v10
	s_delay_alu instid0(VALU_DEP_1) | instskip(SKIP_1) | instid1(VALU_DEP_3)
	v_mul_f32_e32 v10, v43, v10
	s_waitcnt lgkmcnt(7)
	v_fma_f32 v5, -v8, v5, v11
	s_delay_alu instid0(VALU_DEP_1) | instskip(NEXT) | instid1(VALU_DEP_1)
	v_fma_f32 v5, -v10, v6, v5
	v_mul_f32_e32 v5, v7, v5
	v_fma_f32 v12, -v54, v27, v12
	s_delay_alu instid0(VALU_DEP_1) | instskip(SKIP_1) | instid1(VALU_DEP_1)
	v_fma_f32 v11, -v9, v28, v12
	s_waitcnt lgkmcnt(6)
	v_fma_f32 v1, -v8, v1, v11
	s_delay_alu instid0(VALU_DEP_1) | instskip(NEXT) | instid1(VALU_DEP_1)
	v_fma_f32 v1, -v10, v2, v1
	v_fma_f32 v1, -v5, v3, v1
	s_delay_alu instid0(VALU_DEP_1)
	v_mul_f32_e32 v1, v4, v1
	ds_store_2addr_b32 v109, v52, v53 offset0:128 offset1:148
	ds_store_2addr_b32 v109, v54, v9 offset0:168 offset1:188
	;; [unrolled: 1-line block ×4, first 2 shown]
.LBB21_20:
	s_cmp_lt_i32 s4, s15
	s_cbranch_scc0 .LBB21_41
; %bb.21:
	s_add_i32 s10, s4, 15
	s_delay_alu instid0(SALU_CYCLE_1)
	s_cmp_ge_u32 s10, s15
	s_cbranch_scc1 .LBB21_30
; %bb.22:
	s_mul_i32 s11, s4, 20
	s_and_not1_b32 vcc_lo, exec_lo, s12
	v_add_lshl_u32 v17, s11, v0, 2
	s_add_i32 s13, s11, 0x12c
	s_delay_alu instid0(SALU_CYCLE_1) | instskip(NEXT) | instid1(VALU_DEP_2)
	v_add_lshl_u32 v15, s13, v0, 2
	v_add_nc_u32_e32 v1, 0x400, v17
	v_add_nc_u32_e32 v2, 0x800, v17
	ds_load_2addr_b32 v[13:14], v1 offset0:144 offset1:164
	ds_load_2addr_b32 v[11:12], v1 offset0:184 offset1:204
	;; [unrolled: 1-line block ×7, first 2 shown]
	ds_load_b32 v16, v17 offset:2720
	ds_load_b32 v15, v15 offset:1600
	s_cbranch_vccnz .LBB21_29
; %bb.23:
	s_max_u32 s18, s4, 1
	s_delay_alu instid0(SALU_CYCLE_1)
	s_cmp_eq_u32 s18, 1
	s_cbranch_scc1 .LBB21_26
; %bb.24:
	v_lshl_add_u32 v18, v0, 2, 0x640
	s_and_b32 s12, s18, 20
	s_mul_i32 s19, s4, 0x50
	s_mov_b32 s20, 0
.LBB21_25:                              ; =>This Inner Loop Header: Depth=1
	v_mov_b32_e32 v47, s19
	ds_load_2addr_b32 v[51:52], v18 offset1:20
	v_add_nc_u32_e32 v18, 0xa0, v18
	s_add_i32 s20, s20, 2
	s_add_i32 s19, s19, 8
	ds_load_2addr_b64 v[19:22], v47 offset1:10
	ds_load_2addr_b64 v[23:26], v47 offset0:20 offset1:30
	ds_load_2addr_b64 v[27:30], v47 offset0:40 offset1:50
	;; [unrolled: 1-line block ×7, first 2 shown]
	s_cmp_lg_u32 s12, s20
	s_waitcnt lgkmcnt(7)
	v_fma_f32 v13, -v51, v19, v13
	v_fma_f32 v14, -v51, v21, v14
	s_waitcnt lgkmcnt(6)
	v_fma_f32 v11, -v51, v23, v11
	v_fma_f32 v12, -v51, v25, v12
	;; [unrolled: 3-line block ×8, first 2 shown]
	v_fma_f32 v13, -v52, v20, v13
	v_fma_f32 v14, -v52, v22, v14
	;; [unrolled: 1-line block ×16, first 2 shown]
	s_cbranch_scc1 .LBB21_25
	s_branch .LBB21_27
.LBB21_26:
	s_mov_b32 s12, 0
.LBB21_27:
	s_bitcmp0_b32 s18, 0
	s_cbranch_scc1 .LBB21_29
; %bb.28:
	s_add_i32 s18, s11, s12
	s_mul_i32 s19, s12, 20
	s_lshl_b32 s18, s18, 2
	s_add_i32 s13, s13, s12
	v_mov_b32_e32 v32, s18
	v_add_lshl_u32 v20, s19, v0, 2
	s_lshl_b32 s12, s13, 2
	v_add_nc_u32_e64 v30, 0x200, s18
	v_mov_b32_e32 v34, s12
	ds_load_2addr_b32 v[18:19], v32 offset1:20
	ds_load_b32 v33, v20 offset:1600
	ds_load_2addr_b32 v[20:21], v32 offset0:40 offset1:60
	ds_load_2addr_b32 v[22:23], v32 offset0:80 offset1:100
	;; [unrolled: 1-line block ×6, first 2 shown]
	ds_load_b32 v32, v32 offset:1120
	ds_load_b32 v34, v34
	s_waitcnt lgkmcnt(8)
	v_fma_f32 v13, -v33, v18, v13
	v_fma_f32 v14, -v33, v19, v14
	s_waitcnt lgkmcnt(7)
	v_fma_f32 v11, -v33, v20, v11
	v_fma_f32 v12, -v33, v21, v12
	;; [unrolled: 3-line block ×7, first 2 shown]
	s_waitcnt lgkmcnt(1)
	v_fma_f32 v16, -v33, v32, v16
	s_waitcnt lgkmcnt(0)
	v_fma_f32 v15, -v33, v34, v15
.LBB21_29:
	s_add_i32 s20, s11, 20
	s_mul_i32 s12, s4, 0x54
	s_add_i32 s13, s20, s4
	s_add_i32 s23, s11, 0xa0
	s_lshl_b32 s13, s13, 2
	s_delay_alu instid0(SALU_CYCLE_1)
	v_dual_mov_b32 v18, s13 :: v_dual_add_nc_u32 v17, 0x640, v17
	s_add_i32 s13, s11, 60
	s_add_i32 s25, s23, s4
	;; [unrolled: 1-line block ×3, first 2 shown]
	s_lshl_b32 s25, s25, 2
	s_lshl_b32 s19, s19, 2
	v_mov_b32_e32 v41, s12
	s_add_i32 s12, s11, 40
	s_add_i32 s30, s11, 0x104
	;; [unrolled: 1-line block ×4, first 2 shown]
	s_lshl_b32 s18, s18, 2
	ds_load_2addr_b32 v[36:37], v41 offset1:84
	v_mov_b32_e32 v19, s18
	s_add_i32 s18, s11, 0x50
	s_lshl_b32 s31, s31, 2
	s_add_i32 s21, s18, s4
	v_mov_b32_e32 v52, s31
	s_lshl_b32 s21, s21, 2
	s_mul_i32 s10, s10, 20
	v_mov_b32_e32 v22, s21
	ds_load_b64 v[30:31], v18
	ds_load_b96 v[33:35], v19
	v_mov_b32_e32 v18, s19
	s_add_i32 s19, s11, 0x64
	ds_load_b128 v[22:25], v22
	s_add_i32 s21, s19, s4
	ds_load_b128 v[18:21], v18
	s_lshl_b32 s21, s21, 2
	s_waitcnt lgkmcnt(4)
	v_mul_f32_e32 v42, v36, v13
	s_waitcnt lgkmcnt(3)
	s_delay_alu instid0(VALU_DEP_1)
	v_fma_f32 v13, -v42, v30, v14
	v_mov_b32_e32 v38, s21
	s_waitcnt lgkmcnt(2)
	v_fma_f32 v11, -v42, v33, v11
	s_add_i32 s21, s11, 0x78
	v_mul_f32_e32 v43, v31, v13
	ds_load_b128 v[26:29], v38
	s_waitcnt lgkmcnt(1)
	v_fma_f32 v12, -v42, v18, v12
	s_add_i32 s22, s21, s4
	ds_load_b64 v[13:14], v38 offset:16
	v_fma_f32 v11, -v43, v34, v11
	s_lshl_b32 s22, s22, 2
	v_fma_f32 v12, -v43, v19, v12
	v_mov_b32_e32 v36, s22
	s_add_i32 s22, s11, 0x8c
	v_mul_f32_e32 v44, v35, v11
	s_add_i32 s24, s22, s4
	ds_load_b128 v[30:33], v36
	s_lshl_b32 s24, s24, 2
	v_fma_f32 v20, -v44, v20, v12
	s_delay_alu instid0(VALU_DEP_1)
	v_mul_f32_e32 v45, v21, v20
	v_fma_f32 v9, -v42, v22, v9
	v_mov_b32_e32 v22, s24
	s_waitcnt lgkmcnt(2)
	v_fma_f32 v18, -v42, v26, v10
	s_add_i32 s24, s11, 0xb4
	v_fma_f32 v19, -v43, v23, v9
	ds_load_b64 v[34:35], v36 offset:16
	ds_load_b128 v[9:12], v22
	v_fma_f32 v18, -v43, v27, v18
	v_mov_b32_e32 v36, s25
	s_add_i32 s25, s24, s4
	v_fma_f32 v19, -v44, v24, v19
	s_lshl_b32 s25, s25, 2
	v_fma_f32 v23, -v44, v28, v18
	s_waitcnt lgkmcnt(2)
	v_fma_f32 v7, -v42, v30, v7
	v_fma_f32 v24, -v45, v25, v19
	ds_load_b128 v[18:21], v36
	v_fma_f32 v29, -v45, v29, v23
	v_fma_f32 v7, -v43, v31, v7
	v_dual_mov_b32 v31, s25 :: v_dual_mul_f32 v46, v37, v24
	ds_load_b96 v[26:28], v22 offset:16
	ds_load_b128 v[22:25], v31
	s_add_i32 s25, s11, 0xc8
	s_waitcnt lgkmcnt(3)
	v_fma_f32 v8, -v42, v9, v8
	v_fma_f32 v9, -v46, v13, v29
	ds_load_2addr_b32 v[29:30], v41 offset0:126 offset1:147
	s_add_i32 s27, s25, s4
	v_fma_f32 v8, -v43, v10, v8
	v_mul_f32_e32 v47, v14, v9
	v_fma_f32 v7, -v44, v32, v7
	s_lshl_b32 s27, s27, 2
	s_delay_alu instid0(VALU_DEP_3) | instskip(SKIP_3) | instid1(VALU_DEP_3)
	v_fma_f32 v11, -v44, v11, v8
	s_waitcnt lgkmcnt(3)
	v_fma_f32 v5, -v42, v18, v5
	v_fma_f32 v7, -v45, v33, v7
	;; [unrolled: 1-line block ×3, first 2 shown]
	s_delay_alu instid0(VALU_DEP_3) | instskip(NEXT) | instid1(VALU_DEP_3)
	v_fma_f32 v5, -v43, v19, v5
	v_fma_f32 v13, -v46, v34, v7
	s_waitcnt lgkmcnt(1)
	v_fma_f32 v6, -v42, v22, v6
	v_fma_f32 v19, -v46, v26, v32
	v_mov_b32_e32 v32, s27
	v_fma_f32 v18, -v47, v35, v13
	ds_load_b128 v[11:14], v31 offset:16
	s_add_i32 s27, s11, 0xdc
	v_fma_f32 v22, -v47, v27, v19
	v_fma_f32 v5, -v44, v20, v5
	s_waitcnt lgkmcnt(1)
	v_mul_f32_e32 v48, v29, v18
	s_add_i32 s28, s27, s4
	v_fma_f32 v6, -v43, v23, v6
	s_lshl_b32 s28, s28, 2
	v_fma_f32 v5, -v45, v21, v5
	v_fma_f32 v22, -v48, v28, v22
	v_mov_b32_e32 v28, s28
	s_add_i32 s28, s11, 0xf0
	s_addk_i32 s11, 0x118
	v_fma_f32 v6, -v44, v24, v6
	v_mul_f32_e32 v49, v30, v22
	ds_load_b128 v[7:10], v36 offset:16
	ds_load_b64 v[37:38], v32 offset:32
	ds_load_b128 v[18:21], v32
	s_add_i32 s31, s11, s4
	ds_load_2addr_b32 v[26:27], v41 offset0:168 offset1:189
	s_lshl_b32 s31, s31, 2
	v_fma_f32 v6, -v45, v25, v6
	ds_load_b128 v[22:25], v32 offset:16
	v_mov_b32_e32 v53, s31
	ds_load_b32 v29, v31 offset:32
	s_add_i32 s29, s28, s4
	s_waitcnt lgkmcnt(6)
	v_fma_f32 v6, -v46, v11, v6
	s_lshl_b32 s29, s29, 2
	ds_load_b96 v[34:36], v28 offset:32
	v_mov_b32_e32 v30, s29
	s_add_i32 s29, s4, 16
	v_fma_f32 v11, -v47, v12, v6
	s_add_i32 s4, s10, s4
	s_delay_alu instid0(SALU_CYCLE_1)
	s_lshl_b32 s4, s4, 2
	s_waitcnt lgkmcnt(6)
	v_fma_f32 v5, -v46, v7, v5
	v_fma_f32 v13, -v48, v13, v11
	s_waitcnt lgkmcnt(4)
	v_fma_f32 v3, -v42, v18, v3
	v_mov_b32_e32 v54, s4
	s_mov_b32 s4, s29
	v_fma_f32 v5, -v47, v8, v5
	v_fma_f32 v13, -v49, v14, v13
	;; [unrolled: 1-line block ×3, first 2 shown]
	s_delay_alu instid0(VALU_DEP_3) | instskip(SKIP_3) | instid1(VALU_DEP_2)
	v_fma_f32 v9, -v48, v9, v5
	ds_load_b128 v[5:8], v28
	v_fma_f32 v3, -v44, v20, v3
	v_fma_f32 v9, -v49, v10, v9
	v_fma_f32 v3, -v45, v21, v3
	ds_load_b128 v[18:21], v28 offset:16
	s_waitcnt lgkmcnt(5)
	v_mul_f32_e32 v50, v26, v9
	ds_load_b128 v[9:12], v30
	s_waitcnt lgkmcnt(5)
	v_fma_f32 v3, -v46, v22, v3
	s_waitcnt lgkmcnt(4)
	v_fma_f32 v13, -v50, v29, v13
	s_delay_alu instid0(VALU_DEP_1) | instskip(SKIP_3) | instid1(VALU_DEP_2)
	v_mul_f32_e32 v51, v27, v13
	s_waitcnt lgkmcnt(2)
	v_fma_f32 v4, -v42, v5, v4
	v_fma_f32 v13, -v47, v23, v3
	;; [unrolled: 1-line block ×3, first 2 shown]
	s_delay_alu instid0(VALU_DEP_2) | instskip(SKIP_2) | instid1(VALU_DEP_3)
	v_fma_f32 v13, -v48, v24, v13
	s_waitcnt lgkmcnt(0)
	v_fma_f32 v1, -v42, v9, v1
	v_fma_f32 v7, -v44, v7, v4
	ds_load_b128 v[3:6], v52
	ds_load_b128 v[26:29], v30 offset:16
	ds_load_2addr_b32 v[39:40], v41 offset0:210 offset1:231
	v_fma_f32 v31, -v49, v25, v13
	v_fma_f32 v1, -v43, v10, v1
	v_fma_f32 v14, -v45, v8, v7
	ds_load_b128 v[7:10], v53
	v_fma_f32 v1, -v44, v11, v1
	v_fma_f32 v18, -v46, v18, v14
	s_delay_alu instid0(VALU_DEP_2)
	v_fma_f32 v1, -v45, v12, v1
	ds_load_b128 v[11:14], v52 offset:16
	ds_load_b128 v[22:25], v54
	v_fma_f32 v18, -v47, v19, v18
	s_waitcnt lgkmcnt(5)
	v_fma_f32 v2, -v42, v3, v2
	v_fma_f32 v3, -v50, v37, v31
	s_waitcnt lgkmcnt(4)
	v_fma_f32 v1, -v46, v26, v1
	v_fma_f32 v18, -v48, v20, v18
	ds_load_b128 v[30:33], v30 offset:32
	v_fma_f32 v2, -v43, v4, v2
	v_fma_f32 v19, -v51, v38, v3
	v_fma_f32 v20, -v47, v27, v1
	s_waitcnt lgkmcnt(3)
	v_fma_f32 v7, -v42, v7, v16
	v_fma_f32 v18, -v49, v21, v18
	;; [unrolled: 1-line block ×3, first 2 shown]
	ds_load_b128 v[1:4], v53 offset:16
	v_mul_f32_e32 v16, v39, v19
	v_fma_f32 v19, -v48, v28, v20
	v_fma_f32 v21, -v43, v8, v7
	;; [unrolled: 1-line block ×3, first 2 shown]
	ds_load_b128 v[5:8], v54 offset:16
	s_waitcnt lgkmcnt(3)
	v_fma_f32 v15, -v42, v22, v15
	v_fma_f32 v22, -v50, v34, v18
	;; [unrolled: 1-line block ×6, first 2 shown]
	ds_load_b128 v[18:21], v52 offset:32
	v_fma_f32 v22, -v51, v35, v22
	v_fma_f32 v23, -v45, v10, v9
	s_waitcnt lgkmcnt(3)
	v_fma_f32 v27, -v50, v30, v27
	v_fma_f32 v15, -v44, v24, v15
	;; [unrolled: 1-line block ×3, first 2 shown]
	ds_load_b128 v[9:12], v53 offset:32
	v_fma_f32 v28, -v16, v36, v22
	s_waitcnt lgkmcnt(3)
	v_fma_f32 v1, -v46, v1, v23
	v_fma_f32 v15, -v45, v25, v15
	;; [unrolled: 1-line block ×4, first 2 shown]
	ds_load_b128 v[22:25], v54 offset:32
	v_fma_f32 v1, -v47, v2, v1
	s_waitcnt lgkmcnt(3)
	v_fma_f32 v2, -v46, v5, v15
	v_fma_f32 v5, -v49, v14, v13
	ds_load_b32 v15, v41 offset:1008
	ds_load_b64 v[13:14], v52 offset:48
	v_fma_f32 v1, -v48, v3, v1
	v_fma_f32 v2, -v47, v6, v2
	s_waitcnt lgkmcnt(4)
	v_fma_f32 v3, -v50, v18, v5
	v_mul_f32_e32 v18, v40, v28
	v_add_lshl_u32 v26, s20, v0, 2
	v_fma_f32 v1, -v49, v4, v1
	v_fma_f32 v4, -v16, v32, v27
	;; [unrolled: 1-line block ×3, first 2 shown]
	s_waitcnt lgkmcnt(3)
	s_delay_alu instid0(VALU_DEP_3) | instskip(NEXT) | instid1(VALU_DEP_3)
	v_fma_f32 v1, -v50, v9, v1
	v_fma_f32 v19, -v18, v33, v4
	s_delay_alu instid0(VALU_DEP_3) | instskip(SKIP_1) | instid1(VALU_DEP_4)
	v_fma_f32 v20, -v16, v20, v3
	v_add_lshl_u32 v9, s12, v0, 2
	v_fma_f32 v10, -v51, v10, v1
	s_waitcnt lgkmcnt(1)
	v_mul_f32_e32 v15, v15, v19
	v_fma_f32 v19, -v18, v21, v20
	s_delay_alu instid0(VALU_DEP_3)
	v_fma_f32 v10, -v16, v11, v10
	v_add_lshl_u32 v11, s18, v0, 2
	v_add_lshl_u32 v20, s19, v0, 2
	s_waitcnt lgkmcnt(0)
	v_fma_f32 v13, -v15, v13, v19
	v_fma_f32 v10, -v18, v12, v10
	v_add_lshl_u32 v12, s21, v0, 2
	v_add_lshl_u32 v19, s22, v0, 2
	s_delay_alu instid0(VALU_DEP_4)
	v_mul_f32_e32 v13, v14, v13
	v_fma_f32 v2, -v48, v7, v2
	ds_load_b96 v[5:7], v53 offset:48
	v_fma_f32 v8, -v49, v8, v2
	ds_load_b128 v[1:4], v54 offset:48
	v_fma_f32 v8, -v50, v22, v8
	v_add_lshl_u32 v22, s13, v0, 2
	ds_store_b32 v17, v42
	ds_store_b32 v26, v43 offset:1600
	ds_store_b32 v9, v44 offset:1600
	;; [unrolled: 1-line block ×7, first 2 shown]
	v_add_lshl_u32 v9, s25, v0, 2
	v_fma_f32 v8, -v51, v23, v8
	s_delay_alu instid0(VALU_DEP_1) | instskip(SKIP_2) | instid1(VALU_DEP_2)
	v_fma_f32 v8, -v16, v24, v8
	s_waitcnt lgkmcnt(9)
	v_fma_f32 v5, -v15, v5, v10
	v_fma_f32 v8, -v18, v25, v8
	s_delay_alu instid0(VALU_DEP_2) | instskip(SKIP_2) | instid1(VALU_DEP_3)
	v_fma_f32 v5, -v13, v6, v5
	v_add_lshl_u32 v6, s23, v0, 2
	s_waitcnt lgkmcnt(8)
	v_fma_f32 v1, -v15, v1, v8
	s_delay_alu instid0(VALU_DEP_3)
	v_mul_f32_e32 v5, v7, v5
	v_add_lshl_u32 v8, s24, v0, 2
	ds_store_b32 v6, v50 offset:1600
	ds_store_b32 v8, v51 offset:1600
	;; [unrolled: 1-line block ×3, first 2 shown]
	v_fma_f32 v1, -v13, v2, v1
	v_add_lshl_u32 v2, s27, v0, 2
	v_add_lshl_u32 v6, s11, v0, 2
	s_delay_alu instid0(VALU_DEP_3)
	v_fma_f32 v1, -v5, v3, v1
	ds_store_b32 v2, v18 offset:1600
	v_add_lshl_u32 v2, s28, v0, 2
	v_add_lshl_u32 v3, s30, v0, 2
	ds_store_b32 v2, v15 offset:1600
	ds_store_b32 v3, v13 offset:1600
	v_mul_f32_e32 v1, v4, v1
	v_add_lshl_u32 v4, s10, v0, 2
	ds_store_b32 v6, v5 offset:1600
	ds_store_b32 v4, v1 offset:1600
.LBB21_30:
	s_cmp_ge_i32 s4, s15
	s_cbranch_scc1 .LBB21_41
; %bb.31:
	v_lshl_add_u32 v1, v0, 2, 0x640
	s_add_i32 s10, s4, -1
	s_mul_i32 s11, s4, 0x50
	s_mov_b32 s12, 0
	s_mov_b32 s13, s4
	s_branch .LBB21_33
.LBB21_32:                              ;   in Loop: Header=BB21_33 Depth=1
	s_mul_i32 s18, s4, 0x54
	s_delay_alu instid0(SALU_CYCLE_1)
	v_dual_mov_b32 v3, s18 :: v_dual_add_nc_u32 v2, 0x640, v4
	v_add_nc_u16 v4, s13, 1
	s_add_i32 s4, s4, 1
	s_add_i32 s12, s12, 1
	s_addk_i32 s11, 0x50
	ds_load_b32 v3, v3
	v_readfirstlane_b32 s13, v4
	s_cmp_ge_i32 s4, s15
	s_waitcnt lgkmcnt(0)
	v_mul_f32_e32 v3, v3, v5
	ds_store_b32 v2, v3
	s_cbranch_scc1 .LBB21_41
.LBB21_33:                              ; =>This Loop Header: Depth=1
                                        ;     Child Loop BB21_36 Depth 2
                                        ;     Child Loop BB21_40 Depth 2
	s_mul_i32 s18, s4, 20
	s_cmp_eq_u32 s4, 0
	v_add_lshl_u32 v4, s18, v0, 2
	ds_load_b32 v5, v4 offset:1600
	s_cbranch_scc1 .LBB21_32
; %bb.34:                               ;   in Loop: Header=BB21_33 Depth=1
	s_add_i32 s18, s10, s12
	s_delay_alu instid0(SALU_CYCLE_1)
	s_cmp_lt_u32 s18, 7
	s_cbranch_scc1 .LBB21_38
; %bb.35:                               ;   in Loop: Header=BB21_33 Depth=1
	v_mov_b32_e32 v2, v1
	s_and_b32 s18, s4, -8
	s_mov_b32 s19, 0
	s_mov_b32 s20, s11
	s_set_inst_prefetch_distance 0x1
	.p2align	6
.LBB21_36:                              ;   Parent Loop BB21_33 Depth=1
                                        ; =>  This Inner Loop Header: Depth=2
	v_mov_b32_e32 v3, s20
	s_add_i32 s19, s19, 8
	s_add_i32 s20, s20, 32
	s_cmp_lg_u32 s18, s19
	ds_load_2addr_b32 v[14:15], v2 offset1:20
	ds_load_b128 v[6:9], v3
	ds_load_2addr_b32 v[16:17], v2 offset0:40 offset1:60
	ds_load_2addr_b32 v[18:19], v2 offset0:80 offset1:100
	ds_load_b128 v[10:13], v3 offset:16
	s_waitcnt lgkmcnt(3)
	v_fma_f32 v3, -v14, v6, v5
	ds_load_2addr_b32 v[5:6], v2 offset0:120 offset1:140
	v_add_nc_u32_e32 v2, 0x280, v2
	v_fma_f32 v3, -v15, v7, v3
	s_waitcnt lgkmcnt(3)
	s_delay_alu instid0(VALU_DEP_1) | instskip(NEXT) | instid1(VALU_DEP_1)
	v_fma_f32 v3, -v16, v8, v3
	v_fma_f32 v3, -v17, v9, v3
	s_waitcnt lgkmcnt(1)
	s_delay_alu instid0(VALU_DEP_1) | instskip(NEXT) | instid1(VALU_DEP_1)
	v_fma_f32 v3, -v18, v10, v3
	;; [unrolled: 4-line block ×3, first 2 shown]
	v_fma_f32 v5, -v6, v13, v3
	s_cbranch_scc1 .LBB21_36
; %bb.37:                               ;   in Loop: Header=BB21_33 Depth=1
	s_set_inst_prefetch_distance 0x2
	s_and_b32 s19, s4, 7
	s_delay_alu instid0(SALU_CYCLE_1)
	s_cmp_eq_u32 s19, 0
	s_cbranch_scc0 .LBB21_39
	s_branch .LBB21_32
.LBB21_38:                              ;   in Loop: Header=BB21_33 Depth=1
	s_mov_b32 s18, 0
	s_and_b32 s19, s4, 7
	s_delay_alu instid0(SALU_CYCLE_1)
	s_cmp_eq_u32 s19, 0
	s_cbranch_scc1 .LBB21_32
.LBB21_39:                              ;   in Loop: Header=BB21_33 Depth=1
	v_mad_u64_u32 v[2:3], null, 0x50, s18, v[1:2]
	s_and_b32 s19, s13, 7
	s_lshl_b32 s18, s18, 2
.LBB21_40:                              ;   Parent Loop BB21_33 Depth=1
                                        ; =>  This Inner Loop Header: Depth=2
	s_delay_alu instid0(SALU_CYCLE_1)
	s_add_i32 s20, s11, s18
	s_add_i32 s19, s19, -1
	v_mov_b32_e32 v3, s20
	s_add_i32 s18, s18, 4
	s_cmp_lg_u32 s19, 0
	ds_load_b32 v6, v2
	ds_load_b32 v3, v3
	v_add_nc_u32_e32 v2, 0x50, v2
	s_waitcnt lgkmcnt(0)
	v_fma_f32 v5, -v6, v3, v5
	s_cbranch_scc1 .LBB21_40
	s_branch .LBB21_32
.LBB21_41:
	s_mov_b32 s4, 0
.LBB21_42:
	s_delay_alu instid0(SALU_CYCLE_1)
	s_and_b32 vcc_lo, exec_lo, s4
	s_cbranch_vccz .LBB21_64
; %bb.43:
	s_cmp_gt_i32 s6, 19
	s_mov_b32 s4, s26
	s_cbranch_scc0 .LBB21_45
; %bb.44:
	s_mul_i32 s4, s26, 20
	s_mul_i32 s30, s15, 20
	v_add_lshl_u32 v3, s4, v0, 2
	s_sub_i32 s4, s30, 20
	s_sub_i32 s18, s30, 40
	s_add_i32 s12, s15, s4
	s_mul_i32 s31, s26, 0x54
	s_lshl_b32 s12, s12, 2
	s_add_i32 s19, s15, -4
	s_add_i32 s12, s12, -8
	s_add_i32 s23, s19, s18
	v_mov_b32_e32 v9, s12
	s_add_i32 s12, s31, 0xffffffac
	s_sub_i32 s13, s30, 60
	v_add_lshl_u32 v1, s18, v0, 2
	s_lshl_b32 s23, s23, 2
	s_delay_alu instid0(SALU_CYCLE_1)
	v_dual_mov_b32 v13, s12 :: v_dual_mov_b32 v16, s23
	s_add_i32 s12, s19, s4
	v_add_lshl_u32 v2, s13, v0, 2
	s_lshl_b32 s12, s12, 2
	ds_load_b32 v8, v3 offset:1600
	ds_load_b32 v11, v1 offset:1600
	ds_load_b32 v12, v2 offset:1600
	v_mov_b32_e32 v14, s12
	ds_load_2addr_b32 v[9:10], v9 offset1:1
	ds_load_b32 v13, v13
	s_add_i32 s19, s19, s13
	ds_load_2addr_b32 v[14:15], v14 offset1:1
	ds_load_2addr_b32 v[16:17], v16 offset1:1
	s_add_i32 s11, s30, 0xffffffb0
	s_add_i32 s10, s30, 0xffffff9c
	s_lshl_b32 s12, s19, 2
	v_add_lshl_u32 v3, s11, v0, 2
	s_add_i32 s22, s30, 0xffffff88
	v_add_lshl_u32 v4, s10, v0, 2
	s_add_i32 s21, s30, 0xffffff74
	v_mov_b32_e32 v18, s12
	v_add_lshl_u32 v5, s22, v0, 2
	s_add_i32 s20, s30, 0xffffff60
	v_add_lshl_u32 v6, s21, v0, 2
	v_add_lshl_u32 v7, s20, v0, 2
	s_add_i32 s12, s31, 0xffffff04
	ds_load_b32 v20, v3 offset:1600
	ds_load_b32 v28, v4 offset:1600
	;; [unrolled: 1-line block ×5, first 2 shown]
	s_waitcnt lgkmcnt(8)
	v_dual_mov_b32 v21, s12 :: v_dual_mul_f32 v8, v10, v8
	ds_load_2addr_b32 v[18:19], v18 offset1:1
	s_add_i32 s27, s15, -6
	s_add_i32 s33, s15, -8
	ds_load_b32 v33, v21
	v_fma_f32 v11, -v8, v9, v11
	s_add_i32 s28, s27, s4
	s_add_i32 s29, s27, s13
	s_lshl_b32 s28, s28, 2
	s_lshl_b32 s29, s29, 2
	s_waitcnt lgkmcnt(9)
	v_mul_f32_e32 v13, v13, v11
	s_waitcnt lgkmcnt(8)
	v_fma_f32 v15, -v8, v15, v12
	s_add_i32 s34, s31, 0xfffffe08
	s_add_i32 s23, s30, 0xffffff4c
	;; [unrolled: 1-line block ×3, first 2 shown]
	v_add_lshl_u32 v9, s23, v0, 2
	s_waitcnt lgkmcnt(7)
	v_fma_f32 v15, -v13, v17, v15
	s_waitcnt lgkmcnt(6)
	v_fma_f32 v17, -v8, v14, v20
	v_mov_b32_e32 v20, s29
	s_add_i32 s29, s33, s4
	s_add_i32 s24, s30, 0xffffff24
	s_waitcnt lgkmcnt(1)
	v_mul_f32_e32 v14, v19, v15
	v_fma_f32 v16, -v13, v16, v17
	v_mov_b32_e32 v17, s28
	s_add_i32 s28, s27, s18
	v_add_lshl_u32 v10, s25, v0, 2
	s_lshl_b32 s28, s28, 2
	v_fma_f32 v35, -v14, v18, v16
	v_mov_b32_e32 v19, s28
	ds_load_2addr_b32 v[16:17], v17 offset1:1
	ds_load_2addr_b32 v[18:19], v19 offset1:1
	;; [unrolled: 1-line block ×3, first 2 shown]
	s_add_i32 s28, s27, s10
	s_add_i32 s27, s27, s11
	s_lshl_b32 s28, s28, 2
	s_lshl_b32 s27, s27, 2
	v_mov_b32_e32 v22, s28
	s_add_i32 s28, s31, 0xfffffe5c
	v_mov_b32_e32 v26, s27
	v_mov_b32_e32 v24, s28
	s_lshl_b32 s28, s29, 2
	s_add_i32 s29, s33, s18
	v_mov_b32_e32 v25, s28
	s_lshl_b32 s28, s29, 2
	s_add_i32 s27, s33, s13
	;; [unrolled: 3-line block ×3, first 2 shown]
	v_mov_b32_e32 v30, s27
	s_waitcnt lgkmcnt(2)
	v_fma_f32 v17, -v8, v17, v28
	s_lshl_b32 s27, s28, 2
	v_fma_f32 v38, -v8, v16, v32
	v_mul_f32_e32 v16, v33, v35
	s_add_i32 s19, s30, 0xffffff10
	s_waitcnt lgkmcnt(1)
	v_fma_f32 v17, -v13, v19, v17
	v_mov_b32_e32 v19, s27
	ds_load_2addr_b32 v[22:23], v22 offset1:1
	ds_load_b32 v37, v24
	ds_load_2addr_b32 v[24:25], v25 offset1:1
	ds_load_2addr_b32 v[26:27], v26 offset1:1
	;; [unrolled: 1-line block ×3, first 2 shown]
	s_add_i32 s27, s33, s10
	v_fma_f32 v18, -v13, v18, v38
	ds_load_2addr_b32 v[32:33], v19 offset1:1
	s_lshl_b32 s27, s27, 2
	s_waitcnt lgkmcnt(6)
	v_fma_f32 v17, -v14, v21, v17
	v_mov_b32_e32 v35, s27
	ds_load_2addr_b32 v[30:31], v30 offset1:1
	s_add_i32 s27, s33, s22
	v_fma_f32 v18, -v14, v20, v18
	s_lshl_b32 s27, s27, 2
	v_add_lshl_u32 v11, s24, v0, 2
	v_mov_b32_e32 v21, s27
	s_add_i32 s12, s30, 0xfffffefc
	v_add_lshl_u32 v12, s19, v0, 2
	s_add_i32 s27, s30, 0xfffffee8
	s_add_i32 s29, s30, 0xfffffed4
	;; [unrolled: 1-line block ×3, first 2 shown]
	s_waitcnt lgkmcnt(4)
	v_fma_f32 v19, -v8, v25, v34
	ds_load_2addr_b32 v[34:35], v35 offset1:1
	s_waitcnt lgkmcnt(4)
	v_fma_f32 v17, -v16, v27, v17
	v_fma_f32 v18, -v16, v26, v18
	ds_load_2addr_b32 v[25:26], v21 offset1:1
	s_waitcnt lgkmcnt(4)
	v_fma_f32 v19, -v13, v29, v19
	v_fma_f32 v24, -v8, v24, v36
	v_dual_mul_f32 v20, v23, v17 :: v_dual_mov_b32 v23, s34
	s_add_i32 s34, s15, -10
	s_waitcnt lgkmcnt(2)
	v_fma_f32 v19, -v14, v31, v19
	s_add_i32 s35, s34, s4
	v_fma_f32 v21, -v20, v22, v18
	s_lshl_b32 s35, s35, 2
	v_add_lshl_u32 v15, s12, v0, 2
	v_fma_f32 v22, -v16, v33, v19
	v_add_lshl_u32 v17, s27, v0, 2
	v_mul_f32_e32 v21, v37, v21
	v_add_lshl_u32 v18, s29, v0, 2
	v_add_lshl_u32 v19, s28, v0, 2
	ds_load_b32 v33, v9 offset:1600
	ds_load_b32 v41, v10 offset:1600
	;; [unrolled: 1-line block ×8, first 2 shown]
	s_waitcnt lgkmcnt(9)
	v_fma_f32 v22, -v20, v35, v22
	ds_load_b32 v39, v23
	v_fma_f32 v23, -v13, v28, v24
	v_mov_b32_e32 v24, s35
	s_add_i32 s36, s34, s18
	s_waitcnt lgkmcnt(9)
	v_fma_f32 v22, -v21, v26, v22
	s_lshl_b32 s35, s36, 2
	v_fma_f32 v28, -v14, v30, v23
	v_mov_b32_e32 v26, s35
	s_add_i32 s35, s34, s13
	ds_load_2addr_b32 v[23:24], v24 offset1:1
	s_add_i32 s33, s33, s21
	s_lshl_b32 s35, s35, 2
	s_lshl_b32 s33, s33, 2
	v_mov_b32_e32 v29, s35
	ds_load_2addr_b32 v[26:27], v26 offset1:1
	s_add_i32 s35, s34, s11
	v_mov_b32_e32 v30, s33
	s_lshl_b32 s33, s35, 2
	v_fma_f32 v40, -v16, v32, v28
	v_mov_b32_e32 v31, s33
	s_add_i32 s33, s34, s10
	ds_load_2addr_b32 v[28:29], v29 offset1:1
	s_lshl_b32 s33, s33, 2
	s_add_i32 s35, s31, 0xfffffdb4
	v_mov_b32_e32 v32, s33
	s_add_i32 s33, s34, s22
	s_waitcnt lgkmcnt(3)
	v_dual_mov_b32 v37, s35 :: v_dual_mul_f32 v22, v39, v22
	s_lshl_b32 s33, s33, 2
	ds_load_b32 v44, v30
	v_mov_b32_e32 v35, s33
	s_add_i32 s33, s34, s21
	ds_load_b32 v45, v37
	s_lshl_b32 s33, s33, 2
	ds_load_2addr_b32 v[35:36], v35 offset1:1
	s_waitcnt lgkmcnt(5)
	v_fma_f32 v24, -v8, v24, v33
	ds_load_2addr_b32 v[32:33], v32 offset1:1
	v_fma_f32 v23, -v8, v23, v41
	s_waitcnt lgkmcnt(5)
	v_fma_f32 v24, -v13, v27, v24
	v_mov_b32_e32 v27, s33
	s_add_i32 s33, s34, s20
	v_fma_f32 v26, -v13, v26, v23
	s_lshl_b32 s33, s33, 2
	s_waitcnt lgkmcnt(4)
	v_fma_f32 v24, -v14, v29, v24
	ds_load_2addr_b32 v[37:38], v27 offset1:1
	ds_load_2addr_b32 v[30:31], v31 offset1:1
	v_fma_f32 v27, -v20, v34, v40
	v_mov_b32_e32 v29, s33
	s_add_i32 s33, s31, 0xfffffd60
	v_fma_f32 v26, -v14, v28, v26
	s_add_i32 s34, s34, s23
	v_fma_f32 v25, -v21, v25, v27
	ds_load_2addr_b32 v[39:40], v29 offset1:1
	s_lshl_b32 s34, s34, 2
	s_addk_i32 s31, 0xfd0c
	s_waitcnt lgkmcnt(6)
	v_fma_f32 v25, -v22, v44, v25
	s_waitcnt lgkmcnt(5)
	s_delay_alu instid0(VALU_DEP_1)
	v_mul_f32_e32 v23, v45, v25
	v_mov_b32_e32 v25, s33
	s_add_i32 s33, s15, -12
	v_mov_b32_e32 v45, s31
	s_waitcnt lgkmcnt(1)
	v_fma_f32 v24, -v16, v31, v24
	s_add_i32 s35, s33, s4
	v_fma_f32 v29, -v16, v30, v26
	s_lshl_b32 s35, s35, 2
	s_add_i32 s36, s33, s13
	v_fma_f32 v24, -v20, v33, v24
	v_mov_b32_e32 v31, s34
	s_delay_alu instid0(VALU_DEP_2) | instskip(SKIP_1) | instid1(VALU_DEP_2)
	v_fma_f32 v24, -v21, v36, v24
	v_fma_f32 v36, -v20, v32, v29
	;; [unrolled: 1-line block ×3, first 2 shown]
	ds_load_b32 v38, v25
	v_mov_b32_e32 v25, s35
	s_add_i32 s35, s33, s18
	v_fma_f32 v47, -v21, v35, v36
	s_lshl_b32 s35, s35, 2
	ds_load_2addr_b32 v[25:26], v25 offset1:1
	v_mov_b32_e32 v27, s35
	s_lshl_b32 s35, s36, 2
	s_delay_alu instid0(SALU_CYCLE_1)
	v_mov_b32_e32 v30, s35
	s_add_i32 s35, s33, s11
	ds_load_2addr_b32 v[27:28], v27 offset1:1
	s_lshl_b32 s34, s35, 2
	ds_load_2addr_b32 v[29:30], v30 offset1:1
	ds_load_b32 v44, v31
	v_mov_b32_e32 v32, s34
	s_add_i32 s34, s33, s10
	s_add_i32 s35, s33, s22
	s_lshl_b32 s34, s34, 2
	ds_load_b32 v45, v45
	ds_load_2addr_b32 v[31:32], v32 offset1:1
	v_mov_b32_e32 v33, s34
	s_lshl_b32 s34, s35, 2
	s_add_i32 s35, s15, -14
	v_mov_b32_e32 v41, s34
	s_waitcnt lgkmcnt(5)
	v_fma_f32 v26, -v8, v26, v42
	ds_load_2addr_b32 v[33:34], v33 offset1:1
	s_add_i32 s34, s33, s21
	s_add_i32 s36, s35, s23
	s_lshl_b32 s31, s34, 2
	ds_load_2addr_b32 v[41:42], v41 offset1:1
	s_waitcnt lgkmcnt(6)
	v_fma_f32 v26, -v13, v28, v26
	v_mov_b32_e32 v28, s31
	s_add_i32 s31, s33, s20
	v_fma_f32 v24, -v23, v40, v24
	s_lshl_b32 s31, s31, 2
	s_waitcnt lgkmcnt(5)
	v_fma_f32 v26, -v14, v30, v26
	ds_load_2addr_b32 v[35:36], v28 offset1:1
	v_fma_f32 v28, -v22, v37, v47
	v_mov_b32_e32 v30, s31
	v_mul_f32_e32 v24, v38, v24
	s_waitcnt lgkmcnt(3)
	v_fma_f32 v26, -v16, v32, v26
	s_add_i32 s31, s33, s23
	v_fma_f32 v28, -v23, v39, v28
	ds_load_2addr_b32 v[37:38], v30 offset1:1
	v_fma_f32 v30, -v8, v25, v43
	s_waitcnt lgkmcnt(3)
	v_fma_f32 v26, -v20, v34, v26
	s_lshl_b32 s31, s31, 2
	v_fma_f32 v28, -v24, v44, v28
	s_add_i32 s34, s33, s25
	s_add_i32 s33, s33, s24
	s_waitcnt lgkmcnt(2)
	v_fma_f32 v26, -v21, v42, v26
	s_lshl_b32 s33, s33, 2
	v_mul_f32_e32 v25, v45, v28
	s_lshl_b32 s36, s36, 2
	s_add_i32 s37, s35, s25
	s_waitcnt lgkmcnt(1)
	v_fma_f32 v28, -v22, v36, v26
	v_fma_f32 v26, -v13, v27, v30
	v_mov_b32_e32 v27, s31
	s_lshl_b32 s31, s34, 2
	s_add_i32 s34, s35, s18
	v_mov_b32_e32 v34, s31
	s_add_i32 s31, s35, s4
	v_fma_f32 v26, -v14, v29, v26
	s_lshl_b32 s31, s31, 2
	s_delay_alu instid0(SALU_CYCLE_1) | instskip(SKIP_1) | instid1(VALU_DEP_2)
	v_dual_mov_b32 v36, s33 :: v_dual_mov_b32 v29, s31
	s_lshl_b32 s31, s34, 2
	v_fma_f32 v26, -v16, v31, v26
	v_mov_b32_e32 v31, s31
	s_add_i32 s31, s35, s13
	ds_load_2addr_b32 v[29:30], v29 offset1:1
	s_lshl_b32 s31, s31, 2
	s_add_i32 s33, s35, s11
	ds_load_2addr_b32 v[31:32], v31 offset1:1
	v_mov_b32_e32 v42, s31
	s_lshl_b32 s31, s33, 2
	v_fma_f32 v44, -v20, v33, v26
	ds_load_2addr_b32 v[26:27], v27 offset1:1
	ds_load_2addr_b32 v[33:34], v34 offset1:1
	;; [unrolled: 1-line block ×3, first 2 shown]
	v_mov_b32_e32 v36, s31
	ds_load_2addr_b32 v[42:43], v42 offset1:1
	s_add_i32 s33, s35, s10
	v_fma_f32 v41, -v21, v41, v44
	s_lshl_b32 s33, s33, 2
	ds_load_2addr_b32 v[44:45], v36 offset1:1
	v_mov_b32_e32 v36, s33
	s_add_i32 s34, s35, s22
	s_mul_i32 s31, s15, 0x54
	s_lshl_b32 s33, s34, 2
	s_add_i32 s34, s31, 0xfffffc10
	v_mov_b32_e32 v48, s33
	s_waitcnt lgkmcnt(6)
	v_fma_f32 v30, -v8, v30, v46
	ds_load_2addr_b32 v[46:47], v36 offset1:1
	s_add_i32 s33, s35, s21
	v_fma_f32 v28, -v23, v38, v28
	ds_load_2addr_b32 v[48:49], v48 offset1:1
	s_lshl_b32 s33, s33, 2
	s_waitcnt lgkmcnt(7)
	v_fma_f32 v30, -v13, v32, v30
	v_mov_b32_e32 v32, s33
	s_add_i32 s33, s35, s20
	v_fma_f32 v38, -v22, v35, v41
	s_lshl_b32 s33, s33, 2
	s_waitcnt lgkmcnt(3)
	v_fma_f32 v30, -v14, v43, v30
	ds_load_2addr_b32 v[50:51], v32 offset1:1
	v_mov_b32_e32 v36, s33
	v_mov_b32_e32 v32, s34
	ds_load_2addr_b32 v[35:36], v36 offset1:1
	ds_load_b32 v58, v32
	s_waitcnt lgkmcnt(5)
	v_fma_f32 v30, -v16, v45, v30
	v_fma_f32 v27, -v24, v27, v28
	;; [unrolled: 1-line block ×3, first 2 shown]
	s_add_i32 s38, s31, 0xfffffb68
	s_add_i32 s33, s30, 0xfffffeac
	s_waitcnt lgkmcnt(4)
	v_fma_f32 v30, -v20, v47, v30
	v_fma_f32 v27, -v25, v34, v27
	;; [unrolled: 1-line block ×4, first 2 shown]
	s_add_i32 s34, s30, 0xfffffe98
	s_waitcnt lgkmcnt(3)
	v_fma_f32 v30, -v21, v49, v30
	v_mul_f32_e32 v28, v40, v27
	v_mov_b32_e32 v40, s36
	s_lshl_b32 s36, s37, 2
	s_add_i32 s37, s35, s12
	s_waitcnt lgkmcnt(2)
	v_fma_f32 v30, -v22, v51, v30
	v_mov_b32_e32 v43, s36
	s_lshl_b32 s36, s37, 2
	s_add_i32 s37, s15, -16
	v_fma_f32 v32, -v25, v33, v26
	s_waitcnt lgkmcnt(1)
	v_fma_f32 v60, -v23, v36, v30
	v_mov_b32_e32 v30, s36
	s_add_i32 s36, s37, s4
	v_fma_f32 v31, -v13, v31, v34
	s_lshl_b32 s36, s36, 2
	v_fma_f32 v59, -v28, v39, v32
	v_mov_b32_e32 v33, s36
	s_add_i32 s36, s35, s24
	s_add_i32 s35, s35, s19
	s_lshl_b32 s36, s36, 2
	s_lshl_b32 s35, s35, 2
	v_dual_mov_b32 v45, s36 :: v_dual_mov_b32 v32, s38
	v_mov_b32_e32 v47, s35
	ds_load_2addr_b32 v[29:30], v30 offset1:1
	ds_load_b32 v61, v32
	ds_load_2addr_b32 v[32:33], v33 offset1:1
	s_add_i32 s38, s37, s18
	s_add_i32 s35, s37, s13
	s_lshl_b32 s38, s38, 2
	s_add_i32 s36, s37, s11
	v_mov_b32_e32 v34, s38
	s_lshl_b32 s35, s35, 2
	s_lshl_b32 s36, s36, 2
	v_fma_f32 v31, -v14, v42, v31
	v_mov_b32_e32 v38, s36
	ds_load_2addr_b32 v[36:37], v34 offset1:1
	v_mov_b32_e32 v34, s35
	s_add_i32 s35, s37, s10
	s_add_i32 s36, s37, s22
	s_lshl_b32 s35, s35, 2
	v_fma_f32 v31, -v16, v44, v31
	v_mov_b32_e32 v51, s35
	s_lshl_b32 s35, s36, 2
	s_add_i32 s36, s37, s20
	s_add_i32 s38, s31, 0xfffffac0
	s_waitcnt lgkmcnt(1)
	v_fma_f32 v49, -v8, v33, v53
	v_mov_b32_e32 v53, s35
	ds_load_2addr_b32 v[33:34], v34 offset1:1
	ds_load_2addr_b32 v[38:39], v38 offset1:1
	v_fma_f32 v31, -v20, v46, v31
	ds_load_2addr_b32 v[40:41], v40 offset1:1
	ds_load_2addr_b32 v[42:43], v43 offset1:1
	;; [unrolled: 1-line block ×4, first 2 shown]
	s_add_i32 s35, s37, s21
	ds_load_2addr_b32 v[51:52], v51 offset1:1
	s_lshl_b32 s35, s35, 2
	v_fma_f32 v31, -v21, v48, v31
	v_add_lshl_u32 v26, s33, v0, 2
	s_waitcnt lgkmcnt(7)
	v_fma_f32 v37, -v13, v37, v49
	ds_load_2addr_b32 v[48:49], v53 offset1:1
	v_mov_b32_e32 v53, s35
	s_lshl_b32 s35, s36, 2
	v_fma_f32 v31, -v22, v50, v31
	s_add_i32 s36, s37, s12
	v_add_lshl_u32 v27, s34, v0, 2
	ds_load_2addr_b32 v[53:54], v53 offset1:1
	s_lshl_b32 s36, s36, 2
	v_fma_f32 v31, -v23, v35, v31
	s_waitcnt lgkmcnt(8)
	v_fma_f32 v34, -v14, v34, v37
	v_mov_b32_e32 v37, s35
	s_add_i32 s35, s37, s23
	s_waitcnt lgkmcnt(6)
	v_fma_f32 v31, -v24, v40, v31
	s_lshl_b32 s35, s35, 2
	v_fma_f32 v34, -v16, v39, v34
	ds_load_2addr_b32 v[55:56], v37 offset1:1
	v_fma_f32 v37, -v24, v41, v60
	v_mul_f32_e32 v60, v58, v59
	s_waitcnt lgkmcnt(6)
	v_fma_f32 v31, -v25, v42, v31
	s_waitcnt lgkmcnt(3)
	v_fma_f32 v41, -v20, v52, v34
	v_fma_f32 v37, -v25, v43, v37
	s_delay_alu instid0(VALU_DEP_3) | instskip(SKIP_1) | instid1(VALU_DEP_3)
	v_fma_f32 v31, -v28, v44, v31
	s_waitcnt lgkmcnt(2)
	v_fma_f32 v41, -v21, v49, v41
	v_mov_b32_e32 v44, s36
	v_fma_f32 v37, -v28, v45, v37
	s_delay_alu instid0(VALU_DEP_1) | instskip(SKIP_2) | instid1(SALU_CYCLE_1)
	v_fma_f32 v37, -v60, v47, v37
	v_mov_b32_e32 v39, s35
	s_add_i32 s35, s37, s25
	s_lshl_b32 s35, s35, 2
	s_delay_alu instid0(VALU_DEP_2)
	v_mul_f32_e32 v64, v30, v37
	ds_load_2addr_b32 v[34:35], v39 offset1:1
	v_mov_b32_e32 v39, s35
	s_add_i32 s35, s30, 0xfffffe84
	s_addk_i32 s30, 0xfe70
	s_waitcnt lgkmcnt(2)
	v_fma_f32 v41, -v22, v54, v41
	v_add_lshl_u32 v63, s30, v0, 2
	s_add_i32 s30, s37, s24
	v_fma_f32 v30, -v60, v46, v31
	s_lshl_b32 s30, s30, 2
	s_waitcnt lgkmcnt(1)
	v_fma_f32 v41, -v23, v56, v41
	v_mov_b32_e32 v37, s30
	s_add_i32 s30, s37, s19
	v_fma_f32 v68, -v64, v29, v30
	s_lshl_b32 s30, s30, 2
	v_fma_f32 v29, -v8, v32, v57
	v_mov_b32_e32 v42, s30
	ds_load_2addr_b32 v[39:40], v39 offset1:1
	s_add_i32 s30, s37, s29
	v_add_lshl_u32 v62, s35, v0, 2
	s_lshl_b32 s30, s30, 2
	s_waitcnt lgkmcnt(1)
	v_fma_f32 v31, -v24, v35, v41
	v_mov_b32_e32 v30, s30
	s_sub_i32 s30, s15, 18
	v_fma_f32 v29, -v13, v36, v29
	s_add_i32 s36, s30, s4
	ds_load_b32 v49, v26 offset:1600
	ds_load_b32 v65, v27 offset:1600
	;; [unrolled: 1-line block ×4, first 2 shown]
	s_lshl_b32 s36, s36, 2
	s_add_i32 s37, s37, s27
	v_mov_b32_e32 v32, s36
	s_add_i32 s36, s30, s18
	v_fma_f32 v33, -v14, v33, v29
	s_lshl_b32 s36, s36, 2
	s_lshl_b32 s37, s37, 2
	s_delay_alu instid0(SALU_CYCLE_1) | instskip(NEXT) | instid1(VALU_DEP_2)
	v_dual_mov_b32 v35, s36 :: v_dual_mov_b32 v46, s37
	v_fma_f32 v33, -v16, v38, v33
	s_waitcnt lgkmcnt(4)
	v_fma_f32 v50, -v25, v40, v31
	v_mov_b32_e32 v31, s38
	ds_load_2addr_b32 v[29:30], v30 offset1:1
	ds_load_b32 v69, v31
	ds_load_2addr_b32 v[31:32], v32 offset1:1
	s_add_i32 s38, s30, s13
	ds_load_2addr_b32 v[35:36], v35 offset1:1
	s_lshl_b32 s36, s38, 2
	v_fma_f32 v51, -v20, v51, v33
	v_mov_b32_e32 v40, s36
	s_add_i32 s36, s30, s11
	s_add_i32 s37, s30, s22
	s_lshl_b32 s36, s36, 2
	v_fma_f32 v51, -v21, v48, v51
	v_mov_b32_e32 v33, s36
	ds_load_2addr_b32 v[37:38], v37 offset1:1
	ds_load_2addr_b32 v[40:41], v40 offset1:1
	s_add_i32 s36, s30, s10
	v_mul_f32_e32 v61, v61, v68
	s_lshl_b32 s36, s36, 2
	s_delay_alu instid0(SALU_CYCLE_1)
	v_mov_b32_e32 v52, s36
	s_lshl_b32 s36, s37, 2
	s_add_i32 s37, s30, s20
	v_mov_b32_e32 v54, s36
	s_waitcnt lgkmcnt(3)
	v_fma_f32 v49, -v8, v32, v49
	s_add_i32 s36, s30, s21
	v_fma_f32 v31, -v8, v31, v65
	s_lshl_b32 s36, s36, 2
	s_waitcnt lgkmcnt(2)
	v_fma_f32 v36, -v13, v36, v49
	s_delay_alu instid0(VALU_DEP_2)
	v_fma_f32 v31, -v13, v35, v31
	s_waitcnt lgkmcnt(1)
	v_fma_f32 v38, -v28, v38, v50
	s_waitcnt lgkmcnt(0)
	v_fma_f32 v36, -v14, v41, v36
	v_mov_b32_e32 v41, s36
	ds_load_2addr_b32 v[42:43], v42 offset1:1
	ds_load_2addr_b32 v[44:45], v44 offset1:1
	;; [unrolled: 1-line block ×5, first 2 shown]
	v_fma_f32 v52, -v22, v53, v51
	s_lshl_b32 s36, s37, 2
	ds_load_2addr_b32 v[50:51], v54 offset1:1
	s_add_i32 s37, s30, s19
	v_fma_f32 v54, -v23, v55, v52
	v_mov_b32_e32 v55, s36
	s_add_i32 s36, s30, s23
	ds_load_2addr_b32 v[52:53], v41 offset1:1
	s_lshl_b32 s36, s36, 2
	v_fma_f32 v41, -v24, v34, v54
	v_mov_b32_e32 v54, s36
	s_add_i32 s36, s30, s25
	s_delay_alu instid0(SALU_CYCLE_1)
	s_lshl_b32 s36, s36, 2
	s_waitcnt lgkmcnt(6)
	v_fma_f32 v43, -v60, v43, v38
	v_mov_b32_e32 v38, s36
	v_fma_f32 v41, -v25, v39, v41
	s_add_i32 s36, s30, s24
	s_delay_alu instid0(SALU_CYCLE_1)
	s_lshl_b32 s36, s36, 2
	ds_load_2addr_b32 v[38:39], v38 offset1:1
	s_waitcnt lgkmcnt(4)
	v_fma_f32 v36, -v16, v33, v36
	ds_load_2addr_b32 v[33:34], v55 offset1:1
	v_fma_f32 v41, -v28, v37, v41
	v_fma_f32 v43, -v64, v45, v43
	s_waitcnt lgkmcnt(4)
	v_fma_f32 v36, -v20, v49, v36
	v_mov_b32_e32 v49, s36
	s_lshl_b32 s36, s37, 2
	v_fma_f32 v45, -v60, v42, v41
	s_sub_i32 s37, s15, 20
	s_waitcnt lgkmcnt(3)
	v_fma_f32 v36, -v21, v51, v36
	v_mov_b32_e32 v51, s36
	ds_load_2addr_b32 v[56:57], v49 offset1:1
	s_add_i32 s36, s30, s12
	s_add_i32 s18, s37, s18
	s_waitcnt lgkmcnt(3)
	v_fma_f32 v36, -v22, v53, v36
	ds_load_2addr_b32 v[58:59], v51 offset1:1
	ds_load_2addr_b32 v[54:55], v54 offset1:1
	s_lshl_b32 s36, s36, 2
	s_lshl_b32 s18, s18, 2
	s_add_i32 s13, s37, s13
	s_waitcnt lgkmcnt(3)
	v_fma_f32 v34, -v23, v34, v36
	v_mov_b32_e32 v36, s36
	s_add_i32 s36, s30, s27
	s_lshl_b32 s13, s13, 2
	s_lshl_b32 s36, s36, 2
	v_mov_b32_e32 v35, s13
	ds_load_2addr_b32 v[36:37], v36 offset1:1
	v_mov_b32_e32 v49, s36
	s_add_i32 s36, s30, s29
	s_add_i32 s11, s37, s11
	s_lshl_b32 s36, s36, 2
	s_lshl_b32 s11, s11, 2
	ds_load_2addr_b32 v[41:42], v49 offset1:1
	s_add_i32 s10, s37, s10
	s_add_i32 s13, s37, s20
	s_lshl_b32 s10, s10, 2
	s_waitcnt lgkmcnt(2)
	v_fma_f32 v34, -v24, v55, v34
	s_delay_alu instid0(VALU_DEP_1) | instskip(SKIP_2) | instid1(VALU_DEP_3)
	v_fma_f32 v34, -v25, v39, v34
	v_fma_f32 v39, -v61, v47, v43
	;; [unrolled: 1-line block ×4, first 2 shown]
	s_delay_alu instid0(VALU_DEP_3) | instskip(NEXT) | instid1(VALU_DEP_3)
	v_mul_f32_e32 v57, v30, v39
	v_fma_f32 v30, -v61, v46, v43
	s_delay_alu instid0(VALU_DEP_3) | instskip(NEXT) | instid1(VALU_DEP_2)
	v_fma_f32 v34, -v60, v59, v34
	v_fma_f32 v29, -v57, v29, v30
	s_waitcnt lgkmcnt(1)
	s_delay_alu instid0(VALU_DEP_2) | instskip(SKIP_1) | instid1(VALU_DEP_3)
	v_fma_f32 v30, -v64, v37, v34
	v_mov_b32_e32 v37, s36
	v_mul_f32_e32 v59, v69, v29
	v_fma_f32 v29, -v14, v40, v31
	s_add_i32 s36, s37, s4
	s_waitcnt lgkmcnt(0)
	v_fma_f32 v65, -v61, v42, v30
	s_lshl_b32 s36, s36, 2
	v_fma_f32 v31, -v16, v32, v29
	v_dual_mov_b32 v29, s36 :: v_dual_mov_b32 v32, s18
	s_add_i32 s36, s30, s28
	s_add_i32 s30, s30, s33
	s_delay_alu instid0(VALU_DEP_2) | instskip(SKIP_3) | instid1(SALU_CYCLE_1)
	v_fma_f32 v34, -v20, v48, v31
	ds_load_2addr_b32 v[29:30], v29 offset1:1
	ds_load_2addr_b32 v[31:32], v32 offset1:1
	s_lshl_b32 s18, s36, 2
	v_mov_b32_e32 v42, s18
	v_fma_f32 v44, -v21, v50, v34
	ds_load_2addr_b32 v[34:35], v35 offset1:1
	ds_load_2addr_b32 v[39:40], v37 offset1:1
	;; [unrolled: 1-line block ×3, first 2 shown]
	v_mov_b32_e32 v37, s11
	v_fma_f32 v46, -v22, v52, v44
	s_add_i32 s11, s37, s22
	s_delay_alu instid0(SALU_CYCLE_1)
	s_lshl_b32 s11, s11, 2
	ds_load_2addr_b32 v[44:45], v37 offset1:1
	v_mov_b32_e32 v37, s10
	v_fma_f32 v33, -v23, v33, v46
	s_lshl_b32 s10, s30, 2
	s_waitcnt lgkmcnt(5)
	v_fma_f32 v30, -v8, v30, v66
	ds_load_2addr_b32 v[46:47], v37 offset1:1
	v_fma_f32 v37, -v24, v54, v33
	v_fma_f32 v54, -v8, v29, v67
	s_waitcnt lgkmcnt(5)
	v_fma_f32 v30, -v13, v32, v30
	v_mov_b32_e32 v32, s11
	s_add_i32 s11, s37, s21
	v_fma_f32 v48, -v25, v38, v37
	s_lshl_b32 s11, s11, 2
	s_waitcnt lgkmcnt(4)
	v_fma_f32 v30, -v14, v35, v30
	v_mov_b32_e32 v35, s11
	s_lshl_b32 s11, s13, 2
	ds_load_2addr_b32 v[32:33], v32 offset1:1
	v_mov_b32_e32 v49, s11
	s_waitcnt lgkmcnt(2)
	v_fma_f32 v30, -v16, v45, v30
	ds_load_2addr_b32 v[37:38], v35 offset1:1
	v_fma_f32 v45, -v28, v56, v48
	s_add_i32 s11, s37, s25
	ds_load_2addr_b32 v[48:49], v49 offset1:1
	v_mov_b32_e32 v35, s10
	s_add_i32 s10, s37, s23
	s_waitcnt lgkmcnt(3)
	v_fma_f32 v30, -v20, v47, v30
	s_lshl_b32 s10, s10, 2
	v_fma_f32 v31, -v13, v31, v54
	v_mov_b32_e32 v47, s10
	s_lshl_b32 s10, s11, 2
	s_add_i32 s11, s31, 0xfffffa18
	v_mov_b32_e32 v52, s10
	s_add_i32 s10, s37, s24
	ds_load_2addr_b32 v[50:51], v47 offset1:1
	s_lshl_b32 s10, s10, 2
	v_fma_f32 v31, -v14, v34, v31
	ds_load_2addr_b32 v[52:53], v52 offset1:1
	s_waitcnt lgkmcnt(4)
	v_fma_f32 v30, -v21, v33, v30
	v_mov_b32_e32 v47, s10
	v_mov_b32_e32 v33, s11
	v_fma_f32 v31, -v16, v44, v31
	s_add_i32 s10, s37, s19
	s_waitcnt lgkmcnt(3)
	v_fma_f32 v38, -v22, v38, v30
	ds_load_2addr_b32 v[29:30], v47 offset1:1
	ds_load_2addr_b32 v[54:55], v35 offset1:1
	ds_load_b32 v47, v33
	s_lshl_b32 s10, s10, 2
	v_fma_f32 v31, -v20, v46, v31
	s_waitcnt lgkmcnt(5)
	v_fma_f32 v35, -v23, v49, v38
	v_mov_b32_e32 v33, s10
	v_fma_f32 v38, -v57, v40, v65
	v_fma_f32 v40, -v60, v58, v45
	s_add_i32 s10, s37, s12
	v_fma_f32 v31, -v21, v32, v31
	s_waitcnt lgkmcnt(4)
	v_fma_f32 v35, -v24, v51, v35
	s_lshl_b32 s10, s10, 2
	ds_load_2addr_b32 v[33:34], v33 offset1:1
	v_fma_f32 v36, -v64, v36, v40
	v_fma_f32 v32, -v22, v37, v31
	s_waitcnt lgkmcnt(4)
	v_fma_f32 v35, -v25, v53, v35
	v_fma_f32 v43, -v59, v43, v38
	s_add_i32 s11, s37, s29
	v_fma_f32 v38, -v61, v41, v36
	v_fma_f32 v32, -v23, v48, v32
	s_waitcnt lgkmcnt(3)
	v_fma_f32 v40, -v28, v30, v35
	v_mov_b32_e32 v30, s10
	s_add_i32 s10, s37, s27
	s_lshl_b32 s11, s11, 2
	s_lshl_b32 s10, s10, 2
	v_fma_f32 v32, -v24, v50, v32
	v_mov_b32_e32 v35, s10
	s_add_i32 s10, s37, s28
	v_mov_b32_e32 v37, s11
	s_lshl_b32 s10, s10, 2
	v_fma_f32 v32, -v25, v52, v32
	ds_load_2addr_b32 v[35:36], v35 offset1:1
	ds_load_2addr_b32 v[30:31], v30 offset1:1
	v_mov_b32_e32 v41, s10
	v_fma_f32 v44, -v57, v39, v38
	s_waitcnt lgkmcnt(2)
	v_fma_f32 v34, -v60, v34, v40
	ds_load_2addr_b32 v[37:38], v37 offset1:1
	ds_load_2addr_b32 v[39:40], v41 offset1:1
	s_add_i32 s10, s37, s33
	v_fma_f32 v29, -v28, v29, v32
	s_lshl_b32 s10, s10, 2
	s_add_i32 s11, s37, s34
	v_mov_b32_e32 v41, s10
	s_lshl_b32 s10, s11, 2
	v_fma_f32 v29, -v60, v33, v29
	v_mov_b32_e32 v45, s10
	s_add_i32 s37, s37, s35
	v_mul_f32_e32 v43, v55, v43
	s_lshl_b32 s10, s37, 2
	v_fma_f32 v42, -v59, v42, v44
	s_waitcnt lgkmcnt(2)
	v_fma_f32 v34, -v64, v31, v34
	ds_load_2addr_b32 v[31:32], v41 offset1:1
	v_fma_f32 v36, -v61, v36, v34
	ds_load_2addr_b32 v[33:34], v45 offset1:1
	v_mov_b32_e32 v41, s10
	v_fma_f32 v45, -v64, v30, v29
	s_add_i32 s10, s31, 0xfffff970
	s_waitcnt lgkmcnt(3)
	v_fma_f32 v36, -v57, v38, v36
	v_fma_f32 v38, -v43, v54, v42
	ds_load_2addr_b32 v[29:30], v41 offset1:1
	v_fma_f32 v35, -v61, v35, v45
	v_mov_b32_e32 v41, s10
	s_waitcnt lgkmcnt(3)
	v_fma_f32 v36, -v59, v40, v36
	s_delay_alu instid0(VALU_DEP_3)
	v_fma_f32 v35, -v57, v37, v35
	v_mul_f32_e32 v37, v47, v38
	ds_load_b32 v38, v41
	s_waitcnt lgkmcnt(3)
	v_fma_f32 v32, -v43, v32, v36
	v_add_lshl_u32 v36, s4, v0, 2
	v_fma_f32 v35, -v59, v39, v35
	s_sub_i32 s4, s15, 21
	s_waitcnt lgkmcnt(2)
	v_fma_f32 v32, -v37, v34, v32
	ds_store_b32 v36, v8 offset:1600
	v_fma_f32 v31, -v43, v31, v35
	ds_store_b32 v1, v13 offset:1600
	ds_store_b32 v2, v14 offset:1600
	;; [unrolled: 1-line block ×17, first 2 shown]
	s_waitcnt lgkmcnt(19)
	v_mul_f32_e32 v8, v30, v32
	v_fma_f32 v30, -v37, v33, v31
	s_delay_alu instid0(VALU_DEP_1) | instskip(SKIP_1) | instid1(VALU_DEP_1)
	v_fma_f32 v1, -v8, v29, v30
	s_waitcnt lgkmcnt(18)
	v_mul_f32_e32 v1, v38, v1
	ds_store_b32 v62, v8 offset:1600
	ds_store_b32 v63, v1 offset:1600
.LBB21_45:
	s_cmp_gt_i32 s4, -1
	s_cbranch_scc0 .LBB21_64
; %bb.46:
	s_cmp_lt_u32 s4, 15
	s_cbranch_scc1 .LBB21_51
; %bb.47:
	s_mul_i32 s10, s4, 20
	s_delay_alu instid0(SALU_CYCLE_1) | instskip(SKIP_3) | instid1(VALU_DEP_2)
	v_add_lshl_u32 v15, s10, v0, 2
	s_sub_i32 s11, s10, 20
	s_cmp_le_i32 s26, s4
	v_add_lshl_u32 v16, s11, v0, 2
	v_add_nc_u32_e32 v1, 0x400, v15
	ds_load_2addr_b32 v[7:8], v15 offset0:220 offset1:240
	ds_load_2addr_b32 v[5:6], v15 offset0:180 offset1:200
	ds_load_2addr_b32 v[3:4], v15 offset0:140 offset1:160
	ds_load_b32 v17, v15 offset:1600
	ds_load_b32 v18, v16 offset:1600
	ds_load_2addr_b32 v[13:14], v1 offset0:84 offset1:104
	ds_load_2addr_b32 v[11:12], v1 offset0:44 offset1:64
	;; [unrolled: 1-line block ×4, first 2 shown]
	s_cbranch_scc1 .LBB21_50
; %bb.48:
	v_lshlrev_b32_e32 v19, 2, v0
	s_mul_i32 s12, s15, 0x50
	s_lshl_b32 s13, s4, 2
	s_delay_alu instid0(SALU_CYCLE_1) | instskip(NEXT) | instid1(VALU_DEP_1)
	s_add_i32 s13, s12, s13
	v_add3_u32 v19, s12, v19, 0x5f0
	s_add_i32 s12, s13, 0xffffff74
	s_mov_b32 s13, s26
.LBB21_49:                              ; =>This Inner Loop Header: Depth=1
	v_mov_b32_e32 v34, s12
	s_add_i32 s13, s13, -1
	s_addk_i32 s12, 0xffb0
	s_cmp_gt_i32 s13, s4
	ds_load_b32 v36, v19
	ds_load_2addr_b32 v[20:21], v34 offset0:14 offset1:15
	ds_load_2addr_b32 v[22:23], v34 offset0:12 offset1:13
	;; [unrolled: 1-line block ×7, first 2 shown]
	ds_load_2addr_b32 v[34:35], v34 offset1:1
	v_add_nc_u32_e32 v19, 0xffffffb0, v19
	s_waitcnt lgkmcnt(7)
	v_fma_f32 v17, -v36, v21, v17
	v_fma_f32 v18, -v36, v20, v18
	s_waitcnt lgkmcnt(6)
	v_fma_f32 v14, -v36, v23, v14
	v_fma_f32 v13, -v36, v22, v13
	;; [unrolled: 3-line block ×8, first 2 shown]
	s_cbranch_scc1 .LBB21_49
.LBB21_50:
	s_mul_i32 s12, s4, 0x54
	s_add_i32 s18, s4, -3
	s_add_i32 s13, s12, -4
	s_delay_alu instid0(SALU_CYCLE_1)
	v_dual_mov_b32 v19, s13 :: v_dual_add_nc_u32 v16, 0x640, v16
	s_sub_i32 s13, s11, 20
	s_add_i32 s20, s18, s10
	s_add_i32 s21, s4, -5
	s_add_i32 s22, s18, s11
	ds_load_2addr_b32 v[19:20], v19 offset1:1
	s_add_i32 s18, s18, s13
	s_lshl_b32 s20, s20, 2
	s_delay_alu instid0(SALU_CYCLE_1)
	v_dual_mov_b32 v22, s20 :: v_dual_add_nc_u32 v15, 0x640, v15
	s_add_i32 s19, s12, 0xffffffac
	s_add_i32 s20, s21, s10
	s_lshl_b32 s18, s18, 2
	s_lshl_b32 s22, s22, 2
	v_mov_b32_e32 v25, s18
	s_lshl_b32 s18, s20, 2
	s_delay_alu instid0(SALU_CYCLE_1)
	v_dual_mov_b32 v21, s19 :: v_dual_mov_b32 v28, s18
	ds_load_b32 v29, v21
	ds_load_2addr_b32 v[21:22], v22 offset1:1
	v_mov_b32_e32 v23, s22
	s_add_i32 s22, s21, s11
	s_add_i32 s19, s12, 0xffffff04
	s_lshl_b32 s20, s22, 2
	s_waitcnt lgkmcnt(2)
	v_dual_mul_f32 v17, v20, v17 :: v_dual_mov_b32 v20, s20
	ds_load_2addr_b32 v[23:24], v23 offset1:1
	ds_load_2addr_b32 v[25:26], v25 offset1:1
	s_sub_i32 s20, s11, 60
	v_fma_f32 v31, -v17, v19, v18
	v_mov_b32_e32 v27, s19
	s_sub_i32 s19, s11, 40
	s_add_i32 s18, s21, s13
	ds_load_b32 v30, v27
	ds_load_2addr_b32 v[27:28], v28 offset1:1
	ds_load_2addr_b32 v[18:19], v20 offset1:1
	s_add_i32 s23, s21, s19
	s_add_i32 s21, s21, s20
	s_waitcnt lgkmcnt(5)
	v_fma_f32 v20, -v17, v22, v14
	v_mul_f32_e32 v14, v29, v31
	s_lshl_b32 s21, s21, 2
	s_add_i32 s22, s4, -7
	s_lshl_b32 s18, s18, 2
	s_add_i32 s24, s22, s10
	s_lshl_b32 s23, s23, 2
	s_waitcnt lgkmcnt(4)
	v_fma_f32 v20, -v14, v24, v20
	v_mov_b32_e32 v24, s21
	v_fma_f32 v13, -v17, v21, v13
	s_lshl_b32 s24, s24, 2
	s_add_i32 s21, s12, 0xfffffe5c
	s_add_i32 s29, s4, -13
	s_add_i32 s27, s4, -11
	v_fma_f32 v21, -v14, v23, v13
	s_waitcnt lgkmcnt(3)
	v_dual_mul_f32 v13, v26, v20 :: v_dual_mov_b32 v26, s24
	v_mov_b32_e32 v20, s18
	s_waitcnt lgkmcnt(1)
	v_fma_f32 v12, -v17, v28, v12
	s_add_i32 s18, s22, s11
	v_fma_f32 v22, -v13, v25, v21
	v_mov_b32_e32 v23, s23
	ds_load_2addr_b32 v[20:21], v20 offset1:1
	s_waitcnt lgkmcnt(1)
	v_fma_f32 v19, -v14, v19, v12
	s_lshl_b32 s18, s18, 2
	v_mul_f32_e32 v12, v30, v22
	ds_load_2addr_b32 v[22:23], v23 offset1:1
	ds_load_2addr_b32 v[24:25], v24 offset1:1
	v_mov_b32_e32 v28, s18
	s_add_i32 s18, s22, s13
	v_fma_f32 v11, -v17, v27, v11
	ds_load_2addr_b32 v[26:27], v26 offset1:1
	s_lshl_b32 s18, s18, 2
	s_add_i32 s24, s4, -9
	v_mov_b32_e32 v31, s18
	ds_load_2addr_b32 v[28:29], v28 offset1:1
	s_add_i32 s18, s22, s19
	v_fma_f32 v11, -v14, v18, v11
	s_lshl_b32 s18, s18, 2
	v_mov_b32_e32 v30, s21
	s_add_i32 s23, s24, s10
	s_add_i32 s25, s24, s13
	s_lshl_b32 s23, s23, 2
	s_waitcnt lgkmcnt(4)
	v_fma_f32 v21, -v13, v21, v19
	v_mov_b32_e32 v19, s18
	ds_load_b32 v32, v30
	ds_load_2addr_b32 v[30:31], v31 offset1:1
	s_add_i32 s18, s22, s20
	s_waitcnt lgkmcnt(5)
	v_fma_f32 v23, -v12, v23, v21
	s_lshl_b32 s18, s18, 2
	ds_load_2addr_b32 v[18:19], v19 offset1:1
	v_mov_b32_e32 v33, s18
	v_fma_f32 v11, -v13, v20, v11
	s_waitcnt lgkmcnt(4)
	v_fma_f32 v27, -v17, v27, v10
	v_mul_f32_e32 v10, v25, v23
	s_add_i32 s18, s11, 0xffffffb0
	ds_load_2addr_b32 v[20:21], v33 offset1:1
	v_fma_f32 v11, -v12, v22, v11
	s_waitcnt lgkmcnt(4)
	v_fma_f32 v22, -v14, v29, v27
	s_add_i32 s21, s22, s18
	v_fma_f32 v9, -v17, v26, v9
	s_lshl_b32 s21, s21, 2
	v_fma_f32 v11, -v10, v24, v11
	v_mov_b32_e32 v23, s21
	s_add_i32 s21, s12, 0xfffffe08
	v_fma_f32 v9, -v14, v28, v9
	s_waitcnt lgkmcnt(2)
	v_fma_f32 v22, -v13, v31, v22
	s_add_i32 s30, s29, s10
	s_add_i32 s28, s27, s13
	s_lshl_b32 s30, s30, 2
	v_fma_f32 v9, -v13, v30, v9
	s_waitcnt lgkmcnt(1)
	v_fma_f32 v19, -v12, v19, v22
	ds_load_2addr_b32 v[22:23], v23 offset1:1
	s_add_i32 s31, s12, 0xfffffbbc
	v_fma_f32 v35, -v12, v18, v9
	s_waitcnt lgkmcnt(1)
	v_fma_f32 v21, -v10, v21, v19
	v_mov_b32_e32 v19, s21
	s_add_i32 s21, s11, 0xffffff9c
	s_delay_alu instid0(SALU_CYCLE_1)
	s_add_i32 s22, s22, s21
	v_fma_f32 v20, -v10, v20, v35
	ds_load_b32 v34, v19
	v_mov_b32_e32 v19, s23
	s_add_i32 s23, s24, s11
	s_lshl_b32 s22, s22, 2
	s_lshl_b32 s23, s23, 2
	v_mov_b32_e32 v29, s22
	ds_load_2addr_b32 v[24:25], v19 offset1:1
	v_mov_b32_e32 v19, s23
	s_lshl_b32 s23, s25, 2
	s_add_i32 s25, s24, s18
	v_mov_b32_e32 v28, s23
	s_add_i32 s23, s24, s19
	ds_load_2addr_b32 v[26:27], v19 offset1:1
	s_lshl_b32 s22, s23, 2
	ds_load_2addr_b32 v[18:19], v28 offset1:1
	ds_load_b32 v36, v29
	v_mov_b32_e32 v9, s22
	s_add_i32 s23, s24, s20
	s_add_i32 s22, s12, 0xfffffdb4
	s_lshl_b32 s23, s23, 2
	ds_load_2addr_b32 v[28:29], v9 offset1:1
	v_mov_b32_e32 v9, s23
	s_lshl_b32 s23, s25, 2
	s_delay_alu instid0(SALU_CYCLE_1)
	v_dual_mul_f32 v11, v32, v11 :: v_dual_mov_b32 v30, s23
	s_waitcnt lgkmcnt(4)
	v_fma_f32 v25, -v17, v25, v8
	ds_load_2addr_b32 v[8:9], v9 offset1:1
	s_add_i32 s23, s24, s21
	v_mov_b32_e32 v32, s22
	s_lshl_b32 s22, s23, 2
	ds_load_2addr_b32 v[30:31], v30 offset1:1
	s_waitcnt lgkmcnt(5)
	v_fma_f32 v25, -v14, v27, v25
	v_mov_b32_e32 v27, s22
	s_add_i32 s22, s11, 0xffffff88
	ds_load_b32 v37, v32
	s_add_i32 s23, s24, s22
	s_waitcnt lgkmcnt(5)
	v_fma_f32 v19, -v13, v19, v25
	ds_load_2addr_b32 v[32:33], v27 offset1:1
	s_lshl_b32 s23, s23, 2
	v_fma_f32 v21, -v11, v23, v21
	v_mov_b32_e32 v23, s23
	s_waitcnt lgkmcnt(4)
	v_fma_f32 v25, -v12, v29, v19
	v_fma_f32 v7, -v17, v24, v7
	s_add_i32 s23, s12, 0xfffffd60
	v_mul_f32_e32 v38, v34, v21
	v_fma_f32 v21, -v11, v22, v20
	ds_load_2addr_b32 v[19:20], v23 offset1:1
	s_waitcnt lgkmcnt(4)
	v_fma_f32 v9, -v10, v9, v25
	v_fma_f32 v7, -v14, v26, v7
	s_add_i32 s25, s27, s10
	v_fma_f32 v21, -v38, v36, v21
	s_lshl_b32 s25, s25, 2
	s_waitcnt lgkmcnt(3)
	v_fma_f32 v9, -v11, v31, v9
	v_fma_f32 v7, -v13, v18, v7
	s_waitcnt lgkmcnt(2)
	v_mul_f32_e32 v36, v37, v21
	s_waitcnt lgkmcnt(1)
	v_fma_f32 v29, -v38, v33, v9
	v_mov_b32_e32 v9, s23
	s_add_i32 s23, s11, 0xffffff74
	v_fma_f32 v7, -v12, v28, v7
	s_add_i32 s24, s24, s23
	ds_load_b32 v18, v9
	v_mov_b32_e32 v9, s25
	s_add_i32 s25, s27, s11
	s_lshl_b32 s24, s24, 2
	s_lshl_b32 s25, s25, 2
	v_fma_f32 v31, -v10, v8, v7
	ds_load_2addr_b32 v[21:22], v9 offset1:1
	v_mov_b32_e32 v9, s25
	s_lshl_b32 s25, s28, 2
	s_add_i32 s28, s27, s18
	v_mov_b32_e32 v25, s25
	s_add_i32 s25, s27, s19
	ds_load_2addr_b32 v[23:24], v9 offset1:1
	v_mov_b32_e32 v9, s24
	s_lshl_b32 s24, s25, 2
	ds_load_2addr_b32 v[7:8], v25 offset1:1
	ds_load_b32 v35, v9
	v_mov_b32_e32 v26, s24
	s_add_i32 s25, s27, s20
	s_add_i32 s24, s12, 0xfffffd0c
	s_lshl_b32 s25, s25, 2
	s_waitcnt lgkmcnt(5)
	v_fma_f32 v20, -v36, v20, v29
	ds_load_2addr_b32 v[25:26], v26 offset1:1
	v_mov_b32_e32 v9, s25
	s_lshl_b32 s25, s28, 2
	s_waitcnt lgkmcnt(4)
	v_fma_f32 v6, -v17, v22, v6
	v_mov_b32_e32 v22, s25
	s_add_i32 s25, s27, s21
	ds_load_2addr_b32 v[27:28], v9 offset1:1
	v_mul_f32_e32 v37, v18, v20
	v_fma_f32 v5, -v17, v21, v5
	ds_load_2addr_b32 v[33:34], v22 offset1:1
	v_mov_b32_e32 v9, s24
	s_lshl_b32 s24, s25, 2
	s_waitcnt lgkmcnt(5)
	v_fma_f32 v6, -v14, v24, v6
	v_mov_b32_e32 v24, s24
	v_fma_f32 v22, -v11, v30, v31
	ds_load_b32 v30, v9
	s_add_i32 s24, s27, s22
	s_waitcnt lgkmcnt(5)
	v_fma_f32 v6, -v13, v8, v6
	ds_load_2addr_b32 v[8:9], v24 offset1:1
	v_fma_f32 v22, -v38, v32, v22
	s_lshl_b32 s24, s24, 2
	v_fma_f32 v5, -v14, v23, v5
	s_waitcnt lgkmcnt(4)
	v_fma_f32 v6, -v12, v26, v6
	v_mov_b32_e32 v24, s24
	v_fma_f32 v20, -v36, v19, v22
	s_add_i32 s24, s11, 0xffffff60
	v_fma_f32 v7, -v13, v7, v5
	s_waitcnt lgkmcnt(3)
	v_fma_f32 v6, -v10, v28, v6
	s_add_i32 s28, s27, s24
	v_fma_f32 v20, -v37, v35, v20
	s_lshl_b32 s28, s28, 2
	s_add_i32 s25, s27, s23
	s_waitcnt lgkmcnt(2)
	v_fma_f32 v6, -v11, v34, v6
	v_mov_b32_e32 v26, s28
	s_add_i32 s28, s29, s11
	s_waitcnt lgkmcnt(1)
	v_mul_f32_e32 v39, v30, v20
	s_lshl_b32 s28, s28, 2
	s_lshl_b32 s25, s25, 2
	s_waitcnt lgkmcnt(0)
	v_fma_f32 v9, -v38, v9, v6
	v_mov_b32_e32 v6, s30
	s_add_i32 s30, s29, s13
	v_mov_b32_e32 v20, s28
	s_lshl_b32 s28, s30, 2
	ds_load_2addr_b32 v[18:19], v24 offset1:1
	ds_load_2addr_b32 v[5:6], v6 offset1:1
	v_mov_b32_e32 v22, s28
	ds_load_2addr_b32 v[20:21], v20 offset1:1
	v_fma_f32 v7, -v12, v25, v7
	s_add_i32 s28, s29, s18
	ds_load_2addr_b32 v[22:23], v22 offset1:1
	v_mov_b32_e32 v24, s25
	s_add_i32 s25, s10, 0xffffff38
	v_fma_f32 v7, -v10, v27, v7
	s_add_i32 s27, s27, s25
	s_add_i32 s30, s29, s25
	s_lshl_b32 s27, s27, 2
	s_lshl_b32 s30, s30, 2
	v_mov_b32_e32 v28, s27
	s_add_i32 s27, s29, s19
	ds_load_2addr_b32 v[24:25], v24 offset1:1
	ds_load_2addr_b32 v[26:27], v26 offset1:1
	;; [unrolled: 1-line block ×3, first 2 shown]
	s_lshl_b32 s27, s27, 2
	v_fma_f32 v40, -v11, v33, v7
	v_mov_b32_e32 v30, s27
	s_add_i32 s27, s29, s20
	s_waitcnt lgkmcnt(5)
	v_fma_f32 v4, -v17, v6, v4
	s_lshl_b32 s27, s27, 2
	v_fma_f32 v19, -v36, v19, v9
	ds_load_2addr_b32 v[30:31], v30 offset1:1
	v_mov_b32_e32 v6, s27
	s_lshl_b32 s27, s28, 2
	s_waitcnt lgkmcnt(5)
	v_fma_f32 v4, -v14, v21, v4
	v_mov_b32_e32 v32, s27
	s_add_i32 s27, s29, s21
	ds_load_2addr_b32 v[6:7], v6 offset1:1
	s_lshl_b32 s27, s27, 2
	s_add_i32 s28, s12, 0xfffffc64
	v_mov_b32_e32 v34, s27
	s_add_i32 s27, s29, s22
	ds_load_2addr_b32 v[32:33], v32 offset1:1
	s_lshl_b32 s27, s27, 2
	s_waitcnt lgkmcnt(6)
	v_fma_f32 v4, -v13, v23, v4
	v_mov_b32_e32 v23, s27
	s_add_i32 s27, s29, s23
	v_fma_f32 v40, -v38, v8, v40
	s_lshl_b32 s27, s27, 2
	v_mov_b32_e32 v21, s28
	ds_load_2addr_b32 v[34:35], v34 offset1:1
	s_waitcnt lgkmcnt(6)
	v_fma_f32 v19, -v37, v25, v19
	v_fma_f32 v18, -v36, v18, v40
	ds_load_2addr_b32 v[8:9], v23 offset1:1
	ds_load_b32 v41, v21
	s_waitcnt lgkmcnt(5)
	v_fma_f32 v4, -v12, v31, v4
	v_fma_f32 v3, -v17, v5, v3
	;; [unrolled: 1-line block ×3, first 2 shown]
	s_add_i32 s28, s29, s24
	s_addk_i32 s12, 0xfb14
	s_waitcnt lgkmcnt(4)
	v_fma_f32 v4, -v10, v7, v4
	v_fma_f32 v7, -v39, v27, v19
	;; [unrolled: 1-line block ×3, first 2 shown]
	s_lshl_b32 s28, s28, 2
	s_waitcnt lgkmcnt(3)
	v_fma_f32 v4, -v11, v33, v4
	v_mul_f32_e32 v33, v29, v7
	v_fma_f32 v7, -v39, v26, v18
	v_mov_b32_e32 v18, s27
	v_fma_f32 v3, -v13, v22, v3
	s_add_i32 s27, s10, 0xffffff24
	v_mov_b32_e32 v21, s28
	s_add_i32 s28, s10, 0xffffff10
	ds_load_2addr_b32 v[18:19], v18 offset1:1
	s_waitcnt lgkmcnt(3)
	v_fma_f32 v4, -v38, v35, v4
	v_fma_f32 v3, -v12, v30, v3
	v_mov_b32_e32 v23, s30
	s_add_i32 s30, s29, s27
	s_add_i32 s29, s29, s28
	s_waitcnt lgkmcnt(2)
	v_fma_f32 v9, -v36, v9, v4
	s_lshl_b32 s29, s29, 2
	v_fma_f32 v26, -v10, v6, v3
	v_mov_b32_e32 v4, s29
	s_add_i32 s29, s4, -15
	s_lshl_b32 s30, s30, 2
	s_add_i32 s11, s29, s11
	v_mov_b32_e32 v24, s30
	s_add_i32 s30, s29, s10
	s_lshl_b32 s11, s11, 2
	v_fma_f32 v7, -v33, v28, v7
	s_lshl_b32 s30, s30, 2
	v_fma_f32 v30, -v11, v32, v26
	v_mov_b32_e32 v5, s31
	v_mov_b32_e32 v27, s11
	s_add_i32 s11, s29, s13
	v_mov_b32_e32 v20, s30
	v_add_lshl_u32 v35, s13, v0, 2
	s_lshl_b32 s11, s11, 2
	s_add_i32 s13, s29, s19
	v_mov_b32_e32 v28, s11
	s_lshl_b32 s11, s13, 2
	v_fma_f32 v32, -v38, v34, v30
	s_waitcnt lgkmcnt(1)
	v_mul_f32_e32 v34, v41, v7
	ds_load_2addr_b32 v[3:4], v4 offset1:1
	ds_load_b32 v40, v5
	ds_load_2addr_b32 v[5:6], v20 offset1:1
	ds_load_2addr_b32 v[20:21], v21 offset1:1
	s_waitcnt lgkmcnt(4)
	v_fma_f32 v9, -v37, v19, v9
	v_mov_b32_e32 v19, s11
	s_add_i32 s11, s29, s20
	v_fma_f32 v8, -v36, v8, v32
	s_lshl_b32 s11, s11, 2
	ds_load_2addr_b32 v[22:23], v23 offset1:1
	ds_load_2addr_b32 v[24:25], v24 offset1:1
	v_mov_b32_e32 v7, s11
	s_add_i32 s11, s29, s18
	v_fma_f32 v8, -v37, v18, v8
	s_lshl_b32 s11, s11, 2
	ds_load_2addr_b32 v[28:29], v28 offset1:1
	ds_load_2addr_b32 v[30:31], v19 offset1:1
	v_mov_b32_e32 v18, s11
	ds_load_2addr_b32 v[26:27], v27 offset1:1
	s_add_i32 s11, s29, s21
	s_add_i32 s13, s29, s22
	s_lshl_b32 s11, s11, 2
	s_add_i32 s4, s4, -16
	s_waitcnt lgkmcnt(6)
	v_fma_f32 v2, -v17, v6, v2
	s_waitcnt lgkmcnt(5)
	v_fma_f32 v9, -v39, v21, v9
	ds_load_2addr_b32 v[6:7], v7 offset1:1
	v_fma_f32 v20, -v39, v20, v8
	v_fma_f32 v5, -v17, v5, v1
	s_waitcnt lgkmcnt(5)
	v_fma_f32 v9, -v33, v23, v9
	v_add_lshl_u32 v23, s19, v0, 2
	v_fma_f32 v22, -v33, v22, v20
	s_add_i32 s19, s29, s27
	s_waitcnt lgkmcnt(4)
	v_fma_f32 v19, -v34, v25, v9
	ds_load_2addr_b32 v[8:9], v18 offset1:1
	v_fma_f32 v22, -v34, v24, v22
	v_add_lshl_u32 v25, s20, v0, 2
	s_waitcnt lgkmcnt(2)
	v_fma_f32 v2, -v14, v27, v2
	v_dual_mul_f32 v27, v4, v19 :: v_dual_mov_b32 v4, s11
	s_lshl_b32 s11, s13, 2
	v_fma_f32 v19, -v14, v26, v5
	s_delay_alu instid0(VALU_DEP_3) | instskip(SKIP_1) | instid1(SALU_CYCLE_1)
	v_fma_f32 v2, -v13, v29, v2
	s_add_i32 s13, s29, s24
	s_lshl_b32 s13, s13, 2
	s_delay_alu instid0(VALU_DEP_2) | instskip(NEXT) | instid1(VALU_DEP_2)
	v_fma_f32 v26, -v13, v28, v19
	v_fma_f32 v2, -v12, v31, v2
	v_mov_b32_e32 v20, s13
	s_add_i32 s13, s29, s25
	s_delay_alu instid0(SALU_CYCLE_1)
	s_lshl_b32 s13, s13, 2
	s_waitcnt lgkmcnt(1)
	v_fma_f32 v7, -v10, v7, v2
	ds_load_2addr_b32 v[1:2], v4 offset1:1
	v_mov_b32_e32 v18, s11
	s_add_i32 s11, s29, s23
	s_waitcnt lgkmcnt(1)
	v_fma_f32 v7, -v11, v9, v7
	s_lshl_b32 s11, s11, 2
	ds_load_2addr_b32 v[4:5], v18 offset1:1
	v_mov_b32_e32 v18, s11
	v_fma_f32 v9, -v12, v30, v26
	v_fma_f32 v3, -v27, v3, v22
	v_mov_b32_e32 v26, s13
	s_lshl_b32 s13, s19, 2
	s_add_i32 s11, s10, 0xfffffefc
	v_mov_b32_e32 v28, s13
	s_add_i32 s13, s29, s28
	v_fma_f32 v9, -v10, v6, v9
	s_lshl_b32 s13, s13, 2
	v_mul_f32_e32 v3, v40, v3
	s_add_i32 s19, s29, s11
	s_waitcnt lgkmcnt(1)
	v_fma_f32 v2, -v38, v2, v7
	s_waitcnt lgkmcnt(0)
	s_delay_alu instid0(VALU_DEP_1)
	v_fma_f32 v2, -v36, v5, v2
	v_mov_b32_e32 v5, s13
	ds_load_2addr_b32 v[18:19], v18 offset1:1
	ds_load_2addr_b32 v[20:21], v20 offset1:1
	;; [unrolled: 1-line block ×3, first 2 shown]
	v_fma_f32 v26, -v11, v8, v9
	ds_load_2addr_b32 v[8:9], v28 offset1:1
	s_lshl_b32 s13, s19, 2
	v_fma_f32 v1, -v38, v1, v26
	v_mov_b32_e32 v26, s13
	s_add_i32 s13, s10, 0xfffffee8
	s_addk_i32 s10, 0xfed4
	s_add_i32 s29, s29, s13
	v_fma_f32 v4, -v36, v4, v1
	s_lshl_b32 s19, s29, 2
	s_waitcnt lgkmcnt(3)
	v_fma_f32 v19, -v37, v19, v2
	s_delay_alu instid0(VALU_DEP_2)
	v_fma_f32 v18, -v37, v18, v4
	ds_load_2addr_b32 v[1:2], v5 offset1:1
	s_waitcnt lgkmcnt(3)
	v_fma_f32 v19, -v39, v21, v19
	v_fma_f32 v18, -v39, v20, v18
	v_mov_b32_e32 v20, s19
	v_add_lshl_u32 v21, s21, v0, 2
	s_waitcnt lgkmcnt(2)
	v_fma_f32 v7, -v33, v7, v19
	v_fma_f32 v18, -v33, v6, v18
	v_add_lshl_u32 v19, s18, v0, 2
	s_waitcnt lgkmcnt(1)
	s_delay_alu instid0(VALU_DEP_3)
	v_fma_f32 v9, -v34, v9, v7
	ds_load_2addr_b32 v[6:7], v20 offset1:1
	ds_load_2addr_b32 v[4:5], v26 offset1:1
	v_mov_b32_e32 v20, s12
	v_fma_f32 v8, -v34, v8, v18
	s_waitcnt lgkmcnt(2)
	v_fma_f32 v2, -v27, v2, v9
	ds_load_b32 v9, v20
	v_fma_f32 v1, -v27, v1, v8
	ds_store_b32 v15, v17
	ds_store_b32 v16, v14
	ds_store_b32 v35, v13 offset:1600
	ds_store_b32 v23, v12 offset:1600
	;; [unrolled: 1-line block ×5, first 2 shown]
	v_add_lshl_u32 v10, s22, v0, 2
	v_add_lshl_u32 v8, s24, v0, 2
	ds_store_b32 v10, v36 offset:1600
	s_waitcnt lgkmcnt(9)
	v_fma_f32 v2, -v3, v5, v2
	v_fma_f32 v1, -v3, v4, v1
	v_add_lshl_u32 v5, s23, v0, 2
	v_add_lshl_u32 v4, s25, v0, 2
	ds_store_b32 v5, v37 offset:1600
	ds_store_b32 v8, v39 offset:1600
	v_mul_f32_e32 v2, v7, v2
	v_add_lshl_u32 v5, s27, v0, 2
	v_add_lshl_u32 v7, s11, v0, 2
	;; [unrolled: 1-line block ×3, first 2 shown]
	s_delay_alu instid0(VALU_DEP_4) | instskip(SKIP_2) | instid1(VALU_DEP_2)
	v_fma_f32 v1, -v2, v6, v1
	v_add_lshl_u32 v6, s28, v0, 2
	s_waitcnt lgkmcnt(10)
	v_mul_f32_e32 v1, v9, v1
	v_add_lshl_u32 v9, s10, v0, 2
	ds_store_b32 v4, v33 offset:1600
	ds_store_b32 v5, v34 offset:1600
	;; [unrolled: 1-line block ×6, first 2 shown]
.LBB21_51:
	s_cmp_lt_i32 s4, 0
	s_cbranch_scc1 .LBB21_64
; %bb.52:
	s_bitcmp1_b32 s4, 0
	s_cselect_b32 s10, -1, 0
	s_delay_alu instid0(SALU_CYCLE_1)
	s_and_b32 vcc_lo, exec_lo, s10
	s_mov_b32 s10, s4
	s_cbranch_vccnz .LBB21_57
; %bb.53:
	s_mul_i32 s10, s4, 20
	s_cmp_le_i32 s26, s4
	v_add_lshl_u32 v2, s10, v0, 2
	ds_load_b32 v1, v2 offset:1600
	s_cbranch_scc1 .LBB21_56
; %bb.54:
	v_lshlrev_b32_e32 v3, 2, v0
	s_mul_i32 s10, s15, 0x50
	s_lshl_b32 s11, s4, 2
	s_delay_alu instid0(SALU_CYCLE_1) | instskip(NEXT) | instid1(VALU_DEP_1)
	s_add_i32 s11, s10, s11
	v_add3_u32 v3, s10, v3, 0x5f0
	s_add_i32 s10, s11, 0xffffffb0
	s_mov_b32 s11, s26
.LBB21_55:                              ; =>This Inner Loop Header: Depth=1
	v_mov_b32_e32 v4, s10
	s_add_i32 s11, s11, -1
	s_addk_i32 s10, 0xffb0
	s_cmp_gt_i32 s11, s4
	ds_load_b32 v5, v3
	ds_load_b32 v4, v4
	v_add_nc_u32_e32 v3, 0xffffffb0, v3
	s_waitcnt lgkmcnt(0)
	v_fma_f32 v1, -v5, v4, v1
	s_cbranch_scc1 .LBB21_55
.LBB21_56:
	s_mul_i32 s10, s4, 0x54
	s_delay_alu instid0(SALU_CYCLE_1)
	v_dual_mov_b32 v3, s10 :: v_dual_add_nc_u32 v2, 0x640, v2
	s_add_i32 s10, s4, -1
	ds_load_b32 v3, v3
	s_waitcnt lgkmcnt(0)
	v_mul_f32_e32 v1, v3, v1
	ds_store_b32 v2, v1
.LBB21_57:
	s_cmp_eq_u32 s4, 0
	s_cbranch_scc1 .LBB21_64
; %bb.58:
	v_lshlrev_b32_e32 v1, 2, v0
	s_mul_i32 s4, s15, 0x50
	s_lshl_b32 s11, s10, 2
	s_delay_alu instid0(SALU_CYCLE_1) | instskip(NEXT) | instid1(VALU_DEP_1)
	s_add_i32 s11, s4, s11
	v_add3_u32 v1, s4, v1, 0x5f0
	s_add_i32 s4, s11, 0xffffffb0
	s_addk_i32 s11, 0xffac
	s_branch .LBB21_60
.LBB21_59:                              ;   in Loop: Header=BB21_60 Depth=1
	s_addk_i32 s12, 0xffac
	s_add_i32 s4, s4, -8
	v_mov_b32_e32 v3, s12
	s_add_i32 s12, s10, -2
	s_add_i32 s11, s11, -8
	s_cmp_lt_i32 s10, 2
	s_mov_b32 s10, s12
	ds_load_b32 v3, v3
	s_waitcnt lgkmcnt(0)
	v_mul_f32_e32 v3, v3, v4
	ds_store_b32 v2, v3
	s_cbranch_scc1 .LBB21_64
.LBB21_60:                              ; =>This Loop Header: Depth=1
                                        ;     Child Loop BB21_61 Depth 2
                                        ;     Child Loop BB21_63 Depth 2
	s_mul_i32 s12, s10, 20
	v_mov_b32_e32 v4, v1
	v_add_lshl_u32 v2, s12, v0, 2
	s_cmp_le_i32 s26, s10
	s_mov_b32 s12, s4
	s_mov_b32 s13, s26
	ds_load_b32 v3, v2 offset:1600
	s_cbranch_scc1 .LBB21_62
.LBB21_61:                              ;   Parent Loop BB21_60 Depth=1
                                        ; =>  This Inner Loop Header: Depth=2
	v_mov_b32_e32 v5, s12
	s_add_i32 s13, s13, -1
	s_addk_i32 s12, 0xffb0
	s_cmp_gt_i32 s13, s10
	ds_load_b32 v6, v4
	ds_load_b32 v5, v5
	v_add_nc_u32_e32 v4, 0xffffffb0, v4
	s_waitcnt lgkmcnt(0)
	v_fma_f32 v3, -v6, v5, v3
	s_cbranch_scc1 .LBB21_61
.LBB21_62:                              ;   in Loop: Header=BB21_60 Depth=1
	s_mul_i32 s12, s10, 0x54
	s_delay_alu instid0(SALU_CYCLE_1)
	v_dual_mov_b32 v2, s12 :: v_dual_add_nc_u32 v5, 0x640, v2
	s_cmp_lt_i32 s26, s10
	s_mov_b32 s13, s11
	s_mov_b32 s18, s15
	ds_load_b32 v6, v2
	v_add_nc_u32_e32 v2, 0xffffffb0, v5
	s_waitcnt lgkmcnt(0)
	v_dual_mul_f32 v6, v6, v3 :: v_dual_mov_b32 v3, v1
	ds_load_b32 v4, v2
	ds_store_b32 v5, v6
	s_cbranch_scc1 .LBB21_59
.LBB21_63:                              ;   Parent Loop BB21_60 Depth=1
                                        ; =>  This Inner Loop Header: Depth=2
	v_mov_b32_e32 v5, s13
	s_add_i32 s18, s18, -1
	s_addk_i32 s13, 0xffb0
	s_cmp_gt_i32 s18, s10
	ds_load_b32 v6, v3
	ds_load_b32 v5, v5
	v_add_nc_u32_e32 v3, 0xffffffb0, v3
	s_waitcnt lgkmcnt(0)
	v_fma_f32 v4, -v6, v5, v4
	s_cbranch_scc1 .LBB21_63
	s_branch .LBB21_59
.LBB21_64:
	s_waitcnt vmcnt(0) lgkmcnt(0)
	s_waitcnt_vscnt null, 0x0
	; wave barrier
	s_waitcnt lgkmcnt(0)
	buffer_gl0_inv
	s_and_saveexec_b32 s4, s14
	s_cbranch_execz .LBB21_71
; %bb.65:
	s_cmp_lt_i32 s6, 8
	s_mov_b32 s4, 0
	s_cbranch_scc1 .LBB21_68
; %bb.66:
	v_mad_i64_i32 v[1:2], null, s16, v0, 0
	v_lshl_add_u32 v3, v0, 2, 0x640
	s_lshl_b32 s4, s15, 2
	s_delay_alu instid0(VALU_DEP_2) | instskip(NEXT) | instid1(VALU_DEP_1)
	v_lshlrev_b64 v[1:2], 2, v[1:2]
	v_add_co_u32 v1, vcc_lo, s5, v1
	s_delay_alu instid0(VALU_DEP_2)
	v_add_co_ci_u32_e32 v2, vcc_lo, s7, v2, vcc_lo
	s_and_b32 s5, s4, 0x60
	s_mov_b32 s4, 0
	s_mov_b64 s[6:7], 0
	.p2align	6
.LBB21_67:                              ; =>This Inner Loop Header: Depth=1
	ds_load_2addr_b32 v[4:5], v3 offset1:20
	ds_load_2addr_b32 v[6:7], v3 offset0:40 offset1:60
	ds_load_2addr_b32 v[8:9], v3 offset0:80 offset1:100
	;; [unrolled: 1-line block ×3, first 2 shown]
	v_add_co_u32 v12, vcc_lo, v1, s6
	v_add_co_ci_u32_e32 v13, vcc_lo, s7, v2, vcc_lo
	s_add_i32 s4, s4, 8
	v_add_nc_u32_e32 v3, 0x280, v3
	s_add_u32 s6, s6, 32
	s_addc_u32 s7, s7, 0
	s_cmp_lg_u32 s5, s6
	s_waitcnt lgkmcnt(2)
	global_store_b128 v[12:13], v[4:7], off
	s_waitcnt lgkmcnt(0)
	global_store_b128 v[12:13], v[8:11], off offset:16
	s_cbranch_scc1 .LBB21_67
.LBB21_68:
	s_and_b32 s6, s15, 7
	s_mov_b32 s5, 0
	s_cmp_eq_u32 s6, 0
	s_cbranch_scc1 .LBB21_71
; %bb.69:
	v_lshlrev_b32_e32 v2, 2, v0
	s_lshl_b64 s[8:9], s[8:9], 2
	s_lshl_b64 s[10:11], s[4:5], 2
	s_delay_alu instid0(SALU_CYCLE_1) | instskip(NEXT) | instid1(VALU_DEP_1)
	s_add_u32 s2, s2, s10
	v_add_co_u32 v3, s5, s8, v2
	s_delay_alu instid0(VALU_DEP_1) | instskip(SKIP_3) | instid1(VALU_DEP_1)
	v_add_co_ci_u32_e64 v4, null, s9, 0, s5
	s_addc_u32 s3, s3, s11
	s_add_u32 s0, s2, s0
	s_addc_u32 s1, s3, s1
	v_mul_lo_u32 v4, v4, s16
	v_mad_u64_u32 v[0:1], null, v3, s16, s[0:1]
	v_mul_lo_u32 v3, v3, s17
	s_mul_i32 s0, s4, 0x50
	s_delay_alu instid0(SALU_CYCLE_1) | instskip(NEXT) | instid1(VALU_DEP_2)
	v_add3_u32 v2, s0, v2, 0x640
	v_add3_u32 v1, v4, v1, v3
.LBB21_70:                              ; =>This Inner Loop Header: Depth=1
	ds_load_b32 v3, v2
	v_add_nc_u32_e32 v2, 0x50, v2
	s_add_i32 s6, s6, -1
	s_delay_alu instid0(SALU_CYCLE_1)
	s_cmp_lg_u32 s6, 0
	s_waitcnt lgkmcnt(0)
	global_store_b32 v[0:1], v3, off
	v_add_co_u32 v0, vcc_lo, v0, 4
	v_add_co_ci_u32_e32 v1, vcc_lo, 0, v1, vcc_lo
	s_cbranch_scc1 .LBB21_70
.LBB21_71:
	s_nop 0
	s_sendmsg sendmsg(MSG_DEALLOC_VGPRS)
	s_endpgm
	.section	.rodata,"a",@progbits
	.p2align	6, 0x0
	.amdhsa_kernel _ZL38rocblas_trsm_small_left_device_sharedBILi20ELi20ELb0EffPKPKfPKPfEv13rocblas_fill_18rocblas_operation_17rocblas_diagonal_iiT3_T4_lilT5_lili
		.amdhsa_group_segment_fixed_size 3200
		.amdhsa_private_segment_fixed_size 0
		.amdhsa_kernarg_size 352
		.amdhsa_user_sgpr_count 14
		.amdhsa_user_sgpr_dispatch_ptr 0
		.amdhsa_user_sgpr_queue_ptr 0
		.amdhsa_user_sgpr_kernarg_segment_ptr 1
		.amdhsa_user_sgpr_dispatch_id 0
		.amdhsa_user_sgpr_private_segment_size 0
		.amdhsa_wavefront_size32 1
		.amdhsa_uses_dynamic_stack 0
		.amdhsa_enable_private_segment 0
		.amdhsa_system_sgpr_workgroup_id_x 1
		.amdhsa_system_sgpr_workgroup_id_y 0
		.amdhsa_system_sgpr_workgroup_id_z 1
		.amdhsa_system_sgpr_workgroup_info 0
		.amdhsa_system_vgpr_workitem_id 0
		.amdhsa_next_free_vgpr 116
		.amdhsa_next_free_sgpr 39
		.amdhsa_reserve_vcc 1
		.amdhsa_float_round_mode_32 0
		.amdhsa_float_round_mode_16_64 0
		.amdhsa_float_denorm_mode_32 3
		.amdhsa_float_denorm_mode_16_64 3
		.amdhsa_dx10_clamp 1
		.amdhsa_ieee_mode 1
		.amdhsa_fp16_overflow 0
		.amdhsa_workgroup_processor_mode 1
		.amdhsa_memory_ordered 1
		.amdhsa_forward_progress 0
		.amdhsa_shared_vgpr_count 0
		.amdhsa_exception_fp_ieee_invalid_op 0
		.amdhsa_exception_fp_denorm_src 0
		.amdhsa_exception_fp_ieee_div_zero 0
		.amdhsa_exception_fp_ieee_overflow 0
		.amdhsa_exception_fp_ieee_underflow 0
		.amdhsa_exception_fp_ieee_inexact 0
		.amdhsa_exception_int_div_zero 0
	.end_amdhsa_kernel
	.section	.text._ZL38rocblas_trsm_small_left_device_sharedBILi20ELi20ELb0EffPKPKfPKPfEv13rocblas_fill_18rocblas_operation_17rocblas_diagonal_iiT3_T4_lilT5_lili,"axG",@progbits,_ZL38rocblas_trsm_small_left_device_sharedBILi20ELi20ELb0EffPKPKfPKPfEv13rocblas_fill_18rocblas_operation_17rocblas_diagonal_iiT3_T4_lilT5_lili,comdat
.Lfunc_end21:
	.size	_ZL38rocblas_trsm_small_left_device_sharedBILi20ELi20ELb0EffPKPKfPKPfEv13rocblas_fill_18rocblas_operation_17rocblas_diagonal_iiT3_T4_lilT5_lili, .Lfunc_end21-_ZL38rocblas_trsm_small_left_device_sharedBILi20ELi20ELb0EffPKPKfPKPfEv13rocblas_fill_18rocblas_operation_17rocblas_diagonal_iiT3_T4_lilT5_lili
                                        ; -- End function
	.section	.AMDGPU.csdata,"",@progbits
; Kernel info:
; codeLenInByte = 16712
; NumSgprs: 41
; NumVgprs: 116
; ScratchSize: 0
; MemoryBound: 0
; FloatMode: 240
; IeeeMode: 1
; LDSByteSize: 3200 bytes/workgroup (compile time only)
; SGPRBlocks: 5
; VGPRBlocks: 14
; NumSGPRsForWavesPerEU: 41
; NumVGPRsForWavesPerEU: 116
; Occupancy: 10
; WaveLimiterHint : 1
; COMPUTE_PGM_RSRC2:SCRATCH_EN: 0
; COMPUTE_PGM_RSRC2:USER_SGPR: 14
; COMPUTE_PGM_RSRC2:TRAP_HANDLER: 0
; COMPUTE_PGM_RSRC2:TGID_X_EN: 1
; COMPUTE_PGM_RSRC2:TGID_Y_EN: 0
; COMPUTE_PGM_RSRC2:TGID_Z_EN: 1
; COMPUTE_PGM_RSRC2:TIDIG_COMP_CNT: 0
	.section	.text._ZL30rocblas_trsm_small_left_deviceILi20ELi20ELb0EffPKPKfPKPfEv13rocblas_fill_18rocblas_operation_17rocblas_diagonal_iiT3_T4_lilT5_lili,"axG",@progbits,_ZL30rocblas_trsm_small_left_deviceILi20ELi20ELb0EffPKPKfPKPfEv13rocblas_fill_18rocblas_operation_17rocblas_diagonal_iiT3_T4_lilT5_lili,comdat
	.globl	_ZL30rocblas_trsm_small_left_deviceILi20ELi20ELb0EffPKPKfPKPfEv13rocblas_fill_18rocblas_operation_17rocblas_diagonal_iiT3_T4_lilT5_lili ; -- Begin function _ZL30rocblas_trsm_small_left_deviceILi20ELi20ELb0EffPKPKfPKPfEv13rocblas_fill_18rocblas_operation_17rocblas_diagonal_iiT3_T4_lilT5_lili
	.p2align	8
	.type	_ZL30rocblas_trsm_small_left_deviceILi20ELi20ELb0EffPKPKfPKPfEv13rocblas_fill_18rocblas_operation_17rocblas_diagonal_iiT3_T4_lilT5_lili,@function
_ZL30rocblas_trsm_small_left_deviceILi20ELi20ELb0EffPKPKfPKPfEv13rocblas_fill_18rocblas_operation_17rocblas_diagonal_iiT3_T4_lilT5_lili: ; @_ZL30rocblas_trsm_small_left_deviceILi20ELi20ELb0EffPKPKfPKPfEv13rocblas_fill_18rocblas_operation_17rocblas_diagonal_iiT3_T4_lilT5_lili
; %bb.0:
	s_clause 0x1
	s_load_b128 s[8:11], s[0:1], 0x38
	s_load_b128 s[4:7], s[0:1], 0x4
	s_mov_b32 s2, s15
	s_mov_b32 s3, 0
	s_delay_alu instid0(SALU_CYCLE_1)
	s_lshl_b64 s[22:23], s[2:3], 3
	s_waitcnt lgkmcnt(0)
	s_add_u32 s8, s8, s22
	s_addc_u32 s9, s9, s23
	s_load_b32 s15, s[0:1], 0x14
	s_load_b64 s[12:13], s[8:9], 0x0
	s_min_i32 s2, s6, 20
	s_mov_b32 s9, exec_lo
	s_add_i32 s8, s2, -1
	v_cmpx_gt_i32_e64 s2, v0
	s_cbranch_execz .LBB22_10
; %bb.1:
	s_clause 0x1
	s_load_b32 s20, s[0:1], 0x28
	s_load_b128 s[16:19], s[0:1], 0x18
	v_lshlrev_b32_e32 v3, 2, v0
	s_waitcnt lgkmcnt(0)
	s_ashr_i32 s21, s20, 31
	s_add_u32 s16, s16, s22
	s_addc_u32 s17, s17, s23
	s_cmp_lt_u32 s8, 3
	s_load_b64 s[16:17], s[16:17], 0x0
	s_cbranch_scc1 .LBB22_4
; %bb.2:
	s_lshl_b64 s[22:23], s[18:19], 2
	v_mov_b32_e32 v4, v3
	s_waitcnt lgkmcnt(0)
	s_add_u32 s3, s16, s22
	s_addc_u32 s22, s17, s23
	v_add_co_u32 v1, s3, s3, v3
	s_delay_alu instid0(VALU_DEP_1)
	v_add_co_ci_u32_e64 v2, null, s22, 0, s3
	s_and_b32 s3, s2, -4
	s_mul_hi_i32 s28, s20, 12
	s_mul_i32 s29, s20, 12
	s_lshl_b64 s[22:23], s[20:21], 4
	s_lshl_b64 s[24:25], s[20:21], 3
	;; [unrolled: 1-line block ×3, first 2 shown]
	s_mov_b32 s30, 0
	.p2align	6
.LBB22_3:                               ; =>This Inner Loop Header: Depth=1
	v_add_co_u32 v5, vcc_lo, v1, s26
	v_add_co_ci_u32_e32 v6, vcc_lo, s27, v2, vcc_lo
	v_add_co_u32 v7, vcc_lo, v1, s24
	v_add_co_ci_u32_e32 v8, vcc_lo, s25, v2, vcc_lo
	;; [unrolled: 2-line block ×3, first 2 shown]
	s_clause 0x3
	global_load_b32 v11, v[1:2], off
	global_load_b32 v5, v[5:6], off
	;; [unrolled: 1-line block ×4, first 2 shown]
	v_add_co_u32 v1, vcc_lo, v1, s22
	v_add_co_ci_u32_e32 v2, vcc_lo, s23, v2, vcc_lo
	s_add_i32 s30, s30, 4
	s_waitcnt vmcnt(2)
	ds_store_2addr_b32 v4, v11, v5 offset1:20
	s_waitcnt vmcnt(0)
	ds_store_2addr_b32 v4, v6, v7 offset0:40 offset1:60
	v_add_nc_u32_e32 v4, 0x140, v4
	s_cmp_eq_u32 s3, s30
	s_cbranch_scc0 .LBB22_3
.LBB22_4:
	s_and_b32 s22, s2, 3
	s_delay_alu instid0(SALU_CYCLE_1)
	s_cmp_eq_u32 s22, 0
	s_cbranch_scc1 .LBB22_7
; %bb.5:
	s_mul_i32 s23, s21, s3
	s_mul_hi_u32 s24, s20, s3
	s_lshl_b64 s[18:19], s[18:19], 2
	s_add_i32 s25, s24, s23
	s_mul_i32 s24, s20, s3
	s_mulk_i32 s3, 0x50
	s_lshl_b64 s[24:25], s[24:25], 2
	v_lshl_add_u32 v4, v0, 2, s3
	s_add_u32 s3, s24, s18
	s_addc_u32 s18, s25, s19
	s_waitcnt lgkmcnt(0)
	s_add_u32 s3, s16, s3
	s_addc_u32 s16, s17, s18
	v_add_co_u32 v1, s3, s3, v3
	s_delay_alu instid0(VALU_DEP_1)
	v_add_co_ci_u32_e64 v2, null, s16, 0, s3
	s_lshl_b64 s[16:17], s[20:21], 2
.LBB22_6:                               ; =>This Inner Loop Header: Depth=1
	global_load_b32 v3, v[1:2], off
	v_add_co_u32 v1, vcc_lo, v1, s16
	v_add_co_ci_u32_e32 v2, vcc_lo, s17, v2, vcc_lo
	s_add_i32 s22, s22, -1
	s_delay_alu instid0(SALU_CYCLE_1)
	s_cmp_lg_u32 s22, 0
	s_waitcnt vmcnt(0)
	ds_store_b32 v4, v3
	v_add_nc_u32_e32 v4, 0x50, v4
	s_cbranch_scc1 .LBB22_6
.LBB22_7:
	v_mul_u32_u24_e32 v1, 21, v0
	s_cmpk_lg_i32 s5, 0x84
	s_delay_alu instid0(VALU_DEP_1)
	v_dual_mov_b32 v2, 1.0 :: v_dual_lshlrev_b32 v1, 2, v1
	s_cbranch_scc0 .LBB22_9
; %bb.8:
	ds_load_b32 v2, v1
	s_waitcnt lgkmcnt(0)
	v_div_scale_f32 v3, null, v2, v2, 1.0
	s_delay_alu instid0(VALU_DEP_1) | instskip(SKIP_2) | instid1(VALU_DEP_1)
	v_rcp_f32_e32 v4, v3
	s_waitcnt_depctr 0xfff
	v_fma_f32 v5, -v3, v4, 1.0
	v_fmac_f32_e32 v4, v5, v4
	v_div_scale_f32 v5, vcc_lo, 1.0, v2, 1.0
	s_delay_alu instid0(VALU_DEP_1) | instskip(NEXT) | instid1(VALU_DEP_1)
	v_mul_f32_e32 v6, v5, v4
	v_fma_f32 v7, -v3, v6, v5
	s_delay_alu instid0(VALU_DEP_1) | instskip(NEXT) | instid1(VALU_DEP_1)
	v_fmac_f32_e32 v6, v7, v4
	v_fma_f32 v3, -v3, v6, v5
	s_delay_alu instid0(VALU_DEP_1) | instskip(NEXT) | instid1(VALU_DEP_1)
	v_div_fmas_f32 v3, v3, v4, v6
	v_div_fixup_f32 v2, v3, v2, 1.0
.LBB22_9:
	ds_store_b32 v1, v2
.LBB22_10:
	s_or_b32 exec_lo, exec_lo, s9
	s_load_b32 s3, s[0:1], 0x60
	s_mul_i32 s5, s14, 0xffffffec
	s_waitcnt lgkmcnt(0)
	s_add_i32 s5, s5, s7
	; wave barrier
	buffer_gl0_inv
	s_add_i32 s3, s3, -1
	s_delay_alu instid0(SALU_CYCLE_1) | instskip(SKIP_1) | instid1(SALU_CYCLE_1)
	s_cmp_ge_u32 s14, s3
	s_cselect_b32 s3, s5, 20
	v_cmp_gt_i32_e32 vcc_lo, s3, v0
	s_mov_b32 s3, -1
	s_and_saveexec_b32 s5, vcc_lo
	s_cbranch_execz .LBB22_57
; %bb.11:
	s_load_b32 s0, s[0:1], 0x48
	v_mad_u64_u32 v[1:2], null, s14, 20, v[0:1]
	s_waitcnt lgkmcnt(0)
	s_delay_alu instid0(VALU_DEP_1) | instskip(SKIP_1) | instid1(SALU_CYCLE_1)
	v_mad_i64_i32 v[2:3], null, s0, v1, 0
	s_lshl_b64 s[0:1], s[10:11], 2
	s_add_u32 s5, s12, s0
	s_addc_u32 s7, s13, s1
	s_cmpk_eq_i32 s4, 0x6f
	s_delay_alu instid0(VALU_DEP_1) | instskip(NEXT) | instid1(VALU_DEP_1)
	v_lshlrev_b64 v[21:22], 2, v[2:3]
	v_add_co_u32 v19, vcc_lo, s5, v21
	s_delay_alu instid0(VALU_DEP_2)
	v_add_co_ci_u32_e32 v20, vcc_lo, s7, v22, vcc_lo
	s_cbranch_scc1 .LBB22_35
; %bb.12:
	s_cmp_gt_i32 s6, 19
	s_mov_b32 s4, 0
	s_cselect_b32 s5, -1, 0
	s_delay_alu instid0(SALU_CYCLE_1)
	s_and_b32 vcc_lo, exec_lo, s5
	s_cbranch_vccz .LBB22_14
; %bb.13:
	s_clause 0x4
	global_load_b128 v[0:3], v[19:20], off
	global_load_b128 v[5:8], v[19:20], off offset:16
	global_load_b128 v[9:12], v[19:20], off offset:32
	;; [unrolled: 1-line block ×4, first 2 shown]
	v_mov_b32_e32 v4, 0
	s_mov_b32 s4, 20
	ds_load_b32 v31, v4
	ds_load_b64 v[17:18], v4 offset:80
	ds_load_b96 v[73:75], v4 offset:160
	ds_load_b128 v[27:30], v4 offset:240
	s_waitcnt vmcnt(4)
	v_mul_f32_e32 v0, s15, v0
	s_waitcnt lgkmcnt(3)
	s_delay_alu instid0(VALU_DEP_1) | instskip(SKIP_1) | instid1(VALU_DEP_1)
	v_mul_f32_e32 v0, v31, v0
	s_waitcnt lgkmcnt(2)
	v_mul_f32_e32 v17, v0, v17
	s_waitcnt lgkmcnt(1)
	v_mul_f32_e32 v51, v0, v73
	ds_load_b128 v[31:34], v4 offset:320
	ds_load_b128 v[35:38], v4 offset:400
	;; [unrolled: 1-line block ×5, first 2 shown]
	v_fma_f32 v1, v1, s15, -v17
	s_waitcnt lgkmcnt(5)
	v_mul_f32_e32 v17, v0, v27
	v_fma_f32 v2, v2, s15, -v51
	ds_load_b128 v[51:54], v4 offset:720
	ds_load_b128 v[55:58], v4 offset:736
	;; [unrolled: 1-line block ×3, first 2 shown]
	v_mul_f32_e32 v1, v18, v1
	v_fma_f32 v3, v3, s15, -v17
	s_delay_alu instid0(VALU_DEP_2) | instskip(NEXT) | instid1(VALU_DEP_2)
	v_fma_f32 v2, -v1, v74, v2
	v_fma_f32 v3, -v1, v28, v3
	ds_load_b128 v[63:66], v4 offset:880
	ds_load_b128 v[67:70], v4 offset:896
	;; [unrolled: 1-line block ×3, first 2 shown]
	v_mul_f32_e32 v2, v75, v2
	ds_load_b128 v[75:78], v4 offset:1040
	ds_load_b128 v[79:82], v4 offset:1120
	;; [unrolled: 1-line block ×4, first 2 shown]
	v_fma_f32 v3, -v2, v29, v3
	s_delay_alu instid0(VALU_DEP_1)
	v_mul_f32_e32 v3, v30, v3
	s_waitcnt lgkmcnt(14)
	v_mul_f32_e32 v17, v0, v31
	s_waitcnt lgkmcnt(12)
	v_mul_f32_e32 v27, v0, v39
	v_mul_f32_e32 v18, v0, v35
	s_waitcnt lgkmcnt(11)
	v_mul_f32_e32 v31, v0, v43
	s_waitcnt lgkmcnt(10)
	v_mul_f32_e32 v35, v0, v47
	s_waitcnt vmcnt(3)
	v_fma_f32 v17, v5, s15, -v17
	v_fma_f32 v39, v7, s15, -v27
	ds_load_b128 v[27:30], v4 offset:1360
	v_fma_f32 v18, v6, s15, -v18
	s_waitcnt lgkmcnt(10)
	v_mul_f32_e32 v5, v0, v51
	v_fma_f32 v17, -v1, v32, v17
	s_waitcnt lgkmcnt(8)
	v_mul_f32_e32 v6, v0, v59
	s_waitcnt lgkmcnt(7)
	v_mul_f32_e32 v7, v0, v63
	v_fma_f32 v31, v8, s15, -v31
	s_waitcnt lgkmcnt(5)
	v_mul_f32_e32 v8, v0, v71
	v_fma_f32 v17, -v2, v33, v17
	s_waitcnt vmcnt(2)
	v_fma_f32 v35, v9, s15, -v35
	v_fma_f32 v43, v10, s15, -v5
	;; [unrolled: 1-line block ×4, first 2 shown]
	s_waitcnt lgkmcnt(4)
	v_mul_f32_e32 v5, v0, v75
	s_waitcnt lgkmcnt(3)
	v_mul_f32_e32 v6, v0, v79
	;; [unrolled: 2-line block ×4, first 2 shown]
	v_fma_f32 v87, -v3, v34, v17
	v_fma_f32 v17, -v1, v36, v18
	s_waitcnt vmcnt(1)
	v_fma_f32 v63, v13, s15, -v8
	v_fma_f32 v71, v14, s15, -v5
	v_fma_f32 v75, v15, s15, -v6
	v_fma_f32 v79, v16, s15, -v7
	ds_load_b128 v[5:8], v4 offset:1376
	s_waitcnt vmcnt(0)
	v_fma_f32 v83, v23, s15, -v9
	s_waitcnt lgkmcnt(1)
	v_mul_f32_e32 v9, v0, v27
	v_fma_f32 v17, -v2, v37, v17
	v_fma_f32 v18, -v1, v48, v35
	;; [unrolled: 1-line block ×4, first 2 shown]
	v_fma_f32 v27, v24, s15, -v9
	ds_load_b128 v[9:12], v4 offset:1440
	v_fma_f32 v99, -v3, v38, v17
	v_fma_f32 v17, -v1, v40, v39
	ds_load_b128 v[13:16], v4 offset:1520
	ds_load_b128 v[91:94], v4 offset:1536
	ds_load_b32 v43, v4 offset:336
	v_fma_f32 v24, -v2, v49, v18
	v_fma_f32 v23, -v2, v53, v23
	;; [unrolled: 1-line block ×15, first 2 shown]
	s_waitcnt lgkmcnt(3)
	v_mul_f32_e32 v9, v0, v9
	v_fma_f32 v45, -v1, v88, v83
	s_waitcnt lgkmcnt(2)
	v_mul_f32_e32 v13, v0, v13
	v_fma_f32 v53, -v3, v46, v17
	ds_load_b64 v[17:18], v4 offset:416
	v_fma_f32 v9, v25, s15, -v9
	v_fma_f32 v25, -v1, v60, v47
	v_fma_f32 v60, -v3, v50, v24
	ds_load_b96 v[50:52], v4 offset:496
	v_fma_f32 v13, v26, s15, -v13
	v_fma_f32 v10, -v1, v10, v9
	v_fma_f32 v31, -v2, v61, v25
	ds_load_b128 v[23:26], v4 offset:576
	ds_load_b64 v[95:96], v4 offset:752
	s_waitcnt lgkmcnt(4)
	v_mul_f32_e32 v9, v43, v87
	ds_load_b32 v102, v4 offset:1008
	v_fma_f32 v64, -v3, v66, v35
	v_fma_f32 v63, -v3, v62, v31
	ds_load_b128 v[31:34], v4 offset:912
	ds_load_b64 v[97:98], v4 offset:1088
	ds_load_b96 v[75:77], v4 offset:1168
	v_fma_f32 v65, -v3, v74, v36
	v_fma_f32 v66, -v3, v78, v37
	ds_load_b128 v[35:38], v4 offset:1248
	v_fma_f32 v74, -v3, v82, v39
	ds_load_b128 v[39:42], v4 offset:656
	ds_load_b32 v78, v4 offset:672
	v_fma_f32 v44, -v2, v85, v44
	v_fma_f32 v45, -v2, v89, v45
	s_waitcnt lgkmcnt(10)
	v_fma_f32 v17, -v9, v17, v99
	v_fma_f32 v13, -v1, v14, v13
	;; [unrolled: 1-line block ×5, first 2 shown]
	ds_load_b128 v[43:46], v4 offset:816
	ds_load_b96 v[71:73], v4 offset:832
	s_waitcnt lgkmcnt(11)
	v_fma_f32 v14, -v9, v50, v100
	v_mul_f32_e32 v10, v18, v17
	v_fma_f32 v27, -v1, v28, v27
	s_waitcnt lgkmcnt(10)
	v_fma_f32 v17, -v9, v23, v53
	v_fma_f32 v13, -v2, v15, v13
	;; [unrolled: 1-line block ×7, first 2 shown]
	s_waitcnt lgkmcnt(3)
	v_fma_f32 v12, -v9, v39, v60
	v_mul_f32_e32 v11, v52, v14
	v_fma_f32 v81, -v3, v30, v27
	ds_load_b128 v[27:30], v4 offset:976
	ds_load_b128 v[47:50], v4 offset:992
	v_fma_f32 v17, -v10, v56, v17
	v_fma_f32 v12, -v10, v40, v12
	;; [unrolled: 1-line block ×3, first 2 shown]
	ds_load_b128 v[51:54], v4 offset:1056
	ds_load_b128 v[59:62], v4 offset:1072
	s_waitcnt lgkmcnt(5)
	v_fma_f32 v39, -v9, v43, v63
	v_fma_f32 v83, -v3, v16, v13
	ds_load_b128 v[13:16], v4 offset:1136
	v_fma_f32 v40, -v11, v41, v12
	v_mul_f32_e32 v12, v26, v18
	ds_load_b128 v[23:26], v4 offset:1216
	v_fma_f32 v18, -v9, v67, v64
	v_fma_f32 v43, -v10, v44, v39
	;; [unrolled: 1-line block ×8, first 2 shown]
	ds_load_b128 v[55:58], v4 offset:1296
	s_waitcnt lgkmcnt(6)
	v_fma_f32 v27, -v9, v27, v65
	v_fma_f32 v18, -v11, v69, v18
	;; [unrolled: 1-line block ×3, first 2 shown]
	ds_load_b128 v[43:46], v4 offset:1456
	v_fma_f32 v5, -v10, v6, v5
	v_fma_f32 v27, -v10, v28, v27
	ds_load_b128 v[39:42], v4 offset:1152
	s_waitcnt lgkmcnt(6)
	v_fma_f32 v17, -v9, v51, v66
	s_waitcnt lgkmcnt(4)
	v_fma_f32 v13, -v9, v13, v74
	v_fma_f32 v6, -v9, v91, v83
	;; [unrolled: 1-line block ×3, first 2 shown]
	v_mul_f32_e32 v5, v78, v67
	v_fma_f32 v27, -v11, v29, v27
	ds_load_b128 v[63:66], v4 offset:1232
	s_waitcnt lgkmcnt(4)
	v_fma_f32 v23, -v9, v23, v79
	v_fma_f32 v17, -v10, v52, v17
	;; [unrolled: 1-line block ×8, first 2 shown]
	ds_load_b128 v[27:30], v4 offset:1312
	s_waitcnt lgkmcnt(4)
	v_fma_f32 v24, -v9, v55, v80
	v_fma_f32 v70, -v12, v70, v18
	;; [unrolled: 1-line block ×3, first 2 shown]
	ds_load_b64 v[17:18], v4 offset:1424
	v_fma_f32 v13, -v11, v15, v13
	v_fma_f32 v8, -v11, v93, v6
	;; [unrolled: 1-line block ×3, first 2 shown]
	v_mul_f32_e32 v6, v96, v7
	s_waitcnt lgkmcnt(4)
	v_fma_f32 v43, -v9, v43, v82
	v_fma_f32 v51, -v10, v56, v24
	;; [unrolled: 1-line block ×4, first 2 shown]
	ds_load_b128 v[13:16], v4 offset:1472
	v_fma_f32 v88, -v12, v94, v8
	v_fma_f32 v7, -v5, v31, v70
	;; [unrolled: 1-line block ×8, first 2 shown]
	v_mul_f32_e32 v7, v73, v8
	v_fma_f32 v82, -v12, v26, v23
	ds_load_b128 v[23:26], v4 offset:1328
	ds_load_b32 v85, v4 offset:1344
	v_fma_f32 v83, -v12, v58, v44
	ds_load_b128 v[51:54], v4 offset:1392
	ds_load_b128 v[55:58], v4 offset:1408
	v_fma_f32 v43, -v11, v45, v43
	v_fma_f32 v8, -v5, v59, v84
	;; [unrolled: 1-line block ×4, first 2 shown]
	s_waitcnt lgkmcnt(8)
	v_fma_f32 v39, -v5, v39, v81
	v_fma_f32 v87, -v12, v46, v43
	;; [unrolled: 1-line block ×4, first 2 shown]
	v_mul_f32_e32 v8, v34, v32
	ds_load_b128 v[43:46], v4 offset:1552
	s_waitcnt lgkmcnt(8)
	v_fma_f32 v33, -v5, v63, v82
	s_waitcnt lgkmcnt(5)
	v_fma_f32 v34, -v5, v13, v87
	v_fma_f32 v13, -v6, v40, v39
	v_fma_f32 v39, -v7, v61, v47
	v_fma_f32 v31, -v8, v50, v31
	v_fma_f32 v27, -v5, v27, v83
	v_fma_f32 v33, -v6, v64, v33
	v_fma_f32 v41, -v7, v41, v13
	s_waitcnt lgkmcnt(2)
	v_fma_f32 v32, -v5, v51, v86
	v_fma_f32 v39, -v8, v62, v39
	v_mul_f32_e32 v13, v102, v31
	v_fma_f32 v27, -v6, v28, v27
	v_fma_f32 v31, -v7, v65, v33
	;; [unrolled: 1-line block ×9, first 2 shown]
	v_mul_f32_e32 v14, v98, v33
	ds_load_b128 v[67:70], v4 offset:1488
	ds_load_b96 v[78:80], v4 offset:1504
	ds_load_b128 v[71:74], v4 offset:1568
	s_waitcnt lgkmcnt(3)
	v_fma_f32 v40, -v5, v43, v88
	v_fma_f32 v28, -v7, v53, v28
	;; [unrolled: 1-line block ×10, first 2 shown]
	v_mul_f32_e32 v15, v77, v30
	v_fma_f32 v29, -v7, v45, v32
	v_fma_f32 v16, -v8, v16, v31
	;; [unrolled: 1-line block ×6, first 2 shown]
	s_waitcnt lgkmcnt(2)
	v_fma_f32 v32, -v13, v67, v16
	v_fma_f32 v33, -v14, v56, v28
	ds_load_b128 v[27:30], v4 offset:1584
	v_fma_f32 v23, -v15, v25, v23
	v_mul_f32_e32 v16, v38, v24
	s_waitcnt lgkmcnt(1)
	v_fma_f32 v4, -v13, v71, v31
	v_fma_f32 v24, -v14, v68, v32
	;; [unrolled: 1-line block ×3, first 2 shown]
	s_clause 0x3
	global_store_b128 v[19:20], v[0:3], off
	global_store_b128 v[19:20], v[9:12], off offset:16
	global_store_b128 v[19:20], v[5:8], off offset:32
	;; [unrolled: 1-line block ×3, first 2 shown]
	v_fma_f32 v23, -v16, v26, v23
	v_fma_f32 v4, -v14, v72, v4
	;; [unrolled: 1-line block ×4, first 2 shown]
	s_delay_alu instid0(VALU_DEP_4) | instskip(NEXT) | instid1(VALU_DEP_4)
	v_mul_f32_e32 v23, v85, v23
	v_fma_f32 v4, -v15, v73, v4
	s_delay_alu instid0(VALU_DEP_4) | instskip(NEXT) | instid1(VALU_DEP_3)
	v_fma_f32 v24, -v16, v70, v24
	v_fma_f32 v17, -v23, v17, v25
	s_delay_alu instid0(VALU_DEP_3) | instskip(NEXT) | instid1(VALU_DEP_3)
	v_fma_f32 v4, -v16, v74, v4
	v_fma_f32 v25, -v23, v78, v24
	s_delay_alu instid0(VALU_DEP_3) | instskip(SKIP_1) | instid1(VALU_DEP_3)
	v_mul_f32_e32 v24, v18, v17
	s_waitcnt lgkmcnt(0)
	v_fma_f32 v4, -v23, v27, v4
	s_delay_alu instid0(VALU_DEP_2) | instskip(NEXT) | instid1(VALU_DEP_2)
	v_fma_f32 v17, -v24, v79, v25
	v_fma_f32 v4, -v24, v28, v4
	s_delay_alu instid0(VALU_DEP_2) | instskip(NEXT) | instid1(VALU_DEP_1)
	v_mul_f32_e32 v25, v80, v17
	v_fma_f32 v4, -v25, v29, v4
	s_delay_alu instid0(VALU_DEP_1)
	v_mul_f32_e32 v26, v30, v4
	global_store_b128 v[19:20], v[23:26], off offset:64
.LBB22_14:
	s_cmp_lt_i32 s4, s2
	s_cbranch_scc0 .LBB22_34
; %bb.15:
	s_add_i32 s3, s4, 15
	s_delay_alu instid0(SALU_CYCLE_1)
	s_cmp_ge_u32 s3, s2
	s_cbranch_scc1 .LBB22_23
; %bb.16:
	s_lshl_b32 s7, s4, 2
	s_delay_alu instid0(SALU_CYCLE_1)
	v_add_co_u32 v0, vcc_lo, v19, s7
	v_add_co_ci_u32_e32 v1, vcc_lo, 0, v20, vcc_lo
	s_and_not1_b32 vcc_lo, exec_lo, s5
	s_mov_b32 s5, 0
	s_clause 0x3
	global_load_b128 v[2:5], v[0:1], off
	global_load_b128 v[6:9], v[0:1], off offset:16
	global_load_b128 v[24:27], v[0:1], off offset:32
	;; [unrolled: 1-line block ×3, first 2 shown]
	s_waitcnt vmcnt(3)
	v_dual_mul_f32 v23, s15, v2 :: v_dual_mul_f32 v18, s15, v3
	v_dual_mul_f32 v17, s15, v4 :: v_dual_mul_f32 v16, s15, v5
	s_waitcnt vmcnt(2)
	v_dual_mul_f32 v15, s15, v6 :: v_dual_mul_f32 v14, s15, v7
	v_dual_mul_f32 v13, s15, v8 :: v_dual_mul_f32 v12, s15, v9
	;; [unrolled: 3-line block ×4, first 2 shown]
	s_cbranch_vccnz .LBB22_22
; %bb.17:
	s_max_u32 s7, s4, 1
	s_delay_alu instid0(SALU_CYCLE_1)
	s_cmp_eq_u32 s7, 1
	s_cbranch_scc1 .LBB22_20
; %bb.18:
	s_and_b32 s5, s7, 20
	s_add_u32 s9, s12, s0
	s_addc_u32 s10, s13, s1
	v_add_co_u32 v2, vcc_lo, s9, v21
	v_add_co_ci_u32_e32 v3, vcc_lo, s10, v22, vcc_lo
	s_mul_i32 s9, s4, 0x50
	s_delay_alu instid0(VALU_DEP_2) | instskip(NEXT) | instid1(VALU_DEP_2)
	v_add_co_u32 v2, vcc_lo, v2, 4
	v_add_co_ci_u32_e32 v3, vcc_lo, 0, v3, vcc_lo
	s_mov_b32 s10, 0
.LBB22_19:                              ; =>This Inner Loop Header: Depth=1
	global_load_b64 v[56:57], v[2:3], off offset:-4
	v_mov_b32_e32 v52, s9
	v_add_co_u32 v2, vcc_lo, v2, 8
	v_add_co_ci_u32_e32 v3, vcc_lo, 0, v3, vcc_lo
	ds_load_2addr_b64 v[24:27], v52 offset1:10
	ds_load_2addr_b64 v[28:31], v52 offset0:20 offset1:30
	ds_load_2addr_b64 v[32:35], v52 offset0:40 offset1:50
	;; [unrolled: 1-line block ×7, first 2 shown]
	s_add_i32 s10, s10, 2
	s_add_i32 s9, s9, 8
	s_cmp_lg_u32 s5, s10
	s_waitcnt vmcnt(0) lgkmcnt(7)
	v_fma_f32 v23, -v56, v24, v23
	v_fma_f32 v18, -v56, v26, v18
	s_waitcnt lgkmcnt(6)
	v_fma_f32 v17, -v56, v28, v17
	v_fma_f32 v16, -v56, v30, v16
	s_waitcnt lgkmcnt(5)
	;; [unrolled: 3-line block ×7, first 2 shown]
	v_fma_f32 v5, -v56, v52, v5
	v_fma_f32 v4, -v56, v54, v4
	;; [unrolled: 1-line block ×18, first 2 shown]
	s_cbranch_scc1 .LBB22_19
.LBB22_20:
	s_bitcmp0_b32 s7, 0
	s_cbranch_scc1 .LBB22_22
; %bb.21:
	s_lshl_b32 s7, s5, 2
	s_delay_alu instid0(SALU_CYCLE_1) | instskip(SKIP_2) | instid1(SALU_CYCLE_1)
	v_add_co_u32 v2, vcc_lo, v19, s7
	v_add_co_ci_u32_e32 v3, vcc_lo, 0, v20, vcc_lo
	s_mul_i32 s7, s4, 20
	s_add_i32 s7, s7, s5
	global_load_b32 v38, v[2:3], off
	s_lshl_b32 s5, s7, 2
	s_delay_alu instid0(SALU_CYCLE_1)
	v_mov_b32_e32 v32, s5
	v_add_nc_u32_e64 v34, 0x200, s5
	v_add_nc_u32_e64 v36, 0x400, s5
	ds_load_2addr_b32 v[2:3], v32 offset1:20
	ds_load_2addr_b32 v[24:25], v32 offset0:40 offset1:60
	ds_load_2addr_b32 v[26:27], v32 offset0:80 offset1:100
	;; [unrolled: 1-line block ×7, first 2 shown]
	s_waitcnt vmcnt(0) lgkmcnt(7)
	v_fma_f32 v23, -v38, v2, v23
	v_fma_f32 v18, -v38, v3, v18
	s_waitcnt lgkmcnt(6)
	v_fma_f32 v17, -v38, v24, v17
	v_fma_f32 v16, -v38, v25, v16
	s_waitcnt lgkmcnt(5)
	;; [unrolled: 3-line block ×7, first 2 shown]
	v_fma_f32 v5, -v38, v36, v5
	v_fma_f32 v4, -v38, v37, v4
.LBB22_22:
	s_or_b32 s7, s4, 1
	s_mul_i32 s5, s4, 0x54
	s_mul_i32 s7, s7, 20
	;; [unrolled: 1-line block ×3, first 2 shown]
	s_add_i32 s7, s7, s4
	s_add_i32 s3, s3, s4
	s_lshl_b32 s7, s7, 2
	s_delay_alu instid0(SALU_CYCLE_1)
	v_dual_mov_b32 v88, s5 :: v_dual_mov_b32 v89, s7
	s_lshl_b32 s3, s3, 2
	s_add_i32 s4, s4, 16
	ds_load_2addr_b32 v[2:3], v88 offset1:84
	ds_load_2addr_b64 v[24:27], v89 offset1:42
	ds_load_b96 v[43:45], v89 offset:80
	ds_load_b128 v[28:31], v89 offset:160
	ds_load_2addr_b32 v[46:47], v88 offset0:126 offset1:147
	ds_load_2addr_b32 v[48:49], v88 offset0:168 offset1:189
	s_waitcnt lgkmcnt(5)
	v_mul_f32_e32 v32, v2, v23
	s_waitcnt lgkmcnt(4)
	s_delay_alu instid0(VALU_DEP_1)
	v_fma_f32 v2, -v32, v24, v18
	ds_load_b128 v[35:38], v89 offset:240
	ds_load_b128 v[39:42], v89 offset:320
	ds_load_2addr_b32 v[23:24], v89 offset0:100 offset1:105
	ds_load_2addr_b32 v[50:51], v89 offset0:120 offset1:140
	v_mul_f32_e32 v33, v25, v2
	s_waitcnt lgkmcnt(7)
	v_fma_f32 v34, -v32, v43, v17
	s_waitcnt lgkmcnt(6)
	v_fma_f32 v2, -v32, v28, v16
	ds_load_2addr_b32 v[17:18], v89 offset0:101 offset1:102
	ds_load_2addr_b32 v[52:53], v89 offset0:103 offset1:104
	;; [unrolled: 1-line block ×5, first 2 shown]
	v_fma_f32 v16, -v33, v44, v34
	ds_load_2addr_b32 v[43:44], v89 offset0:125 offset1:126
	ds_load_2addr_b32 v[60:61], v89 offset0:141 offset1:142
	;; [unrolled: 1-line block ×4, first 2 shown]
	v_fma_f32 v2, -v33, v29, v2
	ds_load_2addr_b32 v[28:29], v89 offset0:161 offset1:162
	ds_load_2addr_b32 v[66:67], v89 offset0:163 offset1:164
	;; [unrolled: 1-line block ×5, first 2 shown]
	v_mul_f32_e32 v34, v45, v16
	s_waitcnt lgkmcnt(17)
	v_fma_f32 v25, -v32, v35, v15
	s_waitcnt lgkmcnt(16)
	v_fma_f32 v14, -v32, v39, v14
	ds_load_2addr_b32 v[15:16], v89 offset0:181 offset1:182
	ds_load_2addr_b32 v[74:75], v89 offset0:183 offset1:184
	;; [unrolled: 1-line block ×5, first 2 shown]
	v_fma_f32 v2, -v34, v30, v2
	s_waitcnt lgkmcnt(19)
	v_fma_f32 v12, -v32, v50, v12
	v_fma_f32 v25, -v33, v36, v25
	;; [unrolled: 1-line block ×3, first 2 shown]
	v_mul_f32_e32 v35, v31, v2
	v_fma_f32 v2, -v32, v23, v13
	v_fma_f32 v13, -v33, v40, v14
	v_fma_f32 v14, -v34, v37, v25
	s_waitcnt lgkmcnt(16)
	v_fma_f32 v12, -v33, v54, v12
	s_waitcnt lgkmcnt(14)
	v_fma_f32 v10, -v32, v59, v10
	v_fma_f32 v2, -v33, v17, v2
	;; [unrolled: 1-line block ×4, first 2 shown]
	s_waitcnt lgkmcnt(5)
	v_fma_f32 v17, -v32, v72, v9
	ds_load_2addr_b32 v[30:31], v89 offset0:201 offset1:202
	ds_load_2addr_b32 v[82:83], v89 offset0:203 offset1:204
	;; [unrolled: 1-line block ×4, first 2 shown]
	v_fma_f32 v2, -v34, v18, v2
	v_fma_f32 v13, -v35, v42, v13
	v_mul_f32_e32 v9, v3, v14
	v_fma_f32 v3, -v33, v60, v11
	v_fma_f32 v11, -v34, v55, v12
	;; [unrolled: 1-line block ×3, first 2 shown]
	s_waitcnt lgkmcnt(4)
	v_fma_f32 v8, -v32, v80, v8
	v_fma_f32 v12, -v9, v26, v13
	;; [unrolled: 1-line block ×6, first 2 shown]
	v_mul_f32_e32 v10, v27, v12
	v_fma_f32 v12, -v33, v15, v17
	v_fma_f32 v13, -v34, v29, v13
	;; [unrolled: 1-line block ×9, first 2 shown]
	v_mul_f32_e32 v11, v46, v2
	ds_load_2addr_b32 v[2:3], v89 offset0:209 offset1:210
	ds_load_2addr_b32 v[14:15], v89 offset0:221 offset1:222
	v_fma_f32 v13, -v9, v67, v13
	v_fma_f32 v16, -v10, v64, v16
	;; [unrolled: 1-line block ×4, first 2 shown]
	s_waitcnt lgkmcnt(5)
	v_fma_f32 v8, -v33, v30, v8
	v_fma_f32 v13, -v10, v68, v13
	;; [unrolled: 1-line block ×4, first 2 shown]
	v_mul_f32_e32 v12, v47, v17
	v_fma_f32 v17, -v9, v75, v18
	v_fma_f32 v13, -v11, v69, v13
	;; [unrolled: 1-line block ×3, first 2 shown]
	ds_load_2addr_b32 v[26:27], v89 offset0:223 offset1:224
	ds_load_2addr_b32 v[36:37], v89 offset0:225 offset1:226
	v_fma_f32 v16, -v12, v58, v16
	v_fma_f32 v17, -v10, v76, v17
	;; [unrolled: 1-line block ×3, first 2 shown]
	s_waitcnt lgkmcnt(6)
	v_fma_f32 v8, -v35, v82, v8
	ds_load_2addr_b32 v[40:41], v89 offset0:231 offset1:240
	v_mul_f32_e32 v13, v48, v16
	s_waitcnt lgkmcnt(3)
	v_fma_f32 v7, -v33, v14, v7
	v_fma_f32 v14, -v11, v77, v17
	ds_load_2addr_b32 v[42:43], v88 offset0:210 offset1:231
	v_mov_b32_e32 v31, s3
	v_fma_f32 v16, -v13, v71, v18
	v_fma_f32 v23, -v34, v15, v7
	;; [unrolled: 1-line block ×3, first 2 shown]
	ds_load_2addr_b32 v[38:39], v89 offset0:243 offset1:244
	v_mul_f32_e32 v14, v49, v16
	v_fma_f32 v8, -v9, v83, v8
	ds_load_b128 v[15:18], v88 offset:1120
	s_waitcnt lgkmcnt(5)
	v_fma_f32 v29, -v35, v26, v23
	v_fma_f32 v30, -v13, v79, v25
	;; [unrolled: 1-line block ×3, first 2 shown]
	ds_load_2addr_b32 v[7:8], v89 offset0:241 offset1:242
	v_fma_f32 v27, -v9, v27, v29
	s_waitcnt lgkmcnt(4)
	v_fma_f32 v6, -v32, v41, v6
	v_fma_f32 v41, -v14, v73, v30
	;; [unrolled: 1-line block ×3, first 2 shown]
	ds_load_b128 v[23:26], v31
	ds_load_2addr_b32 v[44:45], v89 offset0:227 offset1:228
	ds_load_2addr_b32 v[46:47], v89 offset0:229 offset1:230
	v_fma_f32 v28, -v12, v86, v28
	s_delay_alu instid0(VALU_DEP_1) | instskip(SKIP_3) | instid1(VALU_DEP_3)
	v_fma_f32 v50, -v13, v87, v28
	s_waitcnt lgkmcnt(4)
	v_fma_f32 v5, -v32, v15, v5
	v_mul_f32_e32 v15, v42, v41
	v_fma_f32 v2, -v14, v2, v50
	s_waitcnt lgkmcnt(3)
	v_fma_f32 v6, -v33, v7, v6
	v_fma_f32 v7, -v10, v36, v27
	ds_load_2addr_b32 v[48:49], v89 offset0:245 offset1:246
	ds_load_b128 v[27:30], v88 offset:1136
	v_fma_f32 v16, -v33, v16, v5
	v_fma_f32 v50, -v15, v3, v2
	;; [unrolled: 1-line block ×4, first 2 shown]
	s_waitcnt lgkmcnt(4)
	v_fma_f32 v4, -v32, v23, v4
	v_fma_f32 v16, -v34, v17, v16
	ds_load_2addr_b32 v[41:42], v89 offset0:247 offset1:248
	v_fma_f32 v37, -v35, v38, v6
	s_waitcnt lgkmcnt(4)
	v_fma_f32 v23, -v12, v44, v36
	v_fma_f32 v4, -v33, v24, v4
	;; [unrolled: 1-line block ×4, first 2 shown]
	s_delay_alu instid0(VALU_DEP_3) | instskip(SKIP_1) | instid1(VALU_DEP_2)
	v_fma_f32 v4, -v34, v25, v4
	s_waitcnt lgkmcnt(2)
	v_fma_f32 v24, -v10, v48, v24
	s_waitcnt lgkmcnt(1)
	v_fma_f32 v16, -v9, v27, v16
	v_fma_f32 v27, -v13, v45, v23
	;; [unrolled: 1-line block ×3, first 2 shown]
	v_add_nc_u32_e64 v45, 0x200, s5
	v_fma_f32 v44, -v11, v49, v24
	v_fma_f32 v16, -v10, v28, v16
	;; [unrolled: 1-line block ×3, first 2 shown]
	s_delay_alu instid0(VALU_DEP_2)
	v_fma_f32 v28, -v11, v29, v16
	v_mul_f32_e32 v16, v43, v50
	ds_load_b128 v[5:8], v31 offset:16
	ds_load_2addr_b32 v[2:3], v89 offset0:249 offset1:250
	ds_load_2addr_b32 v[17:18], v89 offset0:251 offset1:252
	ds_load_b128 v[36:39], v88 offset:1152
	ds_load_b128 v[23:26], v31 offset:32
	s_waitcnt lgkmcnt(4)
	v_fma_f32 v4, -v9, v5, v4
	v_fma_f32 v5, -v12, v41, v44
	ds_load_2addr_b32 v[44:45], v45 offset0:124 offset1:145
	v_fma_f32 v4, -v10, v6, v4
	v_fma_f32 v5, -v13, v42, v5
	;; [unrolled: 1-line block ×4, first 2 shown]
	ds_load_b96 v[27:29], v88 offset:1168
	v_fma_f32 v4, -v11, v7, v4
	s_waitcnt lgkmcnt(5)
	v_fma_f32 v2, -v14, v2, v5
	s_waitcnt lgkmcnt(3)
	v_fma_f32 v5, -v13, v36, v6
	v_fma_f32 v7, -v16, v40, v30
	;; [unrolled: 1-line block ×4, first 2 shown]
	s_delay_alu instid0(VALU_DEP_4)
	v_fma_f32 v30, -v14, v37, v5
	ds_load_b128 v[2:5], v31 offset:48
	s_waitcnt lgkmcnt(3)
	v_fma_f32 v6, -v13, v23, v6
	s_waitcnt lgkmcnt(2)
	v_mul_f32_e32 v23, v44, v7
	v_fma_f32 v7, -v16, v17, v8
	s_delay_alu instid0(VALU_DEP_3) | instskip(NEXT) | instid1(VALU_DEP_2)
	v_fma_f32 v6, -v14, v24, v6
	v_fma_f32 v7, -v23, v18, v7
	s_delay_alu instid0(VALU_DEP_1) | instskip(SKIP_1) | instid1(VALU_DEP_4)
	v_mul_f32_e32 v24, v45, v7
	v_fma_f32 v8, -v15, v38, v30
	v_fma_f32 v6, -v15, v25, v6
	s_delay_alu instid0(VALU_DEP_2) | instskip(NEXT) | instid1(VALU_DEP_2)
	v_fma_f32 v8, -v16, v39, v8
	v_fma_f32 v6, -v16, v26, v6
	s_waitcnt lgkmcnt(1)
	s_delay_alu instid0(VALU_DEP_2) | instskip(SKIP_1) | instid1(VALU_DEP_2)
	v_fma_f32 v7, -v23, v27, v8
	s_waitcnt lgkmcnt(0)
	v_fma_f32 v2, -v23, v2, v6
	s_delay_alu instid0(VALU_DEP_2) | instskip(NEXT) | instid1(VALU_DEP_2)
	v_fma_f32 v7, -v24, v28, v7
	v_fma_f32 v2, -v24, v3, v2
	s_delay_alu instid0(VALU_DEP_2) | instskip(NEXT) | instid1(VALU_DEP_1)
	v_mul_f32_e32 v25, v29, v7
	v_fma_f32 v2, -v25, v4, v2
	s_delay_alu instid0(VALU_DEP_1)
	v_mul_f32_e32 v26, v5, v2
	s_clause 0x3
	global_store_b128 v[0:1], v[32:35], off
	global_store_b128 v[0:1], v[9:12], off offset:16
	global_store_b128 v[0:1], v[13:16], off offset:32
	global_store_b128 v[0:1], v[23:26], off offset:48
.LBB22_23:
	s_cmp_ge_i32 s4, s2
	s_cbranch_scc1 .LBB22_34
; %bb.24:
	s_add_i32 s3, s4, -1
	s_add_u32 s5, s12, s0
	s_addc_u32 s7, s13, s1
	v_add_co_u32 v6, vcc_lo, s5, v21
	v_add_co_ci_u32_e32 v7, vcc_lo, s7, v22, vcc_lo
	s_mul_i32 s7, s4, 0x50
	s_delay_alu instid0(VALU_DEP_2) | instskip(NEXT) | instid1(VALU_DEP_2)
	v_add_co_u32 v0, vcc_lo, v6, 28
	v_add_co_ci_u32_e32 v1, vcc_lo, 0, v7, vcc_lo
	s_mov_b32 s11, 0
	s_mov_b32 s14, s4
	;; [unrolled: 1-line block ×3, first 2 shown]
	s_branch .LBB22_26
.LBB22_25:                              ;   in Loop: Header=BB22_26 Depth=1
	s_mul_i32 s5, s4, 0x54
	v_add_nc_u16 v5, s14, 1
	v_mov_b32_e32 v4, s5
	s_add_i32 s4, s4, 1
	s_add_i32 s9, s9, 1
	s_addk_i32 s7, 0x50
	v_readfirstlane_b32 s14, v5
	ds_load_b32 v4, v4
	s_cmp_ge_i32 s4, s2
	s_waitcnt lgkmcnt(0)
	v_mul_f32_e32 v4, v4, v8
	global_store_b32 v[2:3], v4, off
	s_cbranch_scc1 .LBB22_34
.LBB22_26:                              ; =>This Loop Header: Depth=1
                                        ;     Child Loop BB22_29 Depth 2
                                        ;     Child Loop BB22_33 Depth 2
	s_ashr_i32 s5, s4, 31
	s_delay_alu instid0(SALU_CYCLE_1)
	s_lshl_b64 s[16:17], s[4:5], 2
	s_cmp_eq_u32 s4, 0
	v_add_co_u32 v2, vcc_lo, v19, s16
	v_add_co_ci_u32_e32 v3, vcc_lo, s17, v20, vcc_lo
	global_load_b32 v4, v[2:3], off
	s_waitcnt vmcnt(0)
	v_mul_f32_e32 v8, s15, v4
	s_cbranch_scc1 .LBB22_25
; %bb.27:                               ;   in Loop: Header=BB22_26 Depth=1
	s_add_i32 s5, s3, s9
	s_delay_alu instid0(SALU_CYCLE_1)
	s_cmp_lt_u32 s5, 7
	s_cbranch_scc1 .LBB22_31
; %bb.28:                               ;   in Loop: Header=BB22_26 Depth=1
	v_dual_mov_b32 v5, v1 :: v_dual_mov_b32 v4, v0
	s_and_b32 s10, s4, -8
	s_mov_b32 s5, 0
	s_mov_b32 s16, s7
	.p2align	6
.LBB22_29:                              ;   Parent Loop BB22_26 Depth=1
                                        ; =>  This Inner Loop Header: Depth=2
	s_clause 0x1
	global_load_b128 v[9:12], v[4:5], off offset:-28
	global_load_b128 v[13:16], v[4:5], off offset:-12
	v_mov_b32_e32 v17, s16
	v_add_co_u32 v4, vcc_lo, v4, 32
	v_add_co_ci_u32_e32 v5, vcc_lo, 0, v5, vcc_lo
	ds_load_b128 v[23:26], v17
	ds_load_b128 v[27:30], v17 offset:16
	s_add_i32 s5, s5, 8
	s_add_i32 s16, s16, 32
	s_cmp_lg_u32 s10, s5
	s_waitcnt vmcnt(1) lgkmcnt(1)
	v_fma_f32 v8, -v9, v23, v8
	s_delay_alu instid0(VALU_DEP_1) | instskip(NEXT) | instid1(VALU_DEP_1)
	v_fma_f32 v8, -v10, v24, v8
	v_fma_f32 v8, -v11, v25, v8
	s_delay_alu instid0(VALU_DEP_1) | instskip(SKIP_1) | instid1(VALU_DEP_1)
	v_fma_f32 v8, -v12, v26, v8
	s_waitcnt vmcnt(0) lgkmcnt(0)
	v_fma_f32 v8, -v13, v27, v8
	s_delay_alu instid0(VALU_DEP_1) | instskip(NEXT) | instid1(VALU_DEP_1)
	v_fma_f32 v8, -v14, v28, v8
	v_fma_f32 v8, -v15, v29, v8
	s_delay_alu instid0(VALU_DEP_1)
	v_fma_f32 v8, -v16, v30, v8
	s_cbranch_scc1 .LBB22_29
; %bb.30:                               ;   in Loop: Header=BB22_26 Depth=1
	s_and_b32 s5, s4, 7
	s_delay_alu instid0(SALU_CYCLE_1)
	s_cmp_eq_u32 s5, 0
	s_cbranch_scc0 .LBB22_32
	s_branch .LBB22_25
.LBB22_31:                              ;   in Loop: Header=BB22_26 Depth=1
	s_mov_b32 s10, 0
	s_and_b32 s5, s4, 7
	s_delay_alu instid0(SALU_CYCLE_1)
	s_cmp_eq_u32 s5, 0
	s_cbranch_scc1 .LBB22_25
.LBB22_32:                              ;   in Loop: Header=BB22_26 Depth=1
	s_lshl_b64 s[16:17], s[10:11], 2
	s_and_b32 s5, s14, 7
	v_add_co_u32 v4, vcc_lo, v6, s16
	v_add_co_ci_u32_e32 v5, vcc_lo, s17, v7, vcc_lo
	s_lshl_b32 s10, s10, 2
.LBB22_33:                              ;   Parent Loop BB22_26 Depth=1
                                        ; =>  This Inner Loop Header: Depth=2
	global_load_b32 v9, v[4:5], off
	s_add_i32 s16, s7, s10
	v_add_co_u32 v4, vcc_lo, v4, 4
	v_mov_b32_e32 v10, s16
	v_add_co_ci_u32_e32 v5, vcc_lo, 0, v5, vcc_lo
	s_add_i32 s5, s5, -1
	s_add_i32 s10, s10, 4
	ds_load_b32 v10, v10
	s_cmp_lg_u32 s5, 0
	s_waitcnt vmcnt(0) lgkmcnt(0)
	v_fma_f32 v8, -v9, v10, v8
	s_cbranch_scc1 .LBB22_33
	s_branch .LBB22_25
.LBB22_34:
	s_mov_b32 s3, 0
.LBB22_35:
	s_delay_alu instid0(SALU_CYCLE_1)
	s_and_b32 vcc_lo, exec_lo, s3
	s_cbranch_vccz .LBB22_57
; %bb.36:
	s_cmp_gt_i32 s6, 19
	s_mov_b32 s4, s8
	s_cbranch_scc0 .LBB22_38
; %bb.37:
	s_ashr_i32 s9, s8, 31
	s_mov_b32 s3, 0
	s_lshl_b64 s[4:5], s[8:9], 2
	s_mul_i32 s6, s8, 0x54
	v_add_co_u32 v23, vcc_lo, v19, s4
	v_add_co_ci_u32_e32 v24, vcc_lo, s5, v20, vcc_lo
	s_lshl_b64 s[4:5], s[2:3], 2
	s_add_i32 s9, s2, -6
	v_add_co_u32 v0, vcc_lo, v19, s4
	global_load_b32 v25, v[23:24], off
	v_add_co_ci_u32_e32 v1, vcc_lo, s5, v20, vcc_lo
	s_clause 0x4
	global_load_b128 v[12:15], v[0:1], off offset:-32
	global_load_b128 v[8:11], v[0:1], off offset:-48
	global_load_b96 v[16:18], v[0:1], off offset:-16
	global_load_b128 v[4:7], v[0:1], off offset:-64
	global_load_b128 v[0:3], v[0:1], off offset:-80
	s_mul_i32 s5, s8, 20
	s_mul_i32 s3, s2, 0x54
	s_add_i32 s24, s2, s5
	s_add_i32 s7, s2, -4
	s_lshl_b32 s24, s24, 2
	s_add_i32 s25, s6, 0xffffffac
	s_add_i32 s29, s6, 0xffffff04
	;; [unrolled: 1-line block ×4, first 2 shown]
	s_addk_i32 s6, 0xfe08
	s_add_i32 s35, s3, 0xfffffd0c
	s_add_i32 s24, s24, -8
	s_add_i32 s26, s7, s5
	s_sub_i32 s27, s5, 20
	s_sub_i32 s28, s5, 40
	s_add_i32 s41, s3, 0xfffffb14
	s_delay_alu instid0(SALU_CYCLE_1) | instskip(SKIP_1) | instid1(SALU_CYCLE_1)
	v_dual_mov_b32 v30, s29 :: v_dual_mov_b32 v57, s41
	s_lshl_b32 s29, s30, 2
	v_dual_mov_b32 v26, s6 :: v_dual_mov_b32 v31, s29
	v_dual_mov_b32 v64, s35 :: v_dual_mov_b32 v27, s24
	s_add_i32 s17, s2, -13
	s_add_i32 s18, s2, -14
	s_add_i32 s33, s5, 0xffffff9c
	s_add_i32 s38, s5, 0xffffff24
	;; [unrolled: 1-line block ×3, first 2 shown]
	s_delay_alu instid0(SALU_CYCLE_1)
	v_dual_mov_b32 v34, s25 :: v_dual_mov_b32 v65, s39
	s_lshl_b32 s25, s26, 2
	s_add_i32 s26, s7, s27
	s_add_i32 s7, s7, s28
	v_dual_mov_b32 v56, s31 :: v_dual_mov_b32 v35, s25
	s_add_i32 s31, s33, s17
	s_add_i32 s17, s17, s38
	;; [unrolled: 1-line block ×3, first 2 shown]
	s_lshl_b32 s25, s26, 2
	s_lshl_b32 s26, s7, 2
	;; [unrolled: 1-line block ×3, first 2 shown]
	s_delay_alu instid0(SALU_CYCLE_1)
	v_dual_mov_b32 v28, s26 :: v_dual_mov_b32 v67, s38
	ds_load_b32 v75, v26
	ds_load_2addr_b32 v[26:27], v27 offset1:1
	s_add_i32 s10, s2, -9
	s_add_i32 s11, s2, -10
	s_add_i32 s34, s5, 0xffffff74
	s_add_i32 s27, s9, s27
	;; [unrolled: 1-line block ×4, first 2 shown]
	s_sub_i32 s23, s2, 20
	s_add_i32 s36, s5, 0xffffff4c
	s_add_i32 s37, s3, 0xfffffc64
	s_add_i32 s40, s5, 0xfffffefc
	s_add_i32 s42, s5, 0xfffffed4
	s_addk_i32 s5, 0xfeac
	s_add_i32 s6, s33, s10
	s_add_i32 s10, s10, s34
	;; [unrolled: 1-line block ×4, first 2 shown]
	s_lshl_b32 s28, s28, 2
	s_add_i32 s14, s2, -11
	s_add_i32 s16, s2, -12
	v_dual_mov_b32 v52, s37 :: v_dual_mov_b32 v59, s28
	s_add_i32 s23, s5, s23
	s_lshl_b32 s9, s9, 2
	s_lshl_b32 s11, s11, 2
	ds_load_2addr_b32 v[28:29], v28 offset1:1
	ds_load_b32 v85, v30
	ds_load_2addr_b32 v[30:31], v31 offset1:1
	s_add_i32 s19, s2, -15
	s_add_i32 s43, s3, 0xfffffa6c
	s_add_i32 s30, s33, s14
	s_add_i32 s14, s14, s36
	s_add_i32 s36, s36, s16
	s_lshl_b32 s34, s34, 2
	s_lshl_b32 s29, s6, 2
	;; [unrolled: 1-line block ×3, first 2 shown]
	s_add_i32 s23, s9, 0xffffffb0
	s_delay_alu instid0(SALU_CYCLE_1)
	v_dual_mov_b32 v42, s11 :: v_dual_mov_b32 v77, s23
	s_add_i32 s35, s33, s19
	s_add_i32 s19, s19, s40
	v_dual_mov_b32 v76, s43 :: v_dual_mov_b32 v61, s34
	s_lshl_b32 s27, s27, 2
	s_lshl_b32 s36, s36, 2
	s_add_i32 s20, s2, -16
	v_dual_mov_b32 v36, s25 :: v_dual_mov_b32 v63, s36
	s_lshl_b32 s19, s19, 2
	s_delay_alu instid0(SALU_CYCLE_1)
	v_dual_mov_b32 v38, s27 :: v_dual_mov_b32 v69, s19
	ds_load_2addr_b32 v[32:33], v59 offset0:92 offset1:93
	s_add_i32 s40, s40, s20
	ds_load_b32 v89, v34
	ds_load_2addr_b32 v[34:35], v35 offset1:1
	ds_load_2addr_b32 v[36:37], v36 offset1:1
	;; [unrolled: 1-line block ×3, first 2 shown]
	ds_load_2addr_b32 v[40:41], v59 offset0:72 offset1:73
	ds_load_2addr_b32 v[42:43], v42 offset1:1
	ds_load_2addr_b32 v[44:45], v61 offset0:140 offset1:141
	ds_load_2addr_b32 v[46:47], v61 offset0:120 offset1:121
	;; [unrolled: 1-line block ×3, first 2 shown]
	s_lshl_b32 s39, s40, 2
	s_sub_i32 s21, s2, 17
	v_mov_b32_e32 v70, s39
	s_add_i32 s16, s16, s33
	s_add_i32 s37, s33, s21
	;; [unrolled: 1-line block ×3, first 2 shown]
	s_lshl_b32 s30, s30, 2
	s_lshl_b32 s16, s16, 2
	;; [unrolled: 1-line block ×3, first 2 shown]
	s_sub_i32 s22, s2, 18
	s_add_i32 s19, s39, 0x410
	s_sub_i32 s25, s28, 32
	s_add_i32 s28, s30, 0xffffff60
	s_delay_alu instid0(SALU_CYCLE_1)
	v_dual_mov_b32 v50, s16 :: v_dual_mov_b32 v81, s28
	s_add_i32 s42, s42, s22
	s_add_i32 s22, s22, s33
	;; [unrolled: 1-line block ×4, first 2 shown]
	s_lshl_b32 s31, s31, 2
	s_lshl_b32 s22, s22, 2
	s_add_i32 s24, s9, 0xffffff60
	s_lshl_b32 s18, s18, 2
	s_lshl_b32 s20, s20, 2
	;; [unrolled: 1-line block ×3, first 2 shown]
	s_add_i32 s34, s31, 0xfffffec0
	v_dual_mov_b32 v58, s9 :: v_dual_mov_b32 v71, s20
	s_add_i32 s20, s37, 0xffffffb0
	s_add_i32 s39, s37, 0xffffff60
	;; [unrolled: 1-line block ×8, first 2 shown]
	s_addk_i32 s37, 0xfd30
	s_delay_alu instid0(SALU_CYCLE_1)
	v_dual_mov_b32 v68, s18 :: v_dual_mov_b32 v87, s37
	s_add_i32 s26, s29, 0xffffffb0
	s_add_i32 s27, s30, 0xffffffb0
	;; [unrolled: 1-line block ×4, first 2 shown]
	s_sub_i32 s4, s2, 19
	s_lshl_b32 s40, s42, 2
	s_add_i32 s33, s33, s4
	s_add_i32 s16, s31, 0xffffffb0
	s_lshl_b32 s7, s33, 2
	s_add_i32 s33, s31, 0xffffff10
	s_addk_i32 s31, 0xfe70
	s_add_i32 s50, s40, 0x410
	s_lshl_b32 s35, s35, 2
	s_add_i32 s49, s40, 0x460
	s_add_i32 s36, s35, 0xffffff10
	;; [unrolled: 1-line block ×4, first 2 shown]
	s_lshl_b32 s10, s10, 2
	s_lshl_b32 s14, s14, 2
	v_dual_mov_b32 v60, s10 :: v_dual_mov_b32 v73, s40
	v_dual_mov_b32 v62, s14 :: v_dual_mov_b32 v79, s26
	s_lshl_b32 s17, s17, 2
	s_delay_alu instid0(SALU_CYCLE_1)
	v_dual_mov_b32 v83, s16 :: v_dual_mov_b32 v66, s17
	s_add_i32 s17, s35, 0xffffffb0
	s_add_i32 s51, s7, 0xffffff10
	;; [unrolled: 1-line block ×4, first 2 shown]
	s_addk_i32 s35, 0xfdd0
	s_add_i32 s14, s6, 0x550
	s_add_i32 s11, s6, 0x500
	s_add_i32 s10, s7, 0xfffffec0
	s_add_i32 s9, s7, 0xfffffe70
	s_add_i32 s4, s4, s5
	s_delay_alu instid0(SALU_CYCLE_1) | instskip(SKIP_3) | instid1(VALU_DEP_1)
	s_lshl_b32 s4, s4, 2
	s_waitcnt vmcnt(5)
	v_mul_f32_e32 v25, s15, v25
	s_waitcnt lgkmcnt(13)
	v_mul_f32_e32 v90, v27, v25
	v_mov_b32_e32 v72, s21
	v_mov_b32_e32 v86, s19
	;; [unrolled: 1-line block ×3, first 2 shown]
	s_waitcnt lgkmcnt(10)
	v_dual_mov_b32 v74, s22 :: v_dual_mul_f32 v27, v90, v30
	v_dual_mul_f32 v25, v90, v31 :: v_dual_mov_b32 v78, s24
	s_waitcnt lgkmcnt(9)
	v_mul_f32_e32 v93, v90, v32
	ds_load_2addr_b32 v[50:51], v50 offset1:1
	ds_load_b32 v91, v52
	ds_load_2addr_b32 v[52:53], v67 offset0:220 offset1:221
	ds_load_2addr_b32 v[54:55], v54 offset1:1
	v_mul_f32_e32 v92, v90, v33
	ds_load_2addr_b32 v[30:31], v69 offset1:1
	ds_load_2addr_b32 v[32:33], v86 offset1:1
	s_waitcnt vmcnt(4)
	v_fma_f32 v69, v15, s15, -v25
	s_waitcnt lgkmcnt(8)
	v_dual_mul_f32 v25, v90, v45 :: v_dual_mov_b32 v80, s27
	v_mov_b32_e32 v84, s30
	v_fma_f32 v86, v14, s15, -v27
	v_fma_f32 v92, v13, s15, -v92
	;; [unrolled: 1-line block ×3, first 2 shown]
	ds_load_2addr_b32 v[12:13], v63 offset0:160 offset1:161
	ds_load_2addr_b32 v[14:15], v68 offset1:1
	v_mul_f32_e32 v27, v90, v44
	s_waitcnt vmcnt(3)
	v_fma_f32 v68, v11, s15, -v25
	v_mul_f32_e32 v25, v90, v26
	s_add_i32 s21, s40, 0x4b0
	ds_load_2addr_b32 v[44:45], v67 offset0:200 offset1:201
	v_fma_f32 v94, v10, s15, -v27
	v_mul_f32_e32 v27, v90, v34
	s_waitcnt vmcnt(2)
	v_fma_f32 v18, v18, s15, -v25
	s_add_i32 s40, s7, 0xffffff60
	s_add_i32 s22, s7, 0xffffffb0
	v_fma_f32 v96, v16, s15, -v27
	s_delay_alu instid0(VALU_DEP_2)
	v_dual_mul_f32 v27, v89, v18 :: v_dual_mov_b32 v82, s29
	s_waitcnt lgkmcnt(9)
	v_mul_f32_e32 v49, v90, v49
	v_mul_f32_e32 v48, v90, v48
	;; [unrolled: 1-line block ×3, first 2 shown]
	s_waitcnt lgkmcnt(6)
	v_dual_mov_b32 v88, s21 :: v_dual_mul_f32 v35, v90, v53
	v_fma_f32 v49, v9, s15, -v49
	s_waitcnt lgkmcnt(3)
	v_mul_f32_e32 v53, v90, v33
	v_fma_f32 v95, v17, s15, -v26
	v_fma_f32 v41, -v27, v41, v92
	v_fma_f32 v92, -v27, v40, v93
	v_mov_b32_e32 v93, s31
	v_fma_f32 v48, v8, s15, -v48
	ds_load_2addr_b32 v[8:9], v70 offset0:200 offset1:201
	ds_load_2addr_b32 v[10:11], v70 offset0:180 offset1:181
	ds_load_2addr_b32 v[16:17], v87 offset1:1
	ds_load_2addr_b32 v[33:34], v72 offset1:1
	;; [unrolled: 1-line block ×3, first 2 shown]
	v_mul_f32_e32 v52, v90, v52
	v_mul_f32_e32 v32, v90, v32
	v_mov_b32_e32 v88, s49
	s_waitcnt vmcnt(1)
	v_fma_f32 v72, v7, s15, -v35
	v_fma_f32 v89, -v27, v37, v95
	v_fma_f32 v52, v6, s15, -v52
	v_fma_f32 v18, v4, s15, -v32
	v_mov_b32_e32 v32, s33
	v_fma_f32 v53, v5, s15, -v53
	v_fma_f32 v95, -v27, v36, v96
	ds_load_2addr_b32 v[4:5], v59 offset0:52 offset1:53
	ds_load_2addr_b32 v[6:7], v70 offset0:240 offset1:241
	v_fma_f32 v86, -v27, v38, v86
	v_fma_f32 v69, -v27, v39, v69
	;; [unrolled: 1-line block ×3, first 2 shown]
	s_waitcnt lgkmcnt(9)
	v_fma_f32 v49, -v27, v13, v49
	v_fma_f32 v48, -v27, v12, v48
	s_waitcnt lgkmcnt(7)
	v_fma_f32 v52, -v27, v44, v52
	s_waitcnt lgkmcnt(2)
	v_dual_mov_b32 v87, s34 :: v_dual_mul_f32 v26, v90, v26
	v_mul_f32_e32 v25, v90, v25
	ds_load_2addr_b32 v[35:36], v61 offset0:100 offset1:101
	ds_load_2addr_b32 v[37:38], v88 offset1:1
	v_fma_f32 v88, -v27, v46, v94
	ds_load_2addr_b32 v[39:40], v58 offset1:1
	ds_load_2addr_b32 v[12:13], v67 offset0:180 offset1:181
	v_fma_f32 v58, -v27, v45, v72
	ds_load_2addr_b32 v[44:45], v71 offset1:1
	ds_load_b32 v94, v57
	ds_load_2addr_b32 v[46:47], v70 offset0:220 offset1:221
	s_waitcnt vmcnt(0)
	v_fma_f32 v57, v3, s15, -v26
	v_fma_f32 v25, v2, s15, -v25
	ds_load_2addr_b32 v[2:3], v63 offset0:140 offset1:141
	v_mul_f32_e32 v26, v29, v89
	s_waitcnt lgkmcnt(8)
	v_fma_f32 v53, -v27, v7, v53
	v_fma_f32 v18, -v27, v6, v18
	v_mov_b32_e32 v89, s36
	v_fma_f32 v72, -v26, v28, v95
	ds_load_2addr_b32 v[6:7], v77 offset1:1
	ds_load_2addr_b32 v[28:29], v78 offset1:1
	ds_load_b32 v77, v56
	v_fma_f32 v41, -v26, v5, v41
	v_fma_f32 v78, -v26, v4, v92
	s_waitcnt lgkmcnt(10)
	v_fma_f32 v68, -v26, v36, v68
	s_waitcnt lgkmcnt(9)
	v_fma_f32 v71, -v27, v37, v25
	v_mov_b32_e32 v25, s50
	v_fma_f32 v57, -v27, v38, v57
	s_waitcnt lgkmcnt(8)
	v_fma_f32 v56, -v26, v40, v69
	v_fma_f32 v69, -v26, v39, v86
	ds_load_2addr_b32 v[37:38], v59 offset0:32 offset1:33
	ds_load_2addr_b32 v[39:40], v25 offset1:1
	v_fma_f32 v88, -v26, v35, v88
	ds_load_2addr_b32 v[4:5], v63 offset0:120 offset1:121
	s_waitcnt lgkmcnt(6)
	v_fma_f32 v92, -v26, v3, v49
	v_fma_f32 v95, -v26, v2, v48
	;; [unrolled: 1-line block ×4, first 2 shown]
	ds_load_2addr_b32 v[12:13], v67 offset0:160 offset1:161
	ds_load_2addr_b32 v[35:36], v74 offset1:1
	ds_load_2addr_b32 v[2:3], v61 offset0:80 offset1:81
	v_mul_f32_e32 v25, v85, v72
	v_fma_f32 v98, -v26, v47, v53
	v_fma_f32 v18, -v26, v46, v18
	ds_load_2addr_b32 v[46:47], v73 offset0:240 offset1:241
	ds_load_2addr_b32 v[48:49], v73 offset0:220 offset1:221
	v_mov_b32_e32 v86, s18
	s_waitcnt lgkmcnt(10)
	v_fma_f32 v74, -v25, v7, v56
	v_fma_f32 v69, -v25, v6, v69
	ds_load_2addr_b32 v[6:7], v62 offset1:1
	v_mov_b32_e32 v70, s17
	s_waitcnt lgkmcnt(8)
	v_fma_f32 v41, -v25, v38, v41
	s_waitcnt lgkmcnt(7)
	v_fma_f32 v72, -v26, v40, v57
	v_fma_f32 v71, -v26, v39, v71
	ds_load_2addr_b32 v[39:40], v59 offset0:12 offset1:13
	v_fma_f32 v78, -v25, v37, v78
	ds_load_2addr_b32 v[37:38], v79 offset1:1
	ds_load_2addr_b32 v[52:53], v60 offset1:1
	ds_load_2addr_b32 v[56:57], v61 offset0:60 offset1:61
	s_waitcnt lgkmcnt(10)
	v_fma_f32 v85, -v25, v5, v92
	v_mul_f32_e32 v5, v29, v74
	v_fma_f32 v4, -v25, v4, v95
	s_waitcnt lgkmcnt(9)
	v_fma_f32 v13, -v25, v13, v96
	s_waitcnt lgkmcnt(7)
	v_fma_f32 v68, -v25, v3, v68
	v_fma_f32 v79, -v25, v2, v88
	ds_load_2addr_b32 v[2:3], v63 offset0:100 offset1:101
	ds_load_2addr_b32 v[58:59], v93 offset1:1
	ds_load_2addr_b32 v[60:61], v66 offset1:1
	ds_load_2addr_b32 v[62:63], v67 offset0:140 offset1:141
	v_fma_f32 v28, -v5, v28, v69
	v_fma_f32 v12, -v25, v12, v97
	;; [unrolled: 1-line block ×4, first 2 shown]
	v_mov_b32_e32 v95, s40
	s_waitcnt lgkmcnt(10)
	v_fma_f32 v18, -v25, v47, v72
	v_fma_f32 v88, -v25, v46, v71
	;; [unrolled: 1-line block ×4, first 2 shown]
	s_waitcnt lgkmcnt(7)
	v_fma_f32 v29, -v5, v40, v41
	v_fma_f32 v39, -v5, v39, v78
	s_waitcnt lgkmcnt(4)
	v_fma_f32 v41, -v5, v57, v68
	v_fma_f32 v56, -v5, v56, v79
	v_mov_b32_e32 v71, s35
	v_dual_mov_b32 v73, s38 :: v_dual_mov_b32 v66, s41
	v_dual_mov_b32 v69, s20 :: v_dual_mov_b32 v72, s39
	v_mov_b32_e32 v79, s45
	s_waitcnt lgkmcnt(3)
	v_fma_f32 v2, -v5, v2, v4
	v_mul_f32_e32 v4, v77, v28
	v_fma_f32 v57, -v5, v3, v85
	s_waitcnt lgkmcnt(0)
	v_fma_f32 v68, -v5, v63, v13
	v_fma_f32 v96, -v5, v62, v12
	ds_load_b32 v100, v64
	ds_load_2addr_b32 v[8:9], v80 offset1:1
	ds_load_2addr_b32 v[10:11], v81 offset1:1
	;; [unrolled: 1-line block ×3, first 2 shown]
	v_fma_f32 v3, -v4, v55, v29
	v_fma_f32 v62, -v4, v54, v39
	ds_load_2addr_b32 v[28:29], v83 offset1:1
	ds_load_2addr_b32 v[39:40], v84 offset1:1
	;; [unrolled: 1-line block ×4, first 2 shown]
	v_fma_f32 v32, -v4, v43, v41
	v_fma_f32 v80, -v4, v50, v2
	v_mul_f32_e32 v3, v75, v3
	v_fma_f32 v43, -v4, v42, v56
	v_fma_f32 v75, -v4, v51, v57
	ds_load_b32 v82, v65
	ds_load_2addr_b32 v[41:42], v70 offset1:1
	ds_load_2addr_b32 v[50:51], v86 offset1:1
	;; [unrolled: 1-line block ×3, first 2 shown]
	v_mov_b32_e32 v67, s42
	v_fma_f32 v2, -v3, v38, v62
	v_mov_b32_e32 v97, s51
	v_fma_f32 v32, -v3, v37, v32
	v_dual_mov_b32 v74, s43 :: v_dual_mov_b32 v85, s47
	s_delay_alu instid0(VALU_DEP_4)
	v_mul_f32_e32 v2, v53, v2
	v_dual_mov_b32 v78, s44 :: v_dual_mov_b32 v93, s48
	s_waitcnt lgkmcnt(10)
	v_fma_f32 v9, -v3, v9, v43
	v_fma_f32 v8, -v3, v8, v75
	;; [unrolled: 1-line block ×4, first 2 shown]
	ds_load_2addr_b32 v[37:38], v73 offset1:1
	ds_load_2addr_b32 v[62:63], v66 offset1:1
	;; [unrolled: 1-line block ×4, first 2 shown]
	s_waitcnt lgkmcnt(13)
	v_fma_f32 v11, -v2, v11, v9
	v_fma_f32 v8, -v2, v10, v8
	v_mul_f32_e32 v9, v100, v32
	s_waitcnt lgkmcnt(11)
	v_fma_f32 v32, -v3, v29, v80
	v_fma_f32 v83, -v4, v14, v96
	ds_load_2addr_b32 v[14:15], v69 offset1:1
	ds_load_2addr_b32 v[52:53], v72 offset1:1
	;; [unrolled: 1-line block ×4, first 2 shown]
	v_fma_f32 v43, -v3, v28, v43
	v_fma_f32 v13, -v9, v13, v11
	v_fma_f32 v12, -v9, v12, v8
	v_dual_mov_b32 v92, s46 :: v_dual_mov_b32 v77, s22
	s_waitcnt lgkmcnt(14)
	v_fma_f32 v39, -v2, v39, v43
	v_mul_f32_e32 v8, v7, v13
	v_fma_f32 v7, -v2, v40, v32
	v_fma_f32 v13, -v4, v45, v98
	s_waitcnt lgkmcnt(10)
	v_fma_f32 v40, -v3, v42, v83
	v_fma_f32 v32, -v4, v44, v99
	v_fma_f32 v6, -v8, v6, v12
	v_fma_f32 v7, -v9, v47, v7
	v_fma_f32 v12, -v3, v41, v13
	s_waitcnt lgkmcnt(9)
	v_fma_f32 v13, -v2, v51, v40
	v_fma_f32 v39, -v9, v46, v39
	ds_load_2addr_b32 v[10:11], v79 offset1:1
	ds_load_2addr_b32 v[28:29], v92 offset1:1
	;; [unrolled: 1-line block ×4, first 2 shown]
	v_fma_f32 v40, -v8, v55, v7
	v_mul_f32_e32 v7, v91, v6
	s_waitcnt lgkmcnt(7)
	v_fma_f32 v6, -v3, v15, v32
	v_fma_f32 v12, -v2, v50, v12
	;; [unrolled: 1-line block ×5, first 2 shown]
	s_waitcnt lgkmcnt(6)
	v_fma_f32 v39, -v2, v53, v6
	v_fma_f32 v12, -v9, v56, v12
	;; [unrolled: 1-line block ×4, first 2 shown]
	v_mul_f32_e32 v6, v61, v32
	v_fma_f32 v18, -v5, v49, v18
	s_waitcnt lgkmcnt(5)
	v_fma_f32 v32, -v9, v69, v39
	v_fma_f32 v12, -v8, v37, v12
	;; [unrolled: 1-line block ×4, first 2 shown]
	ds_load_b32 v84, v76
	ds_load_2addr_b32 v[76:77], v77 offset1:1
	ds_load_2addr_b32 v[78:79], v95 offset1:1
	;; [unrolled: 1-line block ×3, first 2 shown]
	v_fma_f32 v18, -v4, v36, v18
	s_waitcnt lgkmcnt(8)
	v_fma_f32 v32, -v8, v71, v32
	v_fma_f32 v12, -v7, v62, v12
	;; [unrolled: 1-line block ×3, first 2 shown]
	v_mul_f32_e32 v13, v82, v15
	v_fma_f32 v15, -v5, v48, v88
	v_fma_f32 v14, -v3, v14, v18
	s_waitcnt lgkmcnt(7)
	v_fma_f32 v11, -v7, v11, v32
	v_fma_f32 v12, -v6, v64, v12
	;; [unrolled: 1-line block ×5, first 2 shown]
	s_waitcnt lgkmcnt(6)
	v_fma_f32 v11, -v6, v29, v11
	v_fma_f32 v29, -v13, v66, v12
	v_mul_f32_e32 v12, v31, v18
	v_mov_b32_e32 v18, s14
	v_fma_f32 v32, -v9, v68, v14
	s_waitcnt lgkmcnt(2)
	v_fma_f32 v31, -v3, v77, v15
	v_fma_f32 v11, -v13, v73, v11
	;; [unrolled: 1-line block ×3, first 2 shown]
	ds_load_2addr_b32 v[14:15], v18 offset1:1
	v_fma_f32 v30, -v8, v70, v32
	s_waitcnt lgkmcnt(2)
	v_fma_f32 v18, -v2, v79, v31
	v_fma_f32 v31, -v12, v75, v11
	v_dual_mul_f32 v11, v94, v29 :: v_dual_mov_b32 v32, s11
	v_mov_b32_e32 v29, s10
	s_add_i32 s14, s6, 0x4b0
	s_waitcnt lgkmcnt(1)
	v_fma_f32 v43, -v9, v81, v18
	v_fma_f32 v44, -v11, v17, v31
	v_mov_b32_e32 v31, s14
	v_fma_f32 v10, -v7, v10, v30
	s_add_i32 s10, s6, 0x460
	v_mov_b32_e32 v39, s9
	v_mov_b32_e32 v35, s10
	s_add_i32 s10, s6, 0x410
	s_add_i32 s9, s7, 0xfffffe20
	v_mov_b32_e32 v37, s10
	v_mov_b32_e32 v41, s9
	s_add_i32 s9, s7, 0xfffffdd0
	s_waitcnt lgkmcnt(0)
	v_mul_f32_e32 v46, v90, v14
	ds_load_2addr_b32 v[17:18], v32 offset1:1
	ds_load_2addr_b32 v[29:30], v29 offset1:1
	;; [unrolled: 1-line block ×4, first 2 shown]
	v_mul_f32_e32 v15, v90, v15
	ds_load_2addr_b32 v[37:38], v37 offset1:1
	ds_load_2addr_b32 v[39:40], v39 offset1:1
	v_mov_b32_e32 v47, s9
	s_add_i32 s9, s3, 0xfffff9c4
	s_addk_i32 s3, 0xf970
	v_fma_f32 v1, v1, s15, -v15
	v_mov_b32_e32 v45, s6
	ds_load_2addr_b32 v[14:15], v41 offset1:1
	v_fma_f32 v46, v0, s15, -v46
	v_fma_f32 v10, -v6, v28, v10
	s_add_i32 s10, s7, 0xfffffd30
	s_waitcnt lgkmcnt(6)
	v_fma_f32 v18, -v27, v18, v1
	ds_load_2addr_b32 v[0:1], v47 offset1:1
	ds_load_2addr_b32 v[41:42], v45 offset0:240 offset1:241
	v_fma_f32 v17, -v27, v17, v46
	s_waitcnt lgkmcnt(7)
	v_fma_f32 v28, -v8, v30, v43
	s_waitcnt lgkmcnt(6)
	v_fma_f32 v18, -v26, v32, v18
	v_fma_f32 v32, -v13, v72, v10
	v_mul_f32_e32 v10, v34, v44
	v_fma_f32 v31, -v26, v31, v17
	s_waitcnt lgkmcnt(3)
	v_fma_f32 v28, -v7, v40, v28
	v_fma_f32 v30, -v25, v36, v18
	ds_load_2addr_b32 v[17:18], v45 offset0:200 offset1:220
	v_fma_f32 v32, -v12, v74, v32
	v_fma_f32 v31, -v25, v35, v31
	s_waitcnt lgkmcnt(3)
	v_fma_f32 v15, -v6, v15, v28
	v_fma_f32 v30, -v5, v38, v30
	v_mov_b32_e32 v47, s9
	s_add_i32 s9, s7, 0xfffffd80
	v_fma_f32 v34, -v5, v37, v31
	s_waitcnt lgkmcnt(2)
	v_fma_f32 v1, -v13, v1, v15
	s_waitcnt lgkmcnt(1)
	v_fma_f32 v28, -v4, v42, v30
	ds_load_2addr_b32 v[30:31], v45 offset0:160 offset1:180
	v_fma_f32 v42, -v11, v16, v32
	v_fma_f32 v16, -v4, v41, v34
	v_mov_b32_e32 v32, s10
	v_fma_f32 v15, -v3, v76, v28
	v_mov_b32_e32 v28, s9
	s_add_i32 s9, s7, 0xfffffce0
	ds_load_b32 v43, v47
	s_waitcnt lgkmcnt(2)
	v_fma_f32 v18, -v3, v18, v16
	v_fma_f32 v36, -v2, v78, v15
	ds_load_2addr_b32 v[34:35], v28 offset1:1
	s_addk_i32 s7, 0xfc90
	v_fma_f32 v17, -v2, v17, v18
	v_fma_f32 v28, -v9, v80, v36
	v_mov_b32_e32 v18, s9
	ds_load_2addr_b32 v[36:37], v32 offset1:1
	v_mov_b32_e32 v40, s7
	v_fma_f32 v38, -v8, v29, v28
	s_waitcnt lgkmcnt(3)
	v_fma_f32 v17, -v9, v31, v17
	ds_load_2addr_b32 v[31:32], v18 offset1:1
	v_fma_f32 v18, -v7, v39, v38
	v_fma_f32 v17, -v8, v30, v17
	v_mov_b32_e32 v30, s3
	ds_load_2addr_b32 v[15:16], v45 offset0:120 offset1:140
	ds_load_2addr_b32 v[28:29], v45 offset0:80 offset1:100
	v_fma_f32 v14, -v6, v14, v18
	ds_load_2addr_b32 v[38:39], v40 offset1:1
	v_mov_b32_e32 v18, s4
	ds_load_2addr_b32 v[40:41], v45 offset0:40 offset1:60
	s_add_i32 s4, s6, 0xffffffb0
	v_fma_f32 v14, -v13, v0, v14
	s_ashr_i32 s3, s2, 31
	s_waitcnt lgkmcnt(6)
	s_delay_alu instid0(VALU_DEP_1)
	v_fma_f32 v14, -v12, v34, v14
	s_waitcnt lgkmcnt(3)
	v_fma_f32 v16, -v7, v16, v17
	v_fma_f32 v17, -v12, v35, v1
	ds_load_2addr_b32 v[0:1], v18 offset1:1
	v_fma_f32 v15, -v6, v15, v16
	v_fma_f32 v16, -v10, v33, v42
	;; [unrolled: 1-line block ×3, first 2 shown]
	s_waitcnt lgkmcnt(3)
	s_delay_alu instid0(VALU_DEP_3) | instskip(NEXT) | instid1(VALU_DEP_3)
	v_fma_f32 v29, -v13, v29, v15
	v_mul_f32_e32 v17, v84, v16
	s_delay_alu instid0(VALU_DEP_3)
	v_fma_f32 v16, -v10, v32, v18
	v_fma_f32 v18, -v11, v36, v14
	ds_load_2addr_b32 v[14:15], v45 offset1:20
	v_fma_f32 v28, -v12, v28, v29
	v_mov_b32_e32 v29, s4
	s_waitcnt lgkmcnt(3)
	v_fma_f32 v16, -v17, v39, v16
	v_fma_f32 v18, -v10, v31, v18
	s_lshl_b64 s[4:5], s[2:3], 2
	s_waitcnt lgkmcnt(2)
	v_fma_f32 v28, -v11, v41, v28
	ds_load_b32 v29, v29
	s_waitcnt lgkmcnt(2)
	v_mul_f32_e32 v16, v1, v16
	v_fma_f32 v1, -v17, v38, v18
	v_fma_f32 v18, -v10, v40, v28
	ds_load_b32 v28, v30
	v_fma_f32 v0, -v16, v0, v1
	s_waitcnt lgkmcnt(2)
	v_fma_f32 v1, -v17, v15, v18
	s_delay_alu instid0(VALU_DEP_2) | instskip(SKIP_2) | instid1(VALU_DEP_3)
	v_mul_f32_e32 v15, v43, v0
	v_add_co_u32 v0, vcc_lo, v19, s4
	s_sub_i32 s4, s2, 21
	v_fma_f32 v14, -v16, v14, v1
	v_add_co_ci_u32_e32 v1, vcc_lo, s5, v20, vcc_lo
	s_clause 0x1
	global_store_b32 v[23:24], v90, off
	global_store_b96 v[0:1], v[25:27], off offset:-16
	s_waitcnt lgkmcnt(1)
	v_fma_f32 v14, -v15, v29, v14
	s_clause 0x1
	global_store_b128 v[0:1], v[2:5], off offset:-32
	global_store_b128 v[0:1], v[6:9], off offset:-48
	s_waitcnt lgkmcnt(0)
	v_mul_f32_e32 v14, v28, v14
	s_clause 0x1
	global_store_b128 v[0:1], v[10:13], off offset:-64
	global_store_b128 v[0:1], v[14:17], off offset:-80
.LBB22_38:
	s_cmp_gt_i32 s4, -1
	s_cbranch_scc0 .LBB22_57
; %bb.39:
	s_cmp_lt_u32 s4, 15
	s_cbranch_scc1 .LBB22_44
; %bb.40:
	s_mov_b32 s5, 0
	s_delay_alu instid0(SALU_CYCLE_1)
	s_lshl_b64 s[6:7], s[4:5], 2
	s_cmp_le_i32 s8, s4
	v_add_co_u32 v7, vcc_lo, v19, s6
	v_add_co_ci_u32_e32 v8, vcc_lo, s7, v20, vcc_lo
	s_clause 0x3
	global_load_b128 v[0:3], v[7:8], off offset:-12
	global_load_b128 v[9:12], v[7:8], off offset:-28
	;; [unrolled: 1-line block ×4, first 2 shown]
	s_waitcnt vmcnt(3)
	v_dual_mul_f32 v13, s15, v3 :: v_dual_mul_f32 v6, s15, v2
	v_dual_mul_f32 v5, s15, v1 :: v_dual_mul_f32 v4, s15, v0
	s_waitcnt vmcnt(2)
	v_dual_mul_f32 v23, s15, v12 :: v_dual_mul_f32 v18, s15, v11
	s_waitcnt vmcnt(1)
	v_dual_mul_f32 v3, s15, v10 :: v_dual_mul_f32 v2, s15, v27
	v_dual_mul_f32 v17, s15, v9 :: v_dual_mul_f32 v16, s15, v26
	;; [unrolled: 1-line block ×3, first 2 shown]
	s_waitcnt vmcnt(0)
	v_dual_mul_f32 v12, s15, v31 :: v_dual_mul_f32 v11, s15, v30
	v_dual_mul_f32 v10, s15, v29 :: v_dual_mul_f32 v9, s15, v28
	s_cbranch_scc1 .LBB22_43
; %bb.41:
	s_mul_i32 s3, s2, 0x50
	s_lshl_b32 s5, s4, 2
	s_ashr_i32 s9, s8, 31
	s_add_i32 s3, s3, s5
	s_lshl_b64 s[6:7], s[8:9], 2
	s_addk_i32 s3, 0xff74
	s_add_u32 s5, s12, s6
	s_addc_u32 s6, s13, s7
	s_add_u32 s5, s5, s0
	s_addc_u32 s6, s6, s1
	v_add_co_u32 v0, vcc_lo, s5, v21
	v_add_co_ci_u32_e32 v1, vcc_lo, s6, v22, vcc_lo
	s_mov_b32 s5, s8
.LBB22_42:                              ; =>This Inner Loop Header: Depth=1
	global_load_b32 v40, v[0:1], off
	v_mov_b32_e32 v38, s3
	v_add_co_u32 v0, vcc_lo, v0, -4
	v_add_co_ci_u32_e32 v1, vcc_lo, -1, v1, vcc_lo
	ds_load_2addr_b32 v[24:25], v38 offset0:14 offset1:15
	ds_load_2addr_b32 v[26:27], v38 offset0:12 offset1:13
	;; [unrolled: 1-line block ×7, first 2 shown]
	ds_load_2addr_b32 v[38:39], v38 offset1:1
	s_add_i32 s5, s5, -1
	s_addk_i32 s3, 0xffb0
	s_cmp_gt_i32 s5, s4
	s_waitcnt vmcnt(0) lgkmcnt(7)
	v_fma_f32 v13, -v40, v25, v13
	v_fma_f32 v6, -v40, v24, v6
	s_waitcnt lgkmcnt(6)
	v_fma_f32 v5, -v40, v27, v5
	v_fma_f32 v4, -v40, v26, v4
	s_waitcnt lgkmcnt(5)
	v_fma_f32 v23, -v40, v29, v23
	v_fma_f32 v18, -v40, v28, v18
	s_waitcnt lgkmcnt(4)
	v_fma_f32 v3, -v40, v31, v3
	v_fma_f32 v17, -v40, v30, v17
	s_waitcnt lgkmcnt(3)
	v_fma_f32 v2, -v40, v33, v2
	v_fma_f32 v16, -v40, v32, v16
	s_waitcnt lgkmcnt(2)
	v_fma_f32 v15, -v40, v35, v15
	v_fma_f32 v14, -v40, v34, v14
	s_waitcnt lgkmcnt(1)
	v_fma_f32 v12, -v40, v37, v12
	v_fma_f32 v11, -v40, v36, v11
	s_waitcnt lgkmcnt(0)
	v_fma_f32 v10, -v40, v39, v10
	v_fma_f32 v9, -v40, v38, v9
	s_cbranch_scc1 .LBB22_42
.LBB22_43:
	s_mul_i32 s3, s4, 0x54
	s_add_i32 s9, s4, -3
	s_add_i32 s5, s3, -4
	s_add_i32 s7, s3, 0xffffffac
	v_mov_b32_e32 v0, s5
	s_mul_i32 s5, s4, 20
	s_add_i32 s14, s3, 0xffffff04
	s_add_i32 s10, s9, s5
	s_sub_i32 s6, s5, 20
	s_lshl_b32 s10, s10, 2
	s_add_i32 s11, s4, -5
	v_mov_b32_e32 v25, s10
	ds_load_2addr_b32 v[0:1], v0 offset1:1
	v_mov_b32_e32 v24, s7
	s_add_i32 s10, s9, s6
	s_sub_i32 s7, s5, 40
	s_lshl_b32 s10, s10, 2
	s_add_i32 s9, s9, s7
	v_mov_b32_e32 v26, s10
	s_lshl_b32 s9, s9, 2
	s_add_i32 s17, s11, s5
	s_sub_i32 s10, s5, 60
	s_add_i32 s16, s4, -7
	s_add_i32 s20, s4, -11
	s_add_i32 s18, s16, s5
	s_add_i32 s21, s20, s5
	s_lshl_b32 s18, s18, 2
	s_lshl_b32 s21, s21, 2
	s_add_i32 s22, s4, -13
	s_delay_alu instid0(SALU_CYCLE_1)
	s_add_i32 s23, s22, s5
	s_waitcnt lgkmcnt(0)
	v_mul_f32_e32 v13, v1, v13
	v_mov_b32_e32 v1, s14
	ds_load_b32 v30, v24
	ds_load_2addr_b32 v[24:25], v25 offset1:1
	ds_load_2addr_b32 v[26:27], v26 offset1:1
	s_lshl_b32 s14, s17, 2
	s_delay_alu instid0(SALU_CYCLE_1)
	v_dual_mov_b32 v28, s9 :: v_dual_mov_b32 v31, s14
	v_fma_f32 v0, -v13, v0, v6
	s_add_i32 s17, s11, s6
	s_add_i32 s9, s5, 0xffffffb0
	ds_load_2addr_b32 v[28:29], v28 offset1:1
	s_lshl_b32 s14, s17, 2
	s_add_i32 s17, s11, s10
	s_lshl_b32 s23, s23, 2
	s_lshl_b32 s17, s17, 2
	s_waitcnt lgkmcnt(3)
	v_mul_f32_e32 v6, v30, v0
	s_waitcnt lgkmcnt(2)
	v_fma_f32 v5, -v13, v25, v5
	v_mov_b32_e32 v25, s14
	ds_load_b32 v30, v1
	v_fma_f32 v4, -v13, v24, v4
	s_add_i32 s14, s11, s7
	s_add_i32 s11, s11, s9
	ds_load_2addr_b32 v[24:25], v25 offset1:1
	ds_load_2addr_b32 v[0:1], v31 offset1:1
	s_waitcnt lgkmcnt(4)
	v_fma_f32 v5, -v6, v27, v5
	s_lshl_b32 s14, s14, 2
	v_fma_f32 v4, -v6, v26, v4
	v_mov_b32_e32 v26, s14
	s_lshl_b32 s11, s11, 2
	s_waitcnt lgkmcnt(3)
	v_mul_f32_e32 v5, v29, v5
	s_add_i32 s14, s3, 0xfffffe5c
	ds_load_2addr_b32 v[26:27], v26 offset1:1
	v_mov_b32_e32 v31, s11
	v_fma_f32 v4, -v5, v28, v4
	v_mov_b32_e32 v28, s17
	s_add_i32 s11, s16, s6
	s_delay_alu instid0(SALU_CYCLE_1)
	s_lshl_b32 s11, s11, 2
	s_waitcnt lgkmcnt(3)
	v_mul_f32_e32 v4, v30, v4
	ds_load_2addr_b32 v[28:29], v28 offset1:1
	ds_load_2addr_b32 v[30:31], v31 offset1:1
	v_mov_b32_e32 v34, s11
	s_add_i32 s11, s16, s7
	s_waitcnt lgkmcnt(3)
	v_fma_f32 v1, -v13, v1, v23
	v_mov_b32_e32 v23, s18
	s_lshl_b32 s11, s11, 2
	ds_load_2addr_b32 v[34:35], v34 offset1:1
	v_mov_b32_e32 v36, s11
	v_fma_f32 v25, -v6, v25, v1
	ds_load_2addr_b32 v[32:33], v23 offset1:1
	v_mov_b32_e32 v23, s14
	v_fma_f32 v18, -v13, v0, v18
	s_add_i32 s11, s16, s10
	ds_load_2addr_b32 v[0:1], v36 offset1:1
	s_lshl_b32 s11, s11, 2
	ds_load_b32 v37, v23
	s_waitcnt lgkmcnt(6)
	v_fma_f32 v23, -v5, v27, v25
	v_fma_f32 v18, -v6, v24, v18
	v_mov_b32_e32 v24, s11
	s_add_i32 s11, s16, s9
	s_add_i32 s14, s5, 0xffffff9c
	s_waitcnt lgkmcnt(5)
	v_fma_f32 v25, -v4, v29, v23
	v_fma_f32 v18, -v5, v26, v18
	ds_load_2addr_b32 v[23:24], v24 offset1:1
	s_lshl_b32 s11, s11, 2
	s_add_i32 s17, s16, s14
	s_add_i32 s18, s4, -9
	v_fma_f32 v18, -v4, v28, v18
	s_lshl_b32 s17, s17, 2
	s_waitcnt lgkmcnt(3)
	v_fma_f32 v26, -v13, v33, v3
	v_mul_f32_e32 v3, v31, v25
	v_fma_f32 v31, -v13, v32, v17
	s_delay_alu instid0(VALU_DEP_3) | instskip(NEXT) | instid1(VALU_DEP_3)
	v_fma_f32 v25, -v6, v35, v26
	v_fma_f32 v36, -v3, v30, v18
	v_mov_b32_e32 v18, s11
	s_add_i32 s11, s5, 0xffffff88
	v_mov_b32_e32 v26, s17
	s_waitcnt lgkmcnt(2)
	v_fma_f32 v1, -v5, v1, v25
	s_add_i32 s16, s16, s11
	s_add_i32 s17, s18, s5
	s_lshl_b32 s16, s16, 2
	v_fma_f32 v34, -v6, v34, v31
	s_waitcnt lgkmcnt(0)
	v_fma_f32 v1, -v4, v24, v1
	ds_load_2addr_b32 v[24:25], v18 offset1:1
	ds_load_2addr_b32 v[26:27], v26 offset1:1
	v_mov_b32_e32 v18, s16
	s_add_i32 s16, s3, 0xfffffdb4
	v_fma_f32 v0, -v5, v0, v34
	v_mov_b32_e32 v28, s16
	s_lshl_b32 s16, s17, 2
	s_add_i32 s17, s18, s6
	v_mov_b32_e32 v29, s16
	s_lshl_b32 s16, s17, 2
	ds_load_b32 v38, v18
	ds_load_b32 v39, v28
	ds_load_2addr_b32 v[28:29], v29 offset1:1
	v_mov_b32_e32 v30, s16
	s_add_i32 s16, s18, s7
	s_add_i32 s17, s3, 0xfffffe08
	s_lshl_b32 s16, s16, 2
	v_mov_b32_e32 v33, s17
	ds_load_2addr_b32 v[17:18], v30 offset1:1
	v_mov_b32_e32 v30, s16
	s_add_i32 s17, s18, s10
	s_waitcnt lgkmcnt(5)
	v_fma_f32 v1, -v3, v25, v1
	s_lshl_b32 s16, s17, 2
	ds_load_b32 v40, v33
	v_fma_f32 v0, -v4, v23, v0
	s_add_i32 s17, s5, 0xffffff74
	s_delay_alu instid0(VALU_DEP_1)
	v_fma_f32 v0, -v3, v24, v0
	s_waitcnt lgkmcnt(2)
	v_fma_f32 v16, -v13, v28, v16
	v_fma_f32 v29, -v13, v29, v2
	v_mul_f32_e32 v2, v37, v36
	s_waitcnt lgkmcnt(1)
	s_delay_alu instid0(VALU_DEP_3) | instskip(SKIP_4) | instid1(SALU_CYCLE_1)
	v_fma_f32 v16, -v6, v17, v16
	v_mov_b32_e32 v17, s21
	s_add_i32 s21, s20, s6
	ds_load_2addr_b32 v[30:31], v30 offset1:1
	s_lshl_b32 s21, s21, 2
	v_dual_mov_b32 v32, s16 :: v_dual_mov_b32 v25, s21
	s_add_i32 s16, s18, s9
	v_fma_f32 v1, -v2, v27, v1
	s_lshl_b32 s16, s16, 2
	ds_load_2addr_b32 v[32:33], v32 offset1:1
	v_mov_b32_e32 v35, s16
	s_add_i32 s16, s18, s14
	v_fma_f32 v18, -v6, v18, v29
	s_lshl_b32 s16, s16, 2
	ds_load_2addr_b32 v[23:24], v17 offset1:1
	v_mov_b32_e32 v41, s16
	s_add_i32 s16, s18, s11
	ds_load_2addr_b32 v[34:35], v35 offset1:1
	s_lshl_b32 s16, s16, 2
	s_waitcnt lgkmcnt(4)
	v_mul_f32_e32 v1, v40, v1
	ds_load_2addr_b32 v[36:37], v41 offset1:1
	v_mov_b32_e32 v27, s16
	s_add_i32 s16, s18, s17
	s_add_i32 s21, s20, s14
	s_lshl_b32 s19, s16, 2
	s_add_i32 s16, s5, 0xffffff60
	s_delay_alu instid0(SALU_CYCLE_1) | instskip(NEXT) | instid1(SALU_CYCLE_1)
	s_add_i32 s18, s18, s16
	s_lshl_b32 s18, s18, 2
	s_delay_alu instid0(SALU_CYCLE_1)
	v_mov_b32_e32 v29, s18
	v_fma_f32 v0, -v2, v26, v0
	ds_load_2addr_b32 v[25:26], v25 offset1:1
	s_waitcnt lgkmcnt(5)
	v_fma_f32 v16, -v5, v30, v16
	s_add_i32 s18, s20, s7
	v_fma_f32 v18, -v5, v31, v18
	s_lshl_b32 s18, s18, 2
	v_fma_f32 v0, -v1, v38, v0
	s_waitcnt lgkmcnt(4)
	v_fma_f32 v31, -v4, v32, v16
	v_mov_b32_e32 v32, s18
	s_add_i32 s18, s3, 0xfffffd0c
	s_delay_alu instid0(SALU_CYCLE_1)
	v_dual_mov_b32 v28, s19 :: v_dual_mov_b32 v41, s18
	ds_load_2addr_b32 v[16:17], v27 offset1:1
	ds_load_2addr_b32 v[27:28], v28 offset1:1
	ds_load_2addr_b32 v[29:30], v29 offset1:1
	v_fma_f32 v18, -v4, v33, v18
	s_add_i32 s19, s20, s10
	s_waitcnt lgkmcnt(6)
	v_fma_f32 v15, -v13, v24, v15
	s_lshl_b32 s19, s19, 2
	s_delay_alu instid0(SALU_CYCLE_1)
	v_dual_mul_f32 v0, v39, v0 :: v_dual_mov_b32 v33, s19
	s_waitcnt lgkmcnt(5)
	v_fma_f32 v18, -v3, v35, v18
	s_add_i32 s19, s20, s9
	v_fma_f32 v35, -v3, v34, v31
	s_lshl_b32 s19, s19, 2
	ds_load_2addr_b32 v[33:34], v33 offset1:1
	s_waitcnt lgkmcnt(5)
	v_fma_f32 v18, -v2, v37, v18
	s_waitcnt lgkmcnt(4)
	v_fma_f32 v15, -v6, v26, v15
	ds_load_b32 v26, v41
	s_add_i32 s18, s20, s11
	v_fma_f32 v14, -v13, v23, v14
	s_lshl_b32 s18, s18, 2
	s_waitcnt lgkmcnt(4)
	v_fma_f32 v17, -v1, v17, v18
	v_fma_f32 v18, -v2, v36, v35
	v_mov_b32_e32 v23, s23
	s_add_i32 s23, s22, s7
	v_fma_f32 v14, -v6, v25, v14
	s_waitcnt lgkmcnt(3)
	v_fma_f32 v17, -v0, v28, v17
	v_mov_b32_e32 v24, s19
	s_lshl_b32 s19, s21, 2
	v_fma_f32 v16, -v1, v16, v18
	v_mov_b32_e32 v39, s19
	s_waitcnt lgkmcnt(2)
	v_mul_f32_e32 v17, v30, v17
	ds_load_2addr_b32 v[31:32], v32 offset1:1
	v_fma_f32 v16, -v0, v27, v16
	ds_load_2addr_b32 v[39:40], v39 offset1:1
	ds_load_2addr_b32 v[37:38], v24 offset1:1
	v_mov_b32_e32 v24, s18
	s_add_i32 s18, s20, s17
	v_fma_f32 v16, -v17, v29, v16
	s_lshl_b32 s18, s18, 2
	ds_load_2addr_b32 v[41:42], v24 offset1:1
	s_waitcnt lgkmcnt(3)
	v_fma_f32 v15, -v5, v32, v15
	v_mov_b32_e32 v32, s18
	s_add_i32 s18, s20, s16
	v_fma_f32 v14, -v5, v31, v14
	s_lshl_b32 s19, s18, 2
	s_add_i32 s18, s5, 0xffffff4c
	s_delay_alu instid0(SALU_CYCLE_1) | instskip(NEXT) | instid1(SALU_CYCLE_1)
	s_add_i32 s21, s20, s18
	s_lshl_b32 s21, s21, 2
	s_delay_alu instid0(SALU_CYCLE_1) | instskip(SKIP_1) | instid1(SALU_CYCLE_1)
	v_dual_mul_f32 v16, v26, v16 :: v_dual_mov_b32 v29, s21
	s_add_i32 s21, s22, s6
	s_lshl_b32 s21, s21, 2
	s_delay_alu instid0(SALU_CYCLE_1) | instskip(SKIP_1) | instid1(SALU_CYCLE_1)
	v_mov_b32_e32 v25, s21
	s_lshl_b32 s21, s23, 2
	v_mov_b32_e32 v27, s21
	s_add_i32 s21, s22, s14
	ds_load_2addr_b32 v[25:26], v25 offset1:1
	ds_load_2addr_b32 v[27:28], v27 offset1:1
	v_fma_f32 v15, -v4, v34, v15
	ds_load_2addr_b32 v[34:35], v32 offset1:1
	v_fma_f32 v14, -v4, v33, v14
	ds_load_2addr_b32 v[23:24], v23 offset1:1
	s_waitcnt lgkmcnt(5)
	v_fma_f32 v15, -v3, v38, v15
	v_fma_f32 v14, -v3, v37, v14
	s_delay_alu instid0(VALU_DEP_2) | instskip(NEXT) | instid1(VALU_DEP_2)
	v_fma_f32 v15, -v2, v40, v15
	v_fma_f32 v33, -v2, v39, v14
	s_waitcnt lgkmcnt(4)
	s_delay_alu instid0(VALU_DEP_2) | instskip(NEXT) | instid1(VALU_DEP_2)
	v_fma_f32 v15, -v1, v42, v15
	v_fma_f32 v33, -v1, v41, v33
	s_waitcnt lgkmcnt(1)
	s_delay_alu instid0(VALU_DEP_2)
	v_fma_f32 v18, -v0, v35, v15
	v_mov_b32_e32 v15, s19
	s_add_i32 s19, s5, 0xffffff38
	s_waitcnt lgkmcnt(0)
	v_fma_f32 v12, -v13, v24, v12
	s_add_i32 s20, s20, s19
	v_fma_f32 v23, -v13, v23, v11
	s_lshl_b32 s20, s20, 2
	s_delay_alu instid0(SALU_CYCLE_1)
	v_mov_b32_e32 v31, s20
	ds_load_2addr_b32 v[14:15], v15 offset1:1
	ds_load_2addr_b32 v[29:30], v29 offset1:1
	;; [unrolled: 1-line block ×3, first 2 shown]
	s_add_i32 s20, s22, s10
	v_fma_f32 v12, -v6, v26, v12
	s_lshl_b32 s20, s20, 2
	s_delay_alu instid0(SALU_CYCLE_1) | instskip(SKIP_1) | instid1(VALU_DEP_2)
	v_mov_b32_e32 v35, s20
	s_add_i32 s20, s22, s9
	v_fma_f32 v12, -v5, v28, v12
	s_lshl_b32 s20, s20, 2
	ds_load_2addr_b32 v[35:36], v35 offset1:1
	v_mov_b32_e32 v24, s20
	s_lshl_b32 s20, s21, 2
	s_add_i32 s21, s3, 0xfffffc64
	ds_load_2addr_b32 v[37:38], v24 offset1:1
	s_waitcnt lgkmcnt(4)
	v_fma_f32 v15, -v17, v15, v18
	v_fma_f32 v18, -v0, v34, v33
	s_waitcnt lgkmcnt(3)
	s_delay_alu instid0(VALU_DEP_2) | instskip(NEXT) | instid1(VALU_DEP_2)
	v_fma_f32 v15, -v16, v30, v15
	v_fma_f32 v14, -v17, v14, v18
	s_waitcnt lgkmcnt(2)
	s_delay_alu instid0(VALU_DEP_2) | instskip(NEXT) | instid1(VALU_DEP_2)
	v_mul_f32_e32 v15, v32, v15
	v_fma_f32 v14, -v16, v29, v14
	v_fma_f32 v32, -v6, v25, v23
	s_delay_alu instid0(VALU_DEP_2) | instskip(SKIP_2) | instid1(VALU_DEP_3)
	v_fma_f32 v14, -v15, v31, v14
	v_mov_b32_e32 v39, s20
	s_add_i32 s20, s22, s11
	v_fma_f32 v27, -v5, v27, v32
	s_lshl_b32 s20, s20, 2
	s_delay_alu instid0(SALU_CYCLE_1) | instskip(SKIP_2) | instid1(SALU_CYCLE_1)
	v_mov_b32_e32 v26, s20
	ds_load_2addr_b32 v[39:40], v39 offset1:1
	s_add_i32 s20, s22, s17
	s_lshl_b32 s20, s20, 2
	ds_load_2addr_b32 v[41:42], v26 offset1:1
	v_mov_b32_e32 v24, s21
	v_mov_b32_e32 v26, s20
	s_waitcnt lgkmcnt(3)
	v_fma_f32 v12, -v4, v36, v12
	s_add_i32 s20, s22, s16
	s_add_i32 s21, s22, s18
	ds_load_b32 v24, v24
	ds_load_2addr_b32 v[33:34], v26 offset1:1
	s_waitcnt lgkmcnt(4)
	v_fma_f32 v12, -v3, v38, v12
	s_lshl_b32 s20, s20, 2
	s_waitcnt lgkmcnt(3)
	s_delay_alu instid0(VALU_DEP_1) | instskip(SKIP_1) | instid1(VALU_DEP_1)
	v_fma_f32 v12, -v2, v40, v12
	s_waitcnt lgkmcnt(2)
	v_fma_f32 v12, -v1, v42, v12
	s_waitcnt lgkmcnt(0)
	s_delay_alu instid0(VALU_DEP_1)
	v_fma_f32 v18, -v0, v34, v12
	v_mov_b32_e32 v12, s20
	s_lshl_b32 s20, s21, 2
	s_add_i32 s21, s22, s19
	ds_load_2addr_b32 v[11:12], v12 offset1:1
	v_mul_f32_e32 v14, v24, v14
	v_mov_b32_e32 v24, s20
	s_lshl_b32 s20, s21, 2
	s_add_i32 s21, s5, 0xffffff24
	v_mov_b32_e32 v26, s20
	s_add_i32 s20, s22, s21
	s_delay_alu instid0(SALU_CYCLE_1) | instskip(NEXT) | instid1(SALU_CYCLE_1)
	s_lshl_b32 s20, s20, 2
	v_mov_b32_e32 v28, s20
	s_add_i32 s20, s4, -15
	s_delay_alu instid0(SALU_CYCLE_1)
	s_add_i32 s6, s20, s6
	s_add_i32 s23, s20, s5
	s_lshl_b32 s6, s6, 2
	s_lshl_b32 s23, s23, 2
	v_mov_b32_e32 v34, s6
	s_add_i32 s6, s20, s7
	v_mov_b32_e32 v30, s23
	s_lshl_b32 s6, s6, 2
	s_waitcnt lgkmcnt(0)
	v_fma_f32 v12, -v17, v12, v18
	v_mov_b32_e32 v32, s6
	s_add_i32 s6, s20, s10
	v_fma_f32 v18, -v4, v35, v27
	s_lshl_b32 s6, s6, 2
	s_addk_i32 s5, 0xff10
	v_mov_b32_e32 v27, s6
	ds_load_2addr_b32 v[23:24], v24 offset1:1
	ds_load_2addr_b32 v[25:26], v26 offset1:1
	ds_load_2addr_b32 v[28:29], v28 offset1:1
	ds_load_2addr_b32 v[30:31], v30 offset1:1
	ds_load_2addr_b32 v[42:43], v34 offset1:1
	ds_load_2addr_b32 v[34:35], v32 offset1:1
	s_add_i32 s6, s20, s9
	v_fma_f32 v18, -v3, v37, v18
	s_lshl_b32 s6, s6, 2
	ds_load_2addr_b32 v[36:37], v27 offset1:1
	s_add_i32 s22, s22, s5
	s_add_i32 s7, s3, 0xfffffbbc
	v_fma_f32 v18, -v2, v39, v18
	s_addk_i32 s3, 0xfb14
	s_delay_alu instid0(VALU_DEP_1)
	v_fma_f32 v18, -v1, v41, v18
	s_waitcnt lgkmcnt(6)
	v_fma_f32 v12, -v16, v24, v12
	v_mov_b32_e32 v24, s6
	s_waitcnt lgkmcnt(3)
	v_fma_f32 v10, -v13, v31, v10
	s_add_i32 s6, s20, s14
	v_fma_f32 v18, -v0, v33, v18
	s_lshl_b32 s6, s6, 2
	ds_load_2addr_b32 v[31:32], v24 offset1:1
	s_waitcnt lgkmcnt(3)
	v_fma_f32 v10, -v6, v43, v10
	v_mov_b32_e32 v24, s6
	s_lshl_b32 s6, s22, 2
	v_fma_f32 v12, -v15, v26, v12
	v_fma_f32 v18, -v17, v11, v18
	s_waitcnt lgkmcnt(2)
	v_fma_f32 v10, -v5, v35, v10
	ds_load_2addr_b32 v[38:39], v24 offset1:1
	v_dual_mov_b32 v24, s6 :: v_dual_mov_b32 v35, s7
	s_add_i32 s6, s20, s11
	s_waitcnt lgkmcnt(2)
	v_fma_f32 v10, -v4, v37, v10
	s_lshl_b32 s6, s6, 2
	ds_load_2addr_b32 v[26:27], v24 offset1:1
	ds_load_b32 v35, v35
	v_fma_f32 v11, -v13, v30, v9
	s_add_i32 s7, s20, s17
	v_fma_f32 v37, -v14, v29, v12
	v_fma_f32 v18, -v16, v23, v18
	s_delay_alu instid0(VALU_DEP_3)
	v_fma_f32 v29, -v6, v42, v11
	s_waitcnt lgkmcnt(3)
	v_fma_f32 v24, -v3, v32, v10
	v_mov_b32_e32 v10, s6
	s_lshl_b32 s6, s7, 2
	s_add_i32 s7, s20, s21
	v_mov_b32_e32 v12, s6
	s_add_i32 s6, s20, s16
	ds_load_2addr_b32 v[9:10], v10 offset1:1
	s_lshl_b32 s6, s6, 2
	v_fma_f32 v29, -v5, v34, v29
	ds_load_2addr_b32 v[11:12], v12 offset1:1
	v_mov_b32_e32 v30, s6
	s_add_i32 s6, s20, s18
	s_waitcnt lgkmcnt(4)
	v_fma_f32 v33, -v2, v39, v24
	s_lshl_b32 s6, s6, 2
	v_fma_f32 v34, -v4, v36, v29
	ds_load_2addr_b32 v[23:24], v30 offset1:1
	v_mov_b32_e32 v32, s6
	s_add_i32 s6, s20, s19
	s_add_i32 s20, s20, s5
	s_lshl_b32 s6, s6, 2
	v_fma_f32 v31, -v3, v31, v34
	ds_load_2addr_b32 v[29:30], v32 offset1:1
	v_mov_b32_e32 v32, s6
	s_lshl_b32 s6, s7, 2
	s_lshl_b32 s5, s20, 2
	v_fma_f32 v34, -v2, v38, v31
	s_waitcnt lgkmcnt(3)
	v_fma_f32 v10, -v1, v10, v33
	v_mov_b32_e32 v33, s6
	ds_load_2addr_b32 v[31:32], v32 offset1:1
	s_add_i32 s6, s5, 0xffffffb0
	v_fma_f32 v34, -v1, v9, v34
	s_waitcnt lgkmcnt(3)
	v_fma_f32 v12, -v0, v12, v10
	ds_load_2addr_b32 v[9:10], v33 offset1:1
	v_mov_b32_e32 v33, s5
	s_addk_i32 s5, 0xff60
	v_fma_f32 v11, -v0, v11, v34
	s_waitcnt lgkmcnt(3)
	v_fma_f32 v12, -v17, v24, v12
	v_mov_b32_e32 v24, s6
	ds_load_2addr_b32 v[33:34], v33 offset1:1
	v_fma_f32 v18, -v15, v25, v18
	v_fma_f32 v11, -v17, v23, v11
	s_waitcnt lgkmcnt(3)
	v_fma_f32 v30, -v16, v30, v12
	ds_load_2addr_b32 v[24:25], v24 offset1:1
	v_dual_mov_b32 v23, s5 :: v_dual_mul_f32 v12, v27, v37
	v_fma_f32 v18, -v14, v28, v18
	v_fma_f32 v11, -v16, v29, v11
	s_ashr_i32 s5, s4, 31
	ds_load_2addr_b32 v[27:28], v23 offset1:1
	s_waitcnt lgkmcnt(4)
	v_fma_f32 v30, -v15, v32, v30
	v_fma_f32 v18, -v12, v26, v18
	;; [unrolled: 1-line block ×3, first 2 shown]
	v_mov_b32_e32 v26, s3
	s_lshl_b64 s[6:7], s[4:5], 2
	s_waitcnt lgkmcnt(3)
	v_fma_f32 v10, -v14, v10, v30
	v_mul_f32_e32 v11, v35, v18
	v_fma_f32 v9, -v14, v9, v23
	ds_load_b32 v18, v26
	v_add_co_u32 v23, vcc_lo, v19, s6
	s_waitcnt lgkmcnt(3)
	v_fma_f32 v10, -v12, v34, v10
	v_fma_f32 v9, -v12, v33, v9
	s_add_i32 s4, s4, -16
	s_waitcnt lgkmcnt(2)
	s_delay_alu instid0(VALU_DEP_2) | instskip(NEXT) | instid1(VALU_DEP_2)
	v_fma_f32 v10, -v11, v25, v10
	v_fma_f32 v9, -v11, v24, v9
	v_add_co_ci_u32_e32 v24, vcc_lo, s7, v20, vcc_lo
	s_waitcnt lgkmcnt(1)
	s_delay_alu instid0(VALU_DEP_3)
	v_mul_f32_e32 v10, v28, v10
	s_clause 0x2
	global_store_b96 v[23:24], v[4:6], off offset:-12
	global_store_b128 v[23:24], v[0:3], off offset:-28
	global_store_b128 v[23:24], v[14:17], off offset:-44
	v_fma_f32 v9, -v10, v27, v9
	s_waitcnt lgkmcnt(0)
	s_delay_alu instid0(VALU_DEP_1)
	v_mul_f32_e32 v9, v18, v9
	s_clause 0x1
	global_store_b32 v[7:8], v13, off
	global_store_b128 v[23:24], v[9:12], off offset:-60
.LBB22_44:
	s_cmp_lt_i32 s4, 0
	s_cbranch_scc1 .LBB22_57
; %bb.45:
	s_bitcmp1_b32 s4, 0
	s_mov_b32 s6, s4
	s_cselect_b32 s3, -1, 0
	s_delay_alu instid0(SALU_CYCLE_1)
	s_and_b32 vcc_lo, exec_lo, s3
	s_cbranch_vccnz .LBB22_50
; %bb.46:
	s_mov_b32 s5, 0
	s_delay_alu instid0(SALU_CYCLE_1)
	s_lshl_b64 s[6:7], s[4:5], 2
	s_cmp_le_i32 s8, s4
	v_add_co_u32 v0, vcc_lo, v19, s6
	v_add_co_ci_u32_e32 v1, vcc_lo, s7, v20, vcc_lo
	global_load_b32 v2, v[0:1], off
	s_waitcnt vmcnt(0)
	v_mul_f32_e32 v4, s15, v2
	s_cbranch_scc1 .LBB22_49
; %bb.47:
	s_mul_i32 s3, s2, 0x50
	s_lshl_b32 s5, s4, 2
	s_ashr_i32 s9, s8, 31
	s_add_i32 s3, s3, s5
	s_lshl_b64 s[6:7], s[8:9], 2
	s_addk_i32 s3, 0xffb0
	s_add_u32 s5, s12, s6
	s_addc_u32 s6, s13, s7
	s_add_u32 s5, s5, s0
	s_addc_u32 s6, s6, s1
	v_add_co_u32 v2, vcc_lo, s5, v21
	v_add_co_ci_u32_e32 v3, vcc_lo, s6, v22, vcc_lo
	s_mov_b32 s5, s8
.LBB22_48:                              ; =>This Inner Loop Header: Depth=1
	global_load_b32 v5, v[2:3], off
	v_mov_b32_e32 v6, s3
	v_add_co_u32 v2, vcc_lo, v2, -4
	v_add_co_ci_u32_e32 v3, vcc_lo, -1, v3, vcc_lo
	ds_load_b32 v6, v6
	s_add_i32 s5, s5, -1
	s_addk_i32 s3, 0xffb0
	s_cmp_gt_i32 s5, s4
	s_waitcnt vmcnt(0) lgkmcnt(0)
	v_fma_f32 v4, -v5, v6, v4
	s_cbranch_scc1 .LBB22_48
.LBB22_49:
	s_mul_i32 s3, s4, 0x54
	s_add_i32 s6, s4, -1
	v_mov_b32_e32 v2, s3
	ds_load_b32 v2, v2
	s_waitcnt lgkmcnt(0)
	v_mul_f32_e32 v2, v2, v4
	global_store_b32 v[0:1], v2, off
.LBB22_50:
	s_cmp_eq_u32 s4, 0
	s_mov_b32 s7, 0
	s_cbranch_scc1 .LBB22_57
; %bb.51:
	s_mul_i32 s3, s2, 0x50
	s_lshl_b32 s4, s6, 2
	s_ashr_i32 s9, s8, 31
	s_add_i32 s10, s3, s4
	s_lshl_b64 s[4:5], s[8:9], 2
	s_add_i32 s3, s10, 0xffffffb0
	s_add_u32 s4, s12, s4
	s_addc_u32 s5, s13, s5
	s_add_u32 s0, s4, s0
	s_addc_u32 s1, s5, s1
	v_add_co_u32 v0, vcc_lo, s0, v21
	v_add_co_ci_u32_e32 v1, vcc_lo, s1, v22, vcc_lo
	s_add_i32 s0, s10, 0xffffffac
	s_branch .LBB22_53
.LBB22_52:                              ;   in Loop: Header=BB22_53 Depth=1
	s_addk_i32 s1, 0xffac
	s_add_i32 s3, s3, -8
	v_mov_b32_e32 v4, s1
	s_add_i32 s1, s6, -2
	s_add_i32 s0, s0, -8
	s_cmp_lt_i32 s6, 2
	s_mov_b32 s6, s1
	ds_load_b32 v4, v4
	s_waitcnt lgkmcnt(0)
	v_mul_f32_e32 v4, v4, v6
	global_store_b32 v[2:3], v4, off offset:-4
	s_cbranch_scc1 .LBB22_57
.LBB22_53:                              ; =>This Loop Header: Depth=1
                                        ;     Child Loop BB22_54 Depth 2
                                        ;     Child Loop BB22_56 Depth 2
	s_lshl_b64 s[4:5], s[6:7], 2
	s_cmp_le_i32 s8, s6
	v_add_co_u32 v2, vcc_lo, v19, s4
	v_add_co_ci_u32_e32 v3, vcc_lo, s5, v20, vcc_lo
	s_mov_b32 s1, s3
	s_mov_b32 s4, s8
	global_load_b32 v2, v[2:3], off
	s_waitcnt vmcnt(0)
	v_dual_mul_f32 v4, s15, v2 :: v_dual_mov_b32 v3, v1
	v_mov_b32_e32 v2, v0
	s_cbranch_scc1 .LBB22_55
.LBB22_54:                              ;   Parent Loop BB22_53 Depth=1
                                        ; =>  This Inner Loop Header: Depth=2
	global_load_b32 v5, v[2:3], off
	v_mov_b32_e32 v6, s1
	v_add_co_u32 v2, vcc_lo, v2, -4
	v_add_co_ci_u32_e32 v3, vcc_lo, -1, v3, vcc_lo
	ds_load_b32 v6, v6
	s_add_i32 s4, s4, -1
	s_addk_i32 s1, 0xffb0
	s_cmp_gt_i32 s4, s6
	s_waitcnt vmcnt(0) lgkmcnt(0)
	v_fma_f32 v4, -v5, v6, v4
	s_cbranch_scc1 .LBB22_54
.LBB22_55:                              ;   in Loop: Header=BB22_53 Depth=1
	s_add_i32 s4, s6, -1
	s_mov_b32 s5, s7
	s_mul_i32 s1, s6, 0x54
	s_lshl_b64 s[4:5], s[4:5], 2
	s_delay_alu instid0(SALU_CYCLE_1)
	v_add_co_u32 v2, vcc_lo, v19, s4
	v_add_co_ci_u32_e32 v3, vcc_lo, s5, v20, vcc_lo
	s_ashr_i32 s5, s6, 31
	s_mov_b32 s4, s6
	global_load_b32 v5, v[2:3], off
	v_mov_b32_e32 v2, s1
	s_lshl_b64 s[4:5], s[4:5], 2
	s_cmp_lt_i32 s8, s6
	ds_load_b32 v6, v2
	v_add_co_u32 v2, vcc_lo, v19, s4
	v_add_co_ci_u32_e32 v3, vcc_lo, s5, v20, vcc_lo
	s_mov_b32 s4, s0
	s_mov_b32 s5, s2
	s_waitcnt lgkmcnt(0)
	v_mul_f32_e32 v7, v6, v4
	global_store_b32 v[2:3], v7, off
	s_waitcnt vmcnt(0)
	v_dual_mul_f32 v6, s15, v5 :: v_dual_mov_b32 v5, v1
	v_mov_b32_e32 v4, v0
	s_cbranch_scc1 .LBB22_52
.LBB22_56:                              ;   Parent Loop BB22_53 Depth=1
                                        ; =>  This Inner Loop Header: Depth=2
	global_load_b32 v7, v[4:5], off
	v_mov_b32_e32 v8, s4
	v_add_co_u32 v4, vcc_lo, v4, -4
	v_add_co_ci_u32_e32 v5, vcc_lo, -1, v5, vcc_lo
	ds_load_b32 v8, v8
	s_add_i32 s5, s5, -1
	s_addk_i32 s4, 0xffb0
	s_cmp_gt_i32 s5, s6
	s_waitcnt vmcnt(0) lgkmcnt(0)
	v_fma_f32 v6, -v7, v8, v6
	s_cbranch_scc1 .LBB22_56
	s_branch .LBB22_52
.LBB22_57:
	s_nop 0
	s_sendmsg sendmsg(MSG_DEALLOC_VGPRS)
	s_endpgm
	.section	.rodata,"a",@progbits
	.p2align	6, 0x0
	.amdhsa_kernel _ZL30rocblas_trsm_small_left_deviceILi20ELi20ELb0EffPKPKfPKPfEv13rocblas_fill_18rocblas_operation_17rocblas_diagonal_iiT3_T4_lilT5_lili
		.amdhsa_group_segment_fixed_size 1600
		.amdhsa_private_segment_fixed_size 0
		.amdhsa_kernarg_size 352
		.amdhsa_user_sgpr_count 14
		.amdhsa_user_sgpr_dispatch_ptr 0
		.amdhsa_user_sgpr_queue_ptr 0
		.amdhsa_user_sgpr_kernarg_segment_ptr 1
		.amdhsa_user_sgpr_dispatch_id 0
		.amdhsa_user_sgpr_private_segment_size 0
		.amdhsa_wavefront_size32 1
		.amdhsa_uses_dynamic_stack 0
		.amdhsa_enable_private_segment 0
		.amdhsa_system_sgpr_workgroup_id_x 1
		.amdhsa_system_sgpr_workgroup_id_y 0
		.amdhsa_system_sgpr_workgroup_id_z 1
		.amdhsa_system_sgpr_workgroup_info 0
		.amdhsa_system_vgpr_workitem_id 0
		.amdhsa_next_free_vgpr 103
		.amdhsa_next_free_sgpr 52
		.amdhsa_reserve_vcc 1
		.amdhsa_float_round_mode_32 0
		.amdhsa_float_round_mode_16_64 0
		.amdhsa_float_denorm_mode_32 3
		.amdhsa_float_denorm_mode_16_64 3
		.amdhsa_dx10_clamp 1
		.amdhsa_ieee_mode 1
		.amdhsa_fp16_overflow 0
		.amdhsa_workgroup_processor_mode 1
		.amdhsa_memory_ordered 1
		.amdhsa_forward_progress 0
		.amdhsa_shared_vgpr_count 0
		.amdhsa_exception_fp_ieee_invalid_op 0
		.amdhsa_exception_fp_denorm_src 0
		.amdhsa_exception_fp_ieee_div_zero 0
		.amdhsa_exception_fp_ieee_overflow 0
		.amdhsa_exception_fp_ieee_underflow 0
		.amdhsa_exception_fp_ieee_inexact 0
		.amdhsa_exception_int_div_zero 0
	.end_amdhsa_kernel
	.section	.text._ZL30rocblas_trsm_small_left_deviceILi20ELi20ELb0EffPKPKfPKPfEv13rocblas_fill_18rocblas_operation_17rocblas_diagonal_iiT3_T4_lilT5_lili,"axG",@progbits,_ZL30rocblas_trsm_small_left_deviceILi20ELi20ELb0EffPKPKfPKPfEv13rocblas_fill_18rocblas_operation_17rocblas_diagonal_iiT3_T4_lilT5_lili,comdat
.Lfunc_end22:
	.size	_ZL30rocblas_trsm_small_left_deviceILi20ELi20ELb0EffPKPKfPKPfEv13rocblas_fill_18rocblas_operation_17rocblas_diagonal_iiT3_T4_lilT5_lili, .Lfunc_end22-_ZL30rocblas_trsm_small_left_deviceILi20ELi20ELb0EffPKPKfPKPfEv13rocblas_fill_18rocblas_operation_17rocblas_diagonal_iiT3_T4_lilT5_lili
                                        ; -- End function
	.section	.AMDGPU.csdata,"",@progbits
; Kernel info:
; codeLenInByte = 14936
; NumSgprs: 54
; NumVgprs: 103
; ScratchSize: 0
; MemoryBound: 0
; FloatMode: 240
; IeeeMode: 1
; LDSByteSize: 1600 bytes/workgroup (compile time only)
; SGPRBlocks: 6
; VGPRBlocks: 12
; NumSGPRsForWavesPerEU: 54
; NumVGPRsForWavesPerEU: 103
; Occupancy: 12
; WaveLimiterHint : 1
; COMPUTE_PGM_RSRC2:SCRATCH_EN: 0
; COMPUTE_PGM_RSRC2:USER_SGPR: 14
; COMPUTE_PGM_RSRC2:TRAP_HANDLER: 0
; COMPUTE_PGM_RSRC2:TGID_X_EN: 1
; COMPUTE_PGM_RSRC2:TGID_Y_EN: 0
; COMPUTE_PGM_RSRC2:TGID_Z_EN: 1
; COMPUTE_PGM_RSRC2:TIDIG_COMP_CNT: 0
	.section	.text._ZL38rocblas_trsm_small_left_device_sharedBILi20ELi20ELb1EffPKPKfPKPfEv13rocblas_fill_18rocblas_operation_17rocblas_diagonal_iiT3_T4_lilT5_lili,"axG",@progbits,_ZL38rocblas_trsm_small_left_device_sharedBILi20ELi20ELb1EffPKPKfPKPfEv13rocblas_fill_18rocblas_operation_17rocblas_diagonal_iiT3_T4_lilT5_lili,comdat
	.globl	_ZL38rocblas_trsm_small_left_device_sharedBILi20ELi20ELb1EffPKPKfPKPfEv13rocblas_fill_18rocblas_operation_17rocblas_diagonal_iiT3_T4_lilT5_lili ; -- Begin function _ZL38rocblas_trsm_small_left_device_sharedBILi20ELi20ELb1EffPKPKfPKPfEv13rocblas_fill_18rocblas_operation_17rocblas_diagonal_iiT3_T4_lilT5_lili
	.p2align	8
	.type	_ZL38rocblas_trsm_small_left_device_sharedBILi20ELi20ELb1EffPKPKfPKPfEv13rocblas_fill_18rocblas_operation_17rocblas_diagonal_iiT3_T4_lilT5_lili,@function
_ZL38rocblas_trsm_small_left_device_sharedBILi20ELi20ELb1EffPKPKfPKPfEv13rocblas_fill_18rocblas_operation_17rocblas_diagonal_iiT3_T4_lilT5_lili: ; @_ZL38rocblas_trsm_small_left_device_sharedBILi20ELi20ELb1EffPKPKfPKPfEv13rocblas_fill_18rocblas_operation_17rocblas_diagonal_iiT3_T4_lilT5_lili
; %bb.0:
	s_clause 0x1
	s_load_b128 s[8:11], s[0:1], 0x38
	s_load_b128 s[4:7], s[0:1], 0x4
	s_mov_b32 s12, s15
	s_mov_b32 s13, 0
	s_delay_alu instid0(SALU_CYCLE_1)
	s_lshl_b64 s[20:21], s[12:13], 3
	s_mov_b32 s12, exec_lo
	s_waitcnt lgkmcnt(0)
	s_add_u32 s2, s8, s20
	s_addc_u32 s3, s9, s21
	s_load_b32 s27, s[0:1], 0x14
	s_load_b64 s[2:3], s[2:3], 0x0
	s_min_i32 s15, s6, 20
	s_delay_alu instid0(SALU_CYCLE_1)
	s_add_i32 s26, s15, -1
	v_cmpx_gt_i32_e64 s15, v0
	s_cbranch_execz .LBB23_10
; %bb.1:
	s_clause 0x1
	s_load_b32 s8, s[0:1], 0x28
	s_load_b128 s[16:19], s[0:1], 0x18
	s_waitcnt lgkmcnt(0)
	s_ashr_i32 s9, s8, 31
	s_add_u32 s16, s16, s20
	s_addc_u32 s17, s17, s21
	s_cmp_lt_u32 s26, 3
	s_load_b64 s[16:17], s[16:17], 0x0
	s_cbranch_scc1 .LBB23_4
; %bb.2:
	v_lshlrev_b32_e32 v3, 2, v0
	s_lshl_b64 s[20:21], s[18:19], 2
	s_mul_hi_i32 s28, s8, 12
	s_waitcnt lgkmcnt(0)
	s_add_u32 s13, s16, s20
	s_addc_u32 s20, s17, s21
	v_add_co_u32 v1, s13, s13, v3
	s_delay_alu instid0(VALU_DEP_1)
	v_add_co_ci_u32_e64 v2, null, s20, 0, s13
	s_and_b32 s13, s15, -4
	s_mul_i32 s29, s8, 12
	s_lshl_b64 s[20:21], s[8:9], 4
	s_lshl_b64 s[22:23], s[8:9], 3
	;; [unrolled: 1-line block ×3, first 2 shown]
	s_mov_b32 s30, 0
	.p2align	6
.LBB23_3:                               ; =>This Inner Loop Header: Depth=1
	v_add_co_u32 v4, vcc_lo, v1, s24
	v_add_co_ci_u32_e32 v5, vcc_lo, s25, v2, vcc_lo
	v_add_co_u32 v6, vcc_lo, v1, s22
	v_add_co_ci_u32_e32 v7, vcc_lo, s23, v2, vcc_lo
	;; [unrolled: 2-line block ×3, first 2 shown]
	s_clause 0x3
	global_load_b32 v10, v[1:2], off
	global_load_b32 v4, v[4:5], off
	;; [unrolled: 1-line block ×4, first 2 shown]
	v_add_co_u32 v1, vcc_lo, v1, s20
	v_add_co_ci_u32_e32 v2, vcc_lo, s21, v2, vcc_lo
	s_add_i32 s30, s30, 4
	s_waitcnt vmcnt(2)
	ds_store_2addr_b32 v3, v10, v4 offset1:20
	s_waitcnt vmcnt(0)
	ds_store_2addr_b32 v3, v5, v6 offset0:40 offset1:60
	v_add_nc_u32_e32 v3, 0x140, v3
	s_cmp_eq_u32 s13, s30
	s_cbranch_scc0 .LBB23_3
.LBB23_4:
	s_and_b32 s20, s15, 3
	s_delay_alu instid0(SALU_CYCLE_1)
	s_cmp_eq_u32 s20, 0
	s_cbranch_scc1 .LBB23_7
; %bb.5:
	s_mul_i32 s21, s9, s13
	s_mul_hi_u32 s22, s8, s13
	s_lshl_b64 s[18:19], s[18:19], 2
	s_add_i32 s23, s22, s21
	s_mul_i32 s22, s8, s13
	s_mulk_i32 s13, 0x50
	s_lshl_b64 s[22:23], s[22:23], 2
	v_lshlrev_b32_e32 v1, 2, v0
	v_lshl_add_u32 v3, v0, 2, s13
	s_add_u32 s13, s22, s18
	s_addc_u32 s18, s23, s19
	s_waitcnt lgkmcnt(0)
	s_add_u32 s13, s16, s13
	s_addc_u32 s16, s17, s18
	v_add_co_u32 v1, s13, s13, v1
	s_delay_alu instid0(VALU_DEP_1)
	v_add_co_ci_u32_e64 v2, null, s16, 0, s13
	s_lshl_b64 s[8:9], s[8:9], 2
.LBB23_6:                               ; =>This Inner Loop Header: Depth=1
	global_load_b32 v4, v[1:2], off
	v_add_co_u32 v1, vcc_lo, v1, s8
	v_add_co_ci_u32_e32 v2, vcc_lo, s9, v2, vcc_lo
	s_add_i32 s20, s20, -1
	s_delay_alu instid0(SALU_CYCLE_1)
	s_cmp_lg_u32 s20, 0
	s_waitcnt vmcnt(0)
	ds_store_b32 v3, v4
	v_add_nc_u32_e32 v3, 0x50, v3
	s_cbranch_scc1 .LBB23_6
.LBB23_7:
	v_mul_u32_u24_e32 v1, 21, v0
	s_cmpk_lg_i32 s5, 0x84
	s_delay_alu instid0(VALU_DEP_1)
	v_dual_mov_b32 v2, 1.0 :: v_dual_lshlrev_b32 v1, 2, v1
	s_cbranch_scc0 .LBB23_9
; %bb.8:
	ds_load_b32 v2, v1
	s_waitcnt lgkmcnt(0)
	v_div_scale_f32 v3, null, v2, v2, 1.0
	s_delay_alu instid0(VALU_DEP_1) | instskip(SKIP_2) | instid1(VALU_DEP_1)
	v_rcp_f32_e32 v4, v3
	s_waitcnt_depctr 0xfff
	v_fma_f32 v5, -v3, v4, 1.0
	v_fmac_f32_e32 v4, v5, v4
	v_div_scale_f32 v5, vcc_lo, 1.0, v2, 1.0
	s_delay_alu instid0(VALU_DEP_1) | instskip(NEXT) | instid1(VALU_DEP_1)
	v_mul_f32_e32 v6, v5, v4
	v_fma_f32 v7, -v3, v6, v5
	s_delay_alu instid0(VALU_DEP_1) | instskip(NEXT) | instid1(VALU_DEP_1)
	v_fmac_f32_e32 v6, v7, v4
	v_fma_f32 v3, -v3, v6, v5
	s_delay_alu instid0(VALU_DEP_1) | instskip(NEXT) | instid1(VALU_DEP_1)
	v_div_fmas_f32 v3, v3, v4, v6
	v_div_fixup_f32 v2, v3, v2, 1.0
.LBB23_9:
	ds_store_b32 v1, v2
.LBB23_10:
	s_or_b32 exec_lo, exec_lo, s12
	s_load_b32 s5, s[0:1], 0x60
	s_waitcnt lgkmcnt(0)
	s_load_b32 s16, s[0:1], 0x48
	s_lshl_b64 s[0:1], s[10:11], 2
	s_mul_i32 s9, s14, 0xffffffec
	s_mul_i32 s8, s14, 20
	s_waitcnt lgkmcnt(0)
	s_ashr_i32 s17, s16, 31
	s_add_u32 s12, s2, s0
	s_addc_u32 s13, s3, s1
	s_add_i32 s5, s5, -1
	s_add_i32 s9, s9, s7
	s_mul_hi_i32 s11, s16, s8
	s_cmp_ge_u32 s14, s5
	s_mul_i32 s10, s16, s8
	s_cselect_b32 s14, s9, 20
	s_lshl_b64 s[10:11], s[10:11], 2
	s_ashr_i32 s9, s8, 31
	s_add_u32 s5, s12, s10
	s_addc_u32 s7, s13, s11
	v_cmp_gt_i32_e32 vcc_lo, s14, v0
	s_cmp_gt_i32 s6, 0
	s_mov_b32 s10, 0
	s_cselect_b32 s11, -1, 0
	s_delay_alu instid0(SALU_CYCLE_1) | instskip(NEXT) | instid1(SALU_CYCLE_1)
	s_and_b32 s14, vcc_lo, s11
	s_and_saveexec_b32 s18, s14
	s_cbranch_execz .LBB23_17
; %bb.11:
	s_cmp_lt_i32 s6, 8
	s_cbranch_scc1 .LBB23_14
; %bb.12:
	v_mad_i64_i32 v[1:2], null, s16, v0, 0
	v_lshl_add_u32 v3, v0, 2, 0x640
	s_lshl_b32 s10, s15, 2
	s_mov_b64 s[12:13], 0
	s_and_b32 s11, s10, 0x60
	s_mov_b32 s10, 0
	s_delay_alu instid0(VALU_DEP_2) | instskip(NEXT) | instid1(VALU_DEP_1)
	v_lshlrev_b64 v[1:2], 2, v[1:2]
	v_add_co_u32 v1, vcc_lo, s5, v1
	s_delay_alu instid0(VALU_DEP_2)
	v_add_co_ci_u32_e32 v2, vcc_lo, s7, v2, vcc_lo
	.p2align	6
.LBB23_13:                              ; =>This Inner Loop Header: Depth=1
	s_delay_alu instid0(VALU_DEP_2) | instskip(NEXT) | instid1(VALU_DEP_2)
	v_add_co_u32 v8, vcc_lo, v1, s12
	v_add_co_ci_u32_e32 v9, vcc_lo, s13, v2, vcc_lo
	s_add_i32 s10, s10, 8
	s_add_u32 s12, s12, 32
	s_addc_u32 s13, s13, 0
	s_clause 0x1
	global_load_b128 v[4:7], v[8:9], off
	global_load_b128 v[8:11], v[8:9], off offset:16
	s_cmp_lg_u32 s11, s12
	s_waitcnt vmcnt(1)
	v_dual_mul_f32 v4, s27, v4 :: v_dual_mul_f32 v5, s27, v5
	v_dual_mul_f32 v6, s27, v6 :: v_dual_mul_f32 v7, s27, v7
	s_waitcnt vmcnt(0)
	v_dual_mul_f32 v8, s27, v8 :: v_dual_mul_f32 v9, s27, v9
	v_dual_mul_f32 v10, s27, v10 :: v_dual_mul_f32 v11, s27, v11
	ds_store_2addr_b32 v3, v4, v5 offset1:20
	ds_store_2addr_b32 v3, v6, v7 offset0:40 offset1:60
	ds_store_2addr_b32 v3, v8, v9 offset0:80 offset1:100
	;; [unrolled: 1-line block ×3, first 2 shown]
	v_add_nc_u32_e32 v3, 0x280, v3
	s_cbranch_scc1 .LBB23_13
.LBB23_14:
	s_and_b32 s12, s15, 7
	s_mov_b32 s11, 0
	s_cmp_eq_u32 s12, 0
	s_cbranch_scc1 .LBB23_17
; %bb.15:
	v_lshlrev_b32_e32 v3, 2, v0
	s_lshl_b64 s[20:21], s[8:9], 2
	s_lshl_b64 s[22:23], s[10:11], 2
	s_mulk_i32 s10, 0x50
	s_delay_alu instid0(VALU_DEP_1) | instskip(NEXT) | instid1(VALU_DEP_1)
	v_add_co_u32 v4, s11, s20, v3
	v_add_co_ci_u32_e64 v5, null, s21, 0, s11
	s_add_u32 s11, s2, s22
	s_addc_u32 s13, s3, s23
	s_add_u32 s20, s11, s0
	s_addc_u32 s21, s13, s1
	v_mul_lo_u32 v5, v5, s16
	v_mad_u64_u32 v[1:2], null, v4, s16, s[20:21]
	v_mul_lo_u32 v4, v4, s17
	v_add3_u32 v3, s10, v3, 0x640
	s_delay_alu instid0(VALU_DEP_2)
	v_add3_u32 v2, v5, v2, v4
.LBB23_16:                              ; =>This Inner Loop Header: Depth=1
	global_load_b32 v4, v[1:2], off
	v_add_co_u32 v1, vcc_lo, v1, 4
	v_add_co_ci_u32_e32 v2, vcc_lo, 0, v2, vcc_lo
	s_add_i32 s12, s12, -1
	s_delay_alu instid0(SALU_CYCLE_1)
	s_cmp_lg_u32 s12, 0
	s_waitcnt vmcnt(0)
	v_mul_f32_e32 v4, s27, v4
	ds_store_b32 v3, v4
	v_add_nc_u32_e32 v3, 0x50, v3
	s_cbranch_scc1 .LBB23_16
.LBB23_17:
	s_or_b32 exec_lo, exec_lo, s18
	s_cmpk_eq_i32 s4, 0x6f
	s_mov_b32 s4, -1
	s_waitcnt vmcnt(0) lgkmcnt(0)
	s_waitcnt_vscnt null, 0x0
	; wave barrier
	s_waitcnt lgkmcnt(0)
	buffer_gl0_inv
	s_cbranch_scc1 .LBB23_40
; %bb.18:
	s_cmp_gt_i32 s6, 19
	s_mov_b32 s4, s26
	s_cbranch_scc0 .LBB23_20
; %bb.19:
	s_mul_i32 s4, s15, 20
	s_mul_i32 s10, s26, 20
	s_sub_i32 s11, s4, 40
	s_add_i32 s13, s4, 0xffffffb0
	v_add_lshl_u32 v1, s11, v0, 2
	s_sub_i32 s11, s4, 60
	v_add_lshl_u32 v3, s13, v0, 2
	v_add_lshl_u32 v2, s11, v0, 2
	s_add_i32 s11, s11, s26
	s_add_i32 s13, s13, s26
	s_lshl_b32 s11, s11, 2
	s_mul_i32 s22, s26, 0x54
	v_mov_b32_e32 v19, s11
	s_lshl_b32 s11, s13, 2
	v_add_lshl_u32 v8, s10, v0, 2
	s_add_i32 s11, s11, -4
	s_delay_alu instid0(SALU_CYCLE_1)
	v_dual_mov_b32 v9, s22 :: v_dual_mov_b32 v20, s11
	s_add_i32 s19, s4, 0xffffff9c
	s_add_i32 s25, s4, 0xffffff88
	;; [unrolled: 1-line block ×5, first 2 shown]
	v_add_lshl_u32 v4, s19, v0, 2
	v_add_lshl_u32 v5, s25, v0, 2
	;; [unrolled: 1-line block ×4, first 2 shown]
	ds_load_b32 v14, v8 offset:1600
	ds_load_b32 v16, v1 offset:1600
	;; [unrolled: 1-line block ×8, first 2 shown]
	ds_load_b32 v15, v9
	s_add_i32 s11, s22, 0xffffff04
	s_delay_alu instid0(SALU_CYCLE_1)
	v_dual_mov_b32 v11, s10 :: v_dual_mov_b32 v26, s11
	s_add_i32 s13, s22, 0xffffff58
	ds_load_b32 v23, v19
	v_mov_b32_e32 v19, s13
	ds_load_2addr_b32 v[17:18], v11 offset1:1
	s_add_i32 s19, s19, s26
	s_add_i32 s25, s25, s26
	s_lshl_b32 s13, s19, 2
	s_add_i32 s27, s27, s26
	s_add_i32 s11, s13, -8
	s_add_i32 s29, s4, 0xffffff4c
	s_add_i32 s12, s4, 0xffffff38
	v_add_lshl_u32 v8, s29, v0, 2
	s_add_i32 s24, s4, 0xffffff24
	v_add_lshl_u32 v9, s12, v0, 2
	;; [unrolled: 2-line block ×3, first 2 shown]
	s_waitcnt lgkmcnt(2)
	v_mul_f32_e32 v15, v15, v14
	s_add_i32 s23, s4, 0xfffffefc
	v_add_lshl_u32 v11, s10, v0, 2
	s_add_i32 s21, s4, 0xfffffee8
	s_add_i32 s20, s4, 0xfffffed4
	;; [unrolled: 1-line block ×3, first 2 shown]
	v_add_lshl_u32 v12, s23, v0, 2
	s_waitcnt lgkmcnt(0)
	v_fma_f32 v25, -v15, v18, v16
	ds_load_2addr_b32 v[18:19], v19 offset1:1
	ds_load_2addr_b32 v[20:21], v20 offset1:1
	v_add_lshl_u32 v13, s21, v0, 2
	v_add_lshl_u32 v14, s20, v0, 2
	;; [unrolled: 1-line block ×3, first 2 shown]
	v_mul_f32_e32 v17, v17, v25
	v_fma_f32 v25, -v15, v23, v22
	s_add_i32 s28, s28, s26
	s_add_i32 s29, s29, s26
	;; [unrolled: 1-line block ×5, first 2 shown]
	s_lshl_b32 s24, s24, 2
	s_add_i32 s23, s23, s26
	s_add_i32 s21, s21, s26
	;; [unrolled: 1-line block ×3, first 2 shown]
	s_lshl_b32 s21, s21, 2
	s_lshl_b32 s20, s20, 2
	s_add_i32 s18, s18, s26
	s_waitcnt lgkmcnt(1)
	v_fma_f32 v19, -v17, v19, v25
	v_mov_b32_e32 v27, s13
	s_add_i32 s13, s22, 0xfffffeb0
	s_lshl_b32 s18, s18, 2
	s_delay_alu instid0(VALU_DEP_2)
	v_mul_f32_e32 v18, v18, v19
	ds_load_2addr_b32 v[22:23], v26 offset1:1
	ds_load_b32 v31, v27
	v_mov_b32_e32 v26, s11
	s_lshl_b32 s11, s25, 2
	s_lshl_b32 s25, s28, 2
	s_add_i32 s19, s11, -4
	s_add_i32 s11, s11, -12
	v_mov_b32_e32 v28, s19
	s_waitcnt lgkmcnt(2)
	v_fma_f32 v21, -v15, v21, v24
	v_mov_b32_e32 v32, s11
	s_lshl_b32 s11, s27, 2
	s_add_i32 s28, s25, -16
	s_add_i32 s19, s11, -4
	s_add_i32 s27, s22, 0xfffffe08
	v_mov_b32_e32 v34, s19
	v_fma_f32 v19, -v17, v20, v21
	s_add_i32 s19, s4, 0xfffffeac
	s_waitcnt lgkmcnt(1)
	s_delay_alu instid0(VALU_DEP_1)
	v_fma_f32 v19, -v18, v23, v19
	v_mov_b32_e32 v27, s13
	ds_load_2addr_b32 v[24:25], v26 offset1:1
	ds_load_2addr_b32 v[26:27], v27 offset1:1
	;; [unrolled: 1-line block ×3, first 2 shown]
	s_waitcnt lgkmcnt(3)
	v_fma_f32 v20, -v15, v31, v30
	s_add_i32 s13, s22, 0xfffffe5c
	ds_load_b32 v40, v8 offset:1600
	ds_load_b32 v42, v9 offset:1600
	;; [unrolled: 1-line block ×8, first 2 shown]
	ds_load_2addr_b32 v[30:31], v32 offset1:1
	s_waitcnt lgkmcnt(11)
	v_fma_f32 v23, -v17, v25, v20
	v_mul_f32_e32 v20, v22, v19
	v_add_lshl_u32 v19, s19, v0, 2
	s_add_i32 s19, s19, s26
	s_delay_alu instid0(VALU_DEP_3) | instskip(SKIP_2) | instid1(VALU_DEP_1)
	v_fma_f32 v22, -v18, v24, v23
	s_lshl_b32 s19, s19, 2
	s_waitcnt lgkmcnt(10)
	v_fma_f32 v22, -v20, v27, v22
	v_mov_b32_e32 v21, s13
	s_add_i32 s13, s11, -12
	s_sub_i32 s11, s11, 20
	s_delay_alu instid0(VALU_DEP_2)
	v_dual_mov_b32 v23, s13 :: v_dual_mul_f32 v22, v26, v22
	ds_load_2addr_b32 v[32:33], v21 offset1:1
	ds_load_2addr_b32 v[34:35], v34 offset1:1
	s_waitcnt lgkmcnt(11)
	v_fma_f32 v21, -v15, v29, v36
	s_add_i32 s13, s4, 0xfffffe98
	s_delay_alu instid0(VALU_DEP_1)
	v_fma_f32 v21, -v17, v28, v21
	v_mov_b32_e32 v28, s25
	ds_load_2addr_b32 v[24:25], v23 offset1:1
	v_mov_b32_e32 v23, s11
	s_add_i32 s11, s25, -8
	s_waitcnt lgkmcnt(3)
	v_fma_f32 v21, -v18, v31, v21
	s_sub_i32 s25, s25, 24
	ds_load_2addr_b32 v[26:27], v23 offset1:1
	v_fma_f32 v21, -v20, v30, v21
	s_waitcnt lgkmcnt(2)
	v_fma_f32 v23, -v15, v35, v37
	ds_load_b32 v35, v28
	v_mov_b32_e32 v28, s11
	v_fma_f32 v30, -v22, v33, v21
	s_add_i32 s11, s4, 0xfffffe84
	v_fma_f32 v31, -v17, v34, v23
	v_add_lshl_u32 v21, s13, v0, 2
	ds_load_2addr_b32 v[28:29], v28 offset1:1
	v_dual_mul_f32 v23, v32, v30 :: v_dual_mov_b32 v30, s28
	s_waitcnt lgkmcnt(3)
	v_fma_f32 v25, -v18, v25, v31
	v_mov_b32_e32 v32, s25
	s_lshl_b32 s25, s29, 2
	s_add_i32 s13, s13, s26
	s_delay_alu instid0(VALU_DEP_2)
	v_fma_f32 v24, -v20, v24, v25
	v_mov_b32_e32 v25, s27
	s_add_i32 s27, s25, -4
	ds_load_2addr_b32 v[30:31], v30 offset1:1
	ds_load_2addr_b32 v[32:33], v32 offset1:1
	s_lshl_b32 s13, s13, 2
	s_waitcnt lgkmcnt(4)
	v_fma_f32 v27, -v22, v27, v24
	s_waitcnt lgkmcnt(3)
	v_fma_f32 v34, -v15, v35, v38
	v_mov_b32_e32 v35, s27
	s_add_i32 s27, s25, -12
	ds_load_b32 v25, v25
	v_mov_b32_e32 v36, s27
	v_fma_f32 v37, -v23, v26, v27
	s_waitcnt lgkmcnt(3)
	v_fma_f32 v29, -v17, v29, v34
	ds_load_2addr_b32 v[34:35], v35 offset1:1
	s_lshl_b32 s27, s12, 2
	ds_load_2addr_b32 v[26:27], v36 offset1:1
	s_sub_i32 s12, s25, 20
	v_fma_f32 v28, -v18, v28, v29
	v_dual_mov_b32 v29, s27 :: v_dual_mov_b32 v36, s12
	s_add_i32 s12, s27, -8
	s_sub_i32 s25, s25, 28
	s_delay_alu instid0(SALU_CYCLE_1)
	v_dual_mov_b32 v38, s12 :: v_dual_mov_b32 v39, s25
	ds_load_b32 v44, v29
	s_waitcnt lgkmcnt(5)
	v_fma_f32 v31, -v20, v31, v28
	s_add_i32 s12, s27, -16
	s_add_i32 s25, s22, 0xfffffdb4
	v_add_lshl_u32 v24, s11, v0, 2
	s_waitcnt lgkmcnt(3)
	v_mul_f32_e32 v25, v25, v37
	ds_load_2addr_b32 v[28:29], v38 offset1:1
	ds_load_2addr_b32 v[36:37], v36 offset1:1
	;; [unrolled: 1-line block ×3, first 2 shown]
	v_mov_b32_e32 v41, s25
	v_fma_f32 v30, -v22, v30, v31
	s_waitcnt lgkmcnt(5)
	v_fma_f32 v35, -v15, v35, v40
	v_mov_b32_e32 v40, s12
	s_add_i32 s25, s22, 0xfffffd60
	ds_load_b32 v31, v41
	v_fma_f32 v30, -v23, v33, v30
	v_fma_f32 v46, -v17, v34, v35
	ds_load_2addr_b32 v[34:35], v40 offset1:1
	v_mov_b32_e32 v33, s25
	s_addk_i32 s22, 0xfd0c
	v_fma_f32 v30, -v25, v32, v30
	s_waitcnt lgkmcnt(6)
	v_fma_f32 v27, -v18, v27, v46
	s_waitcnt lgkmcnt(5)
	v_fma_f32 v42, -v15, v44, v42
	s_sub_i32 s12, s27, 24
	s_add_i32 s25, s24, -8
	ds_load_b32 v44, v33
	v_fma_f32 v27, -v20, v26, v27
	s_waitcnt lgkmcnt(5)
	v_fma_f32 v29, -v17, v29, v42
	s_add_i32 s11, s11, s26
	s_delay_alu instid0(SALU_CYCLE_1) | instskip(SKIP_4) | instid1(VALU_DEP_3)
	s_lshl_b32 s11, s11, 2
	s_waitcnt lgkmcnt(4)
	v_fma_f32 v27, -v22, v37, v27
	v_fma_f32 v28, -v18, v28, v29
	v_mov_b32_e32 v29, s24
	v_fma_f32 v32, -v23, v36, v27
	s_waitcnt lgkmcnt(2)
	v_mul_f32_e32 v27, v31, v30
	ds_load_b32 v37, v29
	s_waitcnt lgkmcnt(2)
	v_fma_f32 v28, -v20, v35, v28
	v_mov_b32_e32 v29, s25
	v_fma_f32 v39, -v25, v39, v32
	s_sub_i32 s25, s27, 32
	s_sub_i32 s27, s24, 24
	v_fma_f32 v42, -v22, v34, v28
	ds_load_2addr_b32 v[28:29], v29 offset1:1
	v_fma_f32 v39, -v27, v38, v39
	v_dual_mov_b32 v47, s12 :: v_dual_mov_b32 v30, s25
	s_add_i32 s25, s24, -16
	v_mov_b32_e32 v35, s27
	v_mov_b32_e32 v33, s25
	ds_load_2addr_b32 v[40:41], v47 offset1:1
	s_lshl_b32 s25, s10, 2
	ds_load_2addr_b32 v[31:32], v30 offset1:1
	ds_load_2addr_b32 v[33:34], v33 offset1:1
	;; [unrolled: 1-line block ×3, first 2 shown]
	s_add_i32 s10, s25, -4
	s_waitcnt lgkmcnt(5)
	v_fma_f32 v37, -v15, v37, v43
	v_mov_b32_e32 v43, s10
	s_add_i32 s12, s4, 0xfffffe70
	s_add_i32 s10, s25, -12
	v_add_lshl_u32 v26, s12, v0, 2
	ds_load_b32 v60, v19 offset:1600
	ds_load_b32 v61, v21 offset:1600
	;; [unrolled: 1-line block ×4, first 2 shown]
	s_waitcnt lgkmcnt(8)
	v_fma_f32 v29, -v17, v29, v37
	v_mov_b32_e32 v37, s10
	s_mul_i32 s10, s15, 0x54
	s_sub_i32 s24, s24, 32
	s_add_i32 s27, s10, 0xfffffc64
	v_fma_f32 v28, -v18, v28, v29
	ds_load_2addr_b32 v[37:38], v37 offset1:1
	s_waitcnt lgkmcnt(8)
	v_fma_f32 v46, -v23, v41, v42
	ds_load_2addr_b32 v[41:42], v43 offset1:1
	v_mov_b32_e32 v29, s24
	s_waitcnt lgkmcnt(7)
	v_fma_f32 v34, -v20, v34, v28
	v_mov_b32_e32 v43, s27
	v_fma_f32 v40, -v25, v40, v46
	v_mul_f32_e32 v28, v44, v39
	s_sub_i32 s24, s25, 28
	s_add_i32 s12, s12, s26
	s_sub_i32 s4, s4, 20
	v_fma_f32 v32, -v27, v32, v40
	ds_load_2addr_b32 v[39:40], v29 offset1:1
	ds_load_2addr_b32 v[43:44], v43 offset1:1
	v_fma_f32 v29, -v22, v33, v34
	v_mov_b32_e32 v34, s22
	s_sub_i32 s22, s25, 20
	s_lshl_b32 s12, s12, 2
	s_waitcnt lgkmcnt(8)
	v_fma_f32 v29, -v23, v36, v29
	s_waitcnt lgkmcnt(2)
	v_fma_f32 v33, -v15, v42, v45
	v_fma_f32 v42, -v28, v31, v32
	v_mov_b32_e32 v32, s22
	s_lshl_b32 s22, s23, 2
	v_fma_f32 v29, -v25, v35, v29
	v_fma_f32 v31, -v17, v41, v33
	v_mov_b32_e32 v35, s22
	s_add_i32 s23, s22, -8
	s_delay_alu instid0(SALU_CYCLE_1) | instskip(NEXT) | instid1(VALU_DEP_3)
	v_mov_b32_e32 v36, s23
	v_fma_f32 v33, -v18, v38, v31
	ds_load_2addr_b32 v[31:32], v32 offset1:1
	ds_load_b32 v50, v35
	ds_load_b32 v51, v34
	v_mov_b32_e32 v35, s24
	s_waitcnt lgkmcnt(4)
	v_fma_f32 v52, -v27, v40, v29
	v_fma_f32 v29, -v20, v37, v33
	ds_load_2addr_b32 v[33:34], v36 offset1:1
	s_sub_i32 s23, s25, 36
	s_add_i32 s24, s10, 0xfffffc10
	ds_load_2addr_b32 v[35:36], v35 offset1:1
	v_mov_b32_e32 v37, s23
	s_add_i32 s23, s22, -16
	v_mov_b32_e32 v40, s24
	s_sub_i32 s24, s22, 24
	v_mov_b32_e32 v45, s23
	v_mov_b32_e32 v47, s24
	ds_load_2addr_b32 v[37:38], v37 offset1:1
	ds_load_2addr_b32 v[40:41], v40 offset1:1
	ds_load_2addr_b32 v[45:46], v45 offset1:1
	ds_load_2addr_b32 v[47:48], v47 offset1:1
	s_add_i32 s23, s21, -4
	s_waitcnt lgkmcnt(8)
	v_fma_f32 v32, -v22, v32, v29
	s_waitcnt lgkmcnt(7)
	v_fma_f32 v49, -v15, v50, v49
	s_sub_i32 s24, s22, 32
	s_sub_i32 s22, s22, 40
	s_waitcnt lgkmcnt(6)
	v_mul_f32_e32 v29, v51, v42
	v_fma_f32 v31, -v23, v31, v32
	s_waitcnt lgkmcnt(5)
	v_fma_f32 v32, -v17, v34, v49
	v_mov_b32_e32 v34, s23
	v_fma_f32 v39, -v28, v39, v52
	v_mov_b32_e32 v42, s24
	s_waitcnt lgkmcnt(4)
	v_fma_f32 v31, -v25, v36, v31
	v_fma_f32 v36, -v18, v33, v32
	s_add_i32 s23, s10, 0xfffffbbc
	ds_load_2addr_b32 v[32:33], v34 offset1:1
	v_mov_b32_e32 v49, s22
	v_fma_f32 v31, -v27, v35, v31
	v_mov_b32_e32 v51, s23
	s_waitcnt lgkmcnt(2)
	v_fma_f32 v36, -v20, v46, v36
	s_add_i32 s22, s21, -12
	ds_load_2addr_b32 v[34:35], v42 offset1:1
	ds_load_2addr_b32 v[49:50], v49 offset1:1
	;; [unrolled: 1-line block ×3, first 2 shown]
	v_fma_f32 v39, -v29, v44, v39
	v_fma_f32 v42, -v28, v38, v31
	v_mov_b32_e32 v38, s22
	v_fma_f32 v36, -v22, v45, v36
	s_sub_i32 s22, s21, 20
	v_mul_f32_e32 v31, v43, v39
	v_mov_b32_e32 v43, s22
	ds_load_2addr_b32 v[38:39], v38 offset1:1
	s_waitcnt lgkmcnt(5)
	v_fma_f32 v36, -v23, v48, v36
	v_fma_f32 v46, -v29, v37, v42
	s_sub_i32 s22, s21, 28
	s_sub_i32 s23, s21, 36
	v_mov_b32_e32 v44, s22
	v_fma_f32 v42, -v25, v47, v36
	ds_load_2addr_b32 v[36:37], v43 offset1:1
	v_mov_b32_e32 v43, s20
	s_waitcnt lgkmcnt(5)
	v_fma_f32 v33, -v15, v33, v53
	s_add_i32 s22, s20, -8
	s_delay_alu instid0(SALU_CYCLE_1)
	v_dual_mov_b32 v45, s23 :: v_dual_mov_b32 v48, s22
	ds_load_b32 v47, v43
	v_fma_f32 v53, -v17, v32, v33
	s_waitcnt lgkmcnt(5)
	v_fma_f32 v35, -v27, v35, v42
	ds_load_2addr_b32 v[32:33], v44 offset1:1
	ds_load_2addr_b32 v[42:43], v45 offset1:1
	;; [unrolled: 1-line block ×3, first 2 shown]
	v_fma_f32 v41, -v31, v41, v46
	s_sub_i32 s21, s21, 44
	s_add_i32 s22, s10, 0xfffffb68
	s_waitcnt lgkmcnt(5)
	v_fma_f32 v39, -v18, v39, v53
	v_mov_b32_e32 v48, s21
	s_add_i32 s21, s20, -16
	v_mul_f32_e32 v63, v40, v41
	v_mov_b32_e32 v41, s21
	v_fma_f32 v46, -v20, v38, v39
	v_mov_b32_e32 v53, s22
	s_add_i32 s21, s18, -4
	v_fma_f32 v55, -v28, v34, v35
	ds_load_2addr_b32 v[34:35], v48 offset1:1
	ds_load_2addr_b32 v[38:39], v53 offset1:1
	s_waitcnt lgkmcnt(6)
	v_fma_f32 v37, -v22, v37, v46
	s_sub_i32 s22, s20, 24
	s_waitcnt lgkmcnt(5)
	v_fma_f32 v40, -v15, v47, v54
	v_fma_f32 v48, -v29, v50, v55
	;; [unrolled: 1-line block ×3, first 2 shown]
	ds_load_2addr_b32 v[36:37], v41 offset1:1
	s_waitcnt lgkmcnt(3)
	v_fma_f32 v40, -v17, v45, v40
	v_mov_b32_e32 v41, s21
	v_mov_b32_e32 v45, s22
	s_sub_i32 s21, s20, 32
	s_add_i32 s22, s18, -12
	v_fma_f32 v55, -v18, v44, v40
	ds_load_2addr_b32 v[40:41], v41 offset1:1
	ds_load_2addr_b32 v[44:45], v45 offset1:1
	v_fma_f32 v50, -v31, v49, v48
	v_fma_f32 v33, -v25, v33, v46
	v_mov_b32_e32 v48, s21
	s_sub_i32 s21, s20, 40
	s_delay_alu instid0(SALU_CYCLE_1)
	v_dual_mov_b32 v46, s22 :: v_dual_mov_b32 v53, s21
	ds_load_2addr_b32 v[46:47], v46 offset1:1
	ds_load_2addr_b32 v[48:49], v48 offset1:1
	;; [unrolled: 1-line block ×3, first 2 shown]
	v_fma_f32 v32, -v27, v32, v33
	s_sub_i32 s20, s20, 48
	s_waitcnt lgkmcnt(5)
	v_fma_f32 v37, -v20, v37, v55
	v_mov_b32_e32 v56, s20
	s_sub_i32 s20, s18, 20
	s_add_i32 s21, s10, 0xfffffb14
	v_fma_f32 v50, -v63, v52, v50
	v_fma_f32 v33, -v22, v36, v37
	s_waitcnt lgkmcnt(4)
	v_fma_f32 v36, -v15, v41, v59
	v_fma_f32 v52, -v28, v43, v32
	v_dual_mov_b32 v32, s20 :: v_dual_mov_b32 v57, s21
	ds_load_2addr_b32 v[55:56], v56 offset1:1
	ds_load_2addr_b32 v[57:58], v57 offset1:1
	s_waitcnt lgkmcnt(5)
	v_fma_f32 v43, -v23, v45, v33
	v_fma_f32 v36, -v17, v40, v36
	ds_load_2addr_b32 v[32:33], v32 offset1:1
	v_mov_b32_e32 v37, s19
	s_sub_i32 s20, s18, 28
	v_fma_f32 v64, -v25, v44, v43
	v_mov_b32_e32 v40, s20
	s_add_i32 s20, s19, -8
	s_waitcnt lgkmcnt(5)
	v_fma_f32 v36, -v18, v47, v36
	ds_load_b32 v47, v37
	v_mov_b32_e32 v41, s20
	s_sub_i32 s21, s18, 44
	s_waitcnt lgkmcnt(5)
	v_fma_f32 v49, -v27, v49, v64
	v_fma_f32 v59, -v20, v46, v36
	ds_load_2addr_b32 v[36:37], v40 offset1:1
	ds_load_2addr_b32 v[40:41], v41 offset1:1
	v_mov_b32_e32 v46, s21
	v_fma_f32 v42, -v29, v42, v52
	s_sub_i32 s20, s18, 36
	s_sub_i32 s21, s19, 40
	v_mov_b32_e32 v45, s20
	s_add_i32 s20, s19, -16
	v_fma_f32 v42, -v31, v35, v42
	v_fma_f32 v35, -v28, v48, v49
	v_mov_b32_e32 v48, s21
	s_sub_i32 s21, s12, 44
	v_mov_b32_e32 v65, s20
	ds_load_2addr_b32 v[43:44], v45 offset1:1
	ds_load_2addr_b32 v[45:46], v46 offset1:1
	s_waitcnt lgkmcnt(5)
	v_fma_f32 v33, -v22, v33, v59
	v_mul_f32_e32 v66, v51, v50
	s_sub_i32 s20, s19, 24
	ds_load_2addr_b32 v[50:51], v65 offset1:1
	v_fma_f32 v52, -v29, v54, v35
	v_fma_f32 v32, -v23, v32, v33
	s_waitcnt lgkmcnt(5)
	v_fma_f32 v33, -v15, v47, v60
	v_mov_b32_e32 v47, s20
	s_sub_i32 s20, s19, 32
	s_sub_i32 s18, s18, 52
	s_waitcnt lgkmcnt(4)
	v_fma_f32 v37, -v25, v37, v32
	s_waitcnt lgkmcnt(3)
	v_fma_f32 v41, -v17, v41, v33
	ds_load_2addr_b32 v[32:33], v47 offset1:1
	v_mov_b32_e32 v47, s20
	v_fma_f32 v34, -v63, v34, v42
	v_fma_f32 v37, -v27, v36, v37
	;; [unrolled: 1-line block ×3, first 2 shown]
	ds_load_2addr_b32 v[35:36], v47 offset1:1
	ds_load_2addr_b32 v[40:41], v48 offset1:1
	v_mov_b32_e32 v42, s18
	s_add_i32 s18, s13, -4
	v_fma_f32 v34, -v66, v39, v34
	s_waitcnt lgkmcnt(5)
	v_fma_f32 v37, -v28, v44, v37
	s_waitcnt lgkmcnt(3)
	v_fma_f32 v47, -v20, v51, v49
	v_fma_f32 v49, -v31, v53, v52
	s_add_i32 s20, s13, -12
	v_mul_f32_e32 v64, v38, v34
	v_fma_f32 v37, -v29, v43, v37
	v_fma_f32 v50, -v22, v50, v47
	ds_load_2addr_b32 v[47:48], v42 offset1:1
	v_mov_b32_e32 v42, s18
	s_add_i32 s18, s10, 0xfffffac0
	v_fma_f32 v37, -v31, v46, v37
	s_waitcnt lgkmcnt(3)
	v_fma_f32 v33, -v23, v33, v50
	v_mov_b32_e32 v34, s18
	s_sub_i32 s18, s19, 48
	s_sub_i32 s19, s19, 56
	v_fma_f32 v37, -v63, v45, v37
	v_fma_f32 v39, -v25, v32, v33
	ds_load_2addr_b32 v[32:33], v42 offset1:1
	s_waitcnt lgkmcnt(3)
	v_fma_f32 v36, -v27, v36, v39
	s_delay_alu instid0(VALU_DEP_1)
	v_fma_f32 v36, -v28, v35, v36
	ds_load_2addr_b32 v[34:35], v34 offset1:1
	s_waitcnt lgkmcnt(2)
	v_fma_f32 v52, -v66, v48, v37
	v_dual_mov_b32 v37, s20 :: v_dual_mov_b32 v42, s11
	v_fma_f32 v36, -v29, v41, v36
	v_mov_b32_e32 v41, s19
	s_sub_i32 s19, s13, 20
	s_sub_i32 s20, s13, 36
	s_delay_alu instid0(VALU_DEP_2) | instskip(SKIP_4) | instid1(VALU_DEP_2)
	v_fma_f32 v53, -v31, v40, v36
	s_waitcnt lgkmcnt(1)
	v_fma_f32 v33, -v15, v33, v61
	v_mov_b32_e32 v44, s20
	s_sub_i32 s20, s12, 36
	v_fma_f32 v48, -v17, v32, v33
	v_mov_b32_e32 v32, s19
	v_fma_f32 v43, -v63, v56, v49
	s_sub_i32 s19, s13, 28
	s_delay_alu instid0(VALU_DEP_1) | instskip(SKIP_2) | instid1(SALU_CYCLE_1)
	v_fma_f32 v38, -v66, v55, v43
	v_mov_b32_e32 v43, s19
	s_add_i32 s19, s11, -8
	v_mov_b32_e32 v49, s19
	s_delay_alu instid0(VALU_DEP_3)
	v_fma_f32 v46, -v64, v58, v38
	v_mov_b32_e32 v38, s18
	ds_load_2addr_b32 v[36:37], v37 offset1:1
	ds_load_2addr_b32 v[38:39], v38 offset1:1
	;; [unrolled: 1-line block ×4, first 2 shown]
	ds_load_b32 v54, v42
	s_add_i32 s18, s10, 0xfffffa6c
	ds_load_2addr_b32 v[42:43], v43 offset1:1
	ds_load_2addr_b32 v[44:45], v44 offset1:1
	v_mov_b32_e32 v50, s18
	s_add_i32 s18, s11, -16
	s_sub_i32 s19, s11, 24
	v_mul_f32_e32 v65, v57, v46
	v_fma_f32 v46, -v64, v47, v52
	v_mov_b32_e32 v47, s19
	s_add_i32 s19, s12, -4
	s_waitcnt lgkmcnt(7)
	s_delay_alu instid0(VALU_DEP_2)
	v_fma_f32 v46, -v65, v35, v46
	s_waitcnt lgkmcnt(6)
	v_fma_f32 v37, -v18, v37, v48
	ds_load_2addr_b32 v[48:49], v49 offset1:1
	ds_load_2addr_b32 v[50:51], v50 offset1:1
	s_waitcnt lgkmcnt(7)
	v_fma_f32 v39, -v63, v39, v53
	v_fma_f32 v36, -v20, v36, v37
	v_mov_b32_e32 v37, s18
	s_delay_alu instid0(VALU_DEP_3)
	v_fma_f32 v39, -v66, v38, v39
	s_sub_i32 s18, s11, 64
	s_waitcnt lgkmcnt(5)
	v_fma_f32 v33, -v22, v33, v36
	ds_load_2addr_b32 v[35:36], v37 offset1:1
	ds_load_2addr_b32 v[37:38], v47 offset1:1
	s_waitcnt lgkmcnt(6)
	v_fma_f32 v47, -v15, v54, v62
	v_mul_f32_e32 v62, v34, v46
	v_mov_b32_e32 v34, s18
	v_fma_f32 v32, -v23, v32, v33
	s_add_i32 s18, s10, 0xfffff9c4
	v_fma_f32 v67, -v64, v41, v39
	v_mov_b32_e32 v39, s18
	v_mov_b32_e32 v41, s19
	s_waitcnt lgkmcnt(3)
	v_fma_f32 v33, -v17, v49, v47
	v_fma_f32 v43, -v25, v43, v32
	s_sub_i32 s19, s12, 20
	s_sub_i32 s18, s13, 44
	v_mov_b32_e32 v54, s21
	v_fma_f32 v52, -v18, v48, v33
	ds_load_2addr_b32 v[32:33], v34 offset1:1
	ds_load_2addr_b32 v[46:47], v39 offset1:1
	;; [unrolled: 1-line block ×3, first 2 shown]
	v_mov_b32_e32 v39, s18
	s_add_i32 s18, s12, -12
	s_waitcnt lgkmcnt(4)
	v_fma_f32 v34, -v20, v36, v52
	v_fma_f32 v36, -v27, v42, v43
	v_mov_b32_e32 v42, s18
	s_sub_i32 s18, s13, 52
	s_sub_i32 s13, s13, 60
	v_fma_f32 v41, -v22, v35, v34
	v_fma_f32 v43, -v28, v45, v36
	ds_load_2addr_b32 v[34:35], v39 offset1:1
	v_mov_b32_e32 v45, s18
	s_add_i32 s18, s10, 0xfffffa18
	s_waitcnt lgkmcnt(4)
	v_fma_f32 v36, -v23, v38, v41
	v_fma_f32 v43, -v29, v44, v43
	s_addk_i32 s10, 0xf970
	s_delay_alu instid0(VALU_DEP_2)
	v_fma_f32 v68, -v25, v37, v36
	v_mov_b32_e32 v36, s19
	s_sub_i32 s19, s11, 32
	s_waitcnt lgkmcnt(1)
	v_fma_f32 v30, -v15, v49, v30
	v_mov_b32_e32 v41, s19
	s_sub_i32 s19, s11, 40
	s_delay_alu instid0(SALU_CYCLE_1) | instskip(NEXT) | instid1(VALU_DEP_3)
	v_mov_b32_e32 v49, s19
	v_fma_f32 v30, -v17, v48, v30
	s_sub_i32 s19, s12, 28
	s_delay_alu instid0(SALU_CYCLE_1)
	v_mov_b32_e32 v52, s19
	ds_load_2addr_b32 v[48:49], v49 offset1:1
	ds_load_2addr_b32 v[36:37], v36 offset1:1
	;; [unrolled: 1-line block ×5, first 2 shown]
	s_sub_i32 s19, s11, 48
	s_sub_i32 s11, s11, 56
	v_mov_b32_e32 v56, s19
	v_mov_b32_e32 v58, s11
	s_sub_i32 s11, s12, 52
	s_waitcnt lgkmcnt(5)
	v_fma_f32 v35, -v31, v35, v43
	s_waitcnt lgkmcnt(2)
	v_fma_f32 v30, -v18, v39, v30
	v_mov_b32_e32 v39, s20
	s_delay_alu instid0(VALU_DEP_2)
	v_fma_f32 v30, -v20, v38, v30
	ds_load_2addr_b32 v[38:39], v39 offset1:1
	ds_load_2addr_b32 v[54:55], v54 offset1:1
	;; [unrolled: 1-line block ×5, first 2 shown]
	v_fma_f32 v45, -v63, v34, v35
	v_fma_f32 v30, -v22, v37, v30
	s_waitcnt lgkmcnt(6)
	v_fma_f32 v37, -v27, v42, v68
	v_mov_b32_e32 v42, s18
	s_delay_alu instid0(VALU_DEP_3) | instskip(NEXT) | instid1(VALU_DEP_3)
	v_fma_f32 v30, -v23, v36, v30
	v_fma_f32 v44, -v28, v41, v37
	v_mov_b32_e32 v36, s13
	ds_load_2addr_b32 v[36:37], v36 offset1:1
	ds_load_2addr_b32 v[41:42], v42 offset1:1
	s_waitcnt lgkmcnt(7)
	v_fma_f32 v30, -v25, v53, v30
	v_fma_f32 v43, -v29, v49, v44
	v_mov_b32_e32 v44, s11
	s_sub_i32 s11, s12, 60
	s_delay_alu instid0(VALU_DEP_3) | instskip(NEXT) | instid1(VALU_DEP_3)
	v_fma_f32 v30, -v27, v52, v30
	v_fma_f32 v43, -v31, v48, v43
	ds_load_2addr_b32 v[34:35], v44 offset1:1
	v_mov_b32_e32 v48, s10
	v_fma_f32 v40, -v65, v40, v67
	s_waitcnt lgkmcnt(7)
	v_fma_f32 v30, -v28, v39, v30
	s_waitcnt lgkmcnt(3)
	v_fma_f32 v39, -v66, v61, v45
	v_fma_f32 v43, -v63, v57, v43
	;; [unrolled: 1-line block ×4, first 2 shown]
	v_mov_b32_e32 v38, s11
	v_fma_f32 v44, -v64, v60, v39
	s_add_i32 s11, s12, 0xffffffbc
	v_fma_f32 v43, -v66, v56, v43
	v_fma_f32 v30, -v31, v55, v30
	ds_load_2addr_b32 v[38:39], v38 offset1:1
	v_mov_b32_e32 v45, s11
	s_waitcnt lgkmcnt(3)
	v_fma_f32 v37, -v65, v37, v44
	v_fma_f32 v51, -v64, v59, v43
	;; [unrolled: 1-line block ×3, first 2 shown]
	ds_load_2addr_b32 v[43:44], v45 offset1:1
	ds_load_2addr_b32 v[48:49], v48 offset1:1
	v_fma_f32 v36, -v62, v36, v37
	v_fma_f32 v37, -v65, v58, v51
	s_waitcnt lgkmcnt(3)
	v_fma_f32 v30, -v66, v35, v30
	v_mul_f32_e32 v35, v50, v40
	s_delay_alu instid0(VALU_DEP_3) | instskip(NEXT) | instid1(VALU_DEP_3)
	v_fma_f32 v33, -v62, v33, v37
	v_fma_f32 v30, -v64, v34, v30
	s_delay_alu instid0(VALU_DEP_3) | instskip(NEXT) | instid1(VALU_DEP_3)
	v_fma_f32 v34, -v35, v42, v36
	v_fma_f32 v32, -v35, v32, v33
	v_add_lshl_u32 v33, s4, v0, 2
	s_waitcnt lgkmcnt(2)
	v_fma_f32 v30, -v65, v39, v30
	v_mul_f32_e32 v34, v41, v34
	s_sub_i32 s4, s15, 21
	ds_store_b32 v33, v15 offset:1600
	v_fma_f32 v30, -v62, v38, v30
	v_fma_f32 v32, -v34, v47, v32
	ds_store_b32 v1, v17 offset:1600
	ds_store_b32 v2, v18 offset:1600
	;; [unrolled: 1-line block ×10, first 2 shown]
	s_waitcnt lgkmcnt(12)
	v_fma_f32 v30, -v35, v44, v30
	v_mul_f32_e32 v15, v46, v32
	ds_store_b32 v11, v63 offset:1600
	ds_store_b32 v12, v66 offset:1600
	;; [unrolled: 1-line block ×8, first 2 shown]
	v_fma_f32 v30, -v34, v43, v30
	s_waitcnt lgkmcnt(19)
	s_delay_alu instid0(VALU_DEP_1) | instskip(NEXT) | instid1(VALU_DEP_1)
	v_fma_f32 v1, -v15, v49, v30
	v_mul_f32_e32 v1, v48, v1
	ds_store_b32 v26, v1 offset:1600
.LBB23_20:
	s_cmp_gt_i32 s4, -1
	s_cbranch_scc0 .LBB23_39
; %bb.21:
	s_cmp_lt_u32 s4, 15
	s_cbranch_scc1 .LBB23_26
; %bb.22:
	s_mul_i32 s10, s4, 20
	s_delay_alu instid0(SALU_CYCLE_1)
	s_sub_i32 s11, s10, 40
	s_sub_i32 s12, s10, 60
	;; [unrolled: 1-line block ×3, first 2 shown]
	v_add_lshl_u32 v1, s11, v0, 2
	s_add_i32 s11, s10, 0xffffffb0
	v_add_lshl_u32 v8, s10, v0, 2
	v_add_lshl_u32 v2, s12, v0, 2
	s_add_i32 s12, s10, 0xffffff9c
	v_add_lshl_u32 v9, s24, v0, 2
	;; [unrolled: 3-line block ×3, first 2 shown]
	s_add_i32 s12, s10, 0xffffff74
	v_add_lshl_u32 v5, s11, v0, 2
	s_add_i32 s11, s10, 0xffffff60
	v_add_lshl_u32 v6, s12, v0, 2
	s_add_i32 s12, s10, 0xffffff4c
	ds_load_b32 v12, v8 offset:1600
	ds_load_b32 v13, v9 offset:1600
	ds_load_b32 v23, v1 offset:1600
	ds_load_b32 v14, v2 offset:1600
	ds_load_b32 v16, v3 offset:1600
	ds_load_b32 v15, v4 offset:1600
	ds_load_b32 v19, v5 offset:1600
	ds_load_b32 v22, v6 offset:1600
	v_add_lshl_u32 v6, s11, v0, 2
	s_add_i32 s11, s10, 0xffffff38
	v_add_lshl_u32 v7, s12, v0, 2
	s_add_i32 s25, s10, 0xffffff24
	;; [unrolled: 2-line block ×4, first 2 shown]
	s_add_i32 s11, s10, 0xfffffee8
	s_addk_i32 s10, 0xfed4
	v_add_lshl_u32 v2, s22, v0, 2
	v_add_lshl_u32 v3, s13, v0, 2
	;; [unrolled: 1-line block ×4, first 2 shown]
	ds_load_b32 v21, v6 offset:1600
	ds_load_b32 v20, v7 offset:1600
	;; [unrolled: 1-line block ×8, first 2 shown]
	s_cmp_le_i32 s26, s4
	s_cbranch_scc1 .LBB23_25
; %bb.23:
	v_lshlrev_b32_e32 v24, 2, v0
	s_mul_i32 s19, s15, 0x50
	s_mul_i32 s12, s4, 0x50
	s_lshl_b32 s18, s15, 2
	s_delay_alu instid0(SALU_CYCLE_1)
	s_add_i32 s12, s12, s18
	v_add3_u32 v24, s19, v24, 0x5f0
	s_addk_i32 s12, 0xfb4c
	s_mov_b32 s18, s26
.LBB23_24:                              ; =>This Inner Loop Header: Depth=1
	v_add_nc_u32_e64 v25, 0x400, s12
	v_add_nc_u32_e64 v27, 0x200, s12
	v_mov_b32_e32 v39, s12
	ds_load_b32 v41, v24
	v_add_nc_u32_e32 v24, 0xffffffb0, v24
	ds_load_2addr_b32 v[25:26], v25 offset0:24 offset1:44
	ds_load_2addr_b32 v[27:28], v27 offset0:112 offset1:132
	;; [unrolled: 1-line block ×7, first 2 shown]
	ds_load_2addr_b32 v[39:40], v39 offset1:20
	s_add_i32 s18, s18, -1
	s_add_i32 s12, s12, -4
	s_cmp_gt_i32 s18, s4
	s_waitcnt lgkmcnt(7)
	v_fma_f32 v12, -v41, v26, v12
	v_fma_f32 v13, -v41, v25, v13
	s_waitcnt lgkmcnt(6)
	v_fma_f32 v23, -v41, v28, v23
	v_fma_f32 v14, -v41, v27, v14
	;; [unrolled: 3-line block ×8, first 2 shown]
	s_cbranch_scc1 .LBB23_24
.LBB23_25:
	s_sub_i32 s18, s24, 20
	s_sub_i32 s19, s24, 40
	s_add_i32 s23, s18, s4
	s_mul_i32 s12, s4, 0x54
	s_add_i32 s27, s19, s4
	s_lshl_b32 s23, s23, 2
	v_dual_mov_b32 v24, s12 :: v_dual_add_nc_u32 v9, 0x640, v9
	v_mov_b32_e32 v26, s23
	s_add_i32 s23, s12, 0xffffff58
	s_lshl_b32 s27, s27, 2
	v_mov_b32_e32 v27, s23
	s_add_i32 s21, s12, 0xffffffac
	s_add_i32 s23, s27, -4
	v_dual_mov_b32 v25, s21 :: v_dual_add_nc_u32 v8, 0x640, v8
	ds_load_b32 v30, v24
	ds_load_b32 v32, v26
	s_add_i32 s27, s12, 0xffffff04
	s_delay_alu instid0(SALU_CYCLE_1)
	v_dual_mov_b32 v28, s23 :: v_dual_mov_b32 v31, s27
	s_sub_i32 s20, s24, 60
	s_add_i32 s21, s24, 0xffffffb0
	s_add_i32 s23, s20, s4
	ds_load_2addr_b32 v[28:29], v28 offset1:1
	ds_load_2addr_b32 v[24:25], v25 offset1:1
	;; [unrolled: 1-line block ×3, first 2 shown]
	s_add_i32 s28, s21, s4
	s_lshl_b32 s23, s23, 2
	s_lshl_b32 s27, s28, 2
	s_add_i32 s31, s12, 0xfffffdb4
	s_add_i32 s28, s27, -4
	s_add_i32 s25, s25, s4
	v_mov_b32_e32 v33, s28
	s_lshl_b32 s25, s25, 2
	s_add_i32 s22, s22, s4
	s_waitcnt lgkmcnt(4)
	v_mul_f32_e32 v12, v30, v12
	v_mov_b32_e32 v30, s23
	s_add_i32 s23, s23, -8
	ds_load_b32 v36, v30
	ds_load_2addr_b32 v[30:31], v31 offset1:1
	s_lshl_b32 s22, s22, 2
	s_add_i32 s13, s13, s4
	s_waitcnt lgkmcnt(3)
	v_fma_f32 v13, -v12, v25, v13
	v_mov_b32_e32 v25, s23
	v_fma_f32 v34, -v12, v32, v23
	ds_load_2addr_b32 v[32:33], v33 offset1:1
	s_add_i32 s23, s12, 0xfffffeb0
	v_mul_f32_e32 v13, v24, v13
	ds_load_2addr_b32 v[23:24], v25 offset1:1
	v_fma_f32 v29, -v12, v29, v14
	s_lshl_b32 s13, s13, 2
	s_add_i32 s11, s11, s4
	s_waitcnt lgkmcnt(4)
	v_fma_f32 v25, -v13, v27, v34
	v_mov_b32_e32 v27, s23
	s_add_i32 s23, s27, -12
	s_lshl_b32 s11, s11, 2
	s_delay_alu instid0(VALU_DEP_2)
	v_dual_mov_b32 v37, s23 :: v_dual_mul_f32 v14, v26, v25
	ds_load_2addr_b32 v[34:35], v27 offset1:1
	s_waitcnt lgkmcnt(4)
	v_fma_f32 v16, -v12, v36, v16
	s_add_i32 s23, s12, 0xfffffe5c
	ds_load_2addr_b32 v[25:26], v37 offset1:1
	v_fma_f32 v27, -v13, v28, v29
	v_mov_b32_e32 v28, s23
	s_add_i32 s23, s24, 0xffffff9c
	s_add_i32 s10, s10, s4
	;; [unrolled: 1-line block ×3, first 2 shown]
	s_waitcnt lgkmcnt(4)
	v_fma_f32 v29, -v14, v31, v27
	s_waitcnt lgkmcnt(2)
	v_fma_f32 v16, -v13, v24, v16
	v_fma_f32 v24, -v12, v33, v15
	s_lshl_b32 s28, s27, 2
	ds_load_2addr_b32 v[27:28], v28 offset1:1
	s_add_i32 s27, s28, -4
	v_fma_f32 v16, -v14, v23, v16
	v_fma_f32 v23, -v13, v32, v24
	v_dual_mov_b32 v24, s27 :: v_dual_mul_f32 v15, v30, v29
	s_add_i32 s27, s24, 0xffffff88
	s_add_i32 s29, s28, -12
	s_add_i32 s30, s27, s4
	s_sub_i32 s28, s28, 20
	s_waitcnt lgkmcnt(1)
	v_fma_f32 v26, -v14, v26, v23
	ds_load_2addr_b32 v[23:24], v24 offset1:1
	v_mov_b32_e32 v31, s28
	s_lshl_b32 s10, s10, 2
	v_fma_f32 v29, -v15, v25, v26
	v_mov_b32_e32 v25, s29
	s_lshl_b32 s29, s30, 2
	s_delay_alu instid0(SALU_CYCLE_1)
	v_mov_b32_e32 v30, s29
	v_fma_f32 v16, -v15, v35, v16
	s_add_i32 s28, s29, -8
	s_add_i32 s30, s29, -16
	s_sub_i32 s29, s29, 24
	ds_load_b32 v33, v30
	v_mov_b32_e32 v30, s28
	v_mul_f32_e32 v16, v34, v16
	ds_load_2addr_b32 v[25:26], v25 offset1:1
	s_add_i32 s28, s24, 0xffffff74
	s_waitcnt lgkmcnt(3)
	v_fma_f32 v32, -v16, v28, v29
	s_waitcnt lgkmcnt(2)
	v_fma_f32 v24, -v12, v24, v19
	ds_load_2addr_b32 v[28:29], v31 offset1:1
	ds_load_2addr_b32 v[30:31], v30 offset1:1
	v_mul_f32_e32 v19, v27, v32
	v_fma_f32 v23, -v13, v23, v24
	v_mov_b32_e32 v24, s30
	s_add_i32 s30, s28, s4
	v_mov_b32_e32 v27, s29
	s_lshl_b32 s30, s30, 2
	s_delay_alu instid0(SALU_CYCLE_1)
	s_add_i32 s29, s30, -4
	s_waitcnt lgkmcnt(3)
	v_fma_f32 v22, -v12, v33, v22
	v_mov_b32_e32 v34, s29
	s_add_i32 s29, s12, 0xfffffe08
	s_waitcnt lgkmcnt(2)
	v_fma_f32 v32, -v14, v26, v23
	ds_load_2addr_b32 v[23:24], v24 offset1:1
	ds_load_2addr_b32 v[26:27], v27 offset1:1
	v_fma_f32 v25, -v15, v25, v32
	ds_load_2addr_b32 v[32:33], v34 offset1:1
	v_mov_b32_e32 v34, s29
	s_add_i32 s29, s30, -12
	s_waitcnt lgkmcnt(3)
	v_fma_f32 v22, -v13, v31, v22
	v_fma_f32 v25, -v16, v29, v25
	v_mov_b32_e32 v29, s29
	ds_load_b32 v31, v34
	s_sub_i32 s29, s30, 20
	v_fma_f32 v22, -v14, v30, v22
	v_mov_b32_e32 v34, s29
	ds_load_2addr_b32 v[29:30], v29 offset1:1
	s_sub_i32 s30, s30, 28
	s_add_i32 s29, s24, 0xffffff60
	v_mov_b32_e32 v36, s30
	s_add_i32 s30, s29, s4
	s_waitcnt lgkmcnt(4)
	v_fma_f32 v24, -v15, v24, v22
	s_lshl_b32 s30, s30, 2
	v_fma_f32 v25, -v19, v28, v25
	s_add_i32 s33, s30, -8
	s_addk_i32 s24, 0xff4c
	v_mov_b32_e32 v39, s33
	s_waitcnt lgkmcnt(2)
	v_fma_f32 v21, -v12, v33, v21
	v_mov_b32_e32 v33, s31
	s_add_i32 s31, s30, -16
	v_fma_f32 v23, -v16, v23, v24
	v_mov_b32_e32 v24, s31
	v_fma_f32 v32, -v13, v32, v21
	s_sub_i32 s31, s30, 24
	v_mov_b32_e32 v38, s30
	ds_load_2addr_b32 v[34:35], v34 offset1:1
	ds_load_2addr_b32 v[36:37], v36 offset1:1
	s_waitcnt lgkmcnt(3)
	v_mul_f32_e32 v42, v31, v25
	s_waitcnt lgkmcnt(2)
	v_fma_f32 v30, -v14, v30, v32
	v_fma_f32 v27, -v19, v27, v23
	s_add_i32 s33, s24, s4
	s_sub_i32 s30, s30, 32
	s_lshl_b32 s33, s33, 2
	v_fma_f32 v25, -v15, v29, v30
	v_mov_b32_e32 v29, s31
	ds_load_b32 v38, v38
	ds_load_b32 v28, v33
	ds_load_2addr_b32 v[21:22], v39 offset1:1
	s_add_i32 s31, s12, 0xfffffd60
	v_fma_f32 v27, -v42, v26, v27
	s_add_i32 s4, s4, -16
	s_waitcnt lgkmcnt(4)
	v_fma_f32 v30, -v16, v35, v25
	ds_load_2addr_b32 v[25:26], v29 offset1:1
	v_fma_f32 v29, -v19, v34, v30
	s_waitcnt lgkmcnt(2)
	v_mul_f32_e32 v43, v28, v27
	v_fma_f32 v20, -v12, v38, v20
	s_waitcnt lgkmcnt(1)
	s_delay_alu instid0(VALU_DEP_1) | instskip(SKIP_1) | instid1(VALU_DEP_2)
	v_fma_f32 v20, -v13, v22, v20
	v_fma_f32 v22, -v42, v37, v29
	;; [unrolled: 1-line block ×3, first 2 shown]
	v_mov_b32_e32 v21, s31
	ds_load_2addr_b32 v[23:24], v24 offset1:1
	v_fma_f32 v36, -v43, v36, v22
	v_mov_b32_e32 v22, s33
	s_add_i32 s31, s33, -16
	s_delay_alu instid0(SALU_CYCLE_1) | instskip(SKIP_3) | instid1(VALU_DEP_1)
	v_mov_b32_e32 v27, s31
	s_add_i32 s31, s25, -12
	s_waitcnt lgkmcnt(0)
	v_fma_f32 v20, -v15, v24, v20
	v_fma_f32 v20, -v16, v23, v20
	v_mov_b32_e32 v23, s30
	s_add_i32 s30, s33, -8
	ds_load_b32 v30, v22
	ds_load_b32 v37, v21
	v_mov_b32_e32 v22, s30
	v_fma_f32 v24, -v19, v26, v20
	ds_load_2addr_b32 v[20:21], v23 offset1:1
	s_add_i32 s30, s25, -4
	ds_load_2addr_b32 v[22:23], v22 offset1:1
	v_mov_b32_e32 v26, s30
	s_sub_i32 s30, s33, 24
	v_fma_f32 v38, -v42, v25, v24
	v_mov_b32_e32 v28, s30
	s_add_i32 s30, s12, 0xfffffd0c
	ds_load_2addr_b32 v[24:25], v26 offset1:1
	s_waitcnt lgkmcnt(4)
	v_fma_f32 v18, -v12, v30, v18
	v_mov_b32_e32 v30, s31
	s_sub_i32 s31, s33, 32
	s_add_i32 s33, s12, 0xfffffcb8
	s_waitcnt lgkmcnt(2)
	v_fma_f32 v40, -v43, v21, v38
	v_mov_b32_e32 v32, s31
	v_mov_b32_e32 v34, s33
	s_waitcnt lgkmcnt(1)
	v_fma_f32 v18, -v13, v23, v18
	v_mov_b32_e32 v23, s30
	s_sub_i32 s30, s25, 20
	s_delay_alu instid0(SALU_CYCLE_1)
	v_mov_b32_e32 v21, s30
	ds_load_2addr_b32 v[26:27], v27 offset1:1
	ds_load_2addr_b32 v[28:29], v28 offset1:1
	;; [unrolled: 1-line block ×3, first 2 shown]
	v_fma_f32 v18, -v14, v22, v18
	s_waitcnt lgkmcnt(3)
	v_fma_f32 v17, -v12, v25, v17
	ds_load_2addr_b32 v[32:33], v32 offset1:1
	ds_load_2addr_b32 v[34:35], v34 offset1:1
	ds_load_b32 v41, v23
	s_add_i32 s30, s22, -8
	v_fma_f32 v22, -v13, v24, v17
	v_mov_b32_e32 v24, s22
	s_waitcnt lgkmcnt(5)
	v_fma_f32 v18, -v15, v27, v18
	ds_load_b32 v27, v24
	v_fma_f32 v23, -v16, v26, v18
	ds_load_2addr_b32 v[17:18], v21 offset1:1
	s_waitcnt lgkmcnt(5)
	v_fma_f32 v21, -v14, v31, v22
	v_mov_b32_e32 v22, s30
	s_sub_i32 s30, s25, 28
	v_fma_f32 v31, -v19, v29, v23
	v_mov_b32_e32 v23, s30
	s_sub_i32 s25, s25, 36
	s_add_i32 s30, s12, 0xfffffc64
	v_mov_b32_e32 v25, s25
	s_add_i32 s25, s22, -16
	s_delay_alu instid0(SALU_CYCLE_1)
	v_dual_mul_f32 v44, v37, v36 :: v_dual_mov_b32 v37, s25
	v_fma_f32 v36, -v15, v30, v21
	ds_load_2addr_b32 v[21:22], v22 offset1:1
	ds_load_2addr_b32 v[23:24], v23 offset1:1
	v_mov_b32_e32 v29, s30
	ds_load_2addr_b32 v[25:26], v25 offset1:1
	ds_load_2addr_b32 v[29:30], v29 offset1:1
	s_waitcnt lgkmcnt(4)
	v_fma_f32 v18, -v16, v18, v36
	v_fma_f32 v11, -v12, v27, v11
	;; [unrolled: 1-line block ×4, first 2 shown]
	s_sub_i32 s30, s22, 24
	v_fma_f32 v17, -v19, v17, v18
	s_sub_i32 s25, s22, 32
	v_fma_f32 v18, -v43, v33, v27
	v_mul_f32_e32 v45, v41, v20
	s_sub_i32 s22, s22, 40
	v_mov_b32_e32 v38, s30
	s_add_i32 s30, s13, -4
	v_mov_b32_e32 v28, s11
	s_waitcnt lgkmcnt(3)
	v_fma_f32 v11, -v13, v22, v11
	s_waitcnt lgkmcnt(2)
	v_fma_f32 v17, -v42, v24, v17
	v_fma_f32 v22, -v44, v32, v18
	s_delay_alu instid0(VALU_DEP_3) | instskip(NEXT) | instid1(VALU_DEP_3)
	v_fma_f32 v11, -v14, v21, v11
	v_fma_f32 v23, -v43, v23, v17
	s_delay_alu instid0(VALU_DEP_3) | instskip(SKIP_2) | instid1(VALU_DEP_3)
	v_fma_f32 v22, -v45, v35, v22
	v_mov_b32_e32 v21, s30
	s_waitcnt lgkmcnt(1)
	v_fma_f32 v23, -v44, v26, v23
	s_delay_alu instid0(VALU_DEP_3) | instskip(NEXT) | instid1(VALU_DEP_2)
	v_mul_f32_e32 v46, v34, v22
	v_fma_f32 v22, -v45, v25, v23
	v_mov_b32_e32 v23, s22
	ds_load_2addr_b32 v[36:37], v37 offset1:1
	ds_load_2addr_b32 v[38:39], v38 offset1:1
	s_sub_i32 s22, s13, 44
	s_waitcnt lgkmcnt(2)
	v_fma_f32 v26, -v46, v30, v22
	v_mov_b32_e32 v20, s25
	s_add_i32 s25, s12, 0xfffffc10
	s_delay_alu instid0(VALU_DEP_2) | instid1(SALU_CYCLE_1)
	v_dual_mov_b32 v24, s25 :: v_dual_mul_f32 v47, v29, v26
	ds_load_2addr_b32 v[17:18], v20 offset1:1
	ds_load_2addr_b32 v[20:21], v21 offset1:1
	s_add_i32 s25, s13, -12
	s_delay_alu instid0(SALU_CYCLE_1) | instskip(SKIP_2) | instid1(VALU_DEP_1)
	v_mov_b32_e32 v29, s25
	s_waitcnt lgkmcnt(3)
	v_fma_f32 v11, -v15, v37, v11
	v_fma_f32 v11, -v16, v36, v11
	s_waitcnt lgkmcnt(0)
	v_fma_f32 v21, -v12, v21, v10
	v_mov_b32_e32 v10, s22
	s_add_i32 s22, s12, 0xfffffbbc
	v_fma_f32 v11, -v19, v39, v11
	v_mov_b32_e32 v26, s22
	s_add_i32 s22, s11, -8
	v_fma_f32 v35, -v13, v20, v21
	v_mov_b32_e32 v30, s22
	s_sub_i32 s22, s13, 20
	v_fma_f32 v11, -v42, v38, v11
	v_mov_b32_e32 v20, s22
	s_sub_i32 s22, s13, 28
	s_sub_i32 s13, s13, 36
	s_delay_alu instid0(SALU_CYCLE_1) | instskip(SKIP_4) | instid1(SALU_CYCLE_1)
	v_mov_b32_e32 v32, s13
	s_add_i32 s13, s11, -16
	v_fma_f32 v18, -v43, v18, v11
	v_mov_b32_e32 v36, s13
	s_add_i32 s13, s10, -4
	v_mov_b32_e32 v37, s13
	ds_load_2addr_b32 v[22:23], v23 offset1:1
	ds_load_2addr_b32 v[24:25], v24 offset1:1
	;; [unrolled: 1-line block ×4, first 2 shown]
	ds_load_b32 v34, v28
	ds_load_2addr_b32 v[28:29], v29 offset1:1
	v_fma_f32 v48, -v44, v17, v18
	ds_load_2addr_b32 v[17:18], v30 offset1:1
	s_sub_i32 s13, s11, 24
	v_mov_b32_e32 v30, s22
	ds_load_2addr_b32 v[20:21], v20 offset1:1
	ds_load_2addr_b32 v[30:31], v30 offset1:1
	;; [unrolled: 1-line block ×3, first 2 shown]
	s_sub_i32 s22, s11, 40
	s_delay_alu instid0(SALU_CYCLE_1)
	v_mov_b32_e32 v40, s22
	s_sub_i32 s22, s10, 44
	s_waitcnt lgkmcnt(9)
	v_fma_f32 v23, -v45, v23, v48
	s_waitcnt lgkmcnt(5)
	v_fma_f32 v7, -v12, v34, v7
	;; [unrolled: 2-line block ×3, first 2 shown]
	ds_load_2addr_b32 v[34:35], v36 offset1:1
	s_waitcnt lgkmcnt(4)
	v_fma_f32 v7, -v13, v18, v7
	v_mov_b32_e32 v18, s13
	s_add_i32 s13, s10, -12
	v_fma_f32 v38, -v15, v28, v29
	v_mov_b32_e32 v28, s13
	v_fma_f32 v7, -v14, v17, v7
	ds_load_2addr_b32 v[17:18], v18 offset1:1
	s_sub_i32 s13, s11, 32
	s_waitcnt lgkmcnt(4)
	v_fma_f32 v21, -v16, v21, v38
	ds_load_2addr_b32 v[28:29], v28 offset1:1
	ds_load_2addr_b32 v[36:37], v37 offset1:1
	v_mov_b32_e32 v39, s13
	s_sub_i32 s13, s10, 20
	ds_load_2addr_b32 v[38:39], v39 offset1:1
	ds_load_2addr_b32 v[40:41], v40 offset1:1
	v_mov_b32_e32 v49, s13
	s_waitcnt lgkmcnt(5)
	v_fma_f32 v35, -v15, v35, v7
	s_sub_i32 s13, s10, 28
	v_fma_f32 v20, -v19, v20, v21
	s_sub_i32 s11, s11, 48
	s_delay_alu instid0(VALU_DEP_2)
	v_fma_f32 v21, -v16, v34, v35
	v_mov_b32_e32 v35, s13
	s_sub_i32 s13, s10, 36
	s_sub_i32 s10, s10, 52
	s_waitcnt lgkmcnt(4)
	v_fma_f32 v18, -v19, v18, v21
	s_waitcnt lgkmcnt(2)
	v_fma_f32 v37, -v12, v37, v6
	ds_load_2addr_b32 v[6:7], v49 offset1:1
	v_fma_f32 v34, -v13, v36, v37
	v_fma_f32 v36, -v46, v22, v23
	;; [unrolled: 1-line block ×3, first 2 shown]
	ds_load_2addr_b32 v[20:21], v35 offset1:1
	v_mov_b32_e32 v31, s22
	v_fma_f32 v23, -v14, v29, v34
	v_mov_b32_e32 v29, s13
	v_fma_f32 v30, -v43, v30, v22
	v_fma_f32 v34, -v42, v17, v18
	s_add_i32 s13, s12, 0xfffffb68
	v_fma_f32 v28, -v15, v28, v23
	ds_load_2addr_b32 v[17:18], v29 offset1:1
	ds_load_2addr_b32 v[22:23], v31 offset1:1
	v_mov_b32_e32 v29, s13
	v_fma_f32 v30, -v44, v33, v30
	s_waitcnt lgkmcnt(5)
	v_fma_f32 v33, -v43, v39, v34
	v_fma_f32 v25, -v47, v25, v36
	s_waitcnt lgkmcnt(3)
	v_fma_f32 v7, -v16, v7, v28
	v_mov_b32_e32 v28, s11
	v_fma_f32 v30, -v45, v32, v30
	v_mul_f32_e32 v24, v24, v25
	s_delay_alu instid0(VALU_DEP_4)
	v_fma_f32 v31, -v19, v6, v7
	ds_load_2addr_b32 v[6:7], v28 offset1:1
	ds_load_2addr_b32 v[28:29], v29 offset1:1
	v_fma_f32 v11, -v46, v11, v30
	s_waitcnt lgkmcnt(4)
	v_fma_f32 v21, -v42, v21, v31
	v_fma_f32 v31, -v44, v38, v33
	s_delay_alu instid0(VALU_DEP_3) | instskip(NEXT) | instid1(VALU_DEP_3)
	v_fma_f32 v10, -v47, v10, v11
	v_fma_f32 v20, -v43, v20, v21
	v_mov_b32_e32 v21, s10
	s_delay_alu instid0(VALU_DEP_4)
	v_fma_f32 v25, -v45, v41, v31
	s_add_i32 s10, s12, 0xfffffb14
	v_fma_f32 v10, -v24, v27, v10
	s_waitcnt lgkmcnt(3)
	v_fma_f32 v18, -v44, v18, v20
	ds_load_2addr_b32 v[20:21], v21 offset1:1
	v_fma_f32 v11, -v46, v40, v25
	v_add_lshl_u32 v25, s18, v0, 2
	v_mul_f32_e32 v10, v26, v10
	v_fma_f32 v17, -v45, v17, v18
	v_add_lshl_u32 v18, s19, v0, 2
	s_waitcnt lgkmcnt(2)
	v_fma_f32 v7, -v47, v7, v11
	v_mov_b32_e32 v11, s10
	v_add_lshl_u32 v26, s23, v0, 2
	v_fma_f32 v17, -v46, v23, v17
	s_delay_alu instid0(VALU_DEP_4)
	v_fma_f32 v23, -v24, v6, v7
	ds_load_2addr_b32 v[6:7], v11 offset1:1
	v_fma_f32 v11, -v47, v22, v17
	v_add_lshl_u32 v17, s20, v0, 2
	s_waitcnt lgkmcnt(2)
	v_fma_f32 v23, -v10, v29, v23
	v_add_lshl_u32 v22, s21, v0, 2
	ds_store_b32 v8, v12
	ds_store_b32 v9, v13
	ds_store_b32 v25, v14 offset:1600
	ds_store_b32 v18, v15 offset:1600
	ds_store_b32 v17, v16 offset:1600
	ds_store_b32 v22, v19 offset:1600
	ds_store_b32 v26, v42 offset:1600
	v_add_lshl_u32 v12, s28, v0, 2
	s_waitcnt lgkmcnt(8)
	v_fma_f32 v11, -v24, v21, v11
	v_mul_f32_e32 v8, v28, v23
	v_add_lshl_u32 v13, s29, v0, 2
	v_add_lshl_u32 v14, s24, v0, 2
	s_delay_alu instid0(VALU_DEP_4)
	v_fma_f32 v9, -v10, v20, v11
	v_add_lshl_u32 v11, s27, v0, 2
	ds_store_b32 v11, v43 offset:1600
	ds_store_b32 v12, v44 offset:1600
	;; [unrolled: 1-line block ×4, first 2 shown]
	s_waitcnt lgkmcnt(11)
	v_fma_f32 v7, -v8, v7, v9
	s_delay_alu instid0(VALU_DEP_1)
	v_mul_f32_e32 v6, v6, v7
	ds_store_b32 v1, v47 offset:1600
	ds_store_b32 v2, v24 offset:1600
	;; [unrolled: 1-line block ×5, first 2 shown]
.LBB23_26:
	s_cmp_lt_i32 s4, 0
	s_cbranch_scc1 .LBB23_39
; %bb.27:
	s_bitcmp1_b32 s4, 0
	s_cselect_b32 s10, -1, 0
	s_delay_alu instid0(SALU_CYCLE_1)
	s_and_b32 vcc_lo, exec_lo, s10
	s_mov_b32 s10, s4
	s_cbranch_vccnz .LBB23_32
; %bb.28:
	s_mul_i32 s10, s4, 20
	s_cmp_le_i32 s26, s4
	v_add_lshl_u32 v2, s10, v0, 2
	ds_load_b32 v1, v2 offset:1600
	s_cbranch_scc1 .LBB23_31
; %bb.29:
	v_lshlrev_b32_e32 v3, 2, v0
	s_mul_i32 s12, s15, 0x50
	s_mul_i32 s10, s4, 0x50
	s_lshl_b32 s11, s15, 2
	s_delay_alu instid0(SALU_CYCLE_1)
	s_add_i32 s10, s10, s11
	v_add3_u32 v3, s12, v3, 0x5f0
	s_add_i32 s10, s10, -4
	s_mov_b32 s11, s26
.LBB23_30:                              ; =>This Inner Loop Header: Depth=1
	v_mov_b32_e32 v4, s10
	s_add_i32 s11, s11, -1
	s_add_i32 s10, s10, -4
	s_cmp_gt_i32 s11, s4
	ds_load_b32 v5, v3
	ds_load_b32 v4, v4
	v_add_nc_u32_e32 v3, 0xffffffb0, v3
	s_waitcnt lgkmcnt(0)
	v_fma_f32 v1, -v5, v4, v1
	s_cbranch_scc1 .LBB23_30
.LBB23_31:
	s_mul_i32 s10, s4, 0x54
	s_delay_alu instid0(SALU_CYCLE_1)
	v_dual_mov_b32 v3, s10 :: v_dual_add_nc_u32 v2, 0x640, v2
	s_add_i32 s10, s4, -1
	ds_load_b32 v3, v3
	s_waitcnt lgkmcnt(0)
	v_mul_f32_e32 v1, v3, v1
	ds_store_b32 v2, v1
.LBB23_32:
	s_cmp_eq_u32 s4, 0
	s_cbranch_scc1 .LBB23_39
; %bb.33:
	v_lshlrev_b32_e32 v1, 2, v0
	s_mul_i32 s12, s15, 0x50
	s_mul_i32 s4, s10, 0x50
	s_lshl_b32 s11, s15, 2
	s_delay_alu instid0(SALU_CYCLE_1)
	s_add_i32 s11, s4, s11
	v_add3_u32 v1, s12, v1, 0x5f0
	s_add_i32 s4, s11, -4
	s_addk_i32 s11, 0xffac
	s_branch .LBB23_35
.LBB23_34:                              ;   in Loop: Header=BB23_35 Depth=1
	s_addk_i32 s12, 0xffac
	v_add_nc_u32_e32 v2, 0x640, v4
	v_mov_b32_e32 v4, s12
	s_add_i32 s12, s10, -2
	s_addk_i32 s4, 0xff60
	s_addk_i32 s11, 0xff60
	s_cmp_lt_i32 s10, 2
	ds_load_b32 v4, v4
	s_mov_b32 s10, s12
	s_waitcnt lgkmcnt(0)
	v_mul_f32_e32 v3, v4, v3
	ds_store_b32 v2, v3
	s_cbranch_scc1 .LBB23_39
.LBB23_35:                              ; =>This Loop Header: Depth=1
                                        ;     Child Loop BB23_36 Depth 2
                                        ;     Child Loop BB23_38 Depth 2
	s_mul_i32 s13, s10, 20
	v_mov_b32_e32 v4, v1
	v_add_lshl_u32 v3, s13, v0, 2
	s_cmp_le_i32 s26, s10
	s_mov_b32 s12, s4
	s_mov_b32 s18, s26
	ds_load_b32 v2, v3 offset:1600
	s_cbranch_scc1 .LBB23_37
.LBB23_36:                              ;   Parent Loop BB23_35 Depth=1
                                        ; =>  This Inner Loop Header: Depth=2
	v_mov_b32_e32 v5, s12
	s_add_i32 s18, s18, -1
	s_add_i32 s12, s12, -4
	s_cmp_gt_i32 s18, s10
	ds_load_b32 v6, v4
	ds_load_b32 v5, v5
	v_add_nc_u32_e32 v4, 0xffffffb0, v4
	s_waitcnt lgkmcnt(0)
	v_fma_f32 v2, -v6, v5, v2
	s_cbranch_scc1 .LBB23_36
.LBB23_37:                              ;   in Loop: Header=BB23_35 Depth=1
	s_mul_i32 s12, s10, 0x54
	v_add_nc_u32_e32 v5, 0x640, v3
	v_mov_b32_e32 v3, s12
	s_sub_i32 s13, s13, 20
	s_cmp_lt_i32 s26, s10
	v_add_lshl_u32 v4, s13, v0, 2
	s_mov_b32 s13, s11
	ds_load_b32 v6, v3
	s_mov_b32 s18, s15
	ds_load_b32 v3, v4 offset:1600
	s_waitcnt lgkmcnt(1)
	v_mul_f32_e32 v6, v6, v2
	v_mov_b32_e32 v2, v1
	ds_store_b32 v5, v6
	s_cbranch_scc1 .LBB23_34
.LBB23_38:                              ;   Parent Loop BB23_35 Depth=1
                                        ; =>  This Inner Loop Header: Depth=2
	v_mov_b32_e32 v5, s13
	s_add_i32 s18, s18, -1
	s_add_i32 s13, s13, -4
	s_cmp_gt_i32 s18, s10
	ds_load_b32 v6, v2
	ds_load_b32 v5, v5
	v_add_nc_u32_e32 v2, 0xffffffb0, v2
	s_waitcnt lgkmcnt(0)
	v_fma_f32 v3, -v6, v5, v3
	s_cbranch_scc1 .LBB23_38
	s_branch .LBB23_34
.LBB23_39:
	s_mov_b32 s4, 0
.LBB23_40:
	s_delay_alu instid0(SALU_CYCLE_1)
	s_and_b32 vcc_lo, exec_lo, s4
	s_cbranch_vccz .LBB23_65
; %bb.41:
	s_cmp_gt_i32 s6, 19
	s_mov_b32 s4, 0
	s_cselect_b32 s12, -1, 0
	s_delay_alu instid0(SALU_CYCLE_1)
	s_and_b32 vcc_lo, exec_lo, s12
	s_cbranch_vccz .LBB23_43
; %bb.42:
	v_dual_mov_b32 v3, 0 :: v_dual_lshlrev_b32 v90, 2, v0
	s_mov_b32 s4, 20
	s_delay_alu instid0(VALU_DEP_1)
	v_add_nc_u32_e32 v1, 0x400, v90
	ds_load_2addr_b32 v[39:40], v1 offset0:144 offset1:164
	ds_load_b128 v[4:7], v3
	s_waitcnt lgkmcnt(0)
	v_mul_f32_e32 v4, v4, v39
	ds_load_2addr_b32 v[52:53], v3 offset0:21 offset1:22
	ds_load_2addr_b64 v[8:11], v3 offset0:21 offset1:22
	ds_load_b128 v[12:15], v3 offset:16
	ds_load_b128 v[16:19], v3 offset:32
	ds_load_2addr_b32 v[54:55], v1 offset0:184 offset1:204
	ds_load_b128 v[20:23], v3 offset:336
	ds_load_b128 v[24:27], v3 offset:352
	ds_load_b128 v[28:31], v3 offset:672
	ds_load_2addr_b32 v[56:57], v3 offset0:23 offset1:24
	ds_load_2addr_b32 v[58:59], v3 offset0:25 offset1:26
	;; [unrolled: 1-line block ×10, first 2 shown]
	ds_load_2addr_b64 v[32:35], v3 offset0:23 offset1:24
	ds_load_2addr_b64 v[36:39], v3 offset0:25 offset1:26
	v_fma_f32 v5, -v4, v5, v40
	v_add_nc_u32_e32 v2, 0x800, v90
	ds_load_2addr_b64 v[40:43], v3 offset0:63 offset1:64
	ds_load_2addr_b64 v[44:47], v3 offset0:65 offset1:66
	ds_load_b128 v[48:51], v3 offset:64
	s_waitcnt lgkmcnt(22)
	v_mul_f32_e32 v91, v52, v5
	s_waitcnt lgkmcnt(18)
	v_fma_f32 v6, -v4, v6, v54
	ds_load_2addr_b32 v[76:77], v3 offset0:71 offset1:72
	ds_load_2addr_b32 v[78:79], v2 offset0:8 offset1:28
	ds_load_2addr_b32 v[80:81], v2 offset0:48 offset1:68
	v_fma_f32 v5, -v4, v7, v55
	v_fma_f32 v6, -v91, v53, v6
	ds_load_2addr_b32 v[52:53], v3 offset0:105 offset1:106
	ds_load_2addr_b32 v[54:55], v3 offset0:107 offset1:108
	;; [unrolled: 1-line block ×4, first 2 shown]
	ds_load_b32 v92, v3 offset:156
	s_waitcnt lgkmcnt(22)
	v_fma_f32 v56, -v91, v56, v5
	s_waitcnt lgkmcnt(14)
	v_fma_f32 v12, -v4, v12, v72
	v_fma_f32 v94, -v4, v13, v73
	v_mul_f32_e32 v93, v8, v6
	ds_load_b128 v[5:8], v3 offset:48
	ds_load_2addr_b32 v[86:87], v2 offset0:88 offset1:108
	v_fma_f32 v95, -v91, v57, v12
	v_fma_f32 v58, -v91, v58, v94
	;; [unrolled: 1-line block ×3, first 2 shown]
	ds_load_2addr_b32 v[12:13], v3 offset0:147 offset1:148
	ds_load_2addr_b32 v[56:57], v3 offset0:149 offset1:150
	;; [unrolled: 1-line block ×4, first 2 shown]
	v_fma_f32 v10, -v93, v10, v95
	v_fma_f32 v11, -v93, v11, v58
	s_waitcnt lgkmcnt(12)
	v_fma_f32 v14, -v4, v14, v78
	v_mul_f32_e32 v78, v64, v9
	v_fma_f32 v9, -v4, v15, v79
	s_waitcnt lgkmcnt(11)
	v_fma_f32 v15, -v4, v16, v80
	v_fma_f32 v16, -v4, v17, v81
	;; [unrolled: 1-line block ×8, first 2 shown]
	v_mul_f32_e32 v79, v20, v10
	v_fma_f32 v9, -v93, v33, v9
	v_fma_f32 v16, -v91, v62, v16
	;; [unrolled: 1-line block ×6, first 2 shown]
	ds_load_2addr_b32 v[20:21], v3 offset0:31 offset1:32
	s_waitcnt lgkmcnt(5)
	v_fma_f32 v10, -v4, v18, v86
	v_fma_f32 v14, -v79, v22, v14
	v_mul_f32_e32 v80, v52, v11
	v_fma_f32 v11, -v93, v35, v16
	v_fma_f32 v15, -v78, v69, v15
	;; [unrolled: 1-line block ×8, first 2 shown]
	ds_load_2addr_b32 v[32:33], v2 offset0:128 offset1:148
	v_mul_f32_e32 v81, v40, v14
	v_fma_f32 v10, -v93, v36, v10
	v_fma_f32 v11, -v79, v25, v11
	;; [unrolled: 1-line block ×8, first 2 shown]
	s_waitcnt lgkmcnt(1)
	v_fma_f32 v15, -v91, v20, v15
	v_mul_f32_e32 v82, v12, v9
	v_fma_f32 v16, -v79, v26, v10
	v_fma_f32 v17, -v81, v43, v11
	ds_load_2addr_b32 v[40:41], v3 offset0:33 offset1:34
	ds_load_2addr_b32 v[52:53], v3 offset0:35 offset1:36
	;; [unrolled: 1-line block ×3, first 2 shown]
	ds_load_b128 v[9:12], v3 offset:688
	v_fma_f32 v13, -v82, v13, v14
	v_fma_f32 v14, -v93, v37, v15
	;; [unrolled: 1-line block ×4, first 2 shown]
	s_waitcnt lgkmcnt(4)
	v_fma_f32 v5, -v4, v5, v32
	v_mul_f32_e32 v83, v28, v13
	v_fma_f32 v13, -v78, v76, v14
	v_fma_f32 v17, -v81, v44, v15
	ds_load_2addr_b32 v[42:43], v3 offset0:73 offset1:74
	ds_load_2addr_b32 v[58:59], v3 offset0:75 offset1:76
	;; [unrolled: 1-line block ×5, first 2 shown]
	v_fma_f32 v25, -v83, v29, v16
	v_fma_f32 v22, -v79, v27, v13
	ds_load_b128 v[13:16], v3 offset:368
	v_fma_f32 v26, -v82, v57, v17
	ds_load_2addr_b64 v[17:20], v3 offset0:105 offset1:106
	v_fma_f32 v5, -v91, v21, v5
	v_fma_f32 v27, -v80, v84, v22
	v_mul_f32_e32 v84, v74, v25
	v_fma_f32 v29, -v83, v30, v26
	v_fma_f32 v6, -v4, v6, v33
	v_fma_f32 v5, -v93, v38, v5
	v_fma_f32 v30, -v81, v45, v27
	ds_load_2addr_b64 v[25:28], v3 offset0:27 offset1:28
	ds_load_b128 v[21:24], v3 offset:704
	v_fma_f32 v44, -v84, v75, v29
	s_waitcnt lgkmcnt(12)
	v_fma_f32 v32, -v91, v40, v6
	v_fma_f32 v36, -v78, v77, v5
	ds_load_2addr_b32 v[5:6], v3 offset0:113 offset1:114
	v_fma_f32 v40, -v82, v72, v30
	ds_load_2addr_b32 v[29:30], v3 offset0:191 offset1:192
	v_fma_f32 v45, -v93, v39, v32
	s_waitcnt lgkmcnt(7)
	v_fma_f32 v7, -v4, v7, v62
	ds_load_b128 v[32:35], v3 offset:384
	ds_load_2addr_b32 v[56:57], v3 offset0:231 offset1:232
	s_waitcnt lgkmcnt(6)
	v_mul_f32_e32 v62, v17, v44
	v_fma_f32 v13, -v79, v13, v36
	v_fma_f32 v17, -v78, v42, v45
	;; [unrolled: 1-line block ×3, first 2 shown]
	ds_load_2addr_b64 v[36:39], v3 offset0:107 offset1:108
	v_fma_f32 v31, -v83, v31, v40
	v_fma_f32 v40, -v80, v85, v13
	;; [unrolled: 1-line block ×3, first 2 shown]
	ds_load_b64 v[13:14], v3 offset:232
	s_waitcnt lgkmcnt(7)
	v_fma_f32 v7, -v93, v25, v7
	ds_load_2addr_b32 v[66:67], v3 offset0:115 offset1:116
	ds_load_2addr_b32 v[68:69], v3 offset0:117 offset1:118
	v_fma_f32 v25, -v81, v46, v40
	v_fma_f32 v8, -v4, v8, v63
	s_waitcnt lgkmcnt(7)
	v_fma_f32 v5, -v80, v5, v17
	s_waitcnt lgkmcnt(6)
	v_fma_f32 v17, -v84, v29, v31
	v_add_nc_u32_e32 v31, 0xa00, v90
	v_fma_f32 v7, -v78, v43, v7
	ds_load_2addr_b64 v[40:43], v3 offset0:67 offset1:68
	ds_load_2addr_b32 v[70:71], v3 offset0:193 offset1:194
	ds_load_2addr_b32 v[74:75], v3 offset0:195 offset1:196
	;; [unrolled: 1-line block ×3, first 2 shown]
	v_fma_f32 v25, -v82, v73, v25
	v_fma_f32 v8, -v91, v52, v8
	;; [unrolled: 1-line block ×4, first 2 shown]
	s_delay_alu instid0(VALU_DEP_4) | instskip(NEXT) | instid1(VALU_DEP_4)
	v_fma_f32 v9, -v83, v9, v25
	v_fma_f32 v8, -v93, v26, v8
	s_waitcnt lgkmcnt(8)
	s_delay_alu instid0(VALU_DEP_3)
	v_mul_f32_e32 v85, v56, v15
	v_mov_b32_e32 v15, 0x444
	v_fma_f32 v7, -v80, v6, v7
	v_fma_f32 v9, -v84, v30, v9
	;; [unrolled: 1-line block ×3, first 2 shown]
	s_waitcnt lgkmcnt(3)
	s_delay_alu instid0(VALU_DEP_3) | instskip(NEXT) | instid1(VALU_DEP_3)
	v_fma_f32 v7, -v81, v40, v7
	v_fma_f32 v9, -v62, v19, v9
	s_delay_alu instid0(VALU_DEP_3) | instskip(NEXT) | instid1(VALU_DEP_3)
	v_fma_f32 v16, -v79, v16, v8
	v_fma_f32 v7, -v82, v89, v7
	s_delay_alu instid0(VALU_DEP_2) | instskip(NEXT) | instid1(VALU_DEP_2)
	v_fma_f32 v16, -v80, v66, v16
	v_fma_f32 v7, -v83, v11, v7
	;; [unrolled: 1-line block ×3, first 2 shown]
	s_waitcnt lgkmcnt(2)
	s_delay_alu instid0(VALU_DEP_2) | instskip(NEXT) | instid1(VALU_DEP_2)
	v_fma_f32 v7, -v84, v71, v7
	v_fma_f32 v11, -v91, v53, v11
	s_delay_alu instid0(VALU_DEP_2)
	v_fma_f32 v7, -v62, v36, v7
	v_mov_b32_e32 v36, 0x44c
	v_fma_f32 v5, -v81, v47, v5
	ds_load_b128 v[44:47], v3 offset:1008
	v_fma_f32 v11, -v93, v27, v11
	v_fma_f32 v27, -v4, v49, v65
	;; [unrolled: 1-line block ×3, first 2 shown]
	ds_load_2addr_b32 v[5:6], v3 offset0:233 offset1:234
	ds_load_2addr_b32 v[17:18], v3 offset0:235 offset1:236
	ds_load_b64 v[72:73], v3 offset:872
	ds_load_b64 v[29:30], v3 offset:552
	v_fma_f32 v11, -v78, v59, v11
	v_fma_f32 v10, -v83, v10, v25
	v_fma_f32 v25, -v85, v57, v9
	s_delay_alu instid0(VALU_DEP_3) | instskip(NEXT) | instid1(VALU_DEP_3)
	v_fma_f32 v11, -v79, v32, v11
	v_fma_f32 v10, -v84, v70, v10
	s_delay_alu instid0(VALU_DEP_1)
	v_fma_f32 v40, -v62, v20, v10
	ds_load_2addr_b32 v[19:20], v3 offset0:237 offset1:238
	ds_load_2addr_b32 v[9:10], v15 offset1:1
	s_waitcnt lgkmcnt(6)
	v_mul_f32_e32 v52, v44, v25
	ds_load_2addr_b32 v[25:26], v3 offset0:155 offset1:156
	ds_load_2addr_b32 v[56:57], v31 offset0:120 offset1:140
	s_waitcnt lgkmcnt(7)
	v_fma_f32 v5, -v85, v5, v40
	v_fma_f32 v40, -v85, v6, v7
	s_delay_alu instid0(VALU_DEP_2)
	v_fma_f32 v15, -v52, v45, v5
	ds_load_2addr_b64 v[5:8], v3 offset0:147 offset1:148
	v_fma_f32 v40, -v52, v46, v40
	ds_load_2addr_b32 v[44:45], v36 offset1:1
	ds_load_b32 v36, v3 offset:1596
	s_waitcnt lgkmcnt(5)
	v_mul_f32_e32 v48, v9, v15
	v_fma_f32 v9, -v81, v41, v16
	ds_load_2addr_b32 v[15:16], v3 offset0:157 offset1:158
	s_waitcnt lgkmcnt(4)
	v_fma_f32 v41, -v4, v50, v56
	v_fma_f32 v9, -v82, v25, v9
	;; [unrolled: 1-line block ×4, first 2 shown]
	s_delay_alu instid0(VALU_DEP_3) | instskip(NEXT) | instid1(VALU_DEP_3)
	v_fma_f32 v32, -v83, v12, v9
	v_fma_f32 v25, -v93, v28, v25
	;; [unrolled: 1-line block ×3, first 2 shown]
	ds_load_b128 v[9:12], v3 offset:1024
	s_waitcnt lgkmcnt(4)
	v_mul_f32_e32 v40, v5, v27
	v_fma_f32 v5, -v84, v74, v32
	v_fma_f32 v25, -v78, v60, v25
	;; [unrolled: 1-line block ×3, first 2 shown]
	ds_load_2addr_b32 v[27:28], v3 offset0:79 offset1:119
	v_fma_f32 v5, -v62, v37, v5
	v_fma_f32 v25, -v79, v33, v25
	;; [unrolled: 1-line block ×10, first 2 shown]
	s_delay_alu instid0(VALU_DEP_4) | instskip(NEXT) | instid1(VALU_DEP_4)
	v_fma_f32 v17, -v81, v43, v17
	v_fma_f32 v14, -v93, v14, v25
	s_delay_alu instid0(VALU_DEP_4) | instskip(NEXT) | instid1(VALU_DEP_4)
	v_fma_f32 v21, -v84, v75, v21
	v_fma_f32 v13, -v78, v61, v13
	ds_load_2addr_b32 v[25:26], v3 offset0:159 offset1:199
	s_waitcnt lgkmcnt(3)
	v_fma_f32 v15, -v82, v15, v17
	s_waitcnt lgkmcnt(1)
	v_fma_f32 v14, -v78, v27, v14
	v_mov_b32_e32 v27, 0x4f4
	v_fma_f32 v5, -v52, v47, v5
	v_fma_f32 v17, -v62, v38, v21
	;; [unrolled: 1-line block ×4, first 2 shown]
	v_add_nc_u32_e64 v21, 0x200, 0
	v_fma_f32 v5, -v48, v44, v5
	ds_load_2addr_b32 v[21:22], v21 offset0:111 offset1:151
	v_fma_f32 v32, -v40, v6, v5
	v_fma_f32 v5, -v80, v69, v13
	;; [unrolled: 1-line block ×5, first 2 shown]
	v_mov_b32_e32 v15, 0x4ec
	v_fma_f32 v17, -v81, v29, v5
	v_fma_f32 v9, -v52, v9, v6
	;; [unrolled: 1-line block ×4, first 2 shown]
	ds_load_2addr_b32 v[5:6], v15 offset1:1
	v_fma_f32 v15, -v82, v16, v17
	v_mov_b32_e32 v16, 0x454
	v_fma_f32 v13, -v81, v30, v13
	v_fma_f32 v19, -v85, v19, v14
	s_delay_alu instid0(VALU_DEP_4) | instskip(SKIP_4) | instid1(VALU_DEP_2)
	v_fma_f32 v15, -v83, v23, v15
	ds_load_2addr_b32 v[17:18], v16 offset1:1
	s_waitcnt lgkmcnt(3)
	v_fma_f32 v13, -v82, v25, v13
	v_fma_f32 v15, -v84, v77, v15
	v_fma_f32 v25, -v83, v24, v13
	s_delay_alu instid0(VALU_DEP_2) | instskip(NEXT) | instid1(VALU_DEP_2)
	v_fma_f32 v33, -v62, v72, v15
	v_fma_f32 v25, -v84, v26, v25
	s_waitcnt lgkmcnt(1)
	v_mul_f32_e32 v26, v5, v32
	v_fma_f32 v5, -v48, v45, v9
	v_fma_f32 v9, -v52, v10, v19
	;; [unrolled: 1-line block ×4, first 2 shown]
	v_add_nc_u32_e64 v20, 0x400, 0
	v_fma_f32 v5, -v40, v7, v5
	s_waitcnt lgkmcnt(0)
	v_fma_f32 v7, -v48, v17, v9
	v_fma_f32 v17, -v85, v21, v19
	;; [unrolled: 1-line block ×4, first 2 shown]
	v_mov_b32_e32 v16, 0x594
	ds_load_2addr_b32 v[23:24], v27 offset1:1
	ds_load_2addr_b32 v[27:28], v16 offset1:1
	ds_load_b128 v[13:16], v3 offset:1344
	ds_load_b64 v[29:30], v3 offset:1192
	ds_load_2addr_b32 v[9:10], v20 offset0:63 offset1:103
	v_fma_f32 v7, -v40, v8, v7
	v_fma_f32 v8, -v48, v18, v11
	;; [unrolled: 1-line block ×3, first 2 shown]
	ds_load_b64 v[5:6], v3 offset:1512
	ds_store_2addr_b32 v1, v4, v91 offset0:144 offset1:164
	ds_store_2addr_b32 v1, v93, v78 offset0:184 offset1:204
	;; [unrolled: 1-line block ×6, first 2 shown]
	v_fma_f32 v11, -v48, v22, v11
	s_waitcnt lgkmcnt(11)
	v_fma_f32 v7, -v26, v23, v7
	s_waitcnt lgkmcnt(9)
	v_mul_f32_e32 v3, v13, v19
	s_waitcnt lgkmcnt(8)
	v_fma_f32 v8, -v40, v29, v8
	v_fma_f32 v11, -v40, v30, v11
	s_delay_alu instid0(VALU_DEP_3) | instskip(NEXT) | instid1(VALU_DEP_1)
	v_fma_f32 v7, -v3, v14, v7
	v_mul_f32_e32 v7, v27, v7
	s_delay_alu instid0(VALU_DEP_4) | instskip(SKIP_2) | instid1(VALU_DEP_2)
	v_fma_f32 v8, -v26, v24, v8
	s_waitcnt lgkmcnt(7)
	v_fma_f32 v9, -v26, v9, v11
	v_fma_f32 v8, -v3, v15, v8
	s_delay_alu instid0(VALU_DEP_2) | instskip(NEXT) | instid1(VALU_DEP_2)
	v_fma_f32 v9, -v3, v16, v9
	v_fma_f32 v8, -v7, v28, v8
	s_waitcnt lgkmcnt(6)
	s_delay_alu instid0(VALU_DEP_1) | instskip(NEXT) | instid1(VALU_DEP_3)
	v_mul_f32_e32 v5, v5, v8
	v_fma_f32 v8, -v7, v10, v9
	s_delay_alu instid0(VALU_DEP_1) | instskip(NEXT) | instid1(VALU_DEP_1)
	v_fma_f32 v4, -v5, v6, v8
	v_mul_f32_e32 v1, v36, v4
	ds_store_2addr_b32 v2, v52, v48 offset0:128 offset1:148
	ds_store_2addr_b32 v2, v40, v26 offset0:168 offset1:188
	;; [unrolled: 1-line block ×4, first 2 shown]
.LBB23_43:
	s_cmp_lt_i32 s4, s15
	s_cbranch_scc0 .LBB23_65
; %bb.44:
	s_add_i32 s10, s4, 15
	s_delay_alu instid0(SALU_CYCLE_1)
	s_cmp_ge_u32 s10, s15
	s_cbranch_scc1 .LBB23_54
; %bb.45:
	s_mul_i32 s11, s4, 20
	s_and_not1_b32 vcc_lo, exec_lo, s12
	v_add_lshl_u32 v17, s11, v0, 2
	s_delay_alu instid0(VALU_DEP_1)
	v_add_nc_u32_e32 v1, 0x400, v17
	v_add_nc_u32_e32 v2, 0x800, v17
	ds_load_2addr_b32 v[15:16], v1 offset0:144 offset1:164
	ds_load_2addr_b32 v[13:14], v1 offset0:184 offset1:204
	;; [unrolled: 1-line block ×8, first 2 shown]
	s_cbranch_vccnz .LBB23_53
; %bb.46:
	s_max_u32 s12, s4, 1
	s_delay_alu instid0(SALU_CYCLE_1)
	s_cmp_eq_u32 s12, 1
	s_cbranch_scc1 .LBB23_50
; %bb.47:
	v_lshl_add_u32 v18, v0, 2, 0x640
	s_and_b32 s13, s12, 20
	s_lshl_b32 s18, s4, 2
	s_mov_b32 s19, 0
.LBB23_48:                              ; =>This Inner Loop Header: Depth=1
	v_mov_b32_e32 v47, s18
	ds_load_2addr_b32 v[51:52], v18 offset1:20
	v_add_nc_u32_e32 v18, 0xa0, v18
	s_add_i32 s19, s19, 2
	s_addk_i32 s18, 0xa0
	ds_load_b128 v[19:22], v47
	ds_load_b128 v[23:26], v47 offset:16
	ds_load_b128 v[27:30], v47 offset:32
	;; [unrolled: 1-line block ×7, first 2 shown]
	s_cmp_lg_u32 s13, s19
	s_waitcnt lgkmcnt(7)
	v_fma_f32 v15, -v51, v19, v15
	v_fma_f32 v16, -v51, v20, v16
	v_fma_f32 v13, -v51, v21, v13
	v_fma_f32 v14, -v51, v22, v14
	s_waitcnt lgkmcnt(6)
	v_fma_f32 v11, -v51, v23, v11
	v_fma_f32 v12, -v51, v24, v12
	v_fma_f32 v9, -v51, v25, v9
	v_fma_f32 v10, -v51, v26, v10
	;; [unrolled: 5-line block ×8, first 2 shown]
	s_cbranch_scc1 .LBB23_48
; %bb.49:
	s_mul_i32 s13, s13, 20
	s_branch .LBB23_51
.LBB23_50:
	s_mov_b32 s13, 0
.LBB23_51:
	s_bitcmp0_b32 s12, 0
	s_cbranch_scc1 .LBB23_53
; %bb.52:
	s_add_i32 s12, s13, s4
	v_add_lshl_u32 v18, s13, v0, 2
	s_lshl_b32 s12, s12, 2
	s_delay_alu instid0(SALU_CYCLE_1)
	v_mov_b32_e32 v30, s12
	ds_load_b32 v34, v18 offset:1600
	ds_load_b128 v[18:21], v30
	ds_load_b128 v[22:25], v30 offset:16
	ds_load_b128 v[26:29], v30 offset:32
	;; [unrolled: 1-line block ×3, first 2 shown]
	s_waitcnt lgkmcnt(3)
	v_fma_f32 v15, -v34, v18, v15
	v_fma_f32 v16, -v34, v19, v16
	v_fma_f32 v13, -v34, v20, v13
	v_fma_f32 v14, -v34, v21, v14
	s_waitcnt lgkmcnt(2)
	v_fma_f32 v11, -v34, v22, v11
	v_fma_f32 v12, -v34, v23, v12
	v_fma_f32 v9, -v34, v24, v9
	v_fma_f32 v10, -v34, v25, v10
	;; [unrolled: 5-line block ×4, first 2 shown]
.LBB23_53:
	s_mul_i32 s13, s4, 0x54
	s_add_i32 s22, s11, 60
	v_mov_b32_e32 v63, s13
	s_add_i32 s18, s11, 0x78
	s_add_i32 s25, s4, s22
	;; [unrolled: 1-line block ×3, first 2 shown]
	s_lshl_b32 s25, s25, 2
	ds_load_b128 v[18:21], v63
	ds_load_2addr_b32 v[37:38], v63 offset0:21 offset1:22
	v_dual_mov_b32 v50, s25 :: v_dual_add_nc_u32 v17, 0x640, v17
	s_add_i32 s23, s11, 20
	s_lshl_b32 s25, s28, 2
	v_add_lshl_u32 v64, s23, v0, 2
	s_add_i32 s23, s4, s23
	s_add_i32 s21, s11, 40
	s_lshl_b32 s23, s23, 2
	s_add_i32 s20, s11, 0x50
	v_mov_b32_e32 v49, s23
	s_add_i32 s24, s4, s21
	s_add_i32 s26, s4, s20
	s_lshl_b32 s24, s24, 2
	s_lshl_b32 s23, s26, 2
	v_mov_b32_e32 v61, s24
	s_add_i32 s19, s11, 0x64
	v_add_lshl_u32 v74, s21, v0, 2
	s_add_i32 s27, s4, s19
	s_waitcnt lgkmcnt(1)
	v_dual_mul_f32 v65, v18, v15 :: v_dual_mov_b32 v72, s25
	s_lshl_b32 s24, s27, 2
	s_add_i32 s21, s11, 0x8c
	v_add_lshl_u32 v75, s22, v0, 2
	s_delay_alu instid0(VALU_DEP_2)
	v_fma_f32 v15, -v65, v19, v16
	v_fma_f32 v13, -v65, v20, v13
	;; [unrolled: 1-line block ×3, first 2 shown]
	s_or_b32 s22, s4, 8
	s_addk_i32 s13, 0x444
	s_waitcnt lgkmcnt(0)
	v_mul_f32_e32 v66, v37, v15
	ds_load_b128 v[22:25], v63 offset:16
	ds_load_2addr_b32 v[39:40], v49 offset0:3 offset1:4
	ds_load_2addr_b64 v[26:29], v63 offset0:21 offset1:22
	ds_load_2addr_b32 v[18:19], v63 offset0:63 offset1:64
	ds_load_b128 v[30:33], v63 offset:32
	ds_load_2addr_b32 v[41:42], v49 offset0:5 offset1:6
	ds_load_2addr_b32 v[43:44], v50 offset0:5 offset1:6
	ds_load_2addr_b64 v[34:37], v61 offset0:3 offset1:4
	v_fma_f32 v13, -v66, v38, v13
	s_add_i32 s12, s4, 16
	s_waitcnt lgkmcnt(7)
	v_fma_f32 v11, -v65, v22, v11
	s_waitcnt lgkmcnt(6)
	v_fma_f32 v22, -v66, v39, v14
	s_waitcnt lgkmcnt(5)
	v_mul_f32_e32 v67, v26, v13
	v_fma_f32 v23, -v65, v23, v12
	v_fma_f32 v9, -v65, v24, v9
	;; [unrolled: 1-line block ×5, first 2 shown]
	s_waitcnt lgkmcnt(2)
	v_fma_f32 v23, -v66, v41, v23
	v_fma_f32 v9, -v66, v42, v9
	;; [unrolled: 1-line block ×4, first 2 shown]
	v_mul_f32_e32 v68, v18, v22
	ds_load_2addr_b32 v[20:21], v49 offset0:7 offset1:8
	ds_load_2addr_b32 v[45:46], v49 offset0:9 offset1:10
	ds_load_b128 v[13:16], v63 offset:336
	ds_load_2addr_b32 v[11:12], v63 offset0:105 offset1:106
	v_fma_f32 v18, -v67, v29, v23
	v_fma_f32 v22, -v68, v19, v24
	ds_load_2addr_b32 v[38:39], v49 offset0:11 offset1:12
	ds_load_2addr_b32 v[47:48], v49 offset0:13 offset1:14
	;; [unrolled: 1-line block ×3, first 2 shown]
	ds_load_b32 v69, v49 offset:60
	s_waitcnt lgkmcnt(9)
	v_fma_f32 v23, -v68, v43, v18
	ds_load_2addr_b32 v[18:19], v50 offset0:7 offset1:8
	ds_load_b32 v70, v50 offset:60
	ds_load_2addr_b32 v[28:29], v72 offset0:7 offset1:8
	v_fma_f32 v8, -v65, v31, v8
	v_fma_f32 v5, -v65, v32, v5
	;; [unrolled: 1-line block ×3, first 2 shown]
	s_waitcnt lgkmcnt(10)
	v_fma_f32 v10, -v66, v20, v10
	v_fma_f32 v7, -v66, v21, v7
	s_waitcnt lgkmcnt(8)
	v_mul_f32_e32 v71, v13, v22
	v_mov_b32_e32 v13, s24
	s_or_b32 s24, s4, 9
	v_fma_f32 v8, -v66, v45, v8
	s_mul_i32 s25, s24, 0x54
	v_fma_f32 v14, -v71, v14, v23
	ds_load_2addr_b32 v[22:23], v13 offset0:7 offset1:8
	ds_load_2addr_b32 v[40:41], v50 offset0:9 offset1:10
	;; [unrolled: 1-line block ×4, first 2 shown]
	v_fma_f32 v5, -v66, v46, v5
	s_waitcnt lgkmcnt(10)
	v_fma_f32 v6, -v66, v38, v6
	v_dual_mul_f32 v73, v11, v14 :: v_dual_mov_b32 v14, s23
	s_add_i32 s23, s4, s21
	s_mul_i32 s24, s24, 20
	s_lshl_b32 s23, s23, 2
	s_delay_alu instid0(SALU_CYCLE_1)
	v_mov_b32_e32 v30, s23
	v_fma_f32 v9, -v67, v34, v9
	v_fma_f32 v10, -v67, v35, v10
	;; [unrolled: 1-line block ×4, first 2 shown]
	s_mul_i32 s23, s22, 0x54
	v_fma_f32 v9, -v68, v44, v9
	s_waitcnt lgkmcnt(6)
	v_fma_f32 v18, -v68, v18, v10
	v_fma_f32 v7, -v68, v19, v7
	s_mul_i32 s22, s22, 20
	v_fma_f32 v9, -v71, v15, v9
	s_delay_alu instid0(VALU_DEP_1)
	v_fma_f32 v15, -v73, v12, v9
	ds_load_b128 v[9:12], v14 offset:32
	v_mul_f32_e32 v76, v26, v15
	v_fma_f32 v15, -v71, v16, v18
	s_waitcnt lgkmcnt(0)
	v_fma_f32 v7, -v71, v9, v7
	s_delay_alu instid0(VALU_DEP_1) | instskip(NEXT) | instid1(VALU_DEP_1)
	v_fma_f32 v7, -v73, v23, v7
	v_fma_f32 v31, -v76, v29, v7
	;; [unrolled: 1-line block ×3, first 2 shown]
	v_mov_b32_e32 v8, s25
	v_fma_f32 v15, -v73, v22, v15
	s_add_i32 s25, s4, s24
	s_delay_alu instid0(VALU_DEP_3) | instskip(NEXT) | instid1(VALU_DEP_2)
	v_fma_f32 v7, -v71, v10, v7
	v_fma_f32 v26, -v76, v28, v15
	s_delay_alu instid0(VALU_DEP_1)
	v_mul_f32_e32 v78, v27, v26
	ds_load_2addr_b32 v[51:52], v13 offset0:9 offset1:10
	ds_load_2addr_b32 v[53:54], v13 offset0:11 offset1:12
	;; [unrolled: 1-line block ×5, first 2 shown]
	ds_load_b32 v77, v13 offset:60
	ds_load_2addr_b64 v[18:21], v61 offset0:5 offset1:6
	ds_load_b128 v[22:25], v30 offset:32
	ds_load_b128 v[13:16], v14 offset:48
	ds_load_b64 v[44:45], v61 offset:56
	s_waitcnt lgkmcnt(9)
	v_fma_f32 v32, -v73, v51, v7
	s_waitcnt lgkmcnt(3)
	v_fma_f32 v5, -v67, v18, v5
	;; [unrolled: 2-line block ×3, first 2 shown]
	v_mov_b32_e32 v9, s23
	s_add_i32 s23, s4, s11
	v_add_lshl_u32 v22, s20, v0, 2
	s_lshl_b32 s23, s23, 2
	v_fma_f32 v5, -v68, v41, v5
	ds_load_b128 v[26:29], v9
	v_mov_b32_e32 v9, s23
	ds_load_2addr_b32 v[61:62], v8 offset1:1
	ds_load_b128 v[7:10], v9 offset:48
	ds_load_b128 v[34:37], v30 offset:48
	v_fma_f32 v30, -v76, v57, v32
	v_fma_f32 v5, -v71, v11, v5
	s_add_i32 s20, s4, s22
	v_fma_f32 v6, -v67, v19, v6
	s_lshl_b32 s20, s20, 2
	v_fma_f32 v11, -v78, v23, v30
	v_fma_f32 v5, -v73, v52, v5
	v_mov_b32_e32 v23, s20
	s_or_b32 s20, s4, 10
	v_fma_f32 v6, -v68, v42, v6
	s_mul_i32 s23, s20, 0x54
	v_fma_f32 v5, -v76, v58, v5
	ds_load_b128 v[30:33], v23 offset:48
	v_add_lshl_u32 v19, s19, v0, 2
	s_waitcnt lgkmcnt(4)
	v_mul_f32_e32 v18, v26, v18
	v_fma_f32 v6, -v71, v12, v6
	v_fma_f32 v5, -v78, v24, v5
	s_or_b32 s19, s4, 11
	s_waitcnt lgkmcnt(2)
	v_fma_f32 v3, -v65, v7, v3
	v_fma_f32 v11, -v18, v27, v11
	v_mov_b32_e32 v7, s23
	s_lshl_b32 s23, s25, 2
	v_fma_f32 v12, -v73, v53, v6
	v_fma_f32 v3, -v66, v39, v3
	;; [unrolled: 1-line block ×3, first 2 shown]
	ds_load_2addr_b64 v[38:41], v7 offset1:1
	v_mul_f32_e32 v23, v61, v11
	v_mov_b32_e32 v11, s23
	v_fma_f32 v3, -v67, v20, v3
	v_fma_f32 v7, -v18, v28, v5
	s_mul_i32 s23, s19, 0x54
	v_fma_f32 v4, -v66, v47, v4
	ds_load_2addr_b32 v[5:6], v11 offset0:11 offset1:12
	v_fma_f32 v3, -v68, v43, v3
	v_mov_b32_e32 v8, s23
	v_fma_f32 v1, -v65, v9, v1
	v_fma_f32 v2, -v65, v10, v2
	s_mul_i32 s19, s19, 20
	v_fma_f32 v3, -v71, v13, v3
	v_fma_f32 v13, -v23, v62, v7
	;; [unrolled: 1-line block ×6, first 2 shown]
	s_add_i32 s25, s4, s19
	v_fma_f32 v12, -v78, v25, v7
	ds_load_2addr_b32 v[7:8], v8 offset1:1
	s_waitcnt lgkmcnt(2)
	v_mul_f32_e32 v20, v38, v13
	v_fma_f32 v3, -v76, v60, v3
	v_fma_f32 v13, -v67, v21, v4
	v_fma_f32 v12, -v18, v29, v12
	v_fma_f32 v1, -v67, v44, v1
	s_lshl_b32 s25, s25, 2
	v_fma_f32 v3, -v78, v34, v3
	v_fma_f32 v13, -v68, v49, v13
	s_waitcnt lgkmcnt(1)
	v_fma_f32 v12, -v23, v5, v12
	ds_load_2addr_b32 v[4:5], v72 offset0:13 offset1:14
	ds_load_2addr_b32 v[9:10], v11 offset0:13 offset1:14
	ds_load_b32 v21, v11 offset:60
	v_fma_f32 v3, -v18, v30, v3
	s_mul_i32 s20, s20, 20
	v_fma_f32 v12, -v20, v39, v12
	s_add_i32 s23, s4, s20
	s_delay_alu instid0(SALU_CYCLE_1) | instskip(SKIP_1) | instid1(VALU_DEP_1)
	s_lshl_b32 s23, s23, 2
	s_waitcnt lgkmcnt(3)
	v_dual_mov_b32 v25, s23 :: v_dual_mul_f32 v24, v7, v12
	v_fma_f32 v3, -v23, v6, v3
	v_fma_f32 v6, -v71, v14, v13
	;; [unrolled: 1-line block ×3, first 2 shown]
	ds_load_b32 v14, v72 offset:60
	v_fma_f32 v13, -v20, v40, v3
	v_fma_f32 v3, -v73, v55, v6
	;; [unrolled: 1-line block ×4, first 2 shown]
	s_delay_alu instid0(VALU_DEP_4)
	v_fma_f32 v13, -v24, v8, v13
	s_waitcnt lgkmcnt(3)
	v_fma_f32 v11, -v76, v4, v3
	v_fma_f32 v6, -v71, v15, v6
	ds_load_b128 v[1:4], v63 offset:1008
	v_mov_b32_e32 v15, s25
	v_fma_f32 v16, -v71, v16, v7
	v_fma_f32 v11, -v78, v35, v11
	v_fma_f32 v12, -v73, v56, v6
	ds_load_2addr_b32 v[6:7], v15 offset0:13 offset1:14
	v_fma_f32 v16, -v73, v77, v16
	v_fma_f32 v26, -v18, v31, v11
	;; [unrolled: 1-line block ×3, first 2 shown]
	ds_load_b64 v[11:12], v25 offset:56
	s_waitcnt lgkmcnt(5)
	v_fma_f32 v25, -v23, v9, v26
	v_fma_f32 v5, -v78, v36, v5
	ds_load_b64 v[8:9], v63 offset:1176
	s_waitcnt lgkmcnt(4)
	v_fma_f32 v14, -v76, v14, v16
	v_mov_b32_e32 v16, s13
	s_add_i32 s13, s11, 0x104
	v_fma_f32 v5, -v18, v32, v5
	s_waitcnt lgkmcnt(3)
	v_mul_f32_e32 v1, v1, v13
	v_fma_f32 v26, -v78, v37, v14
	ds_load_2addr_b32 v[13:14], v16 offset1:1
	v_fma_f32 v16, -v20, v41, v25
	v_fma_f32 v5, -v23, v10, v5
	s_add_i32 s4, s4, s13
	v_fma_f32 v10, -v18, v33, v26
	s_lshl_b32 s4, s4, 2
	s_waitcnt lgkmcnt(3)
	v_fma_f32 v6, -v24, v6, v16
	v_mov_b32_e32 v16, s4
	s_mul_i32 s4, s10, 0x54
	v_fma_f32 v10, -v23, v21, v10
	s_waitcnt lgkmcnt(2)
	v_fma_f32 v5, -v20, v11, v5
	v_fma_f32 v2, -v1, v2, v6
	v_add_lshl_u32 v11, s18, v0, 2
	s_mul_i32 s10, s10, 20
	v_fma_f32 v6, -v20, v12, v10
	v_mov_b32_e32 v10, s4
	ds_load_b32 v15, v15 offset:60
	v_fma_f32 v5, -v24, v7, v5
	ds_load_b32 v7, v16 offset:60
	v_add_lshl_u32 v12, s21, v0, 2
	s_waitcnt lgkmcnt(2)
	v_mul_f32_e32 v2, v13, v2
	s_add_i32 s4, s11, 0xf0
	v_fma_f32 v3, -v1, v3, v5
	s_addk_i32 s11, 0x118
	s_delay_alu instid0(VALU_DEP_1) | instskip(NEXT) | instid1(VALU_DEP_1)
	v_fma_f32 v3, -v2, v14, v3
	v_mul_f32_e32 v3, v8, v3
	v_add_lshl_u32 v8, s19, v0, 2
	s_waitcnt lgkmcnt(1)
	v_fma_f32 v5, -v24, v15, v6
	ds_load_b32 v6, v10
	v_add_lshl_u32 v10, s24, v0, 2
	ds_store_b32 v17, v65
	ds_store_b32 v64, v66 offset:1600
	ds_store_b32 v74, v67 offset:1600
	;; [unrolled: 1-line block ×6, first 2 shown]
	v_add_lshl_u32 v11, s4, v0, 2
	v_fma_f32 v4, -v1, v4, v5
	v_add_lshl_u32 v5, s22, v0, 2
	s_mov_b32 s4, s12
	ds_store_b32 v12, v78 offset:1600
	v_add_lshl_u32 v12, s11, v0, 2
	s_waitcnt lgkmcnt(9)
	v_fma_f32 v4, -v2, v7, v4
	v_add_lshl_u32 v7, s20, v0, 2
	s_delay_alu instid0(VALU_DEP_2) | instskip(SKIP_2) | instid1(VALU_DEP_2)
	v_fma_f32 v4, -v3, v9, v4
	v_add_lshl_u32 v9, s13, v0, 2
	s_waitcnt lgkmcnt(8)
	v_mul_f32_e32 v4, v6, v4
	v_add_lshl_u32 v6, s10, v0, 2
	ds_store_b32 v5, v18 offset:1600
	ds_store_b32 v10, v23 offset:1600
	;; [unrolled: 1-line block ×8, first 2 shown]
.LBB23_54:
	s_cmp_ge_i32 s4, s15
	s_cbranch_scc1 .LBB23_65
; %bb.55:
	v_lshl_add_u32 v1, v0, 2, 0x640
	s_add_i32 s10, s4, -1
	s_lshl_b32 s11, s4, 2
	s_mov_b32 s12, 0
	s_mov_b32 s13, s4
	s_branch .LBB23_57
.LBB23_56:                              ;   in Loop: Header=BB23_57 Depth=1
	s_mul_i32 s18, s4, 0x54
	v_add_nc_u16 v5, s13, 1
	v_mov_b32_e32 v4, s18
	s_add_i32 s4, s4, 1
	s_add_i32 s12, s12, 1
	;; [unrolled: 1-line block ×3, first 2 shown]
	v_readfirstlane_b32 s13, v5
	ds_load_b32 v4, v4
	v_add_nc_u32_e32 v2, 0x640, v2
	s_cmp_ge_i32 s4, s15
	s_waitcnt lgkmcnt(0)
	v_mul_f32_e32 v3, v4, v3
	ds_store_b32 v2, v3
	s_cbranch_scc1 .LBB23_65
.LBB23_57:                              ; =>This Loop Header: Depth=1
                                        ;     Child Loop BB23_60 Depth 2
                                        ;     Child Loop BB23_64 Depth 2
	s_mul_i32 s18, s4, 20
	s_cmp_eq_u32 s4, 0
	v_add_lshl_u32 v2, s18, v0, 2
	ds_load_b32 v3, v2 offset:1600
	s_cbranch_scc1 .LBB23_56
; %bb.58:                               ;   in Loop: Header=BB23_57 Depth=1
	s_add_i32 s18, s10, s12
	s_delay_alu instid0(SALU_CYCLE_1)
	s_cmp_lt_u32 s18, 7
	s_cbranch_scc1 .LBB23_62
; %bb.59:                               ;   in Loop: Header=BB23_57 Depth=1
	v_mov_b32_e32 v4, v1
	s_and_b32 s18, s4, -8
	s_mov_b32 s19, 0
	s_mov_b32 s20, s11
	s_set_inst_prefetch_distance 0x1
	.p2align	6
.LBB23_60:                              ;   Parent Loop BB23_57 Depth=1
                                        ; =>  This Inner Loop Header: Depth=2
	v_mov_b32_e32 v17, s20
	s_add_i32 s19, s19, 8
	s_addk_i32 s20, 0x280
	s_cmp_lg_u32 s18, s19
	ds_load_2addr_b32 v[5:6], v4 offset1:20
	ds_load_2addr_b32 v[7:8], v17 offset1:20
	ds_load_2addr_b32 v[9:10], v4 offset0:40 offset1:60
	ds_load_2addr_b32 v[11:12], v17 offset0:40 offset1:60
	;; [unrolled: 1-line block ×4, first 2 shown]
	s_waitcnt lgkmcnt(4)
	v_fma_f32 v3, -v5, v7, v3
	s_delay_alu instid0(VALU_DEP_1)
	v_fma_f32 v3, -v6, v8, v3
	ds_load_2addr_b32 v[5:6], v4 offset0:120 offset1:140
	ds_load_2addr_b32 v[7:8], v17 offset0:120 offset1:140
	v_add_nc_u32_e32 v4, 0x280, v4
	s_waitcnt lgkmcnt(4)
	v_fma_f32 v3, -v9, v11, v3
	s_delay_alu instid0(VALU_DEP_1) | instskip(SKIP_1) | instid1(VALU_DEP_1)
	v_fma_f32 v3, -v10, v12, v3
	s_waitcnt lgkmcnt(2)
	v_fma_f32 v3, -v13, v15, v3
	s_delay_alu instid0(VALU_DEP_1) | instskip(SKIP_1) | instid1(VALU_DEP_1)
	v_fma_f32 v3, -v14, v16, v3
	s_waitcnt lgkmcnt(0)
	v_fma_f32 v3, -v5, v7, v3
	s_delay_alu instid0(VALU_DEP_1)
	v_fma_f32 v3, -v6, v8, v3
	s_cbranch_scc1 .LBB23_60
; %bb.61:                               ;   in Loop: Header=BB23_57 Depth=1
	s_set_inst_prefetch_distance 0x2
	s_and_b32 s19, s4, 7
	s_delay_alu instid0(SALU_CYCLE_1)
	s_cmp_eq_u32 s19, 0
	s_cbranch_scc0 .LBB23_63
	s_branch .LBB23_56
.LBB23_62:                              ;   in Loop: Header=BB23_57 Depth=1
	s_mov_b32 s18, 0
	s_and_b32 s19, s4, 7
	s_delay_alu instid0(SALU_CYCLE_1)
	s_cmp_eq_u32 s19, 0
	s_cbranch_scc1 .LBB23_56
.LBB23_63:                              ;   in Loop: Header=BB23_57 Depth=1
	s_and_b32 s19, s13, 7
	s_mulk_i32 s18, 0x50
.LBB23_64:                              ;   Parent Loop BB23_57 Depth=1
                                        ; =>  This Inner Loop Header: Depth=2
	s_delay_alu instid0(SALU_CYCLE_1) | instskip(NEXT) | instid1(SALU_CYCLE_1)
	s_add_i32 s20, s11, s18
	v_dual_mov_b32 v5, s20 :: v_dual_add_nc_u32 v4, s18, v1
	s_add_i32 s19, s19, -1
	s_addk_i32 s18, 0x50
	s_cmp_lg_u32 s19, 0
	ds_load_b32 v4, v4
	ds_load_b32 v5, v5
	s_waitcnt lgkmcnt(0)
	v_fma_f32 v3, -v4, v5, v3
	s_cbranch_scc1 .LBB23_64
	s_branch .LBB23_56
.LBB23_65:
	s_waitcnt vmcnt(0) lgkmcnt(0)
	s_waitcnt_vscnt null, 0x0
	; wave barrier
	s_waitcnt lgkmcnt(0)
	buffer_gl0_inv
	s_and_saveexec_b32 s4, s14
	s_cbranch_execz .LBB23_72
; %bb.66:
	s_cmp_lt_i32 s6, 8
	s_mov_b32 s4, 0
	s_cbranch_scc1 .LBB23_69
; %bb.67:
	v_mad_i64_i32 v[1:2], null, s16, v0, 0
	v_lshl_add_u32 v3, v0, 2, 0x640
	s_lshl_b32 s4, s15, 2
	s_delay_alu instid0(VALU_DEP_2) | instskip(NEXT) | instid1(VALU_DEP_1)
	v_lshlrev_b64 v[1:2], 2, v[1:2]
	v_add_co_u32 v1, vcc_lo, s5, v1
	s_delay_alu instid0(VALU_DEP_2)
	v_add_co_ci_u32_e32 v2, vcc_lo, s7, v2, vcc_lo
	s_and_b32 s5, s4, 0x60
	s_mov_b32 s4, 0
	s_mov_b64 s[6:7], 0
	.p2align	6
.LBB23_68:                              ; =>This Inner Loop Header: Depth=1
	ds_load_2addr_b32 v[4:5], v3 offset1:20
	ds_load_2addr_b32 v[6:7], v3 offset0:40 offset1:60
	ds_load_2addr_b32 v[8:9], v3 offset0:80 offset1:100
	;; [unrolled: 1-line block ×3, first 2 shown]
	v_add_co_u32 v12, vcc_lo, v1, s6
	v_add_co_ci_u32_e32 v13, vcc_lo, s7, v2, vcc_lo
	s_add_i32 s4, s4, 8
	v_add_nc_u32_e32 v3, 0x280, v3
	s_add_u32 s6, s6, 32
	s_addc_u32 s7, s7, 0
	s_cmp_lg_u32 s5, s6
	s_waitcnt lgkmcnt(2)
	global_store_b128 v[12:13], v[4:7], off
	s_waitcnt lgkmcnt(0)
	global_store_b128 v[12:13], v[8:11], off offset:16
	s_cbranch_scc1 .LBB23_68
.LBB23_69:
	s_and_b32 s6, s15, 7
	s_mov_b32 s5, 0
	s_cmp_eq_u32 s6, 0
	s_cbranch_scc1 .LBB23_72
; %bb.70:
	v_lshlrev_b32_e32 v2, 2, v0
	s_lshl_b64 s[8:9], s[8:9], 2
	s_lshl_b64 s[10:11], s[4:5], 2
	s_delay_alu instid0(SALU_CYCLE_1) | instskip(NEXT) | instid1(VALU_DEP_1)
	s_add_u32 s2, s2, s10
	v_add_co_u32 v3, s5, s8, v2
	s_delay_alu instid0(VALU_DEP_1) | instskip(SKIP_3) | instid1(VALU_DEP_1)
	v_add_co_ci_u32_e64 v4, null, s9, 0, s5
	s_addc_u32 s3, s3, s11
	s_add_u32 s0, s2, s0
	s_addc_u32 s1, s3, s1
	v_mul_lo_u32 v4, v4, s16
	v_mad_u64_u32 v[0:1], null, v3, s16, s[0:1]
	v_mul_lo_u32 v3, v3, s17
	s_mul_i32 s0, s4, 0x50
	s_delay_alu instid0(SALU_CYCLE_1) | instskip(NEXT) | instid1(VALU_DEP_2)
	v_add3_u32 v2, s0, v2, 0x640
	v_add3_u32 v1, v4, v1, v3
.LBB23_71:                              ; =>This Inner Loop Header: Depth=1
	ds_load_b32 v3, v2
	v_add_nc_u32_e32 v2, 0x50, v2
	s_add_i32 s6, s6, -1
	s_delay_alu instid0(SALU_CYCLE_1)
	s_cmp_lg_u32 s6, 0
	s_waitcnt lgkmcnt(0)
	global_store_b32 v[0:1], v3, off
	v_add_co_u32 v0, vcc_lo, v0, 4
	v_add_co_ci_u32_e32 v1, vcc_lo, 0, v1, vcc_lo
	s_cbranch_scc1 .LBB23_71
.LBB23_72:
	s_nop 0
	s_sendmsg sendmsg(MSG_DEALLOC_VGPRS)
	s_endpgm
	.section	.rodata,"a",@progbits
	.p2align	6, 0x0
	.amdhsa_kernel _ZL38rocblas_trsm_small_left_device_sharedBILi20ELi20ELb1EffPKPKfPKPfEv13rocblas_fill_18rocblas_operation_17rocblas_diagonal_iiT3_T4_lilT5_lili
		.amdhsa_group_segment_fixed_size 3200
		.amdhsa_private_segment_fixed_size 0
		.amdhsa_kernarg_size 352
		.amdhsa_user_sgpr_count 14
		.amdhsa_user_sgpr_dispatch_ptr 0
		.amdhsa_user_sgpr_queue_ptr 0
		.amdhsa_user_sgpr_kernarg_segment_ptr 1
		.amdhsa_user_sgpr_dispatch_id 0
		.amdhsa_user_sgpr_private_segment_size 0
		.amdhsa_wavefront_size32 1
		.amdhsa_uses_dynamic_stack 0
		.amdhsa_enable_private_segment 0
		.amdhsa_system_sgpr_workgroup_id_x 1
		.amdhsa_system_sgpr_workgroup_id_y 0
		.amdhsa_system_sgpr_workgroup_id_z 1
		.amdhsa_system_sgpr_workgroup_info 0
		.amdhsa_system_vgpr_workitem_id 0
		.amdhsa_next_free_vgpr 96
		.amdhsa_next_free_sgpr 34
		.amdhsa_reserve_vcc 1
		.amdhsa_float_round_mode_32 0
		.amdhsa_float_round_mode_16_64 0
		.amdhsa_float_denorm_mode_32 3
		.amdhsa_float_denorm_mode_16_64 3
		.amdhsa_dx10_clamp 1
		.amdhsa_ieee_mode 1
		.amdhsa_fp16_overflow 0
		.amdhsa_workgroup_processor_mode 1
		.amdhsa_memory_ordered 1
		.amdhsa_forward_progress 0
		.amdhsa_shared_vgpr_count 0
		.amdhsa_exception_fp_ieee_invalid_op 0
		.amdhsa_exception_fp_denorm_src 0
		.amdhsa_exception_fp_ieee_div_zero 0
		.amdhsa_exception_fp_ieee_overflow 0
		.amdhsa_exception_fp_ieee_underflow 0
		.amdhsa_exception_fp_ieee_inexact 0
		.amdhsa_exception_int_div_zero 0
	.end_amdhsa_kernel
	.section	.text._ZL38rocblas_trsm_small_left_device_sharedBILi20ELi20ELb1EffPKPKfPKPfEv13rocblas_fill_18rocblas_operation_17rocblas_diagonal_iiT3_T4_lilT5_lili,"axG",@progbits,_ZL38rocblas_trsm_small_left_device_sharedBILi20ELi20ELb1EffPKPKfPKPfEv13rocblas_fill_18rocblas_operation_17rocblas_diagonal_iiT3_T4_lilT5_lili,comdat
.Lfunc_end23:
	.size	_ZL38rocblas_trsm_small_left_device_sharedBILi20ELi20ELb1EffPKPKfPKPfEv13rocblas_fill_18rocblas_operation_17rocblas_diagonal_iiT3_T4_lilT5_lili, .Lfunc_end23-_ZL38rocblas_trsm_small_left_device_sharedBILi20ELi20ELb1EffPKPKfPKPfEv13rocblas_fill_18rocblas_operation_17rocblas_diagonal_iiT3_T4_lilT5_lili
                                        ; -- End function
	.section	.AMDGPU.csdata,"",@progbits
; Kernel info:
; codeLenInByte = 16760
; NumSgprs: 36
; NumVgprs: 96
; ScratchSize: 0
; MemoryBound: 0
; FloatMode: 240
; IeeeMode: 1
; LDSByteSize: 3200 bytes/workgroup (compile time only)
; SGPRBlocks: 4
; VGPRBlocks: 11
; NumSGPRsForWavesPerEU: 36
; NumVGPRsForWavesPerEU: 96
; Occupancy: 10
; WaveLimiterHint : 1
; COMPUTE_PGM_RSRC2:SCRATCH_EN: 0
; COMPUTE_PGM_RSRC2:USER_SGPR: 14
; COMPUTE_PGM_RSRC2:TRAP_HANDLER: 0
; COMPUTE_PGM_RSRC2:TGID_X_EN: 1
; COMPUTE_PGM_RSRC2:TGID_Y_EN: 0
; COMPUTE_PGM_RSRC2:TGID_Z_EN: 1
; COMPUTE_PGM_RSRC2:TIDIG_COMP_CNT: 0
	.section	.text._ZL30rocblas_trsm_small_left_deviceILi20ELi20ELb1EffPKPKfPKPfEv13rocblas_fill_18rocblas_operation_17rocblas_diagonal_iiT3_T4_lilT5_lili,"axG",@progbits,_ZL30rocblas_trsm_small_left_deviceILi20ELi20ELb1EffPKPKfPKPfEv13rocblas_fill_18rocblas_operation_17rocblas_diagonal_iiT3_T4_lilT5_lili,comdat
	.globl	_ZL30rocblas_trsm_small_left_deviceILi20ELi20ELb1EffPKPKfPKPfEv13rocblas_fill_18rocblas_operation_17rocblas_diagonal_iiT3_T4_lilT5_lili ; -- Begin function _ZL30rocblas_trsm_small_left_deviceILi20ELi20ELb1EffPKPKfPKPfEv13rocblas_fill_18rocblas_operation_17rocblas_diagonal_iiT3_T4_lilT5_lili
	.p2align	8
	.type	_ZL30rocblas_trsm_small_left_deviceILi20ELi20ELb1EffPKPKfPKPfEv13rocblas_fill_18rocblas_operation_17rocblas_diagonal_iiT3_T4_lilT5_lili,@function
_ZL30rocblas_trsm_small_left_deviceILi20ELi20ELb1EffPKPKfPKPfEv13rocblas_fill_18rocblas_operation_17rocblas_diagonal_iiT3_T4_lilT5_lili: ; @_ZL30rocblas_trsm_small_left_deviceILi20ELi20ELb1EffPKPKfPKPfEv13rocblas_fill_18rocblas_operation_17rocblas_diagonal_iiT3_T4_lilT5_lili
; %bb.0:
	s_clause 0x1
	s_load_b128 s[8:11], s[0:1], 0x38
	s_load_b128 s[4:7], s[0:1], 0x4
	s_mov_b32 s2, s15
	s_mov_b32 s3, 0
	s_mov_b32 s13, exec_lo
	s_lshl_b64 s[22:23], s[2:3], 3
	s_waitcnt lgkmcnt(0)
	s_add_u32 s8, s8, s22
	s_addc_u32 s9, s9, s23
	s_load_b32 s15, s[0:1], 0x14
	s_load_b64 s[8:9], s[8:9], 0x0
	s_min_i32 s2, s6, 20
	s_delay_alu instid0(SALU_CYCLE_1)
	s_add_i32 s12, s2, -1
	v_cmpx_gt_i32_e64 s2, v0
	s_cbranch_execz .LBB24_10
; %bb.1:
	s_clause 0x1
	s_load_b32 s20, s[0:1], 0x28
	s_load_b128 s[16:19], s[0:1], 0x18
	v_lshlrev_b32_e32 v3, 2, v0
	s_waitcnt lgkmcnt(0)
	s_ashr_i32 s21, s20, 31
	s_add_u32 s16, s16, s22
	s_addc_u32 s17, s17, s23
	s_cmp_lt_u32 s12, 3
	s_load_b64 s[16:17], s[16:17], 0x0
	s_cbranch_scc1 .LBB24_4
; %bb.2:
	s_lshl_b64 s[22:23], s[18:19], 2
	v_mov_b32_e32 v4, v3
	s_waitcnt lgkmcnt(0)
	s_add_u32 s3, s16, s22
	s_addc_u32 s22, s17, s23
	v_add_co_u32 v1, s3, s3, v3
	s_delay_alu instid0(VALU_DEP_1)
	v_add_co_ci_u32_e64 v2, null, s22, 0, s3
	s_and_b32 s3, s2, -4
	s_mul_hi_i32 s28, s20, 12
	s_mul_i32 s29, s20, 12
	s_lshl_b64 s[22:23], s[20:21], 4
	s_lshl_b64 s[24:25], s[20:21], 3
	;; [unrolled: 1-line block ×3, first 2 shown]
	s_mov_b32 s30, 0
	.p2align	6
.LBB24_3:                               ; =>This Inner Loop Header: Depth=1
	v_add_co_u32 v5, vcc_lo, v1, s26
	v_add_co_ci_u32_e32 v6, vcc_lo, s27, v2, vcc_lo
	v_add_co_u32 v7, vcc_lo, v1, s24
	v_add_co_ci_u32_e32 v8, vcc_lo, s25, v2, vcc_lo
	;; [unrolled: 2-line block ×3, first 2 shown]
	s_clause 0x3
	global_load_b32 v11, v[1:2], off
	global_load_b32 v5, v[5:6], off
	;; [unrolled: 1-line block ×4, first 2 shown]
	v_add_co_u32 v1, vcc_lo, v1, s22
	v_add_co_ci_u32_e32 v2, vcc_lo, s23, v2, vcc_lo
	s_add_i32 s30, s30, 4
	s_waitcnt vmcnt(2)
	ds_store_2addr_b32 v4, v11, v5 offset1:20
	s_waitcnt vmcnt(0)
	ds_store_2addr_b32 v4, v6, v7 offset0:40 offset1:60
	v_add_nc_u32_e32 v4, 0x140, v4
	s_cmp_eq_u32 s3, s30
	s_cbranch_scc0 .LBB24_3
.LBB24_4:
	s_and_b32 s22, s2, 3
	s_delay_alu instid0(SALU_CYCLE_1)
	s_cmp_eq_u32 s22, 0
	s_cbranch_scc1 .LBB24_7
; %bb.5:
	s_mul_i32 s23, s21, s3
	s_mul_hi_u32 s24, s20, s3
	s_lshl_b64 s[18:19], s[18:19], 2
	s_add_i32 s25, s24, s23
	s_mul_i32 s24, s20, s3
	s_mulk_i32 s3, 0x50
	s_lshl_b64 s[24:25], s[24:25], 2
	v_lshl_add_u32 v4, v0, 2, s3
	s_add_u32 s3, s24, s18
	s_addc_u32 s18, s25, s19
	s_waitcnt lgkmcnt(0)
	s_add_u32 s3, s16, s3
	s_addc_u32 s16, s17, s18
	v_add_co_u32 v1, s3, s3, v3
	s_delay_alu instid0(VALU_DEP_1)
	v_add_co_ci_u32_e64 v2, null, s16, 0, s3
	s_lshl_b64 s[16:17], s[20:21], 2
.LBB24_6:                               ; =>This Inner Loop Header: Depth=1
	global_load_b32 v3, v[1:2], off
	v_add_co_u32 v1, vcc_lo, v1, s16
	v_add_co_ci_u32_e32 v2, vcc_lo, s17, v2, vcc_lo
	s_add_i32 s22, s22, -1
	s_delay_alu instid0(SALU_CYCLE_1)
	s_cmp_lg_u32 s22, 0
	s_waitcnt vmcnt(0)
	ds_store_b32 v4, v3
	v_add_nc_u32_e32 v4, 0x50, v4
	s_cbranch_scc1 .LBB24_6
.LBB24_7:
	v_mul_u32_u24_e32 v1, 21, v0
	s_cmpk_lg_i32 s5, 0x84
	s_delay_alu instid0(VALU_DEP_1)
	v_dual_mov_b32 v2, 1.0 :: v_dual_lshlrev_b32 v1, 2, v1
	s_cbranch_scc0 .LBB24_9
; %bb.8:
	ds_load_b32 v2, v1
	s_waitcnt lgkmcnt(0)
	v_div_scale_f32 v3, null, v2, v2, 1.0
	s_delay_alu instid0(VALU_DEP_1) | instskip(SKIP_2) | instid1(VALU_DEP_1)
	v_rcp_f32_e32 v4, v3
	s_waitcnt_depctr 0xfff
	v_fma_f32 v5, -v3, v4, 1.0
	v_fmac_f32_e32 v4, v5, v4
	v_div_scale_f32 v5, vcc_lo, 1.0, v2, 1.0
	s_delay_alu instid0(VALU_DEP_1) | instskip(NEXT) | instid1(VALU_DEP_1)
	v_mul_f32_e32 v6, v5, v4
	v_fma_f32 v7, -v3, v6, v5
	s_delay_alu instid0(VALU_DEP_1) | instskip(NEXT) | instid1(VALU_DEP_1)
	v_fmac_f32_e32 v6, v7, v4
	v_fma_f32 v3, -v3, v6, v5
	s_delay_alu instid0(VALU_DEP_1) | instskip(NEXT) | instid1(VALU_DEP_1)
	v_div_fmas_f32 v3, v3, v4, v6
	v_div_fixup_f32 v2, v3, v2, 1.0
.LBB24_9:
	ds_store_b32 v1, v2
.LBB24_10:
	s_or_b32 exec_lo, exec_lo, s13
	s_load_b32 s3, s[0:1], 0x60
	s_mul_i32 s5, s14, 0xffffffec
	s_waitcnt lgkmcnt(0)
	s_add_i32 s5, s5, s7
	; wave barrier
	buffer_gl0_inv
	s_add_i32 s3, s3, -1
	s_delay_alu instid0(SALU_CYCLE_1) | instskip(SKIP_1) | instid1(SALU_CYCLE_1)
	s_cmp_ge_u32 s14, s3
	s_cselect_b32 s3, s5, 20
	v_cmp_gt_i32_e32 vcc_lo, s3, v0
	s_mov_b32 s3, -1
	s_and_saveexec_b32 s5, vcc_lo
	s_cbranch_execz .LBB24_57
; %bb.11:
	s_load_b32 s0, s[0:1], 0x48
	v_mad_u64_u32 v[1:2], null, s14, 20, v[0:1]
	s_waitcnt lgkmcnt(0)
	s_delay_alu instid0(VALU_DEP_1) | instskip(SKIP_1) | instid1(SALU_CYCLE_1)
	v_mad_i64_i32 v[2:3], null, s0, v1, 0
	s_lshl_b64 s[0:1], s[10:11], 2
	s_add_u32 s5, s8, s0
	s_addc_u32 s7, s9, s1
	s_cmpk_eq_i32 s4, 0x6f
	s_delay_alu instid0(VALU_DEP_1) | instskip(NEXT) | instid1(VALU_DEP_1)
	v_lshlrev_b64 v[21:22], 2, v[2:3]
	v_add_co_u32 v19, vcc_lo, s5, v21
	s_delay_alu instid0(VALU_DEP_2)
	v_add_co_ci_u32_e32 v20, vcc_lo, s7, v22, vcc_lo
	s_cbranch_scc1 .LBB24_34
; %bb.12:
	s_cmp_gt_i32 s6, 19
	s_mov_b32 s4, s12
	s_cbranch_scc0 .LBB24_14
; %bb.13:
	s_ashr_i32 s13, s12, 31
	s_mov_b32 s3, 0
	s_lshl_b64 s[4:5], s[12:13], 2
	s_mul_i32 s18, s12, 0x54
	v_add_co_u32 v23, vcc_lo, v19, s4
	v_add_co_ci_u32_e32 v24, vcc_lo, s5, v20, vcc_lo
	s_lshl_b64 s[4:5], s[2:3], 2
	s_add_i32 s7, s18, 0xffffff58
	v_add_co_u32 v0, vcc_lo, v19, s4
	global_load_b32 v25, v[23:24], off
	v_add_co_ci_u32_e32 v1, vcc_lo, s5, v20, vcc_lo
	s_clause 0x4
	global_load_b128 v[12:15], v[0:1], off offset:-32
	global_load_b128 v[8:11], v[0:1], off offset:-48
	global_load_b96 v[16:18], v[0:1], off offset:-16
	global_load_b128 v[4:7], v[0:1], off offset:-64
	global_load_b128 v[0:3], v[0:1], off offset:-80
	s_mul_i32 s5, s2, 20
	s_add_i32 s4, s18, 0xffffffac
	s_add_i32 s5, s5, s12
	v_dual_mov_b32 v26, s18 :: v_dual_mov_b32 v27, s4
	s_add_i32 s10, s18, 0xffffff04
	s_add_i32 s11, s18, 0xfffffeb0
	;; [unrolled: 1-line block ×6, first 2 shown]
	s_addk_i32 s18, 0xfd0c
	s_lshl_b32 s4, s5, 2
	s_mul_i32 s3, s2, 0x54
	v_dual_mov_b32 v32, s10 :: v_dual_mov_b32 v79, s18
	s_add_i32 s18, s4, 0xfffffdc4
	s_add_i32 s21, s3, 0xfffffc10
	;; [unrolled: 1-line block ×5, first 2 shown]
	v_mov_b32_e32 v74, s18
	s_add_i32 s19, s3, 0xfffffc64
	s_add_i32 s23, s3, 0xfffffbbc
	v_dual_mov_b32 v28, s7 :: v_dual_mov_b32 v77, s16
	v_dual_mov_b32 v36, s11 :: v_dual_mov_b32 v29, s5
	s_add_i32 s7, s4, 0xfffffebc
	s_add_i32 s10, s4, 0xfffffe70
	s_add_i32 s11, s4, 0xfffffe68
	s_delay_alu instid0(SALU_CYCLE_1) | instskip(SKIP_2) | instid1(SALU_CYCLE_1)
	v_dual_mov_b32 v42, s13 :: v_dual_mov_b32 v35, s11
	s_add_i32 s13, s4, 0xfffffe1c
	s_add_i32 s16, s4, 0xfffffdd0
	v_dual_mov_b32 v76, s14 :: v_dual_mov_b32 v45, s16
	s_add_i32 s14, s4, 0xfffffe14
	s_add_i32 s31, s4, 0xfffffce0
	;; [unrolled: 1-line block ×4, first 2 shown]
	s_delay_alu instid0(SALU_CYCLE_1) | instskip(SKIP_1) | instid1(SALU_CYCLE_1)
	v_dual_mov_b32 v70, s26 :: v_dual_mov_b32 v55, s42
	s_add_i32 s26, s4, 0xfffffd30
	v_dual_mov_b32 v54, s21 :: v_dual_mov_b32 v47, s26
	s_add_i32 s21, s4, 0xfffffd80
	s_add_i32 s38, s4, 0xfffffc3c
	;; [unrolled: 1-line block ×3, first 2 shown]
	s_delay_alu instid0(SALU_CYCLE_1)
	v_dual_mov_b32 v68, s24 :: v_dual_mov_b32 v51, s39
	s_add_i32 s24, s4, 0xfffffd70
	s_add_i32 s40, s4, 0xfffffc2c
	;; [unrolled: 1-line block ×6, first 2 shown]
	v_dual_mov_b32 v44, s19 :: v_dual_mov_b32 v73, s24
	v_dual_mov_b32 v58, s23 :: v_dual_mov_b32 v49, s37
	;; [unrolled: 1-line block ×6, first 2 shown]
	v_mov_b32_e32 v46, s21
	v_mov_b32_e32 v48, s31
	;; [unrolled: 1-line block ×4, first 2 shown]
	ds_load_b32 v59, v26
	ds_load_2addr_b32 v[26:27], v27 offset1:1
	ds_load_b32 v84, v29
	ds_load_2addr_b32 v[28:29], v28 offset1:1
	ds_load_2addr_b32 v[30:31], v30 offset1:1
	;; [unrolled: 1-line block ×3, first 2 shown]
	ds_load_b32 v69, v34
	ds_load_2addr_b32 v[34:35], v35 offset1:1
	ds_load_2addr_b32 v[36:37], v36 offset1:1
	;; [unrolled: 1-line block ×5, first 2 shown]
	ds_load_b32 v85, v45
	ds_load_b32 v86, v46
	;; [unrolled: 1-line block ×6, first 2 shown]
	ds_load_2addr_b32 v[44:45], v50 offset1:1
	ds_load_2addr_b32 v[46:47], v51 offset1:1
	;; [unrolled: 1-line block ×3, first 2 shown]
	s_add_i32 s49, s4, 0xfffffb9c
	s_add_i32 s25, s3, 0xfffffb14
	;; [unrolled: 1-line block ×3, first 2 shown]
	s_delay_alu instid0(SALU_CYCLE_1)
	v_dual_mov_b32 v64, s25 :: v_dual_mov_b32 v53, s41
	s_add_i32 s43, s4, 0xfffffbf0
	s_add_i32 s50, s4, 0xfffffb94
	s_add_i32 s54, s4, 0xfffffafc
	s_add_i32 s23, s4, 0xfffffd78
	s_add_i32 s52, s4, 0xfffffb48
	s_add_i32 s55, s4, 0xfffffaf4
	s_add_i32 s27, s4, 0xfffffd2c
	s_add_i32 s45, s4, 0xfffffbe0
	s_add_i32 s46, s4, 0xfffffbd8
	s_add_i32 s57, s4, 0xfffffab0
	s_add_i32 s33, s4, 0xfffffcd8
	s_add_i32 s59, s4, 0xfffffaa0
	s_add_i32 s30, s4, 0xfffffd14
	s_add_i32 s44, s4, 0xfffffbe8
	s_add_i32 s25, s4, 0xfffffd68
	s_add_i32 s58, s4, 0xfffffaa8
	s_add_i32 s34, s4, 0xfffffcd0
	s_add_i32 s35, s4, 0xfffffcc8
	s_add_i32 s36, s4, 0xfffffcc0
	s_add_i32 s19, s4, 0xfffffdbc
	s_add_i32 s10, s4, 0xfffffc74
	v_mov_b32_e32 v78, s17
	s_add_i32 s17, s4, 0xfffffdcc
	s_add_i32 s47, s4, 0xfffffbd0
	v_mov_b32_e32 v71, s17
	s_add_i32 s22, s3, 0xfffffa18
	s_add_i32 s28, s4, 0xfffffd24
	;; [unrolled: 1-line block ×19, first 2 shown]
	v_mov_b32_e32 v95, s58
	v_mov_b32_e32 v93, s46
	;; [unrolled: 1-line block ×4, first 2 shown]
	s_waitcnt vmcnt(5)
	v_mul_f32_e32 v25, s15, v25
	s_waitcnt lgkmcnt(20)
	s_delay_alu instid0(VALU_DEP_1) | instskip(SKIP_1) | instid1(VALU_DEP_1)
	v_mul_f32_e32 v92, v59, v25
	s_waitcnt lgkmcnt(19)
	v_dual_mov_b32 v60, s49 :: v_dual_mul_f32 v27, v92, v27
	s_waitcnt vmcnt(2)
	s_delay_alu instid0(VALU_DEP_1) | instskip(NEXT) | instid1(VALU_DEP_1)
	v_fma_f32 v18, v18, s15, -v27
	v_dual_mul_f32 v27, v26, v18 :: v_dual_mov_b32 v56, s43
	s_waitcnt lgkmcnt(2)
	v_mul_f32_e32 v45, v92, v45
	ds_load_2addr_b32 v[50:51], v53 offset1:1
	ds_load_2addr_b32 v[52:53], v55 offset1:1
	;; [unrolled: 1-line block ×3, first 2 shown]
	ds_load_b32 v91, v56
	v_mov_b32_e32 v62, s50
	v_mov_b32_e32 v66, s54
	ds_load_2addr_b32 v[56:57], v57 offset1:1
	ds_load_2addr_b32 v[58:59], v58 offset1:1
	;; [unrolled: 1-line block ×6, first 2 shown]
	v_mul_f32_e32 v25, v92, v69
	ds_load_2addr_b32 v[68:69], v68 offset1:1
	ds_load_b32 v75, v75
	v_dual_mov_b32 v72, s23 :: v_dual_mul_f32 v39, v92, v39
	v_mov_b32_e32 v80, s52
	v_dual_mov_b32 v82, s55 :: v_dual_mul_f32 v85, v92, v85
	v_mul_f32_e32 v86, v92, v86
	v_mul_f32_e32 v87, v92, v87
	;; [unrolled: 1-line block ×4, first 2 shown]
	v_fma_f32 v25, v15, s15, -v25
	v_fma_f32 v39, v14, s15, -v39
	;; [unrolled: 1-line block ×5, first 2 shown]
	s_waitcnt lgkmcnt(5)
	v_mul_f32_e32 v61, v92, v61
	ds_load_2addr_b32 v[12:13], v80 offset1:1
	ds_load_2addr_b32 v[14:15], v81 offset1:1
	v_fma_f32 v80, v11, s15, -v87
	v_fma_f32 v87, v9, s15, -v89
	v_mov_b32_e32 v89, s45
	v_fma_f32 v81, v10, s15, -v88
	s_waitcnt lgkmcnt(4)
	v_mul_f32_e32 v67, v92, v67
	ds_load_2addr_b32 v[8:9], v82 offset1:1
	ds_load_2addr_b32 v[10:11], v83 offset1:1
	v_mul_f32_e32 v82, v92, v84
	v_mul_f32_e32 v83, v92, v91
	s_waitcnt lgkmcnt(4)
	v_mul_f32_e32 v75, v92, v75
	s_waitcnt vmcnt(1)
	v_fma_f32 v67, v4, s15, -v67
	v_mul_f32_e32 v4, v92, v31
	v_fma_f32 v17, v17, s15, -v82
	v_fma_f32 v82, v7, s15, -v83
	;; [unrolled: 1-line block ×4, first 2 shown]
	v_mov_b32_e32 v6, s33
	v_fma_f32 v7, -v27, v29, v17
	v_mov_b32_e32 v29, s57
	v_fma_f32 v16, v16, s15, -v4
	ds_load_2addr_b32 v[4:5], v72 offset1:1
	v_fma_f32 v25, -v27, v35, v25
	v_mul_f32_e32 v26, v28, v7
	ds_load_2addr_b32 v[6:7], v6 offset1:1
	v_mov_b32_e32 v28, s44
	v_fma_f32 v91, -v27, v30, v16
	ds_load_2addr_b32 v[16:17], v70 offset1:1
	ds_load_b32 v70, v29
	v_mov_b32_e32 v18, s25
	v_fma_f32 v94, -v27, v38, v39
	ds_load_2addr_b32 v[28:29], v28 offset1:1
	ds_load_2addr_b32 v[30:31], v73 offset1:1
	;; [unrolled: 1-line block ×3, first 2 shown]
	v_fma_f32 v18, -v26, v34, v25
	v_fma_f32 v25, -v26, v33, v91
	v_mov_b32_e32 v84, s34
	v_mov_b32_e32 v88, s35
	;; [unrolled: 1-line block ×3, first 2 shown]
	v_fma_f32 v96, -v27, v44, v45
	v_fma_f32 v98, -v27, v60, v61
	v_mul_f32_e32 v25, v32, v25
	s_waitcnt lgkmcnt(6)
	v_fma_f32 v5, -v27, v5, v86
	ds_load_2addr_b32 v[34:35], v84 offset1:1
	ds_load_2addr_b32 v[44:45], v88 offset1:1
	;; [unrolled: 1-line block ×3, first 2 shown]
	ds_load_b32 v84, v71
	s_waitcnt lgkmcnt(9)
	v_fma_f32 v7, -v27, v7, v81
	v_mov_b32_e32 v83, s27
	v_fma_f32 v81, -v26, v4, v5
	ds_load_2addr_b32 v[4:5], v95 offset1:1
	v_fma_f32 v99, -v27, v66, v67
	ds_load_2addr_b32 v[66:67], v97 offset1:1
	v_fma_f32 v7, -v26, v6, v7
	s_waitcnt lgkmcnt(9)
	v_mul_f32_e32 v6, v92, v70
	s_waitcnt lgkmcnt(8)
	v_fma_f32 v29, -v27, v29, v82
	v_mov_b32_e32 v72, s47
	ds_load_2addr_b32 v[32:33], v89 offset1:1
	ds_load_2addr_b32 v[70:71], v93 offset1:1
	;; [unrolled: 1-line block ×3, first 2 shown]
	s_waitcnt vmcnt(0)
	v_fma_f32 v3, v3, s15, -v6
	v_mov_b32_e32 v82, s28
	ds_load_b32 v83, v83
	v_fma_f32 v6, -v27, v13, v75
	v_fma_f32 v18, -v25, v37, v18
	s_waitcnt lgkmcnt(11)
	v_fma_f32 v31, -v25, v31, v81
	s_waitcnt lgkmcnt(6)
	v_fma_f32 v84, -v27, v84, v85
	v_mov_b32_e32 v81, s16
	v_mov_b32_e32 v89, s18
	v_fma_f32 v7, -v25, v35, v7
	s_waitcnt lgkmcnt(5)
	v_fma_f32 v3, -v27, v5, v3
	v_mov_b32_e32 v5, s19
	s_add_i32 s23, s4, 0xfffffa98
	s_add_i32 s27, s4, 0xfffffa78
	v_mov_b32_e32 v95, s23
	v_fma_f32 v88, -v26, v4, v3
	ds_load_2addr_b32 v[3:4], v5 offset1:1
	v_fma_f32 v5, -v26, v41, v94
	v_mov_b32_e32 v41, s30
	v_fma_f32 v86, -v26, v28, v29
	ds_load_2addr_b32 v[28:29], v74 offset1:1
	ds_load_2addr_b32 v[74:75], v82 offset1:1
	v_fma_f32 v82, -v26, v12, v6
	v_mov_b32_e32 v12, s5
	v_mov_b32_e32 v6, s29
	v_fma_f32 v63, -v26, v63, v98
	v_fma_f32 v5, -v25, v40, v5
	s_waitcnt lgkmcnt(3)
	v_fma_f32 v37, -v27, v83, v80
	ds_load_b32 v85, v12
	s_add_i32 s5, s4, 0xfffffc7c
	v_fma_f32 v62, -v25, v62, v63
	v_mov_b32_e32 v63, s13
	ds_load_2addr_b32 v[12:13], v6 offset1:1
	ds_load_2addr_b32 v[40:41], v41 offset1:1
	v_mul_f32_e32 v6, v36, v18
	v_mov_b32_e32 v36, s5
	v_fma_f32 v9, -v26, v9, v99
	v_fma_f32 v47, -v26, v47, v96
	;; [unrolled: 1-line block ×4, first 2 shown]
	v_mov_b32_e32 v43, s10
	s_waitcnt lgkmcnt(4)
	v_fma_f32 v29, -v26, v29, v84
	s_waitcnt lgkmcnt(3)
	v_fma_f32 v18, -v26, v75, v37
	v_fma_f32 v30, -v6, v30, v31
	v_mul_f32_e32 v5, v42, v5
	v_fma_f32 v31, -v25, v33, v86
	v_fma_f32 v75, -v25, v28, v29
	v_mov_b32_e32 v28, s7
	s_add_i32 s7, s4, 0xfffffb8c
	s_waitcnt lgkmcnt(2)
	v_fma_f32 v80, -v27, v85, v87
	v_mov_b32_e32 v87, s17
	ds_load_2addr_b32 v[28:29], v28 offset1:1
	ds_load_2addr_b32 v[36:37], v36 offset1:1
	;; [unrolled: 1-line block ×3, first 2 shown]
	v_fma_f32 v18, -v25, v74, v18
	v_fma_f32 v9, -v25, v8, v9
	;; [unrolled: 1-line block ×4, first 2 shown]
	ds_load_b32 v32, v76
	s_add_i32 s10, s4, 0xfffffb84
	v_fma_f32 v46, -v25, v46, v47
	v_mov_b32_e32 v47, s10
	v_fma_f32 v94, -v6, v14, v15
	v_fma_f32 v4, -v6, v4, v75
	s_waitcnt lgkmcnt(5)
	v_fma_f32 v13, -v6, v13, v18
	v_dual_mov_b32 v84, s11 :: v_dual_mov_b32 v85, s14
	v_fma_f32 v9, -v6, v11, v9
	v_fma_f32 v3, -v5, v3, v4
	;; [unrolled: 1-line block ×4, first 2 shown]
	s_waitcnt lgkmcnt(3)
	v_fma_f32 v29, -v26, v29, v80
	s_add_i32 s33, s4, 0xfffffa3c
	s_add_i32 s5, s4, 0xfffffc6c
	v_fma_f32 v48, -v5, v48, v4
	s_add_i32 s25, s4, 0xfffffa88
	v_fma_f32 v28, -v25, v28, v29
	s_waitcnt lgkmcnt(0)
	v_dual_mov_b32 v29, s7 :: v_dual_mul_f32 v4, v32, v3
	v_fma_f32 v3, -v5, v39, v30
	s_add_i32 s28, s4, 0xfffffa5c
	v_fma_f32 v14, -v6, v37, v28
	ds_load_2addr_b32 v[7:8], v29 offset1:1
	v_mov_b32_e32 v82, s21
	v_fma_f32 v3, -v4, v38, v3
	v_fma_f32 v11, -v5, v71, v31
	v_fma_f32 v46, -v5, v36, v14
	ds_load_2addr_b32 v[12:13], v47 offset1:1
	ds_load_2addr_b32 v[14:15], v84 offset1:1
	ds_load_2addr_b32 v[28:29], v63 offset1:1
	v_mov_b32_e32 v47, s27
	ds_load_b32 v35, v77
	v_mov_b32_e32 v98, s33
	v_fma_f32 v38, -v4, v41, v34
	v_mov_b32_e32 v83, s22
	s_add_i32 s19, s4, 0xfffffae4
	s_delay_alu instid0(SALU_CYCLE_1) | instskip(SKIP_1) | instid1(SALU_CYCLE_1)
	v_dual_mov_b32 v74, s20 :: v_dual_mov_b32 v91, s19
	s_add_i32 s22, s4, 0xfffffacc
	v_dual_mov_b32 v80, s5 :: v_dual_mov_b32 v93, s22
	v_dual_mov_b32 v18, s25 :: v_dual_mov_b32 v49, s28
	v_fma_f32 v11, -v4, v70, v11
	s_waitcnt lgkmcnt(4)
	v_fma_f32 v8, -v6, v8, v62
	s_add_i32 s20, s4, 0xfffffadc
	v_fma_f32 v43, -v4, v43, v46
	v_fma_f32 v46, -v4, v51, v48
	v_dual_mov_b32 v86, s20 :: v_dual_mov_b32 v75, s24
	v_fma_f32 v62, -v5, v7, v8
	ds_load_2addr_b32 v[7:8], v85 offset1:1
	v_fma_f32 v85, -v5, v10, v9
	v_fma_f32 v9, -v5, v45, v33
	ds_load_b32 v10, v78
	s_waitcnt lgkmcnt(2)
	v_mul_f32_e32 v3, v35, v3
	ds_load_b32 v63, v79
	ds_load_2addr_b32 v[30:31], v80 offset1:1
	ds_load_2addr_b32 v[32:33], v81 offset1:1
	;; [unrolled: 1-line block ×4, first 2 shown]
	v_fma_f32 v9, -v4, v44, v9
	v_dual_mov_b32 v76, s26 :: v_dual_mov_b32 v97, s31
	v_fma_f32 v70, -v3, v40, v38
	ds_load_2addr_b32 v[38:39], v47 offset1:1
	ds_load_2addr_b32 v[40:41], v74 offset1:1
	;; [unrolled: 1-line block ×3, first 2 shown]
	v_fma_f32 v74, -v3, v42, v43
	v_fma_f32 v78, -v3, v73, v11
	s_add_i32 s29, s4, 0xfffffa54
	s_add_i32 s34, s4, 0xfffffa34
	s_delay_alu instid0(SALU_CYCLE_1)
	v_dual_mov_b32 v84, s29 :: v_dual_mov_b32 v99, s34
	s_add_i32 s30, s4, 0xfffffa4c
	s_add_i32 s35, s4, 0xfffffa2c
	s_waitcnt lgkmcnt(9)
	v_fma_f32 v8, -v5, v8, v94
	s_add_i32 s36, s4, 0xfffffa24
	v_dual_mov_b32 v96, s30 :: v_dual_mov_b32 v77, s35
	s_waitcnt lgkmcnt(8)
	v_mul_f32_e32 v10, v10, v70
	v_fma_f32 v7, -v4, v7, v8
	v_fma_f32 v8, -v3, v61, v9
	;; [unrolled: 1-line block ×4, first 2 shown]
	ds_load_2addr_b32 v[42:43], v91 offset1:1
	ds_load_2addr_b32 v[46:47], v86 offset1:1
	;; [unrolled: 1-line block ×4, first 2 shown]
	s_waitcnt lgkmcnt(9)
	v_fma_f32 v7, -v3, v33, v7
	s_waitcnt lgkmcnt(4)
	v_mul_f32_e32 v45, v92, v45
	v_fma_f32 v8, -v10, v60, v8
	v_mov_b32_e32 v102, s38
	v_fma_f32 v80, -v3, v12, v9
	v_fma_f32 v13, -v10, v53, v13
	v_fma_f32 v2, v2, s15, -v45
	v_mul_f32_e32 v9, v63, v8
	v_fma_f32 v8, -v10, v31, v74
	ds_load_2addr_b32 v[11:12], v95 offset1:1
	ds_load_2addr_b32 v[60:61], v75 offset1:1
	;; [unrolled: 1-line block ×4, first 2 shown]
	v_fma_f32 v18, -v10, v72, v78
	v_fma_f32 v45, -v25, v67, v88
	v_fma_f32 v13, -v9, v52, v13
	v_fma_f32 v8, -v9, v30, v8
	v_fma_f32 v15, -v10, v15, v80
	v_fma_f32 v18, -v9, v57, v18
	s_waitcnt lgkmcnt(7)
	v_fma_f32 v43, -v4, v43, v85
	v_fma_f32 v32, -v10, v32, v7
	v_mul_f32_e32 v8, v90, v8
	v_fma_f32 v14, -v9, v14, v15
	ds_load_2addr_b32 v[73:74], v84 offset1:1
	v_fma_f32 v33, -v3, v42, v43
	v_fma_f32 v32, -v9, v35, v32
	;; [unrolled: 1-line block ×5, first 2 shown]
	s_waitcnt lgkmcnt(7)
	v_fma_f32 v18, -v10, v47, v33
	v_dual_mov_b32 v100, s36 :: v_dual_mov_b32 v79, s39
	v_mul_f32_e32 v7, v54, v13
	v_fma_f32 v13, -v6, v66, v45
	ds_load_2addr_b32 v[30:31], v77 offset1:1
	ds_load_2addr_b32 v[75:76], v100 offset1:1
	;; [unrolled: 1-line block ×3, first 2 shown]
	ds_load_b32 v53, v101
	v_fma_f32 v2, -v27, v44, v2
	s_add_i32 s7, s3, 0xfffff9c4
	v_fma_f32 v15, -v7, v59, v15
	s_waitcnt lgkmcnt(8)
	v_fma_f32 v12, -v5, v12, v13
	v_fma_f32 v13, -v9, v46, v18
	v_fma_f32 v18, -v8, v34, v32
	v_fma_f32 v28, -v7, v28, v14
	v_mul_f32_e32 v14, v58, v15
	v_fma_f32 v11, -v4, v11, v12
	v_fma_f32 v12, -v8, v49, v13
	;; [unrolled: 1-line block ×3, first 2 shown]
	s_waitcnt lgkmcnt(4)
	v_fma_f32 v2, -v26, v74, v2
	v_fma_f32 v15, -v14, v69, v28
	s_add_i32 s5, s4, 0xfffff9f8
	v_fma_f32 v12, -v7, v48, v12
	v_fma_f32 v18, -v14, v36, v13
	ds_load_2addr_b32 v[28:29], v96 offset1:1
	ds_load_2addr_b32 v[32:33], v97 offset1:1
	;; [unrolled: 1-line block ×4, first 2 shown]
	v_mul_f32_e32 v13, v68, v15
	v_fma_f32 v2, -v25, v73, v2
	ds_load_2addr_b32 v[42:43], v102 offset1:1
	ds_load_2addr_b32 v[44:45], v79 offset1:1
	v_fma_f32 v12, -v14, v51, v12
	s_add_i32 s10, s4, 0xfffff9bc
	v_fma_f32 v15, -v13, v65, v18
	v_mov_b32_e32 v46, s7
	s_add_i32 s7, s4, 0xfffff9f0
	v_fma_f32 v18, -v13, v50, v12
	v_dual_mov_b32 v51, s7 :: v_dual_mov_b32 v50, s5
	s_add_i32 s5, s4, 0xfffff9b4
	v_mov_b32_e32 v48, s10
	v_mul_f32_e32 v12, v64, v15
	s_waitcnt lgkmcnt(6)
	v_mul_f32_e32 v15, v92, v53
	s_waitcnt lgkmcnt(5)
	v_fma_f32 v29, -v6, v29, v2
	v_fma_f32 v11, -v3, v61, v11
	s_add_i32 s7, s4, 0xfffff9e0
	v_fma_f32 v52, -v12, v17, v18
	v_fma_f32 v15, v1, s15, -v15
	v_fma_f32 v28, -v5, v28, v29
	v_mov_b32_e32 v29, s5
	ds_load_2addr_b32 v[46:47], v46 offset1:1
	ds_load_2addr_b32 v[48:49], v48 offset1:1
	;; [unrolled: 1-line block ×4, first 2 shown]
	s_waitcnt lgkmcnt(5)
	v_fma_f32 v15, -v27, v43, v15
	s_add_i32 s5, s4, 0xfffff9ac
	v_fma_f32 v11, -v10, v60, v11
	v_fma_f32 v33, -v4, v33, v28
	ds_load_2addr_b32 v[28:29], v29 offset1:1
	v_fma_f32 v15, -v26, v42, v15
	v_mov_b32_e32 v42, s5
	v_fma_f32 v11, -v9, v63, v11
	v_fma_f32 v43, -v3, v32, v33
	s_add_i32 s5, s4, 0xfffff9a4
	s_waitcnt lgkmcnt(5)
	v_fma_f32 v15, -v25, v45, v15
	ds_load_2addr_b32 v[32:33], v42 offset1:1
	v_fma_f32 v11, -v8, v62, v11
	v_fma_f32 v35, -v10, v35, v43
	s_addk_i32 s3, 0xf970
	v_fma_f32 v15, -v6, v44, v15
	s_delay_alu instid0(VALU_DEP_3)
	v_fma_f32 v11, -v7, v71, v11
	s_waitcnt lgkmcnt(4)
	v_mul_f32_e32 v42, v92, v49
	s_waitcnt lgkmcnt(3)
	v_fma_f32 v2, -v5, v2, v15
	v_mov_b32_e32 v15, s5
	s_add_i32 s5, s4, 0xfffff9e8
	v_fma_f32 v0, v0, s15, -v42
	v_fma_f32 v11, -v14, v70, v11
	v_fma_f32 v2, -v4, v1, v2
	s_delay_alu instid0(VALU_DEP_3) | instskip(NEXT) | instid1(VALU_DEP_3)
	v_fma_f32 v0, -v27, v48, v0
	v_fma_f32 v39, -v13, v39, v11
	;; [unrolled: 1-line block ×3, first 2 shown]
	s_waitcnt lgkmcnt(2)
	v_fma_f32 v2, -v3, v51, v2
	s_waitcnt lgkmcnt(1)
	v_fma_f32 v17, -v26, v29, v0
	v_mov_b32_e32 v29, s7
	ds_load_2addr_b32 v[0:1], v15 offset1:1
	v_mov_b32_e32 v15, s5
	s_add_i32 s5, s4, 0xfffff99c
	v_fma_f32 v34, -v25, v28, v17
	s_add_i32 s7, s4, 0xfffff98c
	s_delay_alu instid0(SALU_CYCLE_1)
	v_dual_mov_b32 v35, s5 :: v_dual_mov_b32 v44, s7
	ds_load_2addr_b32 v[17:18], v15 offset1:1
	ds_load_2addr_b32 v[28:29], v29 offset1:1
	s_waitcnt lgkmcnt(3)
	v_fma_f32 v15, -v6, v33, v34
	s_add_i32 s5, s4, 0xfffff994
	ds_load_2addr_b32 v[33:34], v35 offset1:1
	s_add_i32 s7, s4, 0xfffff9d0
	v_mov_b32_e32 v35, s5
	v_fma_f32 v15, -v5, v32, v15
	v_mov_b32_e32 v32, s7
	s_add_i32 s5, s4, 0xfffff9d8
	v_fma_f32 v2, -v10, v50, v2
	ds_load_2addr_b32 v[42:43], v35 offset1:1
	ds_load_2addr_b32 v[44:45], v44 offset1:1
	v_fma_f32 v35, -v8, v37, v11
	v_mul_f32_e32 v11, v16, v52
	s_waitcnt lgkmcnt(5)
	v_fma_f32 v1, -v4, v1, v15
	v_mov_b32_e32 v15, s5
	v_fma_f32 v16, -v12, v38, v39
	s_add_i32 s5, s4, 0xfffff984
	s_addk_i32 s4, 0xf97c
	v_fma_f32 v37, -v3, v0, v1
	s_waitcnt lgkmcnt(4)
	v_fma_f32 v2, -v9, v18, v2
	ds_load_2addr_b32 v[0:1], v15 offset1:1
	ds_load_2addr_b32 v[48:49], v32 offset1:1
	v_fma_f32 v18, -v7, v36, v35
	s_waitcnt lgkmcnt(4)
	v_fma_f32 v15, -v10, v34, v37
	v_fma_f32 v2, -v8, v17, v2
	s_delay_alu instid0(VALU_DEP_3) | instskip(NEXT) | instid1(VALU_DEP_3)
	v_fma_f32 v18, -v14, v31, v18
	v_fma_f32 v15, -v9, v33, v15
	s_delay_alu instid0(VALU_DEP_3)
	v_fma_f32 v2, -v7, v29, v2
	v_fma_f32 v29, -v11, v41, v16
	v_mov_b32_e32 v17, s5
	s_waitcnt lgkmcnt(3)
	v_fma_f32 v31, -v8, v43, v15
	v_fma_f32 v2, -v14, v28, v2
	ds_load_2addr_b32 v[15:16], v17 offset1:1
	v_fma_f32 v17, -v13, v30, v18
	v_mul_f32_e32 v18, v40, v29
	s_waitcnt lgkmcnt(2)
	v_fma_f32 v29, -v13, v1, v2
	v_fma_f32 v28, -v7, v42, v31
	v_mov_b32_e32 v30, s4
	v_fma_f32 v17, -v12, v76, v17
	s_delay_alu instid0(VALU_DEP_4) | instskip(NEXT) | instid1(VALU_DEP_4)
	v_fma_f32 v0, -v12, v0, v29
	v_fma_f32 v28, -v14, v45, v28
	ds_load_2addr_b32 v[1:2], v30 offset1:1
	v_fma_f32 v17, -v11, v75, v17
	s_waitcnt lgkmcnt(2)
	v_fma_f32 v0, -v11, v49, v0
	v_fma_f32 v30, -v13, v44, v28
	s_delay_alu instid0(VALU_DEP_3) | instskip(NEXT) | instid1(VALU_DEP_3)
	v_fma_f32 v17, -v18, v78, v17
	v_fma_f32 v0, -v18, v48, v0
	s_waitcnt lgkmcnt(1)
	s_delay_alu instid0(VALU_DEP_3) | instskip(NEXT) | instid1(VALU_DEP_3)
	v_fma_f32 v16, -v12, v16, v30
	v_mul_f32_e32 v17, v77, v17
	s_delay_alu instid0(VALU_DEP_2) | instskip(NEXT) | instid1(VALU_DEP_2)
	v_fma_f32 v15, -v11, v15, v16
	v_fma_f32 v0, -v17, v47, v0
	v_mov_b32_e32 v29, s3
	s_ashr_i32 s3, s2, 31
	s_waitcnt lgkmcnt(0)
	v_fma_f32 v2, -v18, v2, v15
	v_mul_f32_e32 v16, v46, v0
	ds_load_2addr_b32 v[28:29], v29 offset1:1
	s_lshl_b64 s[4:5], s[2:3], 2
	v_fma_f32 v2, -v17, v1, v2
	v_add_co_u32 v0, vcc_lo, v19, s4
	v_add_co_ci_u32_e32 v1, vcc_lo, s5, v20, vcc_lo
	s_sub_i32 s4, s2, 21
	s_clause 0x3
	global_store_b32 v[23:24], v92, off
	global_store_b96 v[0:1], v[25:27], off offset:-16
	global_store_b128 v[0:1], v[3:6], off offset:-32
	global_store_b128 v[0:1], v[7:10], off offset:-48
	s_waitcnt lgkmcnt(0)
	v_fma_f32 v2, -v16, v29, v2
	s_delay_alu instid0(VALU_DEP_1)
	v_mul_f32_e32 v15, v28, v2
	s_clause 0x1
	global_store_b128 v[0:1], v[11:14], off offset:-64
	global_store_b128 v[0:1], v[15:18], off offset:-80
.LBB24_14:
	s_cmp_gt_i32 s4, -1
	s_cbranch_scc0 .LBB24_33
; %bb.15:
	s_cmp_lt_u32 s4, 15
	s_cbranch_scc1 .LBB24_20
; %bb.16:
	s_mov_b32 s5, 0
	s_delay_alu instid0(SALU_CYCLE_1)
	s_lshl_b64 s[10:11], s[4:5], 2
	s_cmp_le_i32 s12, s4
	v_add_co_u32 v7, vcc_lo, v19, s10
	v_add_co_ci_u32_e32 v8, vcc_lo, s11, v20, vcc_lo
	s_clause 0x3
	global_load_b128 v[0:3], v[7:8], off offset:-12
	global_load_b128 v[9:12], v[7:8], off offset:-28
	global_load_b128 v[14:17], v[7:8], off offset:-44
	global_load_b128 v[24:27], v[7:8], off offset:-60
	s_waitcnt vmcnt(3)
	v_dual_mul_f32 v13, s15, v3 :: v_dual_mul_f32 v6, s15, v1
	s_waitcnt vmcnt(2)
	v_dual_mul_f32 v23, s15, v2 :: v_dual_mul_f32 v4, s15, v12
	v_dual_mul_f32 v5, s15, v0 :: v_dual_mul_f32 v2, s15, v10
	;; [unrolled: 1-line block ×3, first 2 shown]
	s_waitcnt vmcnt(1)
	v_dual_mul_f32 v17, s15, v17 :: v_dual_mul_f32 v16, s15, v16
	v_dual_mul_f32 v15, s15, v15 :: v_dual_mul_f32 v14, s15, v14
	s_waitcnt vmcnt(0)
	v_dual_mul_f32 v12, s15, v27 :: v_dual_mul_f32 v11, s15, v26
	v_dual_mul_f32 v10, s15, v25 :: v_dual_mul_f32 v9, s15, v24
	s_cbranch_scc1 .LBB24_19
; %bb.17:
	s_mul_i32 s3, s4, 0x50
	s_lshl_b32 s5, s2, 2
	s_ashr_i32 s13, s12, 31
	s_add_i32 s3, s3, s5
	s_lshl_b64 s[10:11], s[12:13], 2
	s_addk_i32 s3, 0xfb4c
	s_add_u32 s5, s8, s10
	s_addc_u32 s7, s9, s11
	s_add_u32 s5, s5, s0
	s_addc_u32 s7, s7, s1
	v_add_co_u32 v0, vcc_lo, s5, v21
	v_add_co_ci_u32_e32 v1, vcc_lo, s7, v22, vcc_lo
	s_mov_b32 s5, s12
.LBB24_18:                              ; =>This Inner Loop Header: Depth=1
	global_load_b32 v40, v[0:1], off
	v_add_nc_u32_e64 v24, 0x400, s3
	v_add_nc_u32_e64 v26, 0x200, s3
	v_mov_b32_e32 v38, s3
	v_add_co_u32 v0, vcc_lo, v0, -4
	ds_load_2addr_b32 v[24:25], v24 offset0:24 offset1:44
	ds_load_2addr_b32 v[26:27], v26 offset0:112 offset1:132
	;; [unrolled: 1-line block ×7, first 2 shown]
	ds_load_2addr_b32 v[38:39], v38 offset1:20
	v_add_co_ci_u32_e32 v1, vcc_lo, -1, v1, vcc_lo
	s_add_i32 s5, s5, -1
	s_add_i32 s3, s3, -4
	s_cmp_gt_i32 s5, s4
	s_waitcnt vmcnt(0) lgkmcnt(7)
	v_fma_f32 v13, -v40, v25, v13
	v_fma_f32 v23, -v40, v24, v23
	s_waitcnt lgkmcnt(6)
	v_fma_f32 v6, -v40, v27, v6
	v_fma_f32 v5, -v40, v26, v5
	s_waitcnt lgkmcnt(5)
	;; [unrolled: 3-line block ×7, first 2 shown]
	v_fma_f32 v10, -v40, v39, v10
	v_fma_f32 v9, -v40, v38, v9
	s_cbranch_scc1 .LBB24_18
.LBB24_19:
	s_mul_i32 s3, s4, 0x54
	s_delay_alu instid0(SALU_CYCLE_1) | instskip(NEXT) | instid1(SALU_CYCLE_1)
	s_add_i32 s5, s3, 0xffffffac
	v_dual_mov_b32 v0, s3 :: v_dual_mov_b32 v1, s5
	s_add_i32 s7, s3, 0xffffff60
	s_add_i32 s11, s3, 0xffffff0c
	s_delay_alu instid0(SALU_CYCLE_1)
	v_dual_mov_b32 v24, s7 :: v_dual_mov_b32 v25, s11
	ds_load_b32 v28, v0
	s_add_i32 s10, s3, 0xffffff58
	s_add_i32 s5, s3, 0xffffff04
	ds_load_b32 v36, v24
	ds_load_2addr_b32 v[0:1], v1 offset1:1
	v_dual_mov_b32 v26, s10 :: v_dual_mov_b32 v29, s5
	ds_load_2addr_b32 v[24:25], v25 offset1:1
	ds_load_2addr_b32 v[26:27], v26 offset1:1
	s_add_i32 s14, s3, 0xfffffeb8
	s_add_i32 s13, s3, 0xfffffec0
	v_mov_b32_e32 v34, s14
	s_add_i32 s7, s3, 0xfffffeb0
	s_delay_alu instid0(SALU_CYCLE_1)
	v_dual_mov_b32 v30, s13 :: v_dual_mov_b32 v31, s7
	s_add_i32 s16, s3, 0xfffffe6c
	s_add_i32 s5, s3, 0xfffffe1c
	v_mov_b32_e32 v32, s16
	s_add_i32 s10, s3, 0xfffffe64
	s_waitcnt lgkmcnt(4)
	v_mul_f32_e32 v13, v28, v13
	ds_load_2addr_b32 v[28:29], v29 offset1:1
	ds_load_b32 v37, v30
	s_add_i32 s17, s3, 0xfffffe20
	s_add_i32 s11, s3, 0xfffffe5c
	;; [unrolled: 1-line block ×3, first 2 shown]
	s_waitcnt lgkmcnt(4)
	v_fma_f32 v1, -v13, v1, v23
	v_fma_f32 v23, -v13, v36, v6
	s_waitcnt lgkmcnt(3)
	v_fma_f32 v5, -v13, v25, v5
	v_mov_b32_e32 v25, s5
	ds_load_2addr_b32 v[30:31], v31 offset1:1
	ds_load_2addr_b32 v[32:33], v32 offset1:1
	ds_load_2addr_b32 v[34:35], v34 offset1:1
	v_mul_f32_e32 v6, v0, v1
	v_mov_b32_e32 v0, s10
	s_add_i32 s5, s3, 0xfffffe0c
	v_mov_b32_e32 v36, s17
	s_add_i32 s10, s3, 0xfffffdc0
	s_waitcnt lgkmcnt(5)
	v_fma_f32 v23, -v6, v27, v23
	v_fma_f32 v24, -v6, v24, v5
	s_delay_alu instid0(VALU_DEP_2) | instskip(SKIP_3) | instid1(VALU_DEP_3)
	v_mul_f32_e32 v5, v26, v23
	s_waitcnt lgkmcnt(3)
	v_fma_f32 v4, -v13, v37, v4
	v_mov_b32_e32 v23, s11
	v_fma_f32 v29, -v5, v29, v24
	s_waitcnt lgkmcnt(1)
	v_fma_f32 v3, -v13, v33, v3
	s_waitcnt lgkmcnt(0)
	v_fma_f32 v33, -v6, v35, v4
	v_dual_mul_f32 v4, v28, v29 :: v_dual_mov_b32 v29, s5
	ds_load_2addr_b32 v[0:1], v0 offset1:1
	ds_load_b32 v27, v36
	v_fma_f32 v3, -v6, v32, v3
	v_fma_f32 v28, -v5, v34, v33
	ds_load_b32 v36, v25
	ds_load_2addr_b32 v[23:24], v23 offset1:1
	s_add_i32 s5, s3, 0xfffffdd0
	s_waitcnt lgkmcnt(3)
	v_fma_f32 v1, -v5, v1, v3
	v_fma_f32 v3, -v4, v31, v28
	v_mov_b32_e32 v26, s7
	s_waitcnt lgkmcnt(2)
	v_fma_f32 v2, -v13, v27, v2
	ds_load_2addr_b32 v[27:28], v29 offset1:1
	v_fma_f32 v0, -v4, v0, v1
	v_mul_f32_e32 v3, v30, v3
	ds_load_2addr_b32 v[25:26], v26 offset1:1
	s_waitcnt lgkmcnt(3)
	v_fma_f32 v1, -v6, v36, v2
	v_mov_b32_e32 v2, s5
	s_add_i32 s5, s3, 0xfffffdc8
	s_waitcnt lgkmcnt(2)
	v_fma_f32 v0, -v3, v24, v0
	v_mov_b32_e32 v24, s5
	s_add_i32 s5, s3, 0xfffffd80
	s_add_i32 s7, s3, 0xfffffd7c
	s_waitcnt lgkmcnt(0)
	v_fma_f32 v1, -v5, v26, v1
	ds_load_b32 v26, v2
	v_dual_mul_f32 v2, v23, v0 :: v_dual_mov_b32 v23, s5
	s_add_i32 s5, s3, 0xfffffe08
	v_fma_f32 v29, -v4, v25, v1
	ds_load_2addr_b32 v[0:1], v24 offset1:1
	v_mov_b32_e32 v31, s5
	ds_load_b32 v30, v23
	s_add_i32 s5, s3, 0xfffffd74
	v_mov_b32_e32 v23, s10
	v_mov_b32_e32 v25, s5
	s_add_i32 s5, s3, 0xfffffdb8
	s_delay_alu instid0(SALU_CYCLE_1)
	v_dual_mov_b32 v24, s7 :: v_dual_mov_b32 v33, s5
	s_add_i32 s5, s3, 0xfffffd6c
	v_fma_f32 v34, -v3, v28, v29
	s_add_i32 s7, s3, 0xfffffdb4
	ds_load_b32 v32, v24
	s_add_i32 s10, s3, 0xfffffb4c
	s_waitcnt lgkmcnt(3)
	v_fma_f32 v18, -v13, v26, v18
	ds_load_2addr_b32 v[25:26], v25 offset1:1
	ds_load_2addr_b32 v[23:24], v23 offset1:1
	ds_load_b32 v35, v31
	ds_load_2addr_b32 v[28:29], v33 offset1:1
	v_fma_f32 v27, -v2, v27, v34
	s_waitcnt lgkmcnt(6)
	v_fma_f32 v1, -v6, v1, v18
	v_mov_b32_e32 v18, s5
	s_add_i32 s5, s3, 0xfffffd64
	s_waitcnt lgkmcnt(5)
	v_fma_f32 v33, -v13, v30, v17
	v_mov_b32_e32 v31, s5
	v_fma_f32 v0, -v5, v0, v1
	ds_load_2addr_b32 v[17:18], v18 offset1:1
	s_add_i32 s5, s3, 0xfffffd30
	v_mov_b32_e32 v1, s7
	ds_load_2addr_b32 v[30:31], v31 offset1:1
	s_add_i32 s7, s3, 0xfffffd10
	s_waitcnt lgkmcnt(6)
	v_fma_f32 v32, -v6, v32, v33
	s_waitcnt lgkmcnt(4)
	v_fma_f32 v0, -v4, v24, v0
	s_delay_alu instid0(VALU_DEP_2)
	v_fma_f32 v24, -v5, v26, v32
	v_mov_b32_e32 v26, s5
	s_add_i32 s5, s3, 0xfffffd28
	ds_load_b32 v33, v1
	s_waitcnt lgkmcnt(4)
	v_mul_f32_e32 v1, v35, v27
	v_fma_f32 v0, -v3, v23, v0
	v_fma_f32 v23, -v4, v25, v24
	v_mov_b32_e32 v24, s5
	ds_load_b32 v25, v26
	s_add_i32 s5, s3, 0xfffffd20
	s_waitcnt lgkmcnt(4)
	v_fma_f32 v0, -v2, v29, v0
	s_waitcnt lgkmcnt(3)
	v_fma_f32 v18, -v3, v18, v23
	ds_load_2addr_b32 v[23:24], v24 offset1:1
	v_fma_f32 v0, -v1, v28, v0
	v_fma_f32 v17, -v2, v17, v18
	v_mov_b32_e32 v18, s5
	s_add_i32 s5, s3, 0xfffffd18
	s_delay_alu instid0(SALU_CYCLE_1)
	v_mov_b32_e32 v27, s5
	s_waitcnt lgkmcnt(3)
	v_fma_f32 v26, -v1, v31, v17
	ds_load_2addr_b32 v[17:18], v18 offset1:1
	v_mov_b32_e32 v28, s7
	s_add_i32 s5, s3, 0xfffffce0
	s_add_i32 s7, s3, 0xfffffd60
	s_waitcnt lgkmcnt(3)
	v_dual_mul_f32 v0, v33, v0 :: v_dual_mov_b32 v29, s5
	s_waitcnt lgkmcnt(2)
	v_fma_f32 v16, -v13, v25, v16
	s_add_i32 s5, s3, 0xfffffcdc
	s_delay_alu instid0(VALU_DEP_2) | instskip(SKIP_1) | instid1(VALU_DEP_2)
	v_fma_f32 v35, -v0, v30, v26
	s_waitcnt lgkmcnt(1)
	v_fma_f32 v16, -v6, v24, v16
	v_mov_b32_e32 v24, s5
	s_add_i32 s5, s3, 0xfffffcd4
	s_delay_alu instid0(VALU_DEP_2)
	v_fma_f32 v16, -v5, v23, v16
	v_mov_b32_e32 v23, s7
	ds_load_2addr_b32 v[25:26], v27 offset1:1
	ds_load_2addr_b32 v[27:28], v28 offset1:1
	ds_load_b32 v31, v29
	v_mov_b32_e32 v29, s5
	s_waitcnt lgkmcnt(3)
	v_fma_f32 v16, -v4, v18, v16
	ds_load_b32 v18, v23
	ds_load_b32 v36, v24
	s_add_i32 s5, s3, 0xfffffc8c
	s_add_i32 s7, s3, 0xfffffcc4
	v_mov_b32_e32 v30, s5
	v_fma_f32 v17, -v3, v17, v16
	v_mov_b32_e32 v32, s7
	s_add_i32 s5, s3, 0xfffffccc
	ds_load_2addr_b32 v[23:24], v29 offset1:1
	v_mov_b32_e32 v16, s5
	s_add_i32 s5, s3, 0xfffffc84
	s_add_i32 s7, s3, 0xfffffcbc
	v_mov_b32_e32 v33, s5
	s_add_i32 s5, s3, 0xfffffcb8
	s_waitcnt lgkmcnt(5)
	v_fma_f32 v26, -v2, v26, v17
	v_mov_b32_e32 v38, s5
	s_waitcnt lgkmcnt(3)
	v_fma_f32 v37, -v13, v31, v15
	s_add_i32 s5, s3, 0xfffffc7c
	ds_load_2addr_b32 v[33:34], v33 offset1:1
	s_waitcnt lgkmcnt(3)
	v_mul_f32_e32 v17, v18, v35
	ds_load_2addr_b32 v[31:32], v32 offset1:1
	ds_load_2addr_b32 v[29:30], v30 offset1:1
	s_waitcnt lgkmcnt(4)
	v_fma_f32 v36, -v6, v36, v37
	v_mov_b32_e32 v37, s5
	ds_load_2addr_b32 v[15:16], v16 offset1:1
	v_fma_f32 v18, -v1, v25, v26
	s_add_i32 s5, s3, 0xfffffd0c
	s_waitcnt lgkmcnt(4)
	v_fma_f32 v36, -v5, v24, v36
	ds_load_2addr_b32 v[24:25], v37 offset1:1
	v_mov_b32_e32 v26, s5
	s_add_i32 s5, s3, 0xfffffc74
	v_fma_f32 v18, -v0, v28, v18
	v_fma_f32 v23, -v4, v23, v36
	s_delay_alu instid0(VALU_DEP_2)
	v_fma_f32 v18, -v17, v27, v18
	s_waitcnt lgkmcnt(2)
	v_fma_f32 v14, -v13, v30, v14
	s_waitcnt lgkmcnt(1)
	v_fma_f32 v16, -v3, v16, v23
	v_mov_b32_e32 v23, s5
	s_delay_alu instid0(VALU_DEP_3)
	v_fma_f32 v14, -v6, v29, v14
	v_mov_b32_e32 v29, s7
	ds_load_b32 v30, v26
	v_fma_f32 v16, -v2, v15, v16
	s_add_i32 s5, s3, 0xfffffc40
	v_fma_f32 v28, -v5, v34, v14
	ds_load_2addr_b32 v[14:15], v23 offset1:1
	s_add_i32 s7, s3, 0xfffffc6c
	v_mov_b32_e32 v26, s5
	v_fma_f32 v16, -v1, v32, v16
	v_fma_f32 v23, -v4, v33, v28
	ds_load_2addr_b32 v[28:29], v29 offset1:1
	ds_load_b32 v38, v38
	s_add_i32 s5, s3, 0xfffffc64
	v_fma_f32 v27, -v0, v31, v16
	s_waitcnt lgkmcnt(4)
	v_fma_f32 v23, -v3, v25, v23
	v_mov_b32_e32 v25, s7
	s_add_i32 s7, s3, 0xfffffc38
	ds_load_b32 v34, v26
	v_mov_b32_e32 v33, s7
	v_fma_f32 v36, -v2, v24, v23
	ds_load_2addr_b32 v[25:26], v25 offset1:1
	s_waitcnt lgkmcnt(5)
	v_dual_mul_f32 v16, v30, v18 :: v_dual_mov_b32 v35, s5
	ds_load_2addr_b32 v[23:24], v33 offset1:1
	s_add_i32 s5, s3, 0xfffffc30
	s_waitcnt lgkmcnt(5)
	v_fma_f32 v15, -v1, v15, v36
	v_mov_b32_e32 v18, s5
	s_add_i32 s5, s3, 0xfffffc28
	s_add_i32 s7, s3, 0xfffffc20
	ds_load_2addr_b32 v[32:33], v35 offset1:1
	s_waitcnt lgkmcnt(5)
	v_fma_f32 v27, -v17, v29, v27
	ds_load_2addr_b32 v[29:30], v18 offset1:1
	v_fma_f32 v14, -v0, v14, v15
	v_dual_mov_b32 v15, s5 :: v_dual_mov_b32 v18, s7
	v_fma_f32 v28, -v16, v28, v27
	s_add_i32 s5, s3, 0xfffffbec
	s_waitcnt lgkmcnt(4)
	v_fma_f32 v12, -v13, v34, v12
	s_add_i32 s7, s3, 0xfffffc10
	s_waitcnt lgkmcnt(3)
	v_fma_f32 v14, -v17, v26, v14
	ds_load_2addr_b32 v[26:27], v15 offset1:1
	ds_load_2addr_b32 v[34:35], v18 offset1:1
	v_dual_mul_f32 v15, v38, v28 :: v_dual_mov_b32 v18, s5
	s_waitcnt lgkmcnt(4)
	v_fma_f32 v12, -v6, v24, v12
	s_add_i32 s5, s3, 0xfffffc18
	v_fma_f32 v14, -v16, v25, v14
	v_mov_b32_e32 v25, s7
	s_add_i32 s7, s3, 0xfffffba0
	v_fma_f32 v12, -v5, v23, v12
	ds_load_2addr_b32 v[23:24], v18 offset1:1
	v_mov_b32_e32 v18, s5
	s_add_i32 s5, s3, 0xfffffbe4
	s_waitcnt lgkmcnt(4)
	v_fma_f32 v14, -v15, v33, v14
	s_waitcnt lgkmcnt(3)
	v_fma_f32 v12, -v4, v30, v12
	v_mov_b32_e32 v28, s5
	s_add_i32 s5, s3, 0xfffffbbc
	ds_load_2addr_b32 v[30:31], v18 offset1:1
	ds_load_2addr_b32 v[36:37], v25 offset1:1
	v_mov_b32_e32 v25, s7
	v_fma_f32 v12, -v3, v29, v12
	v_mov_b32_e32 v18, s5
	s_add_i32 s5, s3, 0xfffffb98
	ds_load_2addr_b32 v[28:29], v28 offset1:1
	ds_load_2addr_b32 v[38:39], v18 offset1:1
	ds_load_b32 v18, v25
	s_waitcnt lgkmcnt(7)
	v_fma_f32 v27, -v2, v27, v12
	v_mov_b32_e32 v12, s5
	s_add_i32 s5, s3, 0xfffffbdc
	v_mul_f32_e32 v14, v32, v14
	s_waitcnt lgkmcnt(5)
	v_fma_f32 v24, -v13, v24, v11
	v_mov_b32_e32 v25, s5
	ds_load_2addr_b32 v[11:12], v12 offset1:1
	s_add_i32 s5, s3, 0xfffffbd4
	v_fma_f32 v26, -v1, v26, v27
	v_fma_f32 v27, -v6, v23, v24
	ds_load_2addr_b32 v[23:24], v25 offset1:1
	v_mov_b32_e32 v25, s5
	s_add_i32 s5, s3, 0xfffffb90
	v_fma_f32 v35, -v0, v35, v26
	v_mov_b32_e32 v32, s5
	s_add_i32 s5, s3, 0xfffffbcc
	ds_load_2addr_b32 v[25:26], v25 offset1:1
	s_waitcnt lgkmcnt(5)
	v_fma_f32 v27, -v5, v29, v27
	s_add_i32 s7, s3, 0xfffffbc4
	ds_load_2addr_b32 v[32:33], v32 offset1:1
	s_waitcnt lgkmcnt(4)
	v_fma_f32 v10, -v13, v18, v10
	v_dual_mov_b32 v18, s10 :: v_dual_mov_b32 v29, s5
	v_mov_b32_e32 v42, s7
	v_fma_f32 v44, -v4, v28, v27
	ds_load_2addr_b32 v[27:28], v18 offset1:1
	ds_load_2addr_b32 v[40:41], v29 offset1:1
	;; [unrolled: 1-line block ×3, first 2 shown]
	s_waitcnt lgkmcnt(6)
	v_fma_f32 v10, -v6, v12, v10
	s_add_i32 s5, s3, 0xfffffb44
	v_fma_f32 v29, -v17, v34, v35
	s_waitcnt lgkmcnt(5)
	v_fma_f32 v12, -v3, v24, v44
	s_add_i32 s10, s3, 0xfffffb34
	v_fma_f32 v18, -v5, v11, v10
	v_mov_b32_e32 v10, s5
	s_add_i32 s5, s3, 0xfffffb88
	v_fma_f32 v12, -v2, v23, v12
	v_mov_b32_e32 v24, s5
	s_add_i32 s5, s3, 0xfffffb3c
	ds_load_2addr_b32 v[10:11], v10 offset1:1
	s_waitcnt lgkmcnt(4)
	v_fma_f32 v18, -v4, v33, v18
	v_mov_b32_e32 v33, s5
	ds_load_2addr_b32 v[23:24], v24 offset1:1
	v_fma_f32 v35, -v16, v31, v29
	s_add_i32 s5, s3, 0xfffffb80
	v_fma_f32 v18, -v3, v32, v18
	ds_load_2addr_b32 v[31:32], v33 offset1:1
	s_waitcnt lgkmcnt(5)
	v_fma_f32 v9, -v13, v28, v9
	v_fma_f32 v44, -v1, v26, v12
	v_mov_b32_e32 v12, s5
	s_add_i32 s5, s3, 0xfffffb78
	s_add_i32 s7, s3, 0xfffffb70
	v_fma_f32 v9, -v6, v27, v9
	v_dual_mov_b32 v28, s10 :: v_dual_mov_b32 v29, s5
	v_mov_b32_e32 v33, s7
	ds_load_2addr_b32 v[26:27], v12 offset1:1
	s_add_i32 s5, s3, 0xfffffb2c
	s_add_i32 s7, s3, 0xfffffb1c
	s_waitcnt lgkmcnt(3)
	v_fma_f32 v9, -v5, v11, v9
	ds_load_2addr_b32 v[11:12], v28 offset1:1
	ds_load_2addr_b32 v[28:29], v29 offset1:1
	;; [unrolled: 1-line block ×3, first 2 shown]
	v_fma_f32 v35, -v15, v30, v35
	s_waitcnt lgkmcnt(5)
	v_fma_f32 v18, -v2, v24, v18
	v_fma_f32 v24, -v0, v25, v44
	;; [unrolled: 1-line block ×3, first 2 shown]
	v_mov_b32_e32 v10, s5
	s_add_i32 s5, s3, 0xfffffb24
	v_fma_f32 v18, -v1, v23, v18
	v_mov_b32_e32 v25, s5
	s_waitcnt lgkmcnt(4)
	v_fma_f32 v23, -v3, v32, v9
	ds_load_2addr_b32 v[9:10], v10 offset1:1
	v_mov_b32_e32 v30, s7
	v_fma_f32 v41, -v17, v41, v24
	s_add_i32 s5, s3, 0xfffffb68
	v_fma_f32 v32, -v2, v31, v23
	ds_load_2addr_b32 v[23:24], v25 offset1:1
	ds_load_2addr_b32 v[30:31], v30 offset1:1
	s_waitcnt lgkmcnt(6)
	v_fma_f32 v18, -v0, v27, v18
	v_fma_f32 v25, -v16, v40, v41
	s_addk_i32 s3, 0xfb14
	s_waitcnt lgkmcnt(5)
	v_fma_f32 v12, -v1, v12, v32
	v_fma_f32 v18, -v17, v26, v18
	v_mov_b32_e32 v26, s5
	v_fma_f32 v27, -v15, v43, v25
	s_delay_alu instid0(VALU_DEP_4)
	v_fma_f32 v11, -v0, v11, v12
	v_fma_f32 v12, -v14, v37, v35
	s_waitcnt lgkmcnt(4)
	v_fma_f32 v18, -v16, v29, v18
	ds_load_2addr_b32 v[25:26], v26 offset1:1
	s_ashr_i32 s5, s4, 31
	s_waitcnt lgkmcnt(3)
	v_fma_f32 v10, -v17, v10, v11
	v_mul_f32_e32 v12, v36, v12
	v_fma_f32 v11, -v14, v42, v27
	v_fma_f32 v18, -v15, v28, v18
	s_lshl_b64 s[10:11], s[4:5], 2
	v_fma_f32 v9, -v16, v9, v10
	v_mov_b32_e32 v10, s3
	v_fma_f32 v11, -v12, v39, v11
	v_fma_f32 v18, -v14, v34, v18
	s_add_i32 s4, s4, -16
	s_waitcnt lgkmcnt(2)
	v_fma_f32 v9, -v15, v24, v9
	ds_load_2addr_b32 v[27:28], v10 offset1:1
	v_mul_f32_e32 v11, v38, v11
	v_fma_f32 v10, -v12, v33, v18
	v_fma_f32 v9, -v14, v23, v9
	v_add_co_u32 v23, vcc_lo, v19, s10
	s_waitcnt lgkmcnt(1)
	s_delay_alu instid0(VALU_DEP_3) | instskip(SKIP_2) | instid1(VALU_DEP_3)
	v_fma_f32 v10, -v11, v26, v10
	v_add_co_ci_u32_e32 v24, vcc_lo, s11, v20, vcc_lo
	v_fma_f32 v9, -v12, v31, v9
	v_mul_f32_e32 v10, v25, v10
	s_clause 0x2
	global_store_b96 v[23:24], v[4:6], off offset:-12
	global_store_b128 v[23:24], v[0:3], off offset:-28
	global_store_b128 v[23:24], v[14:17], off offset:-44
	v_fma_f32 v9, -v11, v30, v9
	s_waitcnt lgkmcnt(0)
	s_delay_alu instid0(VALU_DEP_1) | instskip(NEXT) | instid1(VALU_DEP_1)
	v_fma_f32 v9, -v10, v28, v9
	v_mul_f32_e32 v9, v27, v9
	s_clause 0x1
	global_store_b32 v[7:8], v13, off
	global_store_b128 v[23:24], v[9:12], off offset:-60
.LBB24_20:
	s_cmp_lt_i32 s4, 0
	s_cbranch_scc1 .LBB24_33
; %bb.21:
	s_bitcmp1_b32 s4, 0
	s_mov_b32 s10, s4
	s_cselect_b32 s3, -1, 0
	s_delay_alu instid0(SALU_CYCLE_1)
	s_and_b32 vcc_lo, exec_lo, s3
	s_cbranch_vccnz .LBB24_26
; %bb.22:
	s_mov_b32 s5, 0
	s_delay_alu instid0(SALU_CYCLE_1)
	s_lshl_b64 s[10:11], s[4:5], 2
	s_cmp_le_i32 s12, s4
	v_add_co_u32 v0, vcc_lo, v19, s10
	v_add_co_ci_u32_e32 v1, vcc_lo, s11, v20, vcc_lo
	global_load_b32 v2, v[0:1], off
	s_waitcnt vmcnt(0)
	v_mul_f32_e32 v4, s15, v2
	s_cbranch_scc1 .LBB24_25
; %bb.23:
	s_mul_i32 s3, s4, 0x50
	s_lshl_b32 s5, s2, 2
	s_ashr_i32 s13, s12, 31
	s_add_i32 s3, s3, s5
	s_lshl_b64 s[10:11], s[12:13], 2
	s_add_i32 s3, s3, -4
	s_add_u32 s5, s8, s10
	s_addc_u32 s7, s9, s11
	s_add_u32 s5, s5, s0
	s_addc_u32 s7, s7, s1
	v_add_co_u32 v2, vcc_lo, s5, v21
	v_add_co_ci_u32_e32 v3, vcc_lo, s7, v22, vcc_lo
	s_mov_b32 s5, s12
.LBB24_24:                              ; =>This Inner Loop Header: Depth=1
	global_load_b32 v5, v[2:3], off
	v_mov_b32_e32 v6, s3
	v_add_co_u32 v2, vcc_lo, v2, -4
	v_add_co_ci_u32_e32 v3, vcc_lo, -1, v3, vcc_lo
	ds_load_b32 v6, v6
	s_add_i32 s5, s5, -1
	s_add_i32 s3, s3, -4
	s_cmp_gt_i32 s5, s4
	s_waitcnt vmcnt(0) lgkmcnt(0)
	v_fma_f32 v4, -v5, v6, v4
	s_cbranch_scc1 .LBB24_24
.LBB24_25:
	s_mul_i32 s3, s4, 0x54
	s_add_i32 s10, s4, -1
	v_mov_b32_e32 v2, s3
	ds_load_b32 v2, v2
	s_waitcnt lgkmcnt(0)
	v_mul_f32_e32 v2, v2, v4
	global_store_b32 v[0:1], v2, off
.LBB24_26:
	s_cmp_eq_u32 s4, 0
	s_mov_b32 s11, 0
	s_cbranch_scc1 .LBB24_33
; %bb.27:
	s_mul_i32 s3, s10, 0x50
	s_lshl_b32 s4, s2, 2
	s_ashr_i32 s13, s12, 31
	s_add_i32 s7, s3, s4
	s_lshl_b64 s[4:5], s[12:13], 2
	s_add_i32 s3, s7, -4
	s_add_u32 s4, s8, s4
	s_addc_u32 s5, s9, s5
	s_add_u32 s4, s4, s0
	s_addc_u32 s5, s5, s1
	v_add_co_u32 v0, vcc_lo, s4, v21
	v_add_co_ci_u32_e32 v1, vcc_lo, s5, v22, vcc_lo
	s_add_i32 s4, s7, 0xffffffac
	s_branch .LBB24_29
.LBB24_28:                              ;   in Loop: Header=BB24_29 Depth=1
	s_addk_i32 s5, 0xffac
	s_addk_i32 s3, 0xff60
	v_mov_b32_e32 v4, s5
	s_add_i32 s5, s10, -2
	s_addk_i32 s4, 0xff60
	s_cmp_lt_i32 s10, 2
	s_mov_b32 s10, s5
	ds_load_b32 v4, v4
	s_waitcnt lgkmcnt(0)
	v_mul_f32_e32 v4, v4, v6
	global_store_b32 v[2:3], v4, off offset:-4
	s_cbranch_scc1 .LBB24_33
.LBB24_29:                              ; =>This Loop Header: Depth=1
                                        ;     Child Loop BB24_30 Depth 2
                                        ;     Child Loop BB24_32 Depth 2
	s_lshl_b64 s[16:17], s[10:11], 2
	s_cmp_le_i32 s12, s10
	v_add_co_u32 v2, vcc_lo, v19, s16
	v_add_co_ci_u32_e32 v3, vcc_lo, s17, v20, vcc_lo
	s_mov_b32 s5, s3
	s_mov_b32 s7, s12
	global_load_b32 v2, v[2:3], off
	s_waitcnt vmcnt(0)
	v_dual_mul_f32 v4, s15, v2 :: v_dual_mov_b32 v3, v1
	v_mov_b32_e32 v2, v0
	s_cbranch_scc1 .LBB24_31
.LBB24_30:                              ;   Parent Loop BB24_29 Depth=1
                                        ; =>  This Inner Loop Header: Depth=2
	global_load_b32 v5, v[2:3], off
	v_mov_b32_e32 v6, s5
	v_add_co_u32 v2, vcc_lo, v2, -4
	v_add_co_ci_u32_e32 v3, vcc_lo, -1, v3, vcc_lo
	ds_load_b32 v6, v6
	s_add_i32 s7, s7, -1
	s_add_i32 s5, s5, -4
	s_cmp_gt_i32 s7, s10
	s_waitcnt vmcnt(0) lgkmcnt(0)
	v_fma_f32 v4, -v5, v6, v4
	s_cbranch_scc1 .LBB24_30
.LBB24_31:                              ;   in Loop: Header=BB24_29 Depth=1
	s_add_i32 s16, s10, -1
	s_mov_b32 s17, s11
	s_mul_i32 s5, s10, 0x54
	s_lshl_b64 s[16:17], s[16:17], 2
	s_mov_b32 s7, s4
	v_add_co_u32 v2, vcc_lo, v19, s16
	v_add_co_ci_u32_e32 v3, vcc_lo, s17, v20, vcc_lo
	s_ashr_i32 s17, s10, 31
	s_mov_b32 s16, s10
	s_mov_b32 s13, s2
	global_load_b32 v5, v[2:3], off
	v_mov_b32_e32 v2, s5
	s_lshl_b64 s[16:17], s[16:17], 2
	s_cmp_lt_i32 s12, s10
	ds_load_b32 v6, v2
	v_add_co_u32 v2, vcc_lo, v19, s16
	v_add_co_ci_u32_e32 v3, vcc_lo, s17, v20, vcc_lo
	s_waitcnt lgkmcnt(0)
	v_mul_f32_e32 v7, v6, v4
	global_store_b32 v[2:3], v7, off
	s_waitcnt vmcnt(0)
	v_dual_mul_f32 v6, s15, v5 :: v_dual_mov_b32 v5, v1
	v_mov_b32_e32 v4, v0
	s_cbranch_scc1 .LBB24_28
.LBB24_32:                              ;   Parent Loop BB24_29 Depth=1
                                        ; =>  This Inner Loop Header: Depth=2
	global_load_b32 v7, v[4:5], off
	v_mov_b32_e32 v8, s7
	v_add_co_u32 v4, vcc_lo, v4, -4
	v_add_co_ci_u32_e32 v5, vcc_lo, -1, v5, vcc_lo
	ds_load_b32 v8, v8
	s_add_i32 s13, s13, -1
	s_add_i32 s7, s7, -4
	s_cmp_gt_i32 s13, s10
	s_waitcnt vmcnt(0) lgkmcnt(0)
	v_fma_f32 v6, -v7, v8, v6
	s_cbranch_scc1 .LBB24_32
	s_branch .LBB24_28
.LBB24_33:
	s_mov_b32 s3, 0
.LBB24_34:
	s_delay_alu instid0(SALU_CYCLE_1)
	s_and_b32 vcc_lo, exec_lo, s3
	s_cbranch_vccz .LBB24_57
; %bb.35:
	s_cmp_gt_i32 s6, 19
	s_mov_b32 s4, 0
	s_cselect_b32 s5, -1, 0
	s_delay_alu instid0(SALU_CYCLE_1)
	s_and_b32 vcc_lo, exec_lo, s5
	s_cbranch_vccz .LBB24_37
; %bb.36:
	s_clause 0x4
	global_load_b128 v[1:4], v[19:20], off
	global_load_b128 v[5:8], v[19:20], off offset:16
	global_load_b128 v[9:12], v[19:20], off offset:32
	;; [unrolled: 1-line block ×4, first 2 shown]
	v_dual_mov_b32 v0, 0 :: v_dual_mov_b32 v83, 0x444
	v_mov_b32_e32 v80, 0x4ec
	v_add_nc_u32_e64 v85, 0x200, 0
	v_add_nc_u32_e64 v86, 0x400, 0
	ds_load_b128 v[27:30], v0
	ds_load_b128 v[31:34], v0 offset:16
	ds_load_2addr_b64 v[35:38], v0 offset0:21 offset1:22
	ds_load_b128 v[39:42], v0 offset:336
	ds_load_b128 v[43:46], v0 offset:352
	;; [unrolled: 1-line block ×4, first 2 shown]
	ds_load_2addr_b32 v[17:18], v0 offset0:23 offset1:24
	ds_load_2addr_b32 v[59:60], v0 offset0:25 offset1:26
	;; [unrolled: 1-line block ×5, first 2 shown]
	ds_load_b128 v[55:58], v0 offset:64
	ds_load_2addr_b32 v[67:68], v0 offset0:63 offset1:64
	ds_load_2addr_b32 v[69:70], v0 offset0:65 offset1:66
	;; [unrolled: 1-line block ×4, first 2 shown]
	s_mov_b32 s4, 20
	s_waitcnt vmcnt(4)
	v_dual_mul_f32 v1, s15, v1 :: v_dual_mov_b32 v82, 0x4f4
	s_waitcnt lgkmcnt(16)
	s_delay_alu instid0(VALU_DEP_1) | instskip(SKIP_2) | instid1(VALU_DEP_2)
	v_dual_mul_f32 v1, v27, v1 :: v_dual_mov_b32 v84, 0x594
	v_mov_b32_e32 v79, 0x44c
	s_waitcnt lgkmcnt(15)
	v_dual_mov_b32 v81, 0x454 :: v_dual_mul_f32 v78, v1, v31
	v_mul_f32_e32 v75, v1, v28
	v_mul_f32_e32 v76, v1, v29
	s_waitcnt lgkmcnt(11)
	v_mul_f32_e32 v92, v1, v49
	s_waitcnt lgkmcnt(4)
	v_mul_f32_e32 v95, v1, v56
	v_mul_f32_e32 v77, v1, v30
	v_fma_f32 v2, v2, s15, -v75
	v_fma_f32 v75, v3, s15, -v76
	v_mul_f32_e32 v87, v1, v32
	v_mul_f32_e32 v89, v1, v34
	;; [unrolled: 1-line block ×9, first 2 shown]
	s_waitcnt vmcnt(2)
	v_fma_f32 v11, v11, s15, -v92
	s_waitcnt vmcnt(0)
	v_fma_f32 v92, v24, s15, -v95
	v_fma_f32 v24, -v2, v66, v75
	v_mul_f32_e32 v88, v1, v33
	v_mul_f32_e32 v93, v1, v50
	;; [unrolled: 1-line block ×3, first 2 shown]
	ds_load_2addr_b64 v[27:30], v0 offset0:23 offset1:24
	ds_load_2addr_b64 v[31:34], v0 offset0:25 offset1:26
	v_fma_f32 v76, v4, s15, -v77
	v_fma_f32 v77, v5, s15, -v78
	;; [unrolled: 1-line block ×5, first 2 shown]
	ds_load_2addr_b64 v[5:8], v0 offset0:63 offset1:64
	ds_load_2addr_b64 v[47:50], v0 offset0:65 offset1:66
	v_fma_f32 v9, v9, s15, -v90
	v_fma_f32 v10, v10, s15, -v91
	;; [unrolled: 1-line block ×6, first 2 shown]
	ds_load_2addr_b32 v[3:4], v0 offset0:31 offset1:32
	ds_load_2addr_b32 v[51:52], v0 offset0:33 offset1:34
	;; [unrolled: 1-line block ×4, first 2 shown]
	v_mul_f32_e32 v57, v1, v57
	v_mul_f32_e32 v58, v1, v58
	v_fma_f32 v12, v12, s15, -v93
	v_fma_f32 v23, v23, s15, -v94
	v_fma_f32 v95, -v2, v17, v76
	v_fma_f32 v93, v25, s15, -v57
	v_fma_f32 v94, v26, s15, -v58
	v_fma_f32 v77, -v2, v18, v77
	ds_load_2addr_b32 v[17:18], v0 offset0:105 offset1:106
	ds_load_2addr_b32 v[57:58], v0 offset0:107 offset1:108
	;; [unrolled: 1-line block ×4, first 2 shown]
	v_fma_f32 v59, -v2, v59, v78
	v_fma_f32 v60, -v2, v60, v87
	;; [unrolled: 1-line block ×6, first 2 shown]
	s_waitcnt lgkmcnt(7)
	v_fma_f32 v87, -v2, v3, v12
	v_fma_f32 v4, -v2, v4, v13
	ds_load_b128 v[9:12], v0 offset:672
	ds_load_b128 v[13:16], v0 offset:688
	ds_load_b32 v88, v0 offset:156
	s_waitcnt lgkmcnt(8)
	v_fma_f32 v54, -v2, v54, v23
	v_mul_f32_e32 v3, v35, v24
	ds_load_2addr_b64 v[23:26], v0 offset0:27 offset1:28
	v_fma_f32 v89, -v2, v51, v89
	v_fma_f32 v90, -v2, v52, v90
	ds_load_b64 v[51:52], v0 offset:232
	v_fma_f32 v53, -v2, v53, v91
	s_waitcnt lgkmcnt(9)
	v_fma_f32 v91, -v2, v55, v92
	v_fma_f32 v92, -v2, v56, v93
	;; [unrolled: 1-line block ×9, first 2 shown]
	ds_load_2addr_b32 v[55:56], v0 offset0:147 offset1:148
	ds_load_2addr_b32 v[59:60], v0 offset0:149 offset1:150
	;; [unrolled: 1-line block ×6, first 2 shown]
	s_waitcnt lgkmcnt(8)
	v_fma_f32 v88, -v2, v88, v94
	v_fma_f32 v31, -v3, v31, v78
	;; [unrolled: 1-line block ×3, first 2 shown]
	v_mul_f32_e32 v4, v67, v93
	s_waitcnt lgkmcnt(7)
	v_fma_f32 v97, -v3, v24, v53
	v_fma_f32 v98, -v3, v25, v54
	ds_load_2addr_b32 v[53:54], v0 offset0:75 offset1:76
	ds_load_2addr_b32 v[77:78], v0 offset0:77 offset1:78
	v_fma_f32 v87, -v3, v32, v87
	v_fma_f32 v89, -v3, v34, v89
	v_fma_f32 v90, -v3, v23, v90
	v_fma_f32 v91, -v3, v26, v91
	ds_load_2addr_b64 v[23:26], v0 offset0:67 offset1:68
	v_fma_f32 v70, -v4, v70, v27
	v_fma_f32 v71, -v4, v71, v28
	;; [unrolled: 1-line block ×5, first 2 shown]
	ds_load_b128 v[27:30], v0 offset:368
	ds_load_b128 v[31:34], v0 offset:384
	s_waitcnt lgkmcnt(11)
	v_fma_f32 v88, -v3, v52, v88
	v_fma_f32 v52, -v4, v68, v95
	ds_load_2addr_b32 v[67:68], v0 offset0:79 offset1:119
	v_fma_f32 v51, -v3, v51, v92
	v_fma_f32 v69, -v4, v69, v96
	s_waitcnt lgkmcnt(7)
	v_fma_f32 v87, -v4, v35, v87
	s_waitcnt lgkmcnt(6)
	v_fma_f32 v37, -v4, v37, v89
	v_fma_f32 v38, -v4, v38, v90
	v_mul_f32_e32 v35, v39, v52
	v_fma_f32 v36, -v4, v36, v94
	s_waitcnt lgkmcnt(5)
	v_fma_f32 v89, -v4, v53, v97
	v_fma_f32 v90, -v4, v54, v98
	s_waitcnt lgkmcnt(4)
	v_fma_f32 v77, -v4, v77, v91
	v_fma_f32 v78, -v4, v78, v51
	;; [unrolled: 1-line block ×5, first 2 shown]
	ds_load_2addr_b64 v[39:42], v0 offset0:105 offset1:106
	ds_load_2addr_b64 v[51:54], v0 offset0:107 offset1:108
	v_fma_f32 v94, -v35, v43, v72
	v_fma_f32 v95, -v35, v44, v73
	s_waitcnt lgkmcnt(4)
	v_fma_f32 v96, -v35, v28, v37
	v_fma_f32 v97, -v35, v29, v38
	ds_load_2addr_b32 v[37:38], v0 offset0:113 offset1:114
	ds_load_2addr_b32 v[43:44], v0 offset0:115 offset1:116
	;; [unrolled: 1-line block ×3, first 2 shown]
	v_fma_f32 v46, -v35, v46, v87
	v_fma_f32 v87, -v35, v27, v36
	v_mul_f32_e32 v36, v17, v91
	v_fma_f32 v45, -v35, v45, v74
	v_fma_f32 v89, -v35, v30, v89
	s_waitcnt lgkmcnt(5)
	v_fma_f32 v27, -v4, v67, v88
	v_fma_f32 v31, -v35, v31, v90
	;; [unrolled: 1-line block ×6, first 2 shown]
	ds_load_2addr_b32 v[71:72], v0 offset0:233 offset1:234
	ds_load_2addr_b32 v[73:74], v0 offset0:235 offset1:236
	ds_load_2addr_b32 v[77:78], v79 offset1:1
	v_fma_f32 v79, -v36, v57, v93
	v_fma_f32 v91, -v36, v58, v94
	ds_load_2addr_b32 v[17:18], v0 offset0:189 offset1:190
	ds_load_b128 v[27:30], v0 offset:704
	v_fma_f32 v92, -v36, v66, v45
	v_fma_f32 v75, -v36, v75, v46
	;; [unrolled: 1-line block ×3, first 2 shown]
	s_waitcnt lgkmcnt(7)
	v_fma_f32 v87, -v36, v37, v96
	s_waitcnt lgkmcnt(6)
	v_fma_f32 v89, -v36, v43, v89
	v_fma_f32 v93, -v36, v44, v31
	v_mul_f32_e32 v37, v5, v32
	ds_load_2addr_b64 v[31:34], v0 offset0:147 offset1:148
	ds_load_b128 v[43:46], v0 offset:1024
	ds_load_b64 v[57:58], v0 offset:552
	v_fma_f32 v38, -v36, v38, v97
	v_fma_f32 v65, -v36, v65, v95
	;; [unrolled: 1-line block ×6, first 2 shown]
	s_waitcnt lgkmcnt(8)
	v_fma_f32 v5, -v36, v69, v67
	v_mul_f32_e32 v38, v55, v6
	v_fma_f32 v67, -v36, v70, v88
	v_fma_f32 v88, -v37, v8, v65
	ds_load_2addr_b32 v[65:66], v0 offset0:155 offset1:156
	ds_load_2addr_b32 v[69:70], v0 offset0:157 offset1:158
	v_fma_f32 v68, -v37, v47, v92
	v_fma_f32 v55, -v38, v56, v79
	;; [unrolled: 1-line block ×6, first 2 shown]
	v_mul_f32_e32 v9, v9, v55
	v_fma_f32 v89, -v37, v24, v89
	s_waitcnt lgkmcnt(2)
	v_fma_f32 v93, -v37, v57, v67
	v_fma_f32 v67, -v38, v59, v88
	v_fma_f32 v92, -v37, v26, v5
	ds_load_2addr_b32 v[23:24], v0 offset0:191 offset1:192
	ds_load_2addr_b32 v[25:26], v0 offset0:193 offset1:194
	;; [unrolled: 1-line block ×4, first 2 shown]
	v_fma_f32 v68, -v38, v60, v68
	v_fma_f32 v75, -v38, v61, v75
	;; [unrolled: 1-line block ×4, first 2 shown]
	ds_load_b128 v[5:8], v0 offset:1008
	ds_load_2addr_b32 v[57:58], v0 offset0:237 offset1:238
	v_fma_f32 v11, -v9, v11, v68
	v_fma_f32 v79, -v38, v62, v76
	v_mul_f32_e32 v10, v17, v10
	v_fma_f32 v87, -v38, v63, v87
	v_fma_f32 v88, -v38, v64, v90
	ds_load_2addr_b32 v[55:56], v80 offset1:1
	ds_load_2addr_b32 v[59:60], v81 offset1:1
	;; [unrolled: 1-line block ×4, first 2 shown]
	s_waitcnt lgkmcnt(11)
	v_fma_f32 v80, -v38, v65, v89
	v_fma_f32 v84, -v38, v66, v91
	ds_load_2addr_b32 v[65:66], v0 offset0:159 offset1:199
	v_fma_f32 v12, -v9, v12, v75
	ds_load_2addr_b32 v[67:68], v0 offset0:231 offset1:232
	ds_load_b64 v[75:76], v0 offset:872
	v_fma_f32 v11, -v10, v18, v11
	v_fma_f32 v89, -v9, v13, v79
	;; [unrolled: 1-line block ×3, first 2 shown]
	s_waitcnt lgkmcnt(12)
	v_fma_f32 v12, -v10, v23, v12
	v_fma_f32 v88, -v9, v15, v88
	v_mul_f32_e32 v11, v39, v11
	v_fma_f32 v24, -v10, v24, v89
	s_waitcnt lgkmcnt(11)
	v_fma_f32 v25, -v10, v25, v87
	v_fma_f32 v90, -v9, v16, v80
	ds_load_b128 v[13:16], v0 offset:1344
	ds_load_b64 v[79:80], v0 offset:1192
	v_fma_f32 v12, -v11, v40, v12
	v_fma_f32 v24, -v11, v41, v24
	ds_load_2addr_b32 v[17:18], v85 offset0:111 offset1:151
	ds_load_2addr_b32 v[81:82], v86 offset0:63 offset1:103
	v_fma_f32 v85, -v38, v69, v92
	v_fma_f32 v23, -v38, v70, v93
	ds_load_2addr_b32 v[69:70], v83 offset1:1
	ds_load_b32 v39, v0 offset:1596
	v_fma_f32 v26, -v10, v26, v88
	s_waitcnt lgkmcnt(8)
	v_fma_f32 v40, -v38, v65, v94
	s_waitcnt lgkmcnt(7)
	v_mul_f32_e32 v12, v67, v12
	v_fma_f32 v25, -v11, v42, v25
	v_fma_f32 v27, -v9, v27, v84
	;; [unrolled: 1-line block ×9, first 2 shown]
	v_mul_f32_e32 v5, v5, v24
	v_fma_f32 v24, -v10, v48, v27
	v_fma_f32 v27, -v10, v49, v28
	v_fma_f32 v28, -v11, v52, v30
	v_fma_f32 v26, -v12, v72, v26
	v_fma_f32 v6, -v5, v6, v25
	v_fma_f32 v24, -v11, v53, v24
	v_fma_f32 v23, -v10, v50, v23
	v_fma_f32 v25, -v12, v73, v28
	v_fma_f32 v7, -v5, v7, v26
	s_waitcnt lgkmcnt(1)
	v_mul_f32_e32 v6, v69, v6
	v_fma_f32 v27, -v11, v54, v27
	v_fma_f32 v24, -v12, v74, v24
	;; [unrolled: 1-line block ×9, first 2 shown]
	v_mul_f32_e32 v7, v31, v7
	v_fma_f32 v26, -v11, v76, v26
	v_fma_f32 v23, -v12, v58, v23
	;; [unrolled: 1-line block ×9, first 2 shown]
	v_mul_f32_e32 v8, v55, v8
	v_fma_f32 v17, -v5, v46, v17
	v_fma_f32 v26, -v6, v60, v23
	;; [unrolled: 1-line block ×3, first 2 shown]
	s_delay_alu instid0(VALU_DEP_4)
	v_fma_f32 v27, -v8, v56, v24
	ds_load_b64 v[23:24], v0 offset:1512
	v_fma_f32 v0, -v6, v18, v17
	v_fma_f32 v17, -v7, v79, v26
	;; [unrolled: 1-line block ×3, first 2 shown]
	v_mul_f32_e32 v13, v13, v27
	s_clause 0x3
	global_store_b128 v[19:20], v[1:4], off
	global_store_b128 v[19:20], v[35:38], off offset:16
	global_store_b128 v[19:20], v[9:12], off offset:32
	;; [unrolled: 1-line block ×3, first 2 shown]
	v_fma_f32 v0, -v7, v80, v0
	v_fma_f32 v17, -v8, v62, v17
	;; [unrolled: 1-line block ×3, first 2 shown]
	s_delay_alu instid0(VALU_DEP_3) | instskip(NEXT) | instid1(VALU_DEP_3)
	v_fma_f32 v0, -v8, v81, v0
	v_fma_f32 v15, -v13, v15, v17
	s_delay_alu instid0(VALU_DEP_3) | instskip(NEXT) | instid1(VALU_DEP_3)
	v_mul_f32_e32 v14, v63, v14
	v_fma_f32 v0, -v13, v16, v0
	s_delay_alu instid0(VALU_DEP_2) | instskip(NEXT) | instid1(VALU_DEP_2)
	v_fma_f32 v15, -v14, v64, v15
	v_fma_f32 v0, -v14, v82, v0
	s_waitcnt lgkmcnt(0)
	s_delay_alu instid0(VALU_DEP_2) | instskip(NEXT) | instid1(VALU_DEP_1)
	v_mul_f32_e32 v15, v23, v15
	v_fma_f32 v0, -v15, v24, v0
	s_delay_alu instid0(VALU_DEP_1)
	v_mul_f32_e32 v16, v39, v0
	global_store_b128 v[19:20], v[13:16], off offset:64
.LBB24_37:
	s_cmp_lt_i32 s4, s2
	s_cbranch_scc0 .LBB24_57
; %bb.38:
	s_add_i32 s3, s4, 15
	s_delay_alu instid0(SALU_CYCLE_1)
	s_cmp_ge_u32 s3, s2
	s_cbranch_scc1 .LBB24_46
; %bb.39:
	s_lshl_b32 s7, s4, 2
	s_delay_alu instid0(SALU_CYCLE_1)
	v_add_co_u32 v0, vcc_lo, v19, s7
	v_add_co_ci_u32_e32 v1, vcc_lo, 0, v20, vcc_lo
	s_and_not1_b32 vcc_lo, exec_lo, s5
	s_mov_b32 s5, 0
	s_clause 0x3
	global_load_b128 v[2:5], v[0:1], off
	global_load_b128 v[6:9], v[0:1], off offset:16
	global_load_b128 v[24:27], v[0:1], off offset:32
	;; [unrolled: 1-line block ×3, first 2 shown]
	s_waitcnt vmcnt(3)
	v_dual_mul_f32 v23, s15, v2 :: v_dual_mul_f32 v18, s15, v3
	v_dual_mul_f32 v17, s15, v4 :: v_dual_mul_f32 v16, s15, v5
	s_waitcnt vmcnt(2)
	v_dual_mul_f32 v15, s15, v6 :: v_dual_mul_f32 v14, s15, v7
	v_dual_mul_f32 v13, s15, v8 :: v_dual_mul_f32 v12, s15, v9
	;; [unrolled: 3-line block ×4, first 2 shown]
	s_cbranch_vccnz .LBB24_45
; %bb.40:
	s_max_u32 s6, s4, 1
	s_delay_alu instid0(SALU_CYCLE_1)
	s_cmp_eq_u32 s6, 1
	s_cbranch_scc1 .LBB24_43
; %bb.41:
	s_and_b32 s5, s6, 20
	s_add_u32 s10, s8, s0
	s_addc_u32 s11, s9, s1
	v_add_co_u32 v2, vcc_lo, s10, v21
	v_add_co_ci_u32_e32 v3, vcc_lo, s11, v22, vcc_lo
	s_mov_b32 s10, 0
	s_delay_alu instid0(VALU_DEP_2) | instskip(NEXT) | instid1(VALU_DEP_2)
	v_add_co_u32 v2, vcc_lo, v2, 4
	v_add_co_ci_u32_e32 v3, vcc_lo, 0, v3, vcc_lo
.LBB24_42:                              ; =>This Inner Loop Header: Depth=1
	global_load_b64 v[56:57], v[2:3], off offset:-4
	v_mov_b32_e32 v52, s7
	v_add_co_u32 v2, vcc_lo, v2, 8
	v_add_co_ci_u32_e32 v3, vcc_lo, 0, v3, vcc_lo
	ds_load_b128 v[24:27], v52
	ds_load_b128 v[28:31], v52 offset:16
	ds_load_b128 v[32:35], v52 offset:32
	;; [unrolled: 1-line block ×7, first 2 shown]
	s_add_i32 s10, s10, 2
	s_addk_i32 s7, 0xa0
	s_cmp_lg_u32 s5, s10
	s_waitcnt vmcnt(0) lgkmcnt(7)
	v_fma_f32 v23, -v56, v24, v23
	v_fma_f32 v18, -v56, v25, v18
	v_fma_f32 v17, -v56, v26, v17
	v_fma_f32 v16, -v56, v27, v16
	s_waitcnt lgkmcnt(6)
	v_fma_f32 v15, -v56, v28, v15
	v_fma_f32 v14, -v56, v29, v14
	v_fma_f32 v13, -v56, v30, v13
	v_fma_f32 v12, -v56, v31, v12
	s_waitcnt lgkmcnt(5)
	;; [unrolled: 5-line block ×7, first 2 shown]
	v_fma_f32 v7, -v57, v52, v7
	v_fma_f32 v6, -v57, v53, v6
	;; [unrolled: 1-line block ×4, first 2 shown]
	s_cbranch_scc1 .LBB24_42
.LBB24_43:
	s_bitcmp0_b32 s6, 0
	s_cbranch_scc1 .LBB24_45
; %bb.44:
	s_lshl_b32 s6, s5, 2
	s_mul_i32 s5, s5, 20
	v_add_co_u32 v2, vcc_lo, v19, s6
	v_add_co_ci_u32_e32 v3, vcc_lo, 0, v20, vcc_lo
	s_add_i32 s5, s5, s4
	s_delay_alu instid0(SALU_CYCLE_1)
	s_lshl_b32 s5, s5, 2
	global_load_b32 v2, v[2:3], off
	v_mov_b32_e32 v3, s5
	ds_load_b128 v[24:27], v3
	ds_load_b128 v[28:31], v3 offset:16
	ds_load_b128 v[32:35], v3 offset:32
	;; [unrolled: 1-line block ×3, first 2 shown]
	s_waitcnt vmcnt(0) lgkmcnt(3)
	v_fma_f32 v23, -v2, v24, v23
	v_fma_f32 v18, -v2, v25, v18
	v_fma_f32 v17, -v2, v26, v17
	v_fma_f32 v16, -v2, v27, v16
	s_waitcnt lgkmcnt(2)
	v_fma_f32 v15, -v2, v28, v15
	v_fma_f32 v14, -v2, v29, v14
	v_fma_f32 v13, -v2, v30, v13
	v_fma_f32 v12, -v2, v31, v12
	s_waitcnt lgkmcnt(1)
	;; [unrolled: 5-line block ×3, first 2 shown]
	v_fma_f32 v7, -v2, v36, v7
	v_fma_f32 v6, -v2, v37, v6
	;; [unrolled: 1-line block ×4, first 2 shown]
.LBB24_45:
	s_mul_i32 s5, s4, 0x54
	s_or_b32 s6, s4, 8
	s_or_b32 s7, s4, 9
	s_mulk_i32 s6, 0x54
	s_delay_alu instid0(SALU_CYCLE_1)
	v_dual_mov_b32 v90, s5 :: v_dual_mov_b32 v91, s6
	s_mulk_i32 s7, 0x54
	s_or_b32 s6, s4, 10
	s_mulk_i32 s3, 0x54
	ds_load_b128 v[24:27], v90
	ds_load_2addr_b32 v[2:3], v90 offset0:21 offset1:22
	ds_load_b128 v[28:31], v90 offset:16
	ds_load_2addr_b32 v[52:53], v90 offset0:23 offset1:24
	ds_load_2addr_b32 v[64:65], v90 offset0:75 offset1:105
	v_mov_b32_e32 v92, s7
	ds_load_2addr_b64 v[32:35], v90 offset0:21 offset1:22
	ds_load_2addr_b64 v[36:39], v90 offset0:23 offset1:24
	ds_load_2addr_b32 v[66:67], v90 offset0:126 offset1:135
	ds_load_2addr_b32 v[68:69], v90 offset0:25 offset1:26
	;; [unrolled: 1-line block ×4, first 2 shown]
	ds_load_b128 v[40:43], v90 offset:336
	ds_load_b128 v[44:47], v90 offset:352
	ds_load_2addr_b32 v[74:75], v90 offset0:63 offset1:64
	ds_load_b128 v[48:51], v90 offset:592
	ds_load_2addr_b32 v[76:77], v90 offset0:29 offset1:30
	s_mulk_i32 s6, 0x54
	s_or_b32 s7, s4, 11
	s_add_i32 s4, s4, 16
	s_waitcnt lgkmcnt(15)
	v_mul_f32_e32 v23, v24, v23
	s_delay_alu instid0(VALU_DEP_1)
	v_fma_f32 v18, -v23, v25, v18
	v_fma_f32 v17, -v23, v26, v17
	v_fma_f32 v16, -v23, v27, v16
	s_waitcnt lgkmcnt(13)
	v_fma_f32 v26, -v23, v28, v15
	v_fma_f32 v14, -v23, v29, v14
	v_mul_f32_e32 v24, v2, v18
	v_fma_f32 v13, -v23, v30, v13
	v_fma_f32 v31, -v23, v31, v12
	s_delay_alu instid0(VALU_DEP_3)
	v_fma_f32 v17, -v24, v3, v17
	ds_load_2addr_b32 v[2:3], v90 offset0:65 offset1:66
	ds_load_2addr_b32 v[78:79], v90 offset0:67 offset1:68
	;; [unrolled: 1-line block ×3, first 2 shown]
	s_waitcnt lgkmcnt(13)
	v_mul_f32_e32 v25, v32, v17
	v_fma_f32 v27, -v24, v52, v16
	ds_load_2addr_b32 v[82:83], v90 offset0:169 offset1:170
	ds_load_2addr_b64 v[15:18], v90 offset0:25 offset1:26
	v_fma_f32 v26, -v24, v53, v26
	ds_load_b128 v[52:55], v90 offset:32
	ds_load_2addr_b64 v[56:59], v90 offset0:55 offset1:56
	s_waitcnt lgkmcnt(14)
	v_fma_f32 v14, -v24, v68, v14
	v_fma_f32 v27, -v25, v33, v27
	;; [unrolled: 1-line block ×4, first 2 shown]
	ds_load_2addr_b32 v[84:85], v90 offset0:71 offset1:72
	ds_load_b128 v[60:63], v90 offset:48
	v_fma_f32 v14, -v25, v35, v14
	s_waitcnt lgkmcnt(11)
	v_mul_f32_e32 v26, v74, v27
	v_fma_f32 v13, -v25, v36, v13
	s_delay_alu instid0(VALU_DEP_2)
	v_fma_f32 v68, -v26, v75, v28
	s_waitcnt lgkmcnt(8)
	v_fma_f32 v2, -v26, v2, v14
	ds_load_2addr_b64 v[27:30], v90 offset0:53 offset1:54
	ds_load_b128 v[32:35], v90 offset:368
	v_fma_f32 v14, -v24, v70, v31
	v_fma_f32 v31, -v26, v3, v13
	v_mul_f32_e32 v12, v40, v68
	ds_load_2addr_b32 v[68:69], v90 offset0:127 offset1:128
	ds_load_2addr_b32 v[74:75], v90 offset0:129 offset1:130
	;; [unrolled: 1-line block ×4, first 2 shown]
	s_waitcnt lgkmcnt(9)
	v_fma_f32 v11, -v23, v52, v11
	v_fma_f32 v14, -v25, v37, v14
	;; [unrolled: 1-line block ×6, first 2 shown]
	v_mov_b32_e32 v54, s3
	v_fma_f32 v10, -v24, v76, v10
	v_mul_f32_e32 v13, v65, v2
	ds_load_2addr_b32 v[2:3], v90 offset0:31 offset1:32
	ds_load_2addr_b32 v[40:41], v90 offset0:33 offset1:34
	ds_load_b32 v52, v90 offset:140
	v_fma_f32 v11, -v25, v38, v11
	v_fma_f32 v14, -v26, v78, v14
	v_fma_f32 v9, -v24, v77, v9
	v_fma_f32 v10, -v25, v39, v10
	s_waitcnt lgkmcnt(9)
	v_fma_f32 v7, -v23, v60, v7
	v_fma_f32 v11, -v26, v79, v11
	;; [unrolled: 1-line block ×9, first 2 shown]
	ds_load_b128 v[36:39], v90 offset:608
	s_waitcnt lgkmcnt(9)
	v_fma_f32 v11, -v13, v29, v11
	v_fma_f32 v29, -v23, v55, v8
	s_waitcnt lgkmcnt(3)
	v_fma_f32 v3, -v24, v3, v7
	s_waitcnt lgkmcnt(2)
	v_fma_f32 v40, -v24, v40, v6
	v_fma_f32 v5, -v24, v41, v5
	s_waitcnt lgkmcnt(1)
	v_fma_f32 v4, -v24, v52, v4
	v_fma_f32 v2, -v24, v2, v29
	v_mov_b32_e32 v29, s6
	v_fma_f32 v31, -v12, v42, v31
	v_fma_f32 v14, -v12, v43, v14
	ds_load_b64 v[42:43], v90 offset:216
	v_fma_f32 v10, -v12, v45, v10
	s_mul_i32 s6, s7, 0x54
	v_fma_f32 v27, -v13, v27, v31
	v_fma_f32 v28, -v13, v28, v14
	;; [unrolled: 1-line block ×5, first 2 shown]
	v_mul_f32_e32 v14, v66, v27
	v_mov_b32_e32 v16, s6
	v_fma_f32 v53, -v13, v56, v8
	v_fma_f32 v3, -v25, v17, v3
	;; [unrolled: 1-line block ×4, first 2 shown]
	ds_load_b32 v27, v91
	ds_load_b32 v28, v92
	v_fma_f32 v11, -v14, v69, v11
	ds_load_b64 v[44:45], v90 offset:456
	ds_load_2addr_b32 v[30:31], v90 offset0:73 offset1:74
	v_mul_f32_e32 v15, v72, v15
	v_fma_f32 v2, -v12, v47, v2
	v_fma_f32 v3, -v26, v85, v3
	;; [unrolled: 1-line block ×3, first 2 shown]
	s_waitcnt lgkmcnt(4)
	v_fma_f32 v5, -v25, v42, v5
	v_fma_f32 v48, -v15, v48, v11
	;; [unrolled: 1-line block ×4, first 2 shown]
	s_delay_alu instid0(VALU_DEP_1)
	v_fma_f32 v3, -v13, v58, v3
	s_waitcnt lgkmcnt(3)
	v_mul_f32_e32 v27, v27, v48
	v_fma_f32 v46, -v14, v74, v10
	ds_load_2addr_b64 v[8:11], v90 offset0:95 offset1:96
	ds_load_b32 v29, v29
	ds_load_b32 v55, v16
	;; [unrolled: 1-line block ×3, first 2 shown]
	v_fma_f32 v53, -v14, v75, v53
	v_fma_f32 v2, -v14, v86, v2
	;; [unrolled: 1-line block ×3, first 2 shown]
	ds_load_2addr_b32 v[46:47], v90 offset0:171 offset1:172
	ds_load_2addr_b32 v[48:49], v90 offset0:173 offset1:174
	s_waitcnt lgkmcnt(6)
	v_fma_f32 v5, -v26, v31, v5
	v_fma_f32 v3, -v14, v87, v3
	;; [unrolled: 1-line block ×7, first 2 shown]
	v_add_nc_u32_e64 v36, 0x200, s5
	v_mul_f32_e32 v28, v28, v7
	v_fma_f32 v50, -v27, v83, v16
	ds_load_b64 v[6:7], v90 offset:776
	ds_load_2addr_b32 v[16:17], v90 offset0:211 offset1:212
	s_waitcnt lgkmcnt(7)
	v_fma_f32 v8, -v28, v8, v50
	s_waitcnt lgkmcnt(3)
	v_fma_f32 v2, -v27, v46, v2
	s_delay_alu instid0(VALU_DEP_2) | instskip(SKIP_4) | instid1(VALU_DEP_4)
	v_mul_f32_e32 v29, v29, v8
	v_fma_f32 v8, -v26, v30, v18
	v_fma_f32 v30, -v25, v43, v4
	;; [unrolled: 1-line block ×5, first 2 shown]
	s_delay_alu instid0(VALU_DEP_4) | instskip(NEXT) | instid1(VALU_DEP_4)
	v_fma_f32 v33, -v26, v64, v30
	v_fma_f32 v10, -v28, v10, v34
	s_delay_alu instid0(VALU_DEP_3)
	v_fma_f32 v18, -v13, v59, v8
	s_waitcnt lgkmcnt(0)
	v_fma_f32 v16, -v29, v16, v2
	ds_load_2addr_b32 v[8:9], v90 offset0:213 offset1:214
	ds_load_b128 v[2:5], v90 offset:928
	v_fma_f32 v33, -v12, v35, v33
	v_fma_f32 v18, -v14, v88, v18
	v_mul_f32_e32 v30, v55, v16
	v_fma_f32 v16, -v13, v44, v32
	ds_load_2addr_b32 v[31:32], v90 offset0:215 offset1:252
	v_fma_f32 v35, -v13, v45, v33
	v_fma_f32 v18, -v15, v37, v18
	ds_load_2addr_b32 v[33:34], v90 offset0:253 offset1:254
	v_fma_f32 v16, -v14, v89, v16
	v_fma_f32 v17, -v29, v17, v10
	;; [unrolled: 1-line block ×4, first 2 shown]
	s_delay_alu instid0(VALU_DEP_4) | instskip(NEXT) | instid1(VALU_DEP_3)
	v_fma_f32 v16, -v15, v38, v16
	v_fma_f32 v35, -v15, v39, v35
	s_delay_alu instid0(VALU_DEP_3)
	v_fma_f32 v18, -v28, v11, v18
	ds_load_2addr_b32 v[10:11], v36 offset0:127 offset1:145
	v_fma_f32 v16, -v27, v49, v16
	s_waitcnt lgkmcnt(3)
	v_fma_f32 v2, -v30, v2, v17
	v_fma_f32 v35, -v27, v73, v35
	;; [unrolled: 1-line block ×3, first 2 shown]
	v_add_nc_u32_e64 v18, 0x400, s5
	v_fma_f32 v6, -v28, v6, v16
	ds_load_b64 v[16:17], v90 offset:1096
	s_waitcnt lgkmcnt(3)
	v_mul_f32_e32 v2, v32, v2
	v_fma_f32 v3, -v30, v3, v8
	v_fma_f32 v7, -v28, v7, v35
	;; [unrolled: 1-line block ×3, first 2 shown]
	ds_load_2addr_b32 v[8:9], v18 offset0:38 offset1:39
	s_waitcnt lgkmcnt(3)
	v_fma_f32 v3, -v2, v33, v3
	v_fma_f32 v4, -v30, v4, v6
	;; [unrolled: 1-line block ×3, first 2 shown]
	s_waitcnt lgkmcnt(2)
	s_delay_alu instid0(VALU_DEP_3) | instskip(NEXT) | instid1(VALU_DEP_3)
	v_mul_f32_e32 v3, v11, v3
	v_fma_f32 v4, -v2, v34, v4
	s_delay_alu instid0(VALU_DEP_3) | instskip(SKIP_1) | instid1(VALU_DEP_2)
	v_fma_f32 v5, -v30, v5, v6
	s_waitcnt lgkmcnt(1)
	v_fma_f32 v4, -v3, v16, v4
	s_delay_alu instid0(VALU_DEP_2) | instskip(SKIP_1) | instid1(VALU_DEP_2)
	v_fma_f32 v5, -v2, v10, v5
	s_waitcnt lgkmcnt(0)
	v_mul_f32_e32 v4, v8, v4
	s_delay_alu instid0(VALU_DEP_2) | instskip(NEXT) | instid1(VALU_DEP_1)
	v_fma_f32 v5, -v3, v17, v5
	v_fma_f32 v5, -v4, v9, v5
	s_delay_alu instid0(VALU_DEP_1)
	v_mul_f32_e32 v5, v54, v5
	s_clause 0x3
	global_store_b128 v[0:1], v[23:26], off
	global_store_b128 v[0:1], v[12:15], off offset:16
	global_store_b128 v[0:1], v[27:30], off offset:32
	;; [unrolled: 1-line block ×3, first 2 shown]
.LBB24_46:
	s_cmp_ge_i32 s4, s2
	s_cbranch_scc1 .LBB24_57
; %bb.47:
	s_add_i32 s3, s4, -1
	s_lshl_b32 s6, s4, 2
	s_add_u32 s0, s8, s0
	s_addc_u32 s1, s9, s1
	v_add_co_u32 v6, vcc_lo, s0, v21
	v_add_co_ci_u32_e32 v7, vcc_lo, s1, v22, vcc_lo
	s_mov_b32 s1, 0
	s_delay_alu instid0(VALU_DEP_2) | instskip(NEXT) | instid1(VALU_DEP_2)
	v_add_co_u32 v0, vcc_lo, v6, 28
	v_add_co_ci_u32_e32 v1, vcc_lo, 0, v7, vcc_lo
	s_mov_b32 s8, s4
	s_mov_b32 s7, 0
	s_branch .LBB24_49
.LBB24_48:                              ;   in Loop: Header=BB24_49 Depth=1
	s_mul_i32 s0, s4, 0x54
	v_add_nc_u16 v5, s8, 1
	v_mov_b32_e32 v4, s0
	s_add_i32 s4, s4, 1
	s_add_i32 s7, s7, 1
	s_add_i32 s6, s6, 4
	v_readfirstlane_b32 s8, v5
	ds_load_b32 v4, v4
	s_cmp_ge_i32 s4, s2
	s_waitcnt lgkmcnt(0)
	v_mul_f32_e32 v4, v4, v8
	global_store_b32 v[2:3], v4, off
	s_cbranch_scc1 .LBB24_57
.LBB24_49:                              ; =>This Loop Header: Depth=1
                                        ;     Child Loop BB24_52 Depth 2
                                        ;     Child Loop BB24_56 Depth 2
	s_ashr_i32 s5, s4, 31
	s_delay_alu instid0(SALU_CYCLE_1)
	s_lshl_b64 s[10:11], s[4:5], 2
	s_cmp_eq_u32 s4, 0
	v_add_co_u32 v2, vcc_lo, v19, s10
	v_add_co_ci_u32_e32 v3, vcc_lo, s11, v20, vcc_lo
	global_load_b32 v4, v[2:3], off
	s_waitcnt vmcnt(0)
	v_mul_f32_e32 v8, s15, v4
	s_cbranch_scc1 .LBB24_48
; %bb.50:                               ;   in Loop: Header=BB24_49 Depth=1
	s_add_i32 s0, s3, s7
	s_delay_alu instid0(SALU_CYCLE_1)
	s_cmp_lt_u32 s0, 7
	s_cbranch_scc1 .LBB24_54
; %bb.51:                               ;   in Loop: Header=BB24_49 Depth=1
	v_dual_mov_b32 v5, v1 :: v_dual_mov_b32 v4, v0
	s_and_b32 s0, s4, -8
	s_mov_b32 s5, 0
	s_mov_b32 s9, s6
	s_set_inst_prefetch_distance 0x1
	.p2align	6
.LBB24_52:                              ;   Parent Loop BB24_49 Depth=1
                                        ; =>  This Inner Loop Header: Depth=2
	s_clause 0x1
	global_load_b128 v[9:12], v[4:5], off offset:-28
	global_load_b128 v[13:16], v[4:5], off offset:-12
	v_mov_b32_e32 v25, s9
	v_add_co_u32 v4, vcc_lo, v4, 32
	v_add_co_ci_u32_e32 v5, vcc_lo, 0, v5, vcc_lo
	ds_load_2addr_b32 v[17:18], v25 offset1:20
	ds_load_2addr_b32 v[21:22], v25 offset0:40 offset1:60
	ds_load_2addr_b32 v[23:24], v25 offset0:80 offset1:100
	s_add_i32 s5, s5, 8
	s_addk_i32 s9, 0x280
	s_cmp_lg_u32 s0, s5
	s_waitcnt vmcnt(1) lgkmcnt(2)
	v_fma_f32 v8, -v9, v17, v8
	s_delay_alu instid0(VALU_DEP_1) | instskip(SKIP_3) | instid1(VALU_DEP_1)
	v_fma_f32 v10, -v10, v18, v8
	ds_load_2addr_b32 v[8:9], v25 offset0:120 offset1:140
	s_waitcnt lgkmcnt(2)
	v_fma_f32 v10, -v11, v21, v10
	v_fma_f32 v10, -v12, v22, v10
	s_waitcnt vmcnt(0) lgkmcnt(1)
	s_delay_alu instid0(VALU_DEP_1) | instskip(NEXT) | instid1(VALU_DEP_1)
	v_fma_f32 v10, -v13, v23, v10
	v_fma_f32 v10, -v14, v24, v10
	s_waitcnt lgkmcnt(0)
	s_delay_alu instid0(VALU_DEP_1) | instskip(NEXT) | instid1(VALU_DEP_1)
	v_fma_f32 v8, -v15, v8, v10
	v_fma_f32 v8, -v16, v9, v8
	s_cbranch_scc1 .LBB24_52
; %bb.53:                               ;   in Loop: Header=BB24_49 Depth=1
	s_set_inst_prefetch_distance 0x2
	s_and_b32 s5, s4, 7
	s_delay_alu instid0(SALU_CYCLE_1)
	s_cmp_eq_u32 s5, 0
	s_cbranch_scc0 .LBB24_55
	s_branch .LBB24_48
.LBB24_54:                              ;   in Loop: Header=BB24_49 Depth=1
	s_mov_b32 s0, 0
	s_and_b32 s5, s4, 7
	s_delay_alu instid0(SALU_CYCLE_1)
	s_cmp_eq_u32 s5, 0
	s_cbranch_scc1 .LBB24_48
.LBB24_55:                              ;   in Loop: Header=BB24_49 Depth=1
	s_lshl_b64 s[10:11], s[0:1], 2
	s_and_b32 s5, s8, 7
	v_add_co_u32 v4, vcc_lo, v6, s10
	v_add_co_ci_u32_e32 v5, vcc_lo, s11, v7, vcc_lo
	s_mulk_i32 s0, 0x50
.LBB24_56:                              ;   Parent Loop BB24_49 Depth=1
                                        ; =>  This Inner Loop Header: Depth=2
	global_load_b32 v9, v[4:5], off
	s_add_i32 s9, s6, s0
	v_add_co_u32 v4, vcc_lo, v4, 4
	v_mov_b32_e32 v10, s9
	v_add_co_ci_u32_e32 v5, vcc_lo, 0, v5, vcc_lo
	s_add_i32 s5, s5, -1
	s_addk_i32 s0, 0x50
	ds_load_b32 v10, v10
	s_cmp_lg_u32 s5, 0
	s_waitcnt vmcnt(0) lgkmcnt(0)
	v_fma_f32 v8, -v9, v10, v8
	s_cbranch_scc1 .LBB24_56
	s_branch .LBB24_48
.LBB24_57:
	s_nop 0
	s_sendmsg sendmsg(MSG_DEALLOC_VGPRS)
	s_endpgm
	.section	.rodata,"a",@progbits
	.p2align	6, 0x0
	.amdhsa_kernel _ZL30rocblas_trsm_small_left_deviceILi20ELi20ELb1EffPKPKfPKPfEv13rocblas_fill_18rocblas_operation_17rocblas_diagonal_iiT3_T4_lilT5_lili
		.amdhsa_group_segment_fixed_size 1600
		.amdhsa_private_segment_fixed_size 0
		.amdhsa_kernarg_size 352
		.amdhsa_user_sgpr_count 14
		.amdhsa_user_sgpr_dispatch_ptr 0
		.amdhsa_user_sgpr_queue_ptr 0
		.amdhsa_user_sgpr_kernarg_segment_ptr 1
		.amdhsa_user_sgpr_dispatch_id 0
		.amdhsa_user_sgpr_private_segment_size 0
		.amdhsa_wavefront_size32 1
		.amdhsa_uses_dynamic_stack 0
		.amdhsa_enable_private_segment 0
		.amdhsa_system_sgpr_workgroup_id_x 1
		.amdhsa_system_sgpr_workgroup_id_y 0
		.amdhsa_system_sgpr_workgroup_id_z 1
		.amdhsa_system_sgpr_workgroup_info 0
		.amdhsa_system_vgpr_workitem_id 0
		.amdhsa_next_free_vgpr 103
		.amdhsa_next_free_sgpr 60
		.amdhsa_reserve_vcc 1
		.amdhsa_float_round_mode_32 0
		.amdhsa_float_round_mode_16_64 0
		.amdhsa_float_denorm_mode_32 3
		.amdhsa_float_denorm_mode_16_64 3
		.amdhsa_dx10_clamp 1
		.amdhsa_ieee_mode 1
		.amdhsa_fp16_overflow 0
		.amdhsa_workgroup_processor_mode 1
		.amdhsa_memory_ordered 1
		.amdhsa_forward_progress 0
		.amdhsa_shared_vgpr_count 0
		.amdhsa_exception_fp_ieee_invalid_op 0
		.amdhsa_exception_fp_denorm_src 0
		.amdhsa_exception_fp_ieee_div_zero 0
		.amdhsa_exception_fp_ieee_overflow 0
		.amdhsa_exception_fp_ieee_underflow 0
		.amdhsa_exception_fp_ieee_inexact 0
		.amdhsa_exception_int_div_zero 0
	.end_amdhsa_kernel
	.section	.text._ZL30rocblas_trsm_small_left_deviceILi20ELi20ELb1EffPKPKfPKPfEv13rocblas_fill_18rocblas_operation_17rocblas_diagonal_iiT3_T4_lilT5_lili,"axG",@progbits,_ZL30rocblas_trsm_small_left_deviceILi20ELi20ELb1EffPKPKfPKPfEv13rocblas_fill_18rocblas_operation_17rocblas_diagonal_iiT3_T4_lilT5_lili,comdat
.Lfunc_end24:
	.size	_ZL30rocblas_trsm_small_left_deviceILi20ELi20ELb1EffPKPKfPKPfEv13rocblas_fill_18rocblas_operation_17rocblas_diagonal_iiT3_T4_lilT5_lili, .Lfunc_end24-_ZL30rocblas_trsm_small_left_deviceILi20ELi20ELb1EffPKPKfPKPfEv13rocblas_fill_18rocblas_operation_17rocblas_diagonal_iiT3_T4_lilT5_lili
                                        ; -- End function
	.section	.AMDGPU.csdata,"",@progbits
; Kernel info:
; codeLenInByte = 15184
; NumSgprs: 62
; NumVgprs: 103
; ScratchSize: 0
; MemoryBound: 0
; FloatMode: 240
; IeeeMode: 1
; LDSByteSize: 1600 bytes/workgroup (compile time only)
; SGPRBlocks: 7
; VGPRBlocks: 12
; NumSGPRsForWavesPerEU: 62
; NumVGPRsForWavesPerEU: 103
; Occupancy: 12
; WaveLimiterHint : 1
; COMPUTE_PGM_RSRC2:SCRATCH_EN: 0
; COMPUTE_PGM_RSRC2:USER_SGPR: 14
; COMPUTE_PGM_RSRC2:TRAP_HANDLER: 0
; COMPUTE_PGM_RSRC2:TGID_X_EN: 1
; COMPUTE_PGM_RSRC2:TGID_Y_EN: 0
; COMPUTE_PGM_RSRC2:TGID_Z_EN: 1
; COMPUTE_PGM_RSRC2:TIDIG_COMP_CNT: 0
	.section	.text._ZL31rocblas_trsm_small_right_deviceIffPKPKfPKPfLi20EEv13rocblas_fill_18rocblas_operation_17rocblas_diagonal_iiT0_T1_lilT2_lili,"axG",@progbits,_ZL31rocblas_trsm_small_right_deviceIffPKPKfPKPfLi20EEv13rocblas_fill_18rocblas_operation_17rocblas_diagonal_iiT0_T1_lilT2_lili,comdat
	.globl	_ZL31rocblas_trsm_small_right_deviceIffPKPKfPKPfLi20EEv13rocblas_fill_18rocblas_operation_17rocblas_diagonal_iiT0_T1_lilT2_lili ; -- Begin function _ZL31rocblas_trsm_small_right_deviceIffPKPKfPKPfLi20EEv13rocblas_fill_18rocblas_operation_17rocblas_diagonal_iiT0_T1_lilT2_lili
	.p2align	8
	.type	_ZL31rocblas_trsm_small_right_deviceIffPKPKfPKPfLi20EEv13rocblas_fill_18rocblas_operation_17rocblas_diagonal_iiT0_T1_lilT2_lili,@function
_ZL31rocblas_trsm_small_right_deviceIffPKPKfPKPfLi20EEv13rocblas_fill_18rocblas_operation_17rocblas_diagonal_iiT0_T1_lilT2_lili: ; @_ZL31rocblas_trsm_small_right_deviceIffPKPKfPKPfLi20EEv13rocblas_fill_18rocblas_operation_17rocblas_diagonal_iiT0_T1_lilT2_lili
; %bb.0:
	s_clause 0x1
	s_load_b128 s[8:11], s[0:1], 0x38
	s_load_b64 s[12:13], s[0:1], 0x10
	s_mov_b32 s20, s15
	s_mov_b32 s21, 0
	s_mov_b32 s15, exec_lo
	s_lshl_b64 s[22:23], s[20:21], 3
	s_waitcnt lgkmcnt(0)
	s_add_u32 s2, s8, s22
	s_addc_u32 s3, s9, s23
	s_load_b128 s[4:7], s[0:1], 0x0
	s_load_b64 s[2:3], s[2:3], 0x0
	s_min_i32 s20, s12, 20
	s_delay_alu instid0(SALU_CYCLE_1)
	s_add_i32 s28, s20, -1
	v_cmpx_gt_i32_e64 s20, v0
	s_cbranch_execz .LBB25_9
; %bb.1:
	s_clause 0x1
	s_load_b32 s8, s[0:1], 0x28
	s_load_b128 s[16:19], s[0:1], 0x18
	s_waitcnt lgkmcnt(0)
	s_ashr_i32 s9, s8, 31
	s_add_u32 s16, s16, s22
	s_addc_u32 s17, s17, s23
	s_cmp_lt_u32 s28, 3
	s_load_b64 s[16:17], s[16:17], 0x0
	s_cbranch_scc1 .LBB25_4
; %bb.2:
	v_lshlrev_b32_e32 v3, 2, v0
	s_lshl_b64 s[22:23], s[18:19], 2
	s_mul_hi_i32 s29, s8, 12
	s_waitcnt lgkmcnt(0)
	s_add_u32 s21, s16, s22
	s_addc_u32 s22, s17, s23
	v_add_co_u32 v1, s21, s21, v3
	s_delay_alu instid0(VALU_DEP_1)
	v_add_co_ci_u32_e64 v2, null, s22, 0, s21
	s_and_b32 s21, s20, -4
	s_mul_i32 s30, s8, 12
	s_lshl_b64 s[22:23], s[8:9], 4
	s_lshl_b64 s[24:25], s[8:9], 3
	;; [unrolled: 1-line block ×3, first 2 shown]
	s_mov_b32 s31, 0
	.p2align	6
.LBB25_3:                               ; =>This Inner Loop Header: Depth=1
	v_add_co_u32 v4, vcc_lo, v1, s26
	v_add_co_ci_u32_e32 v5, vcc_lo, s27, v2, vcc_lo
	v_add_co_u32 v6, vcc_lo, v1, s24
	v_add_co_ci_u32_e32 v7, vcc_lo, s25, v2, vcc_lo
	;; [unrolled: 2-line block ×3, first 2 shown]
	s_clause 0x3
	global_load_b32 v10, v[1:2], off
	global_load_b32 v4, v[4:5], off
	;; [unrolled: 1-line block ×4, first 2 shown]
	v_add_co_u32 v1, vcc_lo, v1, s22
	v_add_co_ci_u32_e32 v2, vcc_lo, s23, v2, vcc_lo
	s_add_i32 s31, s31, 4
	s_waitcnt vmcnt(2)
	ds_store_2addr_b32 v3, v10, v4 offset1:20
	s_waitcnt vmcnt(0)
	ds_store_2addr_b32 v3, v5, v6 offset0:40 offset1:60
	v_add_nc_u32_e32 v3, 0x140, v3
	s_cmp_eq_u32 s21, s31
	s_cbranch_scc0 .LBB25_3
.LBB25_4:
	s_and_b32 s22, s20, 3
	s_delay_alu instid0(SALU_CYCLE_1)
	s_cmp_eq_u32 s22, 0
	s_cbranch_scc1 .LBB25_7
; %bb.5:
	s_mul_i32 s23, s9, s21
	s_mul_hi_u32 s24, s8, s21
	s_lshl_b64 s[18:19], s[18:19], 2
	s_add_i32 s25, s24, s23
	s_mul_i32 s24, s8, s21
	v_lshlrev_b32_e32 v1, 2, v0
	s_lshl_b64 s[24:25], s[24:25], 2
	s_mulk_i32 s21, 0x50
	s_add_u32 s18, s24, s18
	s_addc_u32 s19, s25, s19
	s_waitcnt lgkmcnt(0)
	s_add_u32 s16, s16, s18
	s_addc_u32 s17, s17, s19
	v_add_co_u32 v1, s16, s16, v1
	v_lshl_add_u32 v3, v0, 2, s21
	v_add_co_ci_u32_e64 v2, null, s17, 0, s16
	s_lshl_b64 s[8:9], s[8:9], 2
.LBB25_6:                               ; =>This Inner Loop Header: Depth=1
	global_load_b32 v4, v[1:2], off
	v_add_co_u32 v1, vcc_lo, v1, s8
	v_add_co_ci_u32_e32 v2, vcc_lo, s9, v2, vcc_lo
	s_add_i32 s22, s22, -1
	s_delay_alu instid0(SALU_CYCLE_1)
	s_cmp_lg_u32 s22, 0
	s_waitcnt vmcnt(0)
	ds_store_b32 v3, v4
	v_add_nc_u32_e32 v3, 0x50, v3
	s_cbranch_scc1 .LBB25_6
.LBB25_7:
	s_cmpk_eq_i32 s6, 0x84
	s_cbranch_scc0 .LBB25_9
; %bb.8:
	v_mul_u32_u24_e32 v1, 21, v0
	s_delay_alu instid0(VALU_DEP_1)
	v_dual_mov_b32 v2, 1.0 :: v_dual_lshlrev_b32 v1, 2, v1
	ds_store_b32 v1, v2
.LBB25_9:
	s_or_b32 exec_lo, exec_lo, s15
	s_waitcnt lgkmcnt(0)
	s_clause 0x1
	s_load_b32 s6, s[0:1], 0x60
	s_load_b32 s0, s[0:1], 0x48
	s_lshl_b64 s[8:9], s[10:11], 2
	s_mul_i32 s11, s14, 0xffffffec
	s_add_u32 s1, s2, s8
	s_addc_u32 s10, s3, s9
	s_add_i32 s11, s11, s7
	s_mul_i32 s16, s14, 0x50
	s_mul_hi_i32 s17, s14, 0x50
	s_mov_b32 s23, 0
	s_waitcnt lgkmcnt(0)
	s_add_i32 s6, s6, -1
	s_delay_alu instid0(SALU_CYCLE_1)
	s_cmp_ge_u32 s14, s6
	s_cselect_b32 s6, s11, 20
	s_add_u32 s18, s1, s16
	s_addc_u32 s19, s10, s17
	v_cmp_gt_i32_e32 vcc_lo, s6, v0
	s_cmp_gt_i32 s12, 0
	s_cselect_b32 s1, -1, 0
	s_delay_alu instid0(SALU_CYCLE_1) | instskip(NEXT) | instid1(SALU_CYCLE_1)
	s_and_b32 s21, vcc_lo, s1
	s_and_saveexec_b32 s22, s21
	s_cbranch_execz .LBB25_16
; %bb.10:
	s_ashr_i32 s1, s0, 31
	s_cmp_lt_u32 s12, 4
	s_cbranch_scc1 .LBB25_13
; %bb.11:
	v_lshlrev_b32_e32 v1, 2, v0
	v_lshl_add_u32 v3, v0, 2, 0x640
	s_and_b32 s23, s12, 0x7ffffffc
	s_mul_hi_i32 s24, s0, 12
	s_mul_i32 s25, s0, 12
	v_add_co_u32 v1, s6, s18, v1
	s_delay_alu instid0(VALU_DEP_1)
	v_add_co_ci_u32_e64 v2, null, s19, 0, s6
	s_lshl_b64 s[6:7], s[0:1], 4
	s_lshl_b64 s[10:11], s[0:1], 3
	;; [unrolled: 1-line block ×3, first 2 shown]
	s_mov_b32 s26, 0
	s_set_inst_prefetch_distance 0x1
	.p2align	6
.LBB25_12:                              ; =>This Inner Loop Header: Depth=1
	v_add_co_u32 v4, vcc_lo, v1, s14
	v_add_co_ci_u32_e32 v5, vcc_lo, s15, v2, vcc_lo
	v_add_co_u32 v6, vcc_lo, v1, s10
	v_add_co_ci_u32_e32 v7, vcc_lo, s11, v2, vcc_lo
	;; [unrolled: 2-line block ×3, first 2 shown]
	s_clause 0x3
	global_load_b32 v10, v[1:2], off
	global_load_b32 v4, v[4:5], off
	;; [unrolled: 1-line block ×4, first 2 shown]
	v_add_co_u32 v1, vcc_lo, v1, s6
	v_add_co_ci_u32_e32 v2, vcc_lo, s7, v2, vcc_lo
	s_add_i32 s26, s26, 4
	s_delay_alu instid0(SALU_CYCLE_1)
	s_cmp_lg_u32 s23, s26
	s_waitcnt vmcnt(2)
	v_dual_mul_f32 v7, s13, v10 :: v_dual_mul_f32 v4, s13, v4
	s_waitcnt vmcnt(0)
	v_dual_mul_f32 v5, s13, v5 :: v_dual_mul_f32 v6, s13, v6
	ds_store_2addr_b32 v3, v7, v4 offset1:20
	ds_store_2addr_b32 v3, v5, v6 offset0:40 offset1:60
	v_add_nc_u32_e32 v3, 0x140, v3
	s_cbranch_scc1 .LBB25_12
.LBB25_13:
	s_set_inst_prefetch_distance 0x2
	s_and_b32 s10, s12, 3
	s_delay_alu instid0(SALU_CYCLE_1)
	s_cmp_eq_u32 s10, 0
	s_cbranch_scc1 .LBB25_16
; %bb.14:
	s_mul_hi_i32 s7, s0, s23
	s_mul_i32 s6, s0, s23
	v_lshlrev_b32_e32 v1, 2, v0
	s_lshl_b64 s[6:7], s[6:7], 2
	s_mul_i32 s11, s23, 0x50
	s_add_u32 s6, s6, s16
	s_addc_u32 s7, s7, s17
	s_add_u32 s6, s6, s8
	s_addc_u32 s7, s7, s9
	s_add_u32 s6, s2, s6
	v_add3_u32 v3, s11, v1, 0x640
	s_addc_u32 s7, s3, s7
	v_add_co_u32 v1, s6, s6, v1
	s_delay_alu instid0(VALU_DEP_1)
	v_add_co_ci_u32_e64 v2, null, s7, 0, s6
	s_lshl_b64 s[6:7], s[0:1], 2
.LBB25_15:                              ; =>This Inner Loop Header: Depth=1
	global_load_b32 v4, v[1:2], off
	v_add_co_u32 v1, vcc_lo, v1, s6
	v_add_co_ci_u32_e32 v2, vcc_lo, s7, v2, vcc_lo
	s_add_i32 s10, s10, -1
	s_delay_alu instid0(SALU_CYCLE_1)
	s_cmp_lg_u32 s10, 0
	s_waitcnt vmcnt(0)
	v_mul_f32_e32 v4, s13, v4
	ds_store_b32 v3, v4
	v_add_nc_u32_e32 v3, 0x50, v3
	s_cbranch_scc1 .LBB25_15
.LBB25_16:
	s_or_b32 exec_lo, exec_lo, s22
	s_cmpk_eq_i32 s5, 0x6f
	s_waitcnt lgkmcnt(0)
	s_cselect_b32 s1, -1, 0
	s_cmpk_eq_i32 s4, 0x79
	; wave barrier
	buffer_gl0_inv
	s_cselect_b32 s6, -1, 0
	s_cmpk_lg_i32 s4, 0x79
	s_cselect_b32 s5, -1, 0
	s_and_b32 s6, s6, s1
	s_delay_alu instid0(SALU_CYCLE_1)
	s_and_not1_b32 vcc_lo, exec_lo, s6
	s_mov_b32 s6, -1
	s_cbranch_vccz .LBB25_80
; %bb.17:
	s_cmpk_lg_i32 s4, 0x7a
	s_cselect_b32 s4, -1, 0
	s_xor_b32 s1, s1, -1
	s_delay_alu instid0(SALU_CYCLE_1)
	s_or_b32 s4, s4, s1
	s_cmp_gt_i32 s12, 3
	s_cselect_b32 s1, -1, 0
	s_and_b32 vcc_lo, exec_lo, s4
	s_mov_b32 s4, -1
	s_cbranch_vccz .LBB25_59
; %bb.18:
	s_and_not1_b32 vcc_lo, exec_lo, s5
	s_cbranch_vccnz .LBB25_38
; %bb.19:
	s_and_not1_b32 vcc_lo, exec_lo, s1
	s_mov_b32 s6, 0
	s_cbranch_vccnz .LBB25_26
; %bb.20:
	v_lshl_add_u32 v3, v0, 2, 0x640
	s_mov_b32 s4, 0
	s_mov_b32 s5, 0
.LBB25_21:                              ; =>This Loop Header: Depth=1
                                        ;     Child Loop BB25_23 Depth 2
	s_delay_alu instid0(SALU_CYCLE_1) | instskip(NEXT) | instid1(SALU_CYCLE_1)
	s_mul_i32 s7, s5, 20
	s_add_i32 s6, s7, 40
	v_add_lshl_u32 v4, s7, v0, 2
	v_add_lshl_u32 v6, s6, v0, 2
	s_add_i32 s6, s7, 20
	s_cmp_eq_u32 s5, 0
	v_add_lshl_u32 v5, s6, v0, 2
	s_delay_alu instid0(VALU_DEP_2)
	v_add_nc_u32_e32 v1, 0x400, v6
	ds_load_b32 v8, v4 offset:1600
	ds_load_b32 v7, v5 offset:1600
	ds_load_2addr_b32 v[1:2], v1 offset0:144 offset1:164
	s_cbranch_scc1 .LBB25_24
; %bb.22:                               ;   in Loop: Header=BB25_21 Depth=1
	v_mov_b32_e32 v9, v3
	s_mov_b32 s7, 0
	s_mov_b32 s10, s4
.LBB25_23:                              ;   Parent Loop BB25_21 Depth=1
                                        ; =>  This Inner Loop Header: Depth=2
	s_delay_alu instid0(SALU_CYCLE_1)
	v_mov_b32_e32 v22, s10
	s_add_i32 s7, s7, 4
	s_addk_i32 s10, 0x140
	s_cmp_ge_u32 s7, s5
	ds_load_2addr_b32 v[26:27], v9 offset1:20
	ds_load_b128 v[10:13], v22
	ds_load_b128 v[14:17], v22 offset:80
	ds_load_2addr_b32 v[28:29], v9 offset0:40 offset1:60
	ds_load_b128 v[18:21], v22 offset:160
	ds_load_b128 v[22:25], v22 offset:240
	v_add_nc_u32_e32 v9, 0x140, v9
	s_waitcnt lgkmcnt(4)
	v_fma_f32 v8, -v26, v10, v8
	v_fma_f32 v7, -v26, v11, v7
	v_fma_f32 v1, -v26, v12, v1
	v_fma_f32 v2, -v26, v13, v2
	s_waitcnt lgkmcnt(3)
	v_fma_f32 v8, -v27, v14, v8
	v_fma_f32 v7, -v27, v15, v7
	v_fma_f32 v1, -v27, v16, v1
	v_fma_f32 v2, -v27, v17, v2
	;; [unrolled: 5-line block ×4, first 2 shown]
	s_cbranch_scc0 .LBB25_23
.LBB25_24:                              ;   in Loop: Header=BB25_21 Depth=1
	s_mul_i32 s7, s5, 0x54
	s_delay_alu instid0(SALU_CYCLE_1)
	v_dual_mov_b32 v15, s7 :: v_dual_add_nc_u32 v4, 0x640, v4
	s_add_i32 s6, s6, s5
	s_add_i32 s4, s4, 16
	s_lshl_b32 s6, s6, 2
	ds_load_b128 v[9:12], v15
	ds_load_2addr_b32 v[13:14], v15 offset0:21 offset1:22
	s_waitcnt lgkmcnt(1)
	v_div_scale_f32 v16, null, v9, v9, v8
	v_div_scale_f32 v19, vcc_lo, v8, v9, v8
	s_delay_alu instid0(VALU_DEP_2) | instskip(SKIP_2) | instid1(VALU_DEP_1)
	v_rcp_f32_e32 v17, v16
	s_waitcnt_depctr 0xfff
	v_fma_f32 v18, -v16, v17, 1.0
	v_dual_fmac_f32 v17, v18, v17 :: v_dual_add_nc_u32 v6, 0x640, v6
	s_delay_alu instid0(VALU_DEP_1) | instskip(NEXT) | instid1(VALU_DEP_1)
	v_mul_f32_e32 v18, v19, v17
	v_fma_f32 v20, -v16, v18, v19
	s_delay_alu instid0(VALU_DEP_1) | instskip(NEXT) | instid1(VALU_DEP_1)
	v_fmac_f32_e32 v18, v20, v17
	v_fma_f32 v16, -v16, v18, v19
	s_delay_alu instid0(VALU_DEP_1) | instskip(NEXT) | instid1(VALU_DEP_1)
	v_div_fmas_f32 v16, v16, v17, v18
	v_div_fixup_f32 v9, v16, v9, v8
	s_delay_alu instid0(VALU_DEP_1)
	v_fma_f32 v10, -v9, v10, v7
	v_fma_f32 v1, -v9, v11, v1
	;; [unrolled: 1-line block ×3, first 2 shown]
	ds_load_b32 v11, v15 offset:252
	s_waitcnt lgkmcnt(1)
	v_div_scale_f32 v16, null, v13, v13, v10
	v_div_scale_f32 v18, vcc_lo, v10, v13, v10
	s_delay_alu instid0(VALU_DEP_2) | instskip(SKIP_2) | instid1(VALU_DEP_1)
	v_rcp_f32_e32 v17, v16
	s_waitcnt_depctr 0xfff
	v_fma_f32 v7, -v16, v17, 1.0
	v_fmac_f32_e32 v17, v7, v17
	s_delay_alu instid0(VALU_DEP_1) | instskip(NEXT) | instid1(VALU_DEP_1)
	v_mul_f32_e32 v19, v18, v17
	v_fma_f32 v7, -v16, v19, v18
	s_delay_alu instid0(VALU_DEP_1) | instskip(SKIP_2) | instid1(VALU_DEP_1)
	v_fmac_f32_e32 v19, v7, v17
	ds_load_b64 v[7:8], v15 offset:168
	v_fma_f32 v16, -v16, v19, v18
	v_div_fmas_f32 v16, v16, v17, v19
	s_delay_alu instid0(VALU_DEP_1) | instskip(NEXT) | instid1(VALU_DEP_1)
	v_div_fixup_f32 v10, v16, v13, v10
	v_fma_f32 v1, -v10, v14, v1
	s_waitcnt lgkmcnt(0)
	s_delay_alu instid0(VALU_DEP_1) | instskip(SKIP_1) | instid1(VALU_DEP_2)
	v_div_scale_f32 v13, null, v7, v7, v1
	v_div_scale_f32 v16, vcc_lo, v1, v7, v1
	v_rcp_f32_e32 v14, v13
	s_waitcnt_depctr 0xfff
	v_fma_f32 v15, -v13, v14, 1.0
	s_delay_alu instid0(VALU_DEP_1) | instskip(SKIP_3) | instid1(SALU_CYCLE_1)
	v_dual_fmac_f32 v14, v15, v14 :: v_dual_add_nc_u32 v5, 0x640, v5
	v_mov_b32_e32 v15, s6
	s_add_i32 s6, s5, 4
	s_add_i32 s5, s5, 7
	s_cmp_ge_i32 s5, s20
	v_mul_f32_e32 v17, v16, v14
	ds_load_b32 v15, v15 offset:12
	v_fma_f32 v18, -v13, v17, v16
	s_delay_alu instid0(VALU_DEP_1) | instskip(NEXT) | instid1(VALU_DEP_1)
	v_fmac_f32_e32 v17, v18, v14
	v_fma_f32 v13, -v13, v17, v16
	s_delay_alu instid0(VALU_DEP_1) | instskip(SKIP_2) | instid1(VALU_DEP_2)
	v_div_fmas_f32 v12, v13, v14, v17
	s_waitcnt lgkmcnt(0)
	v_fma_f32 v2, -v10, v15, v2
	v_div_fixup_f32 v1, v12, v7, v1
	s_delay_alu instid0(VALU_DEP_1) | instskip(NEXT) | instid1(VALU_DEP_1)
	v_fma_f32 v2, -v1, v8, v2
	v_div_scale_f32 v7, null, v11, v11, v2
	v_div_scale_f32 v13, vcc_lo, v2, v11, v2
	s_delay_alu instid0(VALU_DEP_2) | instskip(SKIP_2) | instid1(VALU_DEP_1)
	v_rcp_f32_e32 v8, v7
	s_waitcnt_depctr 0xfff
	v_fma_f32 v12, -v7, v8, 1.0
	v_fmac_f32_e32 v8, v12, v8
	s_delay_alu instid0(VALU_DEP_1) | instskip(NEXT) | instid1(VALU_DEP_1)
	v_mul_f32_e32 v12, v13, v8
	v_fma_f32 v14, -v7, v12, v13
	s_delay_alu instid0(VALU_DEP_1) | instskip(NEXT) | instid1(VALU_DEP_1)
	v_fmac_f32_e32 v12, v14, v8
	v_fma_f32 v7, -v7, v12, v13
	s_delay_alu instid0(VALU_DEP_1) | instskip(NEXT) | instid1(VALU_DEP_1)
	v_div_fmas_f32 v7, v7, v8, v12
	v_div_fixup_f32 v2, v7, v11, v2
	ds_store_b32 v4, v9
	ds_store_b32 v5, v10
	ds_store_2addr_b32 v6, v1, v2 offset1:20
	s_cbranch_scc1 .LBB25_26
; %bb.25:                               ;   in Loop: Header=BB25_21 Depth=1
	s_mov_b32 s5, s6
	s_branch .LBB25_21
.LBB25_26:
	s_cmp_ge_i32 s6, s20
	s_cbranch_scc1 .LBB25_37
; %bb.27:
	v_lshl_add_u32 v1, v0, 2, 0x640
	s_add_i32 s4, s6, -1
	s_lshl_b32 s5, s6, 2
	s_mov_b32 s7, 0
	s_mov_b32 s10, s6
	s_branch .LBB25_29
.LBB25_28:                              ;   in Loop: Header=BB25_29 Depth=1
	s_mul_i32 s11, s6, 0x54
	s_delay_alu instid0(SALU_CYCLE_1)
	v_dual_mov_b32 v4, s11 :: v_dual_add_nc_u32 v3, 0x640, v3
	s_add_i32 s6, s6, 1
	s_add_i32 s7, s7, 1
	s_add_i32 s5, s5, 4
	s_cmp_ge_i32 s6, s20
	ds_load_b32 v4, v4
	s_waitcnt lgkmcnt(0)
	v_div_scale_f32 v5, null, v4, v4, v2
	v_div_scale_f32 v8, vcc_lo, v2, v4, v2
	s_delay_alu instid0(VALU_DEP_2) | instskip(SKIP_2) | instid1(VALU_DEP_1)
	v_rcp_f32_e32 v6, v5
	s_waitcnt_depctr 0xfff
	v_fma_f32 v7, -v5, v6, 1.0
	v_fmac_f32_e32 v6, v7, v6
	s_delay_alu instid0(VALU_DEP_1) | instskip(NEXT) | instid1(VALU_DEP_1)
	v_mul_f32_e32 v7, v8, v6
	v_fma_f32 v9, -v5, v7, v8
	s_delay_alu instid0(VALU_DEP_1) | instskip(NEXT) | instid1(VALU_DEP_1)
	v_fmac_f32_e32 v7, v9, v6
	v_fma_f32 v5, -v5, v7, v8
	s_delay_alu instid0(VALU_DEP_1) | instskip(SKIP_1) | instid1(VALU_DEP_2)
	v_div_fmas_f32 v5, v5, v6, v7
	v_add_nc_u16 v6, s10, 1
	v_div_fixup_f32 v2, v5, v4, v2
	s_delay_alu instid0(VALU_DEP_2)
	v_readfirstlane_b32 s10, v6
	ds_store_b32 v3, v2
	s_cbranch_scc1 .LBB25_37
.LBB25_29:                              ; =>This Loop Header: Depth=1
                                        ;     Child Loop BB25_32 Depth 2
                                        ;     Child Loop BB25_36 Depth 2
	s_mul_i32 s11, s6, 20
	s_cmp_eq_u32 s6, 0
	v_add_lshl_u32 v3, s11, v0, 2
	ds_load_b32 v2, v3 offset:1600
	s_cbranch_scc1 .LBB25_28
; %bb.30:                               ;   in Loop: Header=BB25_29 Depth=1
	s_add_i32 s11, s4, s7
	s_delay_alu instid0(SALU_CYCLE_1)
	s_cmp_lt_u32 s11, 7
	s_cbranch_scc1 .LBB25_34
; %bb.31:                               ;   in Loop: Header=BB25_29 Depth=1
	v_mov_b32_e32 v4, v1
	s_and_b32 s11, s6, -8
	s_mov_b32 s13, 0
	s_mov_b32 s14, s5
	s_set_inst_prefetch_distance 0x1
	.p2align	6
.LBB25_32:                              ;   Parent Loop BB25_29 Depth=1
                                        ; =>  This Inner Loop Header: Depth=2
	v_mov_b32_e32 v17, s14
	s_add_i32 s13, s13, 8
	s_addk_i32 s14, 0x280
	s_cmp_eq_u32 s11, s13
	ds_load_2addr_b32 v[5:6], v4 offset1:20
	ds_load_2addr_b32 v[7:8], v17 offset1:20
	ds_load_2addr_b32 v[9:10], v4 offset0:40 offset1:60
	ds_load_2addr_b32 v[11:12], v17 offset0:40 offset1:60
	;; [unrolled: 1-line block ×4, first 2 shown]
	s_waitcnt lgkmcnt(4)
	v_fma_f32 v2, -v5, v7, v2
	s_delay_alu instid0(VALU_DEP_1)
	v_fma_f32 v2, -v6, v8, v2
	ds_load_2addr_b32 v[5:6], v4 offset0:120 offset1:140
	ds_load_2addr_b32 v[7:8], v17 offset0:120 offset1:140
	v_add_nc_u32_e32 v4, 0x280, v4
	s_waitcnt lgkmcnt(4)
	v_fma_f32 v2, -v9, v11, v2
	s_delay_alu instid0(VALU_DEP_1) | instskip(SKIP_1) | instid1(VALU_DEP_1)
	v_fma_f32 v2, -v10, v12, v2
	s_waitcnt lgkmcnt(2)
	v_fma_f32 v2, -v13, v15, v2
	s_delay_alu instid0(VALU_DEP_1) | instskip(SKIP_1) | instid1(VALU_DEP_1)
	v_fma_f32 v2, -v14, v16, v2
	s_waitcnt lgkmcnt(0)
	v_fma_f32 v2, -v5, v7, v2
	s_delay_alu instid0(VALU_DEP_1)
	v_fma_f32 v2, -v6, v8, v2
	s_cbranch_scc0 .LBB25_32
; %bb.33:                               ;   in Loop: Header=BB25_29 Depth=1
	s_set_inst_prefetch_distance 0x2
	s_and_b32 s13, s6, 7
	s_delay_alu instid0(SALU_CYCLE_1)
	s_cmp_eq_u32 s13, 0
	s_cbranch_scc0 .LBB25_35
	s_branch .LBB25_28
.LBB25_34:                              ;   in Loop: Header=BB25_29 Depth=1
	s_mov_b32 s11, 0
	s_and_b32 s13, s6, 7
	s_delay_alu instid0(SALU_CYCLE_1)
	s_cmp_eq_u32 s13, 0
	s_cbranch_scc1 .LBB25_28
.LBB25_35:                              ;   in Loop: Header=BB25_29 Depth=1
	s_and_b32 s13, s10, 7
	s_mulk_i32 s11, 0x50
.LBB25_36:                              ;   Parent Loop BB25_29 Depth=1
                                        ; =>  This Inner Loop Header: Depth=2
	s_delay_alu instid0(SALU_CYCLE_1) | instskip(NEXT) | instid1(SALU_CYCLE_1)
	s_add_i32 s14, s5, s11
	v_dual_mov_b32 v5, s14 :: v_dual_add_nc_u32 v4, s11, v1
	s_add_i32 s13, s13, -1
	s_addk_i32 s11, 0x50
	s_cmp_lg_u32 s13, 0
	ds_load_b32 v4, v4
	ds_load_b32 v5, v5
	s_waitcnt lgkmcnt(0)
	v_fma_f32 v2, -v4, v5, v2
	s_cbranch_scc1 .LBB25_36
	s_branch .LBB25_28
.LBB25_37:
	s_mov_b32 s4, 0
.LBB25_38:
	s_delay_alu instid0(SALU_CYCLE_1)
	s_and_b32 vcc_lo, exec_lo, s4
	s_cbranch_vccz .LBB25_58
; %bb.39:
	s_and_not1_b32 vcc_lo, exec_lo, s1
	s_mov_b32 s6, s28
	s_cbranch_vccnz .LBB25_45
; %bb.40:
	v_lshlrev_b32_e32 v1, 2, v0
	s_mul_i32 s4, s20, 0x50
	s_mov_b32 s5, s28
	s_delay_alu instid0(VALU_DEP_1) | instskip(SKIP_1) | instid1(SALU_CYCLE_1)
	v_add3_u32 v3, s4, v1, 0x500
	s_mul_i32 s4, s20, 0x54
	s_addk_i32 s4, 0xfeb0
.LBB25_41:                              ; =>This Loop Header: Depth=1
                                        ;     Child Loop BB25_42 Depth 2
	s_mul_i32 s7, s5, 20
	s_mov_b32 s11, s4
	s_sub_i32 s6, s7, 40
	s_sub_i32 s10, s7, 20
	v_add_lshl_u32 v9, s6, v0, 2
	v_add_lshl_u32 v6, s7, v0, 2
	;; [unrolled: 1-line block ×3, first 2 shown]
	s_cmp_le_i32 s28, s5
	s_mov_b32 s13, s28
	v_dual_mov_b32 v8, v3 :: v_dual_add_nc_u32 v1, 0x400, v9
	ds_load_b32 v5, v6 offset:1600
	ds_load_b32 v4, v7 offset:1600
	ds_load_2addr_b32 v[1:2], v1 offset0:124 offset1:144
	s_cbranch_scc1 .LBB25_43
.LBB25_42:                              ;   Parent Loop BB25_41 Depth=1
                                        ; =>  This Inner Loop Header: Depth=2
	v_mov_b32_e32 v28, s11
	s_add_i32 s13, s13, -4
	s_addk_i32 s11, 0xfec0
	s_cmp_le_i32 s13, s5
	ds_load_2addr_b32 v[10:11], v8 offset0:40 offset1:60
	ds_load_2addr_b32 v[12:13], v28 offset0:62 offset1:63
	;; [unrolled: 1-line block ×5, first 2 shown]
	ds_load_2addr_b32 v[20:21], v8 offset1:20
	ds_load_2addr_b32 v[22:23], v28 offset0:22 offset1:23
	ds_load_2addr_b32 v[24:25], v28 offset0:20 offset1:21
	;; [unrolled: 1-line block ×3, first 2 shown]
	ds_load_2addr_b32 v[28:29], v28 offset1:1
	v_add_nc_u32_e32 v8, 0xfffffec0, v8
	s_waitcnt lgkmcnt(8)
	v_fma_f32 v5, -v11, v13, v5
	v_fma_f32 v4, -v11, v12, v4
	s_waitcnt lgkmcnt(7)
	v_fma_f32 v2, -v11, v15, v2
	v_fma_f32 v1, -v11, v14, v1
	;; [unrolled: 3-line block ×8, first 2 shown]
	s_cbranch_scc0 .LBB25_42
.LBB25_43:                              ;   in Loop: Header=BB25_41 Depth=1
	s_add_i32 s11, s5, s7
	s_add_i32 s13, s5, -3
	s_lshl_b32 s11, s11, 2
	s_add_i32 s10, s10, s13
	s_add_i32 s11, s11, -4
	s_delay_alu instid0(SALU_CYCLE_1)
	v_dual_mov_b32 v10, s11 :: v_dual_add_nc_u32 v7, 0x640, v7
	s_mul_i32 s11, s5, 0x54
	s_lshl_b32 s10, s10, 2
	s_add_i32 s7, s7, s13
	s_add_i32 s14, s11, 0xffffffac
	ds_load_2addr_b32 v[10:11], v10 offset1:1
	s_lshl_b32 s7, s7, 2
	s_delay_alu instid0(SALU_CYCLE_1)
	v_dual_mov_b32 v13, s7 :: v_dual_add_nc_u32 v6, 0x640, v6
	s_add_i32 s6, s6, s13
	s_add_i32 s4, s4, -16
	s_lshl_b32 s6, s6, 2
	v_mov_b32_e32 v12, s14
	s_waitcnt lgkmcnt(0)
	v_div_scale_f32 v17, null, v11, v11, v5
	v_div_scale_f32 v20, vcc_lo, v5, v11, v5
	s_delay_alu instid0(VALU_DEP_2) | instskip(SKIP_2) | instid1(VALU_DEP_1)
	v_rcp_f32_e32 v18, v17
	s_waitcnt_depctr 0xfff
	v_fma_f32 v19, -v17, v18, 1.0
	v_fmac_f32_e32 v18, v19, v18
	v_add_nc_u32_e32 v8, 0x640, v9
	v_add_nc_u32_e32 v9, 0x5f0, v9
	s_delay_alu instid0(VALU_DEP_3) | instskip(NEXT) | instid1(VALU_DEP_1)
	v_mul_f32_e32 v19, v20, v18
	v_fma_f32 v21, -v17, v19, v20
	s_delay_alu instid0(VALU_DEP_1) | instskip(SKIP_4) | instid1(VALU_DEP_1)
	v_dual_mov_b32 v14, s10 :: v_dual_fmac_f32 v19, v21, v18
	ds_load_b32 v16, v12
	ds_load_2addr_b32 v[12:13], v13 offset1:1
	ds_load_2addr_b32 v[14:15], v14 offset1:1
	v_fma_f32 v17, -v17, v19, v20
	v_div_fmas_f32 v17, v17, v18, v19
	s_delay_alu instid0(VALU_DEP_1) | instskip(NEXT) | instid1(VALU_DEP_1)
	v_div_fixup_f32 v11, v17, v11, v5
	v_fma_f32 v10, -v11, v10, v4
	s_waitcnt lgkmcnt(1)
	v_fma_f32 v2, -v11, v13, v2
	v_fma_f32 v1, -v11, v12, v1
	s_delay_alu instid0(VALU_DEP_3) | instskip(SKIP_1) | instid1(VALU_DEP_2)
	v_div_scale_f32 v4, null, v16, v16, v10
	v_div_scale_f32 v18, vcc_lo, v10, v16, v10
	v_rcp_f32_e32 v17, v4
	s_waitcnt_depctr 0xfff
	v_fma_f32 v5, -v4, v17, 1.0
	s_delay_alu instid0(VALU_DEP_1) | instskip(NEXT) | instid1(VALU_DEP_1)
	v_fmac_f32_e32 v17, v5, v17
	v_mul_f32_e32 v19, v18, v17
	s_delay_alu instid0(VALU_DEP_1) | instskip(NEXT) | instid1(VALU_DEP_1)
	v_fma_f32 v5, -v4, v19, v18
	v_fmac_f32_e32 v19, v5, v17
	v_mov_b32_e32 v5, s6
	s_add_i32 s6, s11, 0xffffff04
	s_delay_alu instid0(SALU_CYCLE_1) | instskip(NEXT) | instid1(VALU_DEP_3)
	v_mov_b32_e32 v13, s6
	v_fma_f32 v18, -v4, v19, v18
	ds_load_2addr_b32 v[4:5], v5 offset1:1
	s_add_i32 s6, s5, -4
	s_cmp_lt_i32 s5, 7
	ds_load_b32 v13, v13
	v_div_fmas_f32 v17, v18, v17, v19
	s_delay_alu instid0(VALU_DEP_1) | instskip(SKIP_1) | instid1(VALU_DEP_1)
	v_div_fixup_f32 v10, v17, v16, v10
	s_waitcnt lgkmcnt(2)
	v_fma_f32 v2, -v10, v15, v2
	v_fma_f32 v1, -v10, v14, v1
	s_waitcnt lgkmcnt(1)
	s_delay_alu instid0(VALU_DEP_2) | instskip(SKIP_1) | instid1(VALU_DEP_2)
	v_div_scale_f32 v15, null, v5, v5, v2
	v_div_scale_f32 v18, vcc_lo, v2, v5, v2
	v_rcp_f32_e32 v16, v15
	s_waitcnt_depctr 0xfff
	v_fma_f32 v17, -v15, v16, 1.0
	s_delay_alu instid0(VALU_DEP_1) | instskip(NEXT) | instid1(VALU_DEP_1)
	v_fmac_f32_e32 v16, v17, v16
	v_mul_f32_e32 v17, v18, v16
	s_delay_alu instid0(VALU_DEP_1) | instskip(NEXT) | instid1(VALU_DEP_1)
	v_fma_f32 v19, -v15, v17, v18
	v_fmac_f32_e32 v17, v19, v16
	s_delay_alu instid0(VALU_DEP_1) | instskip(NEXT) | instid1(VALU_DEP_1)
	v_fma_f32 v15, -v15, v17, v18
	v_div_fmas_f32 v12, v15, v16, v17
	s_delay_alu instid0(VALU_DEP_1) | instskip(NEXT) | instid1(VALU_DEP_1)
	v_div_fixup_f32 v2, v12, v5, v2
	v_fma_f32 v1, -v2, v4, v1
	s_waitcnt lgkmcnt(0)
	s_delay_alu instid0(VALU_DEP_1) | instskip(SKIP_1) | instid1(VALU_DEP_2)
	v_div_scale_f32 v4, null, v13, v13, v1
	v_div_scale_f32 v14, vcc_lo, v1, v13, v1
	v_rcp_f32_e32 v5, v4
	s_waitcnt_depctr 0xfff
	v_fma_f32 v12, -v4, v5, 1.0
	s_delay_alu instid0(VALU_DEP_1) | instskip(NEXT) | instid1(VALU_DEP_1)
	v_fmac_f32_e32 v5, v12, v5
	v_mul_f32_e32 v12, v14, v5
	s_delay_alu instid0(VALU_DEP_1) | instskip(NEXT) | instid1(VALU_DEP_1)
	v_fma_f32 v15, -v4, v12, v14
	v_fmac_f32_e32 v12, v15, v5
	s_delay_alu instid0(VALU_DEP_1) | instskip(NEXT) | instid1(VALU_DEP_1)
	v_fma_f32 v4, -v4, v12, v14
	v_div_fmas_f32 v4, v4, v5, v12
	s_delay_alu instid0(VALU_DEP_1)
	v_div_fixup_f32 v1, v4, v13, v1
	ds_store_b32 v6, v11
	ds_store_b32 v7, v10
	;; [unrolled: 1-line block ×4, first 2 shown]
	s_cbranch_scc1 .LBB25_45
; %bb.44:                               ;   in Loop: Header=BB25_41 Depth=1
	s_mov_b32 s5, s6
	s_branch .LBB25_41
.LBB25_45:
	s_cmp_lt_i32 s6, 0
	s_cbranch_scc1 .LBB25_58
; %bb.46:
	s_bitcmp1_b32 s6, 0
	s_cselect_b32 s4, -1, 0
	s_delay_alu instid0(SALU_CYCLE_1)
	s_and_b32 vcc_lo, exec_lo, s4
	s_mov_b32 s4, s6
	s_cbranch_vccnz .LBB25_51
; %bb.47:
	s_mul_i32 s4, s6, 20
	s_cmp_le_i32 s28, s6
	v_add_lshl_u32 v2, s4, v0, 2
	ds_load_b32 v1, v2 offset:1600
	s_cbranch_scc1 .LBB25_50
; %bb.48:
	v_lshlrev_b32_e32 v3, 2, v0
	s_mul_i32 s4, s20, 0x50
	s_lshl_b32 s5, s6, 2
	s_delay_alu instid0(SALU_CYCLE_1) | instskip(NEXT) | instid1(VALU_DEP_1)
	s_add_i32 s5, s4, s5
	v_add3_u32 v3, s4, v3, 0x5f0
	s_add_i32 s4, s5, 0xffffffb0
	s_mov_b32 s5, s28
.LBB25_49:                              ; =>This Inner Loop Header: Depth=1
	v_mov_b32_e32 v4, s4
	s_add_i32 s5, s5, -1
	s_addk_i32 s4, 0xffb0
	s_cmp_gt_i32 s5, s6
	ds_load_b32 v5, v3
	ds_load_b32 v4, v4
	v_add_nc_u32_e32 v3, 0xffffffb0, v3
	s_waitcnt lgkmcnt(0)
	v_fma_f32 v1, -v5, v4, v1
	s_cbranch_scc1 .LBB25_49
.LBB25_50:
	s_mul_i32 s4, s6, 0x54
	s_delay_alu instid0(SALU_CYCLE_1) | instskip(SKIP_4) | instid1(VALU_DEP_1)
	v_dual_mov_b32 v3, s4 :: v_dual_add_nc_u32 v2, 0x640, v2
	s_add_i32 s4, s6, -1
	ds_load_b32 v3, v3
	s_waitcnt lgkmcnt(0)
	v_div_scale_f32 v4, null, v3, v3, v1
	v_rcp_f32_e32 v5, v4
	s_waitcnt_depctr 0xfff
	v_fma_f32 v6, -v4, v5, 1.0
	s_delay_alu instid0(VALU_DEP_1) | instskip(SKIP_1) | instid1(VALU_DEP_1)
	v_fmac_f32_e32 v5, v6, v5
	v_div_scale_f32 v6, vcc_lo, v1, v3, v1
	v_mul_f32_e32 v7, v6, v5
	s_delay_alu instid0(VALU_DEP_1) | instskip(NEXT) | instid1(VALU_DEP_1)
	v_fma_f32 v8, -v4, v7, v6
	v_fmac_f32_e32 v7, v8, v5
	s_delay_alu instid0(VALU_DEP_1) | instskip(NEXT) | instid1(VALU_DEP_1)
	v_fma_f32 v4, -v4, v7, v6
	v_div_fmas_f32 v4, v4, v5, v7
	s_delay_alu instid0(VALU_DEP_1)
	v_div_fixup_f32 v1, v4, v3, v1
	ds_store_b32 v2, v1
.LBB25_51:
	s_cmp_eq_u32 s6, 0
	s_cbranch_scc1 .LBB25_58
; %bb.52:
	v_lshlrev_b32_e32 v1, 2, v0
	s_mul_i32 s5, s20, 0x50
	s_lshl_b32 s6, s4, 2
	s_delay_alu instid0(SALU_CYCLE_1) | instskip(NEXT) | instid1(VALU_DEP_1)
	s_add_i32 s6, s5, s6
	v_add3_u32 v1, s5, v1, 0x5f0
	s_add_i32 s5, s6, 0xffffffb0
	s_addk_i32 s6, 0xffac
	s_branch .LBB25_54
.LBB25_53:                              ;   in Loop: Header=BB25_54 Depth=1
	s_addk_i32 s7, 0xffac
	s_add_i32 s5, s5, -8
	v_mov_b32_e32 v3, s7
	s_add_i32 s7, s4, -2
	s_add_i32 s6, s6, -8
	s_cmp_lt_i32 s4, 2
	s_mov_b32 s4, s7
	ds_load_b32 v3, v3
	s_waitcnt lgkmcnt(0)
	v_div_scale_f32 v5, null, v3, v3, v4
	v_div_scale_f32 v8, vcc_lo, v4, v3, v4
	s_delay_alu instid0(VALU_DEP_2) | instskip(SKIP_2) | instid1(VALU_DEP_1)
	v_rcp_f32_e32 v6, v5
	s_waitcnt_depctr 0xfff
	v_fma_f32 v7, -v5, v6, 1.0
	v_fmac_f32_e32 v6, v7, v6
	s_delay_alu instid0(VALU_DEP_1) | instskip(NEXT) | instid1(VALU_DEP_1)
	v_mul_f32_e32 v7, v8, v6
	v_fma_f32 v9, -v5, v7, v8
	s_delay_alu instid0(VALU_DEP_1) | instskip(NEXT) | instid1(VALU_DEP_1)
	v_fmac_f32_e32 v7, v9, v6
	v_fma_f32 v5, -v5, v7, v8
	s_delay_alu instid0(VALU_DEP_1) | instskip(NEXT) | instid1(VALU_DEP_1)
	v_div_fmas_f32 v5, v5, v6, v7
	v_div_fixup_f32 v3, v5, v3, v4
	ds_store_b32 v2, v3
	s_cbranch_scc1 .LBB25_58
.LBB25_54:                              ; =>This Loop Header: Depth=1
                                        ;     Child Loop BB25_55 Depth 2
                                        ;     Child Loop BB25_57 Depth 2
	s_mul_i32 s7, s4, 20
	v_mov_b32_e32 v4, v1
	v_add_lshl_u32 v2, s7, v0, 2
	s_cmp_le_i32 s28, s4
	s_mov_b32 s7, s5
	s_mov_b32 s10, s28
	ds_load_b32 v3, v2 offset:1600
	s_cbranch_scc1 .LBB25_56
.LBB25_55:                              ;   Parent Loop BB25_54 Depth=1
                                        ; =>  This Inner Loop Header: Depth=2
	v_mov_b32_e32 v5, s7
	s_add_i32 s10, s10, -1
	s_addk_i32 s7, 0xffb0
	s_cmp_le_i32 s10, s4
	ds_load_b32 v6, v4
	ds_load_b32 v5, v5
	v_add_nc_u32_e32 v4, 0xffffffb0, v4
	s_waitcnt lgkmcnt(0)
	v_fma_f32 v3, -v6, v5, v3
	s_cbranch_scc0 .LBB25_55
.LBB25_56:                              ;   in Loop: Header=BB25_54 Depth=1
	s_mul_i32 s7, s4, 0x54
	s_delay_alu instid0(SALU_CYCLE_1)
	v_dual_mov_b32 v2, s7 :: v_dual_add_nc_u32 v5, 0x640, v2
	s_cmp_lt_i32 s28, s4
	s_mov_b32 s10, s6
	s_mov_b32 s11, s20
	ds_load_b32 v6, v2
	v_add_nc_u32_e32 v2, 0xffffffb0, v5
	s_waitcnt lgkmcnt(0)
	v_div_scale_f32 v7, null, v6, v6, v3
	s_delay_alu instid0(VALU_DEP_1) | instskip(SKIP_2) | instid1(VALU_DEP_1)
	v_rcp_f32_e32 v8, v7
	s_waitcnt_depctr 0xfff
	v_fma_f32 v9, -v7, v8, 1.0
	v_fmac_f32_e32 v8, v9, v8
	v_div_scale_f32 v9, vcc_lo, v3, v6, v3
	s_delay_alu instid0(VALU_DEP_1) | instskip(NEXT) | instid1(VALU_DEP_1)
	v_mul_f32_e32 v10, v9, v8
	v_fma_f32 v11, -v7, v10, v9
	s_delay_alu instid0(VALU_DEP_1) | instskip(NEXT) | instid1(VALU_DEP_1)
	v_fmac_f32_e32 v10, v11, v8
	v_fma_f32 v7, -v7, v10, v9
	s_delay_alu instid0(VALU_DEP_1) | instskip(NEXT) | instid1(VALU_DEP_1)
	v_div_fmas_f32 v7, v7, v8, v10
	v_div_fixup_f32 v6, v7, v6, v3
	v_mov_b32_e32 v3, v1
	ds_load_b32 v4, v2
	ds_store_b32 v5, v6
	s_cbranch_scc1 .LBB25_53
.LBB25_57:                              ;   Parent Loop BB25_54 Depth=1
                                        ; =>  This Inner Loop Header: Depth=2
	v_mov_b32_e32 v5, s10
	s_add_i32 s11, s11, -1
	s_addk_i32 s10, 0xffb0
	s_cmp_gt_i32 s11, s4
	ds_load_b32 v6, v3
	ds_load_b32 v5, v5
	v_add_nc_u32_e32 v3, 0xffffffb0, v3
	s_waitcnt lgkmcnt(0)
	v_fma_f32 v4, -v6, v5, v4
	s_cbranch_scc1 .LBB25_57
	s_branch .LBB25_53
.LBB25_58:
	s_mov_b32 s4, 0
.LBB25_59:
	s_delay_alu instid0(SALU_CYCLE_1)
	s_and_not1_b32 vcc_lo, exec_lo, s4
	s_cbranch_vccnz .LBB25_79
; %bb.60:
	s_and_not1_b32 vcc_lo, exec_lo, s1
	s_mov_b32 s5, s28
	s_cbranch_vccnz .LBB25_66
; %bb.61:
	v_lshlrev_b32_e32 v1, 2, v0
	s_mul_i32 s1, s20, 0x50
	s_mul_i32 s4, s20, 0x54
	s_delay_alu instid0(VALU_DEP_1)
	v_add3_u32 v1, s1, v1, 0x500
	s_add_i32 s1, s4, 0xfffffeb0
	s_mov_b32 s4, s28
.LBB25_62:                              ; =>This Loop Header: Depth=1
                                        ;     Child Loop BB25_63 Depth 2
	s_delay_alu instid0(SALU_CYCLE_1) | instskip(NEXT) | instid1(VALU_DEP_1)
	s_mul_i32 s5, s4, 20
	v_mov_b32_e32 v10, v1
	s_sub_i32 s7, s5, 20
	v_add_lshl_u32 v6, s5, v0, 2
	s_sub_i32 s6, s5, 40
	v_add_lshl_u32 v7, s7, v0, 2
	;; [unrolled: 2-line block ×3, first 2 shown]
	v_add_lshl_u32 v9, s5, v0, 2
	ds_load_b32 v5, v6 offset:1600
	ds_load_b32 v4, v7 offset:1600
	;; [unrolled: 1-line block ×4, first 2 shown]
	s_cmp_le_i32 s28, s4
	s_mov_b32 s7, s1
	s_mov_b32 s10, s28
	s_cbranch_scc1 .LBB25_64
.LBB25_63:                              ;   Parent Loop BB25_62 Depth=1
                                        ; =>  This Inner Loop Header: Depth=2
	v_mov_b32_e32 v29, s7
	s_add_i32 s10, s10, -4
	s_add_i32 s7, s7, -16
	s_cmp_le_i32 s10, s4
	ds_load_2addr_b32 v[11:12], v10 offset0:40 offset1:60
	ds_load_2addr_b32 v[13:14], v29 offset0:62 offset1:63
	ds_load_2addr_b32 v[15:16], v29 offset0:42 offset1:43
	ds_load_2addr_b32 v[17:18], v29 offset0:22 offset1:23
	ds_load_2addr_b32 v[19:20], v29 offset0:2 offset1:3
	ds_load_2addr_b32 v[21:22], v10 offset1:20
	ds_load_2addr_b32 v[23:24], v29 offset0:60 offset1:61
	ds_load_2addr_b32 v[25:26], v29 offset0:40 offset1:41
	;; [unrolled: 1-line block ×3, first 2 shown]
	ds_load_2addr_b32 v[29:30], v29 offset1:1
	v_add_nc_u32_e32 v10, 0xfffffec0, v10
	s_waitcnt lgkmcnt(8)
	v_fma_f32 v5, -v12, v14, v5
	s_waitcnt lgkmcnt(7)
	v_fma_f32 v4, -v12, v16, v4
	s_waitcnt lgkmcnt(6)
	v_fma_f32 v3, -v12, v18, v3
	s_waitcnt lgkmcnt(5)
	v_fma_f32 v2, -v12, v20, v2
	v_fma_f32 v5, -v11, v13, v5
	v_fma_f32 v4, -v11, v15, v4
	v_fma_f32 v3, -v11, v17, v3
	s_delay_alu instid0(VALU_DEP_4)
	v_fma_f32 v2, -v11, v19, v2
	s_waitcnt lgkmcnt(3)
	v_fma_f32 v5, -v22, v24, v5
	s_waitcnt lgkmcnt(2)
	;; [unrolled: 2-line block ×4, first 2 shown]
	v_fma_f32 v2, -v22, v30, v2
	v_fma_f32 v5, -v21, v23, v5
	;; [unrolled: 1-line block ×4, first 2 shown]
	s_delay_alu instid0(VALU_DEP_4)
	v_fma_f32 v2, -v21, v29, v2
	s_cbranch_scc0 .LBB25_63
.LBB25_64:                              ;   in Loop: Header=BB25_62 Depth=1
	s_mul_i32 s7, s4, 0x54
	s_delay_alu instid0(SALU_CYCLE_1)
	v_dual_mov_b32 v10, s7 :: v_dual_add_nc_u32 v7, 0x640, v7
	s_add_i32 s6, s6, s4
	s_add_i32 s10, s7, 0xffffffac
	s_lshl_b32 s6, s6, 2
	v_add_nc_u32_e32 v9, 0x640, v9
	ds_load_b32 v14, v10
	v_mov_b32_e32 v10, s10
	s_add_i32 s11, s7, 0xffffff58
	v_mov_b32_e32 v12, s6
	v_dual_mov_b32 v13, s11 :: v_dual_add_nc_u32 v6, 0x640, v6
	ds_load_2addr_b32 v[10:11], v10 offset1:1
	ds_load_b32 v15, v12
	ds_load_2addr_b32 v[12:13], v13 offset1:1
	s_add_i32 s5, s4, s5
	s_addk_i32 s1, 0xfec0
	s_lshl_b32 s5, s5, 2
	s_delay_alu instid0(SALU_CYCLE_1) | instskip(SKIP_3) | instid1(VALU_DEP_2)
	s_add_i32 s5, s5, -4
	s_waitcnt lgkmcnt(3)
	v_div_scale_f32 v16, null, v14, v14, v5
	v_div_scale_f32 v19, vcc_lo, v5, v14, v5
	v_rcp_f32_e32 v17, v16
	s_waitcnt_depctr 0xfff
	v_fma_f32 v18, -v16, v17, 1.0
	s_delay_alu instid0(VALU_DEP_1) | instskip(NEXT) | instid1(VALU_DEP_1)
	v_dual_fmac_f32 v17, v18, v17 :: v_dual_add_nc_u32 v8, 0x640, v8
	v_mul_f32_e32 v18, v19, v17
	s_delay_alu instid0(VALU_DEP_1) | instskip(NEXT) | instid1(VALU_DEP_1)
	v_fma_f32 v20, -v16, v18, v19
	v_fmac_f32_e32 v18, v20, v17
	s_delay_alu instid0(VALU_DEP_1) | instskip(NEXT) | instid1(VALU_DEP_1)
	v_fma_f32 v16, -v16, v18, v19
	v_div_fmas_f32 v16, v16, v17, v18
	s_delay_alu instid0(VALU_DEP_1) | instskip(SKIP_1) | instid1(VALU_DEP_1)
	v_div_fixup_f32 v5, v16, v14, v5
	s_waitcnt lgkmcnt(2)
	v_fma_f32 v4, -v5, v11, v4
	s_waitcnt lgkmcnt(1)
	v_fma_f32 v3, -v5, v15, v3
	s_delay_alu instid0(VALU_DEP_2) | instskip(SKIP_1) | instid1(VALU_DEP_2)
	v_div_scale_f32 v11, null, v10, v10, v4
	v_div_scale_f32 v17, vcc_lo, v4, v10, v4
	v_rcp_f32_e32 v14, v11
	s_waitcnt_depctr 0xfff
	v_fma_f32 v16, -v11, v14, 1.0
	s_delay_alu instid0(VALU_DEP_1) | instskip(NEXT) | instid1(VALU_DEP_1)
	v_fmac_f32_e32 v14, v16, v14
	v_mul_f32_e32 v16, v17, v14
	s_delay_alu instid0(VALU_DEP_1) | instskip(NEXT) | instid1(VALU_DEP_1)
	v_fma_f32 v18, -v11, v16, v17
	v_fmac_f32_e32 v16, v18, v14
	s_delay_alu instid0(VALU_DEP_1) | instskip(NEXT) | instid1(VALU_DEP_1)
	v_fma_f32 v11, -v11, v16, v17
	v_div_fmas_f32 v11, v11, v14, v16
	s_delay_alu instid0(VALU_DEP_1) | instskip(SKIP_2) | instid1(SALU_CYCLE_1)
	v_div_fixup_f32 v14, v11, v10, v4
	v_mov_b32_e32 v4, s5
	s_add_i32 s5, s7, 0xffffff04
	v_mov_b32_e32 v10, s5
	s_waitcnt lgkmcnt(0)
	v_fma_f32 v13, -v14, v13, v3
	s_add_i32 s5, s4, -4
	s_cmp_lt_i32 s4, 7
	ds_load_2addr_b32 v[10:11], v10 offset1:1
	v_div_scale_f32 v15, null, v12, v12, v13
	v_div_scale_f32 v17, vcc_lo, v13, v12, v13
	s_delay_alu instid0(VALU_DEP_2) | instskip(SKIP_2) | instid1(VALU_DEP_1)
	v_rcp_f32_e32 v16, v15
	s_waitcnt_depctr 0xfff
	v_fma_f32 v3, -v15, v16, 1.0
	v_fmac_f32_e32 v16, v3, v16
	ds_load_2addr_b32 v[3:4], v4 offset1:1
	v_mul_f32_e32 v18, v17, v16
	s_delay_alu instid0(VALU_DEP_1) | instskip(NEXT) | instid1(VALU_DEP_1)
	v_fma_f32 v19, -v15, v18, v17
	v_fmac_f32_e32 v18, v19, v16
	s_delay_alu instid0(VALU_DEP_1) | instskip(SKIP_2) | instid1(VALU_DEP_2)
	v_fma_f32 v15, -v15, v18, v17
	s_waitcnt lgkmcnt(0)
	v_fma_f32 v2, -v5, v4, v2
	v_div_fmas_f32 v4, v15, v16, v18
	s_delay_alu instid0(VALU_DEP_2) | instskip(NEXT) | instid1(VALU_DEP_2)
	v_fma_f32 v2, -v14, v3, v2
	v_div_fixup_f32 v3, v4, v12, v13
	s_delay_alu instid0(VALU_DEP_1) | instskip(NEXT) | instid1(VALU_DEP_1)
	v_fma_f32 v2, -v3, v11, v2
	v_div_scale_f32 v4, null, v10, v10, v2
	v_div_scale_f32 v13, vcc_lo, v2, v10, v2
	s_delay_alu instid0(VALU_DEP_2) | instskip(SKIP_2) | instid1(VALU_DEP_1)
	v_rcp_f32_e32 v11, v4
	s_waitcnt_depctr 0xfff
	v_fma_f32 v12, -v4, v11, 1.0
	v_fmac_f32_e32 v11, v12, v11
	s_delay_alu instid0(VALU_DEP_1) | instskip(NEXT) | instid1(VALU_DEP_1)
	v_mul_f32_e32 v12, v13, v11
	v_fma_f32 v15, -v4, v12, v13
	s_delay_alu instid0(VALU_DEP_1) | instskip(NEXT) | instid1(VALU_DEP_1)
	v_fmac_f32_e32 v12, v15, v11
	v_fma_f32 v4, -v4, v12, v13
	s_delay_alu instid0(VALU_DEP_1) | instskip(NEXT) | instid1(VALU_DEP_1)
	v_div_fmas_f32 v4, v4, v11, v12
	v_div_fixup_f32 v2, v4, v10, v2
	ds_store_b32 v6, v5
	ds_store_b32 v7, v14
	;; [unrolled: 1-line block ×4, first 2 shown]
	s_cbranch_scc1 .LBB25_66
; %bb.65:                               ;   in Loop: Header=BB25_62 Depth=1
	s_mov_b32 s4, s5
	s_branch .LBB25_62
.LBB25_66:
	s_cmp_lt_i32 s5, 0
	s_cbranch_scc1 .LBB25_79
; %bb.67:
	s_bitcmp1_b32 s5, 0
	s_cselect_b32 s1, -1, 0
	s_delay_alu instid0(SALU_CYCLE_1)
	s_and_b32 vcc_lo, exec_lo, s1
	s_mov_b32 s1, s5
	s_cbranch_vccnz .LBB25_72
; %bb.68:
	s_mul_i32 s1, s5, 20
	s_cmp_le_i32 s28, s5
	v_add_lshl_u32 v2, s1, v0, 2
	ds_load_b32 v1, v2 offset:1600
	s_cbranch_scc1 .LBB25_71
; %bb.69:
	v_lshlrev_b32_e32 v3, 2, v0
	s_mul_i32 s6, s20, 0x50
	s_mul_i32 s1, s5, 0x50
	s_lshl_b32 s4, s20, 2
	s_delay_alu instid0(SALU_CYCLE_1)
	s_add_i32 s1, s1, s4
	v_add3_u32 v3, s6, v3, 0x5f0
	s_add_i32 s1, s1, -4
	s_mov_b32 s4, s28
.LBB25_70:                              ; =>This Inner Loop Header: Depth=1
	v_mov_b32_e32 v4, s1
	s_add_i32 s4, s4, -1
	s_add_i32 s1, s1, -4
	s_cmp_gt_i32 s4, s5
	ds_load_b32 v5, v3
	ds_load_b32 v4, v4
	v_add_nc_u32_e32 v3, 0xffffffb0, v3
	s_waitcnt lgkmcnt(0)
	v_fma_f32 v1, -v5, v4, v1
	s_cbranch_scc1 .LBB25_70
.LBB25_71:
	s_mul_i32 s1, s5, 0x54
	s_delay_alu instid0(SALU_CYCLE_1) | instskip(SKIP_4) | instid1(VALU_DEP_1)
	v_dual_mov_b32 v3, s1 :: v_dual_add_nc_u32 v2, 0x640, v2
	s_add_i32 s1, s5, -1
	ds_load_b32 v3, v3
	s_waitcnt lgkmcnt(0)
	v_div_scale_f32 v4, null, v3, v3, v1
	v_rcp_f32_e32 v5, v4
	s_waitcnt_depctr 0xfff
	v_fma_f32 v6, -v4, v5, 1.0
	s_delay_alu instid0(VALU_DEP_1) | instskip(SKIP_1) | instid1(VALU_DEP_1)
	v_fmac_f32_e32 v5, v6, v5
	v_div_scale_f32 v6, vcc_lo, v1, v3, v1
	v_mul_f32_e32 v7, v6, v5
	s_delay_alu instid0(VALU_DEP_1) | instskip(NEXT) | instid1(VALU_DEP_1)
	v_fma_f32 v8, -v4, v7, v6
	v_fmac_f32_e32 v7, v8, v5
	s_delay_alu instid0(VALU_DEP_1) | instskip(NEXT) | instid1(VALU_DEP_1)
	v_fma_f32 v4, -v4, v7, v6
	v_div_fmas_f32 v4, v4, v5, v7
	s_delay_alu instid0(VALU_DEP_1)
	v_div_fixup_f32 v1, v4, v3, v1
	ds_store_b32 v2, v1
.LBB25_72:
	s_cmp_eq_u32 s5, 0
	s_cbranch_scc1 .LBB25_79
; %bb.73:
	v_lshlrev_b32_e32 v1, 2, v0
	s_mul_i32 s6, s20, 0x50
	s_mul_i32 s4, s1, 0x50
	s_lshl_b32 s5, s20, 2
	s_delay_alu instid0(SALU_CYCLE_1)
	s_add_i32 s5, s4, s5
	v_add3_u32 v1, s6, v1, 0x5f0
	s_add_i32 s4, s5, -4
	s_addk_i32 s5, 0xffac
	s_branch .LBB25_75
.LBB25_74:                              ;   in Loop: Header=BB25_75 Depth=1
	s_addk_i32 s6, 0xffac
	v_add_nc_u32_e32 v2, 0x640, v4
	v_mov_b32_e32 v4, s6
	s_add_i32 s6, s1, -2
	s_addk_i32 s4, 0xff60
	s_addk_i32 s5, 0xff60
	s_cmp_lt_i32 s1, 2
	ds_load_b32 v4, v4
	s_mov_b32 s1, s6
	s_waitcnt lgkmcnt(0)
	v_div_scale_f32 v5, null, v4, v4, v3
	v_div_scale_f32 v8, vcc_lo, v3, v4, v3
	s_delay_alu instid0(VALU_DEP_2) | instskip(SKIP_2) | instid1(VALU_DEP_1)
	v_rcp_f32_e32 v6, v5
	s_waitcnt_depctr 0xfff
	v_fma_f32 v7, -v5, v6, 1.0
	v_fmac_f32_e32 v6, v7, v6
	s_delay_alu instid0(VALU_DEP_1) | instskip(NEXT) | instid1(VALU_DEP_1)
	v_mul_f32_e32 v7, v8, v6
	v_fma_f32 v9, -v5, v7, v8
	s_delay_alu instid0(VALU_DEP_1) | instskip(NEXT) | instid1(VALU_DEP_1)
	v_fmac_f32_e32 v7, v9, v6
	v_fma_f32 v5, -v5, v7, v8
	s_delay_alu instid0(VALU_DEP_1) | instskip(NEXT) | instid1(VALU_DEP_1)
	v_div_fmas_f32 v5, v5, v6, v7
	v_div_fixup_f32 v3, v5, v4, v3
	ds_store_b32 v2, v3
	s_cbranch_scc1 .LBB25_79
.LBB25_75:                              ; =>This Loop Header: Depth=1
                                        ;     Child Loop BB25_76 Depth 2
                                        ;     Child Loop BB25_78 Depth 2
	s_mul_i32 s7, s1, 20
	v_mov_b32_e32 v4, v1
	v_add_lshl_u32 v3, s7, v0, 2
	s_cmp_le_i32 s28, s1
	s_mov_b32 s6, s4
	s_mov_b32 s10, s28
	ds_load_b32 v2, v3 offset:1600
	s_cbranch_scc1 .LBB25_77
.LBB25_76:                              ;   Parent Loop BB25_75 Depth=1
                                        ; =>  This Inner Loop Header: Depth=2
	v_mov_b32_e32 v5, s6
	s_add_i32 s10, s10, -1
	s_add_i32 s6, s6, -4
	s_cmp_le_i32 s10, s1
	ds_load_b32 v6, v4
	ds_load_b32 v5, v5
	v_add_nc_u32_e32 v4, 0xffffffb0, v4
	s_waitcnt lgkmcnt(0)
	v_fma_f32 v2, -v6, v5, v2
	s_cbranch_scc0 .LBB25_76
.LBB25_77:                              ;   in Loop: Header=BB25_75 Depth=1
	s_mul_i32 s6, s1, 0x54
	v_add_nc_u32_e32 v5, 0x640, v3
	v_mov_b32_e32 v3, s6
	s_sub_i32 s7, s7, 20
	s_cmp_lt_i32 s28, s1
	v_add_lshl_u32 v4, s7, v0, 2
	s_mov_b32 s7, s5
	ds_load_b32 v6, v3
	s_mov_b32 s10, s20
	ds_load_b32 v3, v4 offset:1600
	s_waitcnt lgkmcnt(1)
	v_div_scale_f32 v7, null, v6, v6, v2
	s_delay_alu instid0(VALU_DEP_1) | instskip(SKIP_2) | instid1(VALU_DEP_1)
	v_rcp_f32_e32 v8, v7
	s_waitcnt_depctr 0xfff
	v_fma_f32 v9, -v7, v8, 1.0
	v_fmac_f32_e32 v8, v9, v8
	v_div_scale_f32 v9, vcc_lo, v2, v6, v2
	s_delay_alu instid0(VALU_DEP_1) | instskip(NEXT) | instid1(VALU_DEP_1)
	v_mul_f32_e32 v10, v9, v8
	v_fma_f32 v11, -v7, v10, v9
	s_delay_alu instid0(VALU_DEP_1) | instskip(NEXT) | instid1(VALU_DEP_1)
	v_fmac_f32_e32 v10, v11, v8
	v_fma_f32 v7, -v7, v10, v9
	s_delay_alu instid0(VALU_DEP_1) | instskip(NEXT) | instid1(VALU_DEP_1)
	v_div_fmas_f32 v7, v7, v8, v10
	v_div_fixup_f32 v6, v7, v6, v2
	v_mov_b32_e32 v2, v1
	ds_store_b32 v5, v6
	s_cbranch_scc1 .LBB25_74
.LBB25_78:                              ;   Parent Loop BB25_75 Depth=1
                                        ; =>  This Inner Loop Header: Depth=2
	v_mov_b32_e32 v5, s7
	s_add_i32 s10, s10, -1
	s_add_i32 s7, s7, -4
	s_cmp_gt_i32 s10, s1
	ds_load_b32 v6, v2
	ds_load_b32 v5, v5
	v_add_nc_u32_e32 v2, 0xffffffb0, v2
	s_waitcnt lgkmcnt(0)
	v_fma_f32 v3, -v6, v5, v3
	s_cbranch_scc1 .LBB25_78
	s_branch .LBB25_74
.LBB25_79:
	s_mov_b32 s6, 0
.LBB25_80:
	s_delay_alu instid0(SALU_CYCLE_1)
	s_and_not1_b32 vcc_lo, exec_lo, s6
	s_cbranch_vccnz .LBB25_99
; %bb.81:
	s_cmp_lt_i32 s12, 4
	s_mov_b32 s5, 0
	s_cbranch_scc1 .LBB25_88
; %bb.82:
	v_lshl_add_u32 v1, v0, 2, 0x640
	s_mov_b32 s1, 0
	s_mov_b32 s4, 0
.LBB25_83:                              ; =>This Loop Header: Depth=1
                                        ;     Child Loop BB25_85 Depth 2
	s_delay_alu instid0(SALU_CYCLE_1) | instskip(NEXT) | instid1(SALU_CYCLE_1)
	s_mul_i32 s5, s4, 20
	s_add_i32 s7, s5, 20
	v_add_lshl_u32 v6, s5, v0, 2
	s_add_i32 s6, s5, 40
	v_add_lshl_u32 v7, s7, v0, 2
	;; [unrolled: 2-line block ×3, first 2 shown]
	v_add_lshl_u32 v9, s5, v0, 2
	ds_load_b32 v5, v6 offset:1600
	ds_load_b32 v4, v7 offset:1600
	;; [unrolled: 1-line block ×4, first 2 shown]
	s_cmp_eq_u32 s4, 0
	s_cbranch_scc1 .LBB25_86
; %bb.84:                               ;   in Loop: Header=BB25_83 Depth=1
	v_mov_b32_e32 v10, v1
	s_mov_b32 s10, 0
	s_mov_b32 s11, s1
.LBB25_85:                              ;   Parent Loop BB25_83 Depth=1
                                        ; =>  This Inner Loop Header: Depth=2
	s_delay_alu instid0(SALU_CYCLE_1)
	v_mov_b32_e32 v23, s11
	s_add_i32 s10, s10, 4
	s_add_i32 s11, s11, 16
	s_cmp_ge_u32 s10, s4
	ds_load_2addr_b32 v[27:28], v10 offset1:20
	ds_load_b128 v[11:14], v23
	ds_load_b128 v[15:18], v23 offset:80
	ds_load_b128 v[19:22], v23 offset:160
	;; [unrolled: 1-line block ×3, first 2 shown]
	ds_load_2addr_b32 v[29:30], v10 offset0:40 offset1:60
	v_add_nc_u32_e32 v10, 0x140, v10
	s_waitcnt lgkmcnt(4)
	v_fma_f32 v5, -v27, v11, v5
	s_waitcnt lgkmcnt(3)
	v_fma_f32 v4, -v27, v15, v4
	;; [unrolled: 2-line block ×4, first 2 shown]
	v_fma_f32 v5, -v28, v12, v5
	v_fma_f32 v4, -v28, v16, v4
	;; [unrolled: 1-line block ×3, first 2 shown]
	s_delay_alu instid0(VALU_DEP_4)
	v_fma_f32 v2, -v28, v24, v2
	s_waitcnt lgkmcnt(0)
	v_fma_f32 v5, -v29, v13, v5
	v_fma_f32 v4, -v29, v17, v4
	;; [unrolled: 1-line block ×4, first 2 shown]
	s_delay_alu instid0(VALU_DEP_4) | instskip(NEXT) | instid1(VALU_DEP_4)
	v_fma_f32 v5, -v30, v14, v5
	v_fma_f32 v4, -v30, v18, v4
	s_delay_alu instid0(VALU_DEP_4) | instskip(NEXT) | instid1(VALU_DEP_4)
	v_fma_f32 v3, -v30, v22, v3
	v_fma_f32 v2, -v30, v26, v2
	s_cbranch_scc0 .LBB25_85
.LBB25_86:                              ;   in Loop: Header=BB25_83 Depth=1
	s_mul_i32 s10, s4, 0x54
	s_delay_alu instid0(SALU_CYCLE_1)
	v_dual_mov_b32 v10, s10 :: v_dual_add_nc_u32 v7, 0x640, v7
	s_add_i32 s7, s7, s4
	s_add_i32 s6, s6, s4
	s_lshl_b32 s7, s7, 2
	s_lshl_b32 s6, s6, 2
	ds_load_b32 v15, v10
	s_add_i32 s5, s5, s4
	v_dual_mov_b32 v10, s7 :: v_dual_add_nc_u32 v9, 0x640, v9
	s_lshl_b32 s5, s5, 2
	v_mov_b32_e32 v12, s6
	ds_load_b64 v[10:11], v10
	ds_load_b96 v[12:14], v12
	s_addk_i32 s1, 0x140
	s_waitcnt lgkmcnt(2)
	v_div_scale_f32 v16, null, v15, v15, v5
	v_div_scale_f32 v19, vcc_lo, v5, v15, v5
	s_delay_alu instid0(VALU_DEP_2) | instskip(SKIP_2) | instid1(VALU_DEP_1)
	v_rcp_f32_e32 v17, v16
	s_waitcnt_depctr 0xfff
	v_fma_f32 v18, -v16, v17, 1.0
	v_dual_fmac_f32 v17, v18, v17 :: v_dual_add_nc_u32 v6, 0x640, v6
	s_delay_alu instid0(VALU_DEP_1) | instskip(NEXT) | instid1(VALU_DEP_1)
	v_mul_f32_e32 v18, v19, v17
	v_fma_f32 v20, -v16, v18, v19
	s_delay_alu instid0(VALU_DEP_1) | instskip(NEXT) | instid1(VALU_DEP_1)
	v_fmac_f32_e32 v18, v20, v17
	v_fma_f32 v16, -v16, v18, v19
	s_delay_alu instid0(VALU_DEP_1) | instskip(NEXT) | instid1(VALU_DEP_1)
	v_div_fmas_f32 v16, v16, v17, v18
	v_div_fixup_f32 v5, v16, v15, v5
	s_waitcnt lgkmcnt(1)
	s_delay_alu instid0(VALU_DEP_1) | instskip(SKIP_2) | instid1(VALU_DEP_2)
	v_fma_f32 v4, -v5, v10, v4
	s_waitcnt lgkmcnt(0)
	v_fma_f32 v3, -v5, v12, v3
	v_div_scale_f32 v10, null, v11, v11, v4
	v_div_scale_f32 v17, vcc_lo, v4, v11, v4
	s_delay_alu instid0(VALU_DEP_2) | instskip(SKIP_2) | instid1(VALU_DEP_1)
	v_rcp_f32_e32 v15, v10
	s_waitcnt_depctr 0xfff
	v_fma_f32 v16, -v10, v15, 1.0
	v_dual_fmac_f32 v15, v16, v15 :: v_dual_add_nc_u32 v8, 0x640, v8
	s_delay_alu instid0(VALU_DEP_1) | instskip(NEXT) | instid1(VALU_DEP_1)
	v_mul_f32_e32 v16, v17, v15
	v_fma_f32 v18, -v10, v16, v17
	s_delay_alu instid0(VALU_DEP_1) | instskip(NEXT) | instid1(VALU_DEP_1)
	v_fmac_f32_e32 v16, v18, v15
	v_fma_f32 v10, -v10, v16, v17
	s_delay_alu instid0(VALU_DEP_1) | instskip(NEXT) | instid1(VALU_DEP_1)
	v_div_fmas_f32 v10, v10, v15, v16
	v_div_fixup_f32 v4, v10, v11, v4
	v_mov_b32_e32 v11, s5
	s_add_i32 s5, s4, 4
	s_add_i32 s4, s4, 7
	s_delay_alu instid0(SALU_CYCLE_1) | instskip(SKIP_1) | instid1(VALU_DEP_1)
	s_cmp_ge_i32 s4, s20
	v_fma_f32 v3, -v4, v13, v3
	v_div_scale_f32 v15, null, v14, v14, v3
	v_div_scale_f32 v17, vcc_lo, v3, v14, v3
	s_delay_alu instid0(VALU_DEP_2) | instskip(SKIP_2) | instid1(VALU_DEP_1)
	v_rcp_f32_e32 v16, v15
	s_waitcnt_depctr 0xfff
	v_fma_f32 v10, -v15, v16, 1.0
	v_fmac_f32_e32 v16, v10, v16
	ds_load_b128 v[10:13], v11
	v_mul_f32_e32 v18, v17, v16
	s_delay_alu instid0(VALU_DEP_1) | instskip(NEXT) | instid1(VALU_DEP_1)
	v_fma_f32 v19, -v15, v18, v17
	v_fmac_f32_e32 v18, v19, v16
	s_delay_alu instid0(VALU_DEP_1) | instskip(SKIP_2) | instid1(VALU_DEP_2)
	v_fma_f32 v15, -v15, v18, v17
	s_waitcnt lgkmcnt(0)
	v_fma_f32 v2, -v5, v10, v2
	v_div_fmas_f32 v10, v15, v16, v18
	s_delay_alu instid0(VALU_DEP_2) | instskip(NEXT) | instid1(VALU_DEP_2)
	v_fma_f32 v2, -v4, v11, v2
	v_div_fixup_f32 v3, v10, v14, v3
	s_delay_alu instid0(VALU_DEP_1) | instskip(NEXT) | instid1(VALU_DEP_1)
	v_fma_f32 v2, -v3, v12, v2
	v_div_scale_f32 v10, null, v13, v13, v2
	v_div_scale_f32 v14, vcc_lo, v2, v13, v2
	s_delay_alu instid0(VALU_DEP_2) | instskip(SKIP_2) | instid1(VALU_DEP_1)
	v_rcp_f32_e32 v11, v10
	s_waitcnt_depctr 0xfff
	v_fma_f32 v12, -v10, v11, 1.0
	v_fmac_f32_e32 v11, v12, v11
	s_delay_alu instid0(VALU_DEP_1) | instskip(NEXT) | instid1(VALU_DEP_1)
	v_mul_f32_e32 v12, v14, v11
	v_fma_f32 v15, -v10, v12, v14
	s_delay_alu instid0(VALU_DEP_1) | instskip(NEXT) | instid1(VALU_DEP_1)
	v_fmac_f32_e32 v12, v15, v11
	v_fma_f32 v10, -v10, v12, v14
	s_delay_alu instid0(VALU_DEP_1) | instskip(NEXT) | instid1(VALU_DEP_1)
	v_div_fmas_f32 v10, v10, v11, v12
	v_div_fixup_f32 v2, v10, v13, v2
	ds_store_b32 v6, v5
	ds_store_b32 v7, v4
	;; [unrolled: 1-line block ×4, first 2 shown]
	s_cbranch_scc1 .LBB25_88
; %bb.87:                               ;   in Loop: Header=BB25_83 Depth=1
	s_mov_b32 s4, s5
	s_branch .LBB25_83
.LBB25_88:
	s_cmp_ge_i32 s5, s20
	s_cbranch_scc1 .LBB25_99
; %bb.89:
	v_lshl_add_u32 v1, v0, 2, 0x640
	s_add_i32 s1, s5, -1
	s_mul_i32 s4, s5, 0x50
	s_mov_b32 s6, 0
	s_mov_b32 s7, s5
	s_branch .LBB25_91
.LBB25_90:                              ;   in Loop: Header=BB25_91 Depth=1
	s_mul_i32 s10, s5, 0x54
	s_delay_alu instid0(SALU_CYCLE_1)
	v_dual_mov_b32 v3, s10 :: v_dual_add_nc_u32 v2, 0x640, v5
	s_add_i32 s5, s5, 1
	s_add_i32 s6, s6, 1
	s_addk_i32 s4, 0x50
	s_cmp_ge_i32 s5, s20
	ds_load_b32 v3, v3
	s_waitcnt lgkmcnt(0)
	v_div_scale_f32 v5, null, v3, v3, v4
	v_div_scale_f32 v8, vcc_lo, v4, v3, v4
	s_delay_alu instid0(VALU_DEP_2) | instskip(SKIP_2) | instid1(VALU_DEP_1)
	v_rcp_f32_e32 v6, v5
	s_waitcnt_depctr 0xfff
	v_fma_f32 v7, -v5, v6, 1.0
	v_fmac_f32_e32 v6, v7, v6
	s_delay_alu instid0(VALU_DEP_1) | instskip(NEXT) | instid1(VALU_DEP_1)
	v_mul_f32_e32 v7, v8, v6
	v_fma_f32 v9, -v5, v7, v8
	s_delay_alu instid0(VALU_DEP_1) | instskip(NEXT) | instid1(VALU_DEP_1)
	v_fmac_f32_e32 v7, v9, v6
	v_fma_f32 v5, -v5, v7, v8
	s_delay_alu instid0(VALU_DEP_1) | instskip(SKIP_1) | instid1(VALU_DEP_2)
	v_div_fmas_f32 v5, v5, v6, v7
	v_add_nc_u16 v6, s7, 1
	v_div_fixup_f32 v3, v5, v3, v4
	s_delay_alu instid0(VALU_DEP_2)
	v_readfirstlane_b32 s7, v6
	ds_store_b32 v2, v3
	s_cbranch_scc1 .LBB25_99
.LBB25_91:                              ; =>This Loop Header: Depth=1
                                        ;     Child Loop BB25_94 Depth 2
                                        ;     Child Loop BB25_98 Depth 2
	s_mul_i32 s10, s5, 20
	s_cmp_eq_u32 s5, 0
	v_add_lshl_u32 v5, s10, v0, 2
	ds_load_b32 v4, v5 offset:1600
	s_cbranch_scc1 .LBB25_90
; %bb.92:                               ;   in Loop: Header=BB25_91 Depth=1
	s_add_i32 s10, s1, s6
	s_delay_alu instid0(SALU_CYCLE_1)
	s_cmp_lt_u32 s10, 7
	s_cbranch_scc1 .LBB25_96
; %bb.93:                               ;   in Loop: Header=BB25_91 Depth=1
	v_mov_b32_e32 v2, v1
	s_and_b32 s10, s5, -8
	s_mov_b32 s11, 0
	s_mov_b32 s13, s4
	s_set_inst_prefetch_distance 0x1
	.p2align	6
.LBB25_94:                              ;   Parent Loop BB25_91 Depth=1
                                        ; =>  This Inner Loop Header: Depth=2
	v_mov_b32_e32 v3, s13
	s_add_i32 s11, s11, 8
	s_add_i32 s13, s13, 32
	s_cmp_eq_u32 s10, s11
	ds_load_2addr_b32 v[14:15], v2 offset1:20
	ds_load_b128 v[6:9], v3
	ds_load_2addr_b32 v[16:17], v2 offset0:40 offset1:60
	ds_load_2addr_b32 v[18:19], v2 offset0:80 offset1:100
	ds_load_b128 v[10:13], v3 offset:16
	s_waitcnt lgkmcnt(3)
	v_fma_f32 v3, -v14, v6, v4
	s_delay_alu instid0(VALU_DEP_1) | instskip(SKIP_4) | instid1(VALU_DEP_1)
	v_fma_f32 v6, -v15, v7, v3
	ds_load_2addr_b32 v[3:4], v2 offset0:120 offset1:140
	v_add_nc_u32_e32 v2, 0x280, v2
	s_waitcnt lgkmcnt(3)
	v_fma_f32 v6, -v16, v8, v6
	v_fma_f32 v6, -v17, v9, v6
	s_waitcnt lgkmcnt(1)
	s_delay_alu instid0(VALU_DEP_1) | instskip(NEXT) | instid1(VALU_DEP_1)
	v_fma_f32 v6, -v18, v10, v6
	v_fma_f32 v6, -v19, v11, v6
	s_waitcnt lgkmcnt(0)
	s_delay_alu instid0(VALU_DEP_1) | instskip(NEXT) | instid1(VALU_DEP_1)
	v_fma_f32 v3, -v3, v12, v6
	v_fma_f32 v4, -v4, v13, v3
	s_cbranch_scc0 .LBB25_94
; %bb.95:                               ;   in Loop: Header=BB25_91 Depth=1
	s_set_inst_prefetch_distance 0x2
	s_and_b32 s11, s5, 7
	s_delay_alu instid0(SALU_CYCLE_1)
	s_cmp_eq_u32 s11, 0
	s_cbranch_scc0 .LBB25_97
	s_branch .LBB25_90
.LBB25_96:                              ;   in Loop: Header=BB25_91 Depth=1
	s_mov_b32 s10, 0
	s_and_b32 s11, s5, 7
	s_delay_alu instid0(SALU_CYCLE_1)
	s_cmp_eq_u32 s11, 0
	s_cbranch_scc1 .LBB25_90
.LBB25_97:                              ;   in Loop: Header=BB25_91 Depth=1
	v_mad_u64_u32 v[2:3], null, 0x50, s10, v[1:2]
	s_and_b32 s11, s7, 7
	s_lshl_b32 s10, s10, 2
.LBB25_98:                              ;   Parent Loop BB25_91 Depth=1
                                        ; =>  This Inner Loop Header: Depth=2
	s_delay_alu instid0(SALU_CYCLE_1)
	s_add_i32 s13, s4, s10
	s_add_i32 s11, s11, -1
	v_mov_b32_e32 v3, s13
	s_add_i32 s10, s10, 4
	s_cmp_lg_u32 s11, 0
	ds_load_b32 v6, v2
	ds_load_b32 v3, v3
	v_add_nc_u32_e32 v2, 0x50, v2
	s_waitcnt lgkmcnt(0)
	v_fma_f32 v4, -v6, v3, v4
	s_cbranch_scc1 .LBB25_98
	s_branch .LBB25_90
.LBB25_99:
	s_and_saveexec_b32 s1, s21
	s_cbranch_execz .LBB25_106
; %bb.100:
	v_lshlrev_b32_e32 v3, 2, v0
	s_ashr_i32 s1, s0, 31
	s_cmp_lt_u32 s12, 4
	s_mov_b32 s13, 0
	s_cbranch_scc1 .LBB25_103
; %bb.101:
	v_add_co_u32 v1, s4, s18, v3
	s_delay_alu instid0(VALU_DEP_1)
	v_add_co_ci_u32_e64 v2, null, s19, 0, s4
	v_lshl_add_u32 v0, v0, 2, 0x640
	s_and_b32 s13, s12, 0x7ffffffc
	s_mul_hi_i32 s14, s0, 12
	s_mul_i32 s15, s0, 12
	s_lshl_b64 s[4:5], s[0:1], 4
	s_lshl_b64 s[6:7], s[0:1], 3
	;; [unrolled: 1-line block ×3, first 2 shown]
	s_mov_b32 s18, 0
	.p2align	6
.LBB25_102:                             ; =>This Inner Loop Header: Depth=1
	ds_load_2addr_b32 v[4:5], v0 offset1:20
	ds_load_2addr_b32 v[6:7], v0 offset0:40 offset1:60
	v_add_co_u32 v8, vcc_lo, v1, s10
	v_add_co_ci_u32_e32 v9, vcc_lo, s11, v2, vcc_lo
	v_add_co_u32 v10, vcc_lo, v1, s6
	v_add_co_ci_u32_e32 v11, vcc_lo, s7, v2, vcc_lo
	;; [unrolled: 2-line block ×3, first 2 shown]
	v_add_nc_u32_e32 v0, 0x140, v0
	s_add_i32 s18, s18, 4
	s_delay_alu instid0(SALU_CYCLE_1)
	s_cmp_lg_u32 s13, s18
	s_waitcnt lgkmcnt(1)
	global_store_b32 v[1:2], v4, off
	v_add_co_u32 v1, vcc_lo, v1, s4
	v_add_co_ci_u32_e32 v2, vcc_lo, s5, v2, vcc_lo
	global_store_b32 v[8:9], v5, off
	s_waitcnt lgkmcnt(0)
	s_clause 0x1
	global_store_b32 v[10:11], v6, off
	global_store_b32 v[12:13], v7, off
	s_cbranch_scc1 .LBB25_102
.LBB25_103:
	s_and_b32 s4, s12, 3
	s_delay_alu instid0(SALU_CYCLE_1)
	s_cmp_eq_u32 s4, 0
	s_cbranch_scc1 .LBB25_106
; %bb.104:
	s_mul_hi_i32 s7, s0, s13
	s_mul_i32 s6, s0, s13
	s_mul_i32 s5, s13, 0x50
	s_lshl_b64 s[6:7], s[6:7], 2
	v_add3_u32 v2, s5, v3, 0x640
	s_add_u32 s6, s6, s16
	s_addc_u32 s7, s7, s17
	s_add_u32 s6, s6, s8
	s_addc_u32 s7, s7, s9
	;; [unrolled: 2-line block ×3, first 2 shown]
	v_add_co_u32 v0, s2, s2, v3
	s_delay_alu instid0(VALU_DEP_1)
	v_add_co_ci_u32_e64 v1, null, s3, 0, s2
	s_lshl_b64 s[0:1], s[0:1], 2
.LBB25_105:                             ; =>This Inner Loop Header: Depth=1
	ds_load_b32 v3, v2
	v_add_nc_u32_e32 v2, 0x50, v2
	s_add_i32 s4, s4, -1
	s_delay_alu instid0(SALU_CYCLE_1)
	s_cmp_lg_u32 s4, 0
	s_waitcnt lgkmcnt(0)
	global_store_b32 v[0:1], v3, off
	v_add_co_u32 v0, vcc_lo, v0, s0
	v_add_co_ci_u32_e32 v1, vcc_lo, s1, v1, vcc_lo
	s_cbranch_scc1 .LBB25_105
.LBB25_106:
	s_nop 0
	s_sendmsg sendmsg(MSG_DEALLOC_VGPRS)
	s_endpgm
	.section	.rodata,"a",@progbits
	.p2align	6, 0x0
	.amdhsa_kernel _ZL31rocblas_trsm_small_right_deviceIffPKPKfPKPfLi20EEv13rocblas_fill_18rocblas_operation_17rocblas_diagonal_iiT0_T1_lilT2_lili
		.amdhsa_group_segment_fixed_size 3200
		.amdhsa_private_segment_fixed_size 0
		.amdhsa_kernarg_size 352
		.amdhsa_user_sgpr_count 14
		.amdhsa_user_sgpr_dispatch_ptr 0
		.amdhsa_user_sgpr_queue_ptr 0
		.amdhsa_user_sgpr_kernarg_segment_ptr 1
		.amdhsa_user_sgpr_dispatch_id 0
		.amdhsa_user_sgpr_private_segment_size 0
		.amdhsa_wavefront_size32 1
		.amdhsa_uses_dynamic_stack 0
		.amdhsa_enable_private_segment 0
		.amdhsa_system_sgpr_workgroup_id_x 1
		.amdhsa_system_sgpr_workgroup_id_y 0
		.amdhsa_system_sgpr_workgroup_id_z 1
		.amdhsa_system_sgpr_workgroup_info 0
		.amdhsa_system_vgpr_workitem_id 0
		.amdhsa_next_free_vgpr 31
		.amdhsa_next_free_sgpr 32
		.amdhsa_reserve_vcc 1
		.amdhsa_float_round_mode_32 0
		.amdhsa_float_round_mode_16_64 0
		.amdhsa_float_denorm_mode_32 3
		.amdhsa_float_denorm_mode_16_64 3
		.amdhsa_dx10_clamp 1
		.amdhsa_ieee_mode 1
		.amdhsa_fp16_overflow 0
		.amdhsa_workgroup_processor_mode 1
		.amdhsa_memory_ordered 1
		.amdhsa_forward_progress 0
		.amdhsa_shared_vgpr_count 0
		.amdhsa_exception_fp_ieee_invalid_op 0
		.amdhsa_exception_fp_denorm_src 0
		.amdhsa_exception_fp_ieee_div_zero 0
		.amdhsa_exception_fp_ieee_overflow 0
		.amdhsa_exception_fp_ieee_underflow 0
		.amdhsa_exception_fp_ieee_inexact 0
		.amdhsa_exception_int_div_zero 0
	.end_amdhsa_kernel
	.section	.text._ZL31rocblas_trsm_small_right_deviceIffPKPKfPKPfLi20EEv13rocblas_fill_18rocblas_operation_17rocblas_diagonal_iiT0_T1_lilT2_lili,"axG",@progbits,_ZL31rocblas_trsm_small_right_deviceIffPKPKfPKPfLi20EEv13rocblas_fill_18rocblas_operation_17rocblas_diagonal_iiT0_T1_lilT2_lili,comdat
.Lfunc_end25:
	.size	_ZL31rocblas_trsm_small_right_deviceIffPKPKfPKPfLi20EEv13rocblas_fill_18rocblas_operation_17rocblas_diagonal_iiT0_T1_lilT2_lili, .Lfunc_end25-_ZL31rocblas_trsm_small_right_deviceIffPKPKfPKPfLi20EEv13rocblas_fill_18rocblas_operation_17rocblas_diagonal_iiT0_T1_lilT2_lili
                                        ; -- End function
	.section	.AMDGPU.csdata,"",@progbits
; Kernel info:
; codeLenInByte = 8564
; NumSgprs: 34
; NumVgprs: 31
; ScratchSize: 0
; MemoryBound: 0
; FloatMode: 240
; IeeeMode: 1
; LDSByteSize: 3200 bytes/workgroup (compile time only)
; SGPRBlocks: 4
; VGPRBlocks: 3
; NumSGPRsForWavesPerEU: 34
; NumVGPRsForWavesPerEU: 31
; Occupancy: 10
; WaveLimiterHint : 0
; COMPUTE_PGM_RSRC2:SCRATCH_EN: 0
; COMPUTE_PGM_RSRC2:USER_SGPR: 14
; COMPUTE_PGM_RSRC2:TRAP_HANDLER: 0
; COMPUTE_PGM_RSRC2:TGID_X_EN: 1
; COMPUTE_PGM_RSRC2:TGID_Y_EN: 0
; COMPUTE_PGM_RSRC2:TGID_Z_EN: 1
; COMPUTE_PGM_RSRC2:TIDIG_COMP_CNT: 0
	.section	.text._ZL38rocblas_trsm_small_left_device_sharedBILi24ELi24ELb0EffPKPKfPKPfEv13rocblas_fill_18rocblas_operation_17rocblas_diagonal_iiT3_T4_lilT5_lili,"axG",@progbits,_ZL38rocblas_trsm_small_left_device_sharedBILi24ELi24ELb0EffPKPKfPKPfEv13rocblas_fill_18rocblas_operation_17rocblas_diagonal_iiT3_T4_lilT5_lili,comdat
	.globl	_ZL38rocblas_trsm_small_left_device_sharedBILi24ELi24ELb0EffPKPKfPKPfEv13rocblas_fill_18rocblas_operation_17rocblas_diagonal_iiT3_T4_lilT5_lili ; -- Begin function _ZL38rocblas_trsm_small_left_device_sharedBILi24ELi24ELb0EffPKPKfPKPfEv13rocblas_fill_18rocblas_operation_17rocblas_diagonal_iiT3_T4_lilT5_lili
	.p2align	8
	.type	_ZL38rocblas_trsm_small_left_device_sharedBILi24ELi24ELb0EffPKPKfPKPfEv13rocblas_fill_18rocblas_operation_17rocblas_diagonal_iiT3_T4_lilT5_lili,@function
_ZL38rocblas_trsm_small_left_device_sharedBILi24ELi24ELb0EffPKPKfPKPfEv13rocblas_fill_18rocblas_operation_17rocblas_diagonal_iiT3_T4_lilT5_lili: ; @_ZL38rocblas_trsm_small_left_device_sharedBILi24ELi24ELb0EffPKPKfPKPfEv13rocblas_fill_18rocblas_operation_17rocblas_diagonal_iiT3_T4_lilT5_lili
; %bb.0:
	s_clause 0x1
	s_load_b128 s[8:11], s[0:1], 0x38
	s_load_b128 s[4:7], s[0:1], 0x4
	s_mov_b32 s12, s15
	s_mov_b32 s13, 0
	s_delay_alu instid0(SALU_CYCLE_1)
	s_lshl_b64 s[20:21], s[12:13], 3
	s_mov_b32 s12, exec_lo
	s_waitcnt lgkmcnt(0)
	s_add_u32 s2, s8, s20
	s_addc_u32 s3, s9, s21
	s_load_b32 s27, s[0:1], 0x14
	s_load_b64 s[2:3], s[2:3], 0x0
	s_min_i32 s15, s6, 24
	s_delay_alu instid0(SALU_CYCLE_1)
	s_add_i32 s26, s15, -1
	v_cmpx_gt_i32_e64 s15, v0
	s_cbranch_execz .LBB26_10
; %bb.1:
	s_clause 0x1
	s_load_b32 s8, s[0:1], 0x28
	s_load_b128 s[16:19], s[0:1], 0x18
	s_waitcnt lgkmcnt(0)
	s_ashr_i32 s9, s8, 31
	s_add_u32 s16, s16, s20
	s_addc_u32 s17, s17, s21
	s_cmp_lt_u32 s26, 3
	s_load_b64 s[16:17], s[16:17], 0x0
	s_cbranch_scc1 .LBB26_4
; %bb.2:
	v_lshlrev_b32_e32 v3, 2, v0
	s_lshl_b64 s[20:21], s[18:19], 2
	s_mul_hi_i32 s28, s8, 12
	s_waitcnt lgkmcnt(0)
	s_add_u32 s13, s16, s20
	s_addc_u32 s20, s17, s21
	v_add_co_u32 v1, s13, s13, v3
	s_delay_alu instid0(VALU_DEP_1)
	v_add_co_ci_u32_e64 v2, null, s20, 0, s13
	s_and_b32 s13, s15, -4
	s_mul_i32 s29, s8, 12
	s_lshl_b64 s[20:21], s[8:9], 4
	s_lshl_b64 s[22:23], s[8:9], 3
	;; [unrolled: 1-line block ×3, first 2 shown]
	s_mov_b32 s30, 0
	.p2align	6
.LBB26_3:                               ; =>This Inner Loop Header: Depth=1
	v_add_co_u32 v4, vcc_lo, v1, s24
	v_add_co_ci_u32_e32 v5, vcc_lo, s25, v2, vcc_lo
	v_add_co_u32 v6, vcc_lo, v1, s22
	v_add_co_ci_u32_e32 v7, vcc_lo, s23, v2, vcc_lo
	;; [unrolled: 2-line block ×3, first 2 shown]
	s_clause 0x3
	global_load_b32 v10, v[1:2], off
	global_load_b32 v4, v[4:5], off
	;; [unrolled: 1-line block ×4, first 2 shown]
	v_add_co_u32 v1, vcc_lo, v1, s20
	v_add_co_ci_u32_e32 v2, vcc_lo, s21, v2, vcc_lo
	s_add_i32 s30, s30, 4
	s_waitcnt vmcnt(2)
	ds_store_2addr_b32 v3, v10, v4 offset1:24
	s_waitcnt vmcnt(0)
	ds_store_2addr_b32 v3, v5, v6 offset0:48 offset1:72
	v_add_nc_u32_e32 v3, 0x180, v3
	s_cmp_eq_u32 s13, s30
	s_cbranch_scc0 .LBB26_3
.LBB26_4:
	s_and_b32 s20, s15, 3
	s_delay_alu instid0(SALU_CYCLE_1)
	s_cmp_eq_u32 s20, 0
	s_cbranch_scc1 .LBB26_7
; %bb.5:
	s_mul_i32 s21, s9, s13
	s_mul_hi_u32 s22, s8, s13
	s_lshl_b64 s[18:19], s[18:19], 2
	s_add_i32 s23, s22, s21
	s_mul_i32 s22, s8, s13
	s_mulk_i32 s13, 0x60
	s_lshl_b64 s[22:23], s[22:23], 2
	v_lshlrev_b32_e32 v1, 2, v0
	v_lshl_add_u32 v3, v0, 2, s13
	s_add_u32 s13, s22, s18
	s_addc_u32 s18, s23, s19
	s_waitcnt lgkmcnt(0)
	s_add_u32 s13, s16, s13
	s_addc_u32 s16, s17, s18
	v_add_co_u32 v1, s13, s13, v1
	s_delay_alu instid0(VALU_DEP_1)
	v_add_co_ci_u32_e64 v2, null, s16, 0, s13
	s_lshl_b64 s[8:9], s[8:9], 2
.LBB26_6:                               ; =>This Inner Loop Header: Depth=1
	global_load_b32 v4, v[1:2], off
	v_add_co_u32 v1, vcc_lo, v1, s8
	v_add_co_ci_u32_e32 v2, vcc_lo, s9, v2, vcc_lo
	s_add_i32 s20, s20, -1
	s_delay_alu instid0(SALU_CYCLE_1)
	s_cmp_lg_u32 s20, 0
	s_waitcnt vmcnt(0)
	ds_store_b32 v3, v4
	v_add_nc_u32_e32 v3, 0x60, v3
	s_cbranch_scc1 .LBB26_6
.LBB26_7:
	v_mul_u32_u24_e32 v1, 25, v0
	s_cmpk_lg_i32 s5, 0x84
	s_delay_alu instid0(VALU_DEP_1)
	v_dual_mov_b32 v2, 1.0 :: v_dual_lshlrev_b32 v1, 2, v1
	s_cbranch_scc0 .LBB26_9
; %bb.8:
	ds_load_b32 v2, v1
	s_waitcnt lgkmcnt(0)
	v_div_scale_f32 v3, null, v2, v2, 1.0
	s_delay_alu instid0(VALU_DEP_1) | instskip(SKIP_2) | instid1(VALU_DEP_1)
	v_rcp_f32_e32 v4, v3
	s_waitcnt_depctr 0xfff
	v_fma_f32 v5, -v3, v4, 1.0
	v_fmac_f32_e32 v4, v5, v4
	v_div_scale_f32 v5, vcc_lo, 1.0, v2, 1.0
	s_delay_alu instid0(VALU_DEP_1) | instskip(NEXT) | instid1(VALU_DEP_1)
	v_mul_f32_e32 v6, v5, v4
	v_fma_f32 v7, -v3, v6, v5
	s_delay_alu instid0(VALU_DEP_1) | instskip(NEXT) | instid1(VALU_DEP_1)
	v_fmac_f32_e32 v6, v7, v4
	v_fma_f32 v3, -v3, v6, v5
	s_delay_alu instid0(VALU_DEP_1) | instskip(NEXT) | instid1(VALU_DEP_1)
	v_div_fmas_f32 v3, v3, v4, v6
	v_div_fixup_f32 v2, v3, v2, 1.0
.LBB26_9:
	ds_store_b32 v1, v2
.LBB26_10:
	s_or_b32 exec_lo, exec_lo, s12
	s_load_b32 s5, s[0:1], 0x60
	s_waitcnt lgkmcnt(0)
	s_load_b32 s16, s[0:1], 0x48
	s_lshl_b64 s[0:1], s[10:11], 2
	s_mul_i32 s9, s14, 0xffffffe8
	s_mul_i32 s8, s14, 24
	s_waitcnt lgkmcnt(0)
	s_ashr_i32 s17, s16, 31
	s_add_u32 s12, s2, s0
	s_addc_u32 s13, s3, s1
	s_add_i32 s5, s5, -1
	s_add_i32 s9, s9, s7
	s_mul_hi_i32 s11, s16, s8
	s_cmp_ge_u32 s14, s5
	s_mul_i32 s10, s16, s8
	s_cselect_b32 s14, s9, 24
	s_lshl_b64 s[10:11], s[10:11], 2
	s_ashr_i32 s9, s8, 31
	s_add_u32 s5, s12, s10
	s_addc_u32 s7, s13, s11
	v_cmp_gt_i32_e32 vcc_lo, s14, v0
	s_cmp_gt_i32 s6, 0
	s_mov_b32 s10, 0
	s_cselect_b32 s11, -1, 0
	s_delay_alu instid0(SALU_CYCLE_1) | instskip(NEXT) | instid1(SALU_CYCLE_1)
	s_and_b32 s14, vcc_lo, s11
	s_and_saveexec_b32 s18, s14
	s_cbranch_execz .LBB26_17
; %bb.11:
	s_cmp_lt_i32 s6, 8
	s_cbranch_scc1 .LBB26_14
; %bb.12:
	v_mad_i64_i32 v[1:2], null, s16, v0, 0
	v_lshl_or_b32 v3, v0, 2, 0x900
	s_lshl_b32 s10, s15, 2
	s_mov_b64 s[12:13], 0
	s_and_b32 s11, s10, 0x60
	s_mov_b32 s10, 0
	s_delay_alu instid0(VALU_DEP_2) | instskip(NEXT) | instid1(VALU_DEP_1)
	v_lshlrev_b64 v[1:2], 2, v[1:2]
	v_add_co_u32 v1, vcc_lo, s5, v1
	s_delay_alu instid0(VALU_DEP_2)
	v_add_co_ci_u32_e32 v2, vcc_lo, s7, v2, vcc_lo
	.p2align	6
.LBB26_13:                              ; =>This Inner Loop Header: Depth=1
	s_delay_alu instid0(VALU_DEP_2) | instskip(NEXT) | instid1(VALU_DEP_2)
	v_add_co_u32 v8, vcc_lo, v1, s12
	v_add_co_ci_u32_e32 v9, vcc_lo, s13, v2, vcc_lo
	s_add_i32 s10, s10, 8
	s_add_u32 s12, s12, 32
	s_addc_u32 s13, s13, 0
	s_clause 0x1
	global_load_b128 v[4:7], v[8:9], off
	global_load_b128 v[8:11], v[8:9], off offset:16
	s_cmp_lg_u32 s11, s12
	s_waitcnt vmcnt(1)
	v_dual_mul_f32 v4, s27, v4 :: v_dual_mul_f32 v5, s27, v5
	v_dual_mul_f32 v6, s27, v6 :: v_dual_mul_f32 v7, s27, v7
	s_waitcnt vmcnt(0)
	v_dual_mul_f32 v8, s27, v8 :: v_dual_mul_f32 v9, s27, v9
	v_dual_mul_f32 v10, s27, v10 :: v_dual_mul_f32 v11, s27, v11
	ds_store_2addr_b32 v3, v4, v5 offset1:24
	ds_store_2addr_b32 v3, v6, v7 offset0:48 offset1:72
	ds_store_2addr_b32 v3, v8, v9 offset0:96 offset1:120
	;; [unrolled: 1-line block ×3, first 2 shown]
	v_add_nc_u32_e32 v3, 0x300, v3
	s_cbranch_scc1 .LBB26_13
.LBB26_14:
	s_and_b32 s12, s15, 7
	s_mov_b32 s11, 0
	s_cmp_eq_u32 s12, 0
	s_cbranch_scc1 .LBB26_17
; %bb.15:
	v_lshlrev_b32_e32 v3, 2, v0
	s_lshl_b64 s[20:21], s[8:9], 2
	s_lshl_b64 s[22:23], s[10:11], 2
	s_mulk_i32 s10, 0x60
	s_delay_alu instid0(VALU_DEP_1) | instskip(NEXT) | instid1(VALU_DEP_1)
	v_add_co_u32 v4, s11, s20, v3
	v_add_co_ci_u32_e64 v5, null, s21, 0, s11
	s_add_u32 s11, s2, s22
	s_addc_u32 s13, s3, s23
	s_add_u32 s20, s11, s0
	s_addc_u32 s21, s13, s1
	v_mul_lo_u32 v5, v5, s16
	v_mad_u64_u32 v[1:2], null, v4, s16, s[20:21]
	v_mul_lo_u32 v4, v4, s17
	v_add3_u32 v3, s10, v3, 0x900
	s_delay_alu instid0(VALU_DEP_2)
	v_add3_u32 v2, v5, v2, v4
.LBB26_16:                              ; =>This Inner Loop Header: Depth=1
	global_load_b32 v4, v[1:2], off
	v_add_co_u32 v1, vcc_lo, v1, 4
	v_add_co_ci_u32_e32 v2, vcc_lo, 0, v2, vcc_lo
	s_add_i32 s12, s12, -1
	s_delay_alu instid0(SALU_CYCLE_1)
	s_cmp_lg_u32 s12, 0
	s_waitcnt vmcnt(0)
	v_mul_f32_e32 v4, s27, v4
	ds_store_b32 v3, v4
	v_add_nc_u32_e32 v3, 0x60, v3
	s_cbranch_scc1 .LBB26_16
.LBB26_17:
	s_or_b32 exec_lo, exec_lo, s18
	s_cmpk_eq_i32 s4, 0x6f
	s_mov_b32 s4, -1
	s_waitcnt vmcnt(0) lgkmcnt(0)
	s_waitcnt_vscnt null, 0x0
	; wave barrier
	s_waitcnt lgkmcnt(0)
	buffer_gl0_inv
	s_cbranch_scc1 .LBB26_38
; %bb.18:
	s_cmp_gt_i32 s6, 23
	s_mov_b32 s4, 0
	s_cselect_b32 s10, -1, 0
	s_delay_alu instid0(SALU_CYCLE_1)
	s_and_b32 vcc_lo, exec_lo, s10
	s_cbranch_vccz .LBB26_20
; %bb.19:
	v_dual_mov_b32 v3, 0 :: v_dual_lshlrev_b32 v110, 2, v0
	s_mov_b32 s4, 24
	s_delay_alu instid0(VALU_DEP_1)
	v_add_nc_u32_e32 v2, 0x800, v110
	ds_load_b32 v62, v3
	ds_load_b64 v[77:78], v3 offset:96
	ds_load_b96 v[85:87], v3 offset:192
	ds_load_b128 v[6:9], v3 offset:288
	ds_load_b128 v[10:13], v3 offset:384
	ds_load_2addr_b32 v[4:5], v2 offset0:64 offset1:88
	ds_load_b32 v111, v3 offset:400
	ds_load_b128 v[14:17], v3 offset:480
	ds_load_b64 v[94:95], v3 offset:496
	ds_load_b128 v[18:21], v3 offset:576
	ds_load_b96 v[88:90], v3 offset:592
	ds_load_b128 v[22:25], v3 offset:672
	ds_load_b128 v[26:29], v3 offset:688
	;; [unrolled: 1-line block ×3, first 2 shown]
	ds_load_2addr_b32 v[96:97], v2 offset0:112 offset1:136
	ds_load_b128 v[34:37], v3 offset:784
	ds_load_b32 v112, v3 offset:800
	ds_load_b128 v[38:41], v3 offset:864
	ds_load_b128 v[42:45], v3 offset:880
	ds_load_b64 v[98:99], v3 offset:896
	ds_load_b128 v[46:49], v3 offset:960
	ds_load_b128 v[50:53], v3 offset:976
	ds_load_b96 v[91:93], v3 offset:992
	ds_load_2addr_b32 v[100:101], v2 offset0:160 offset1:184
	ds_load_b128 v[54:57], v3 offset:1056
	ds_load_b128 v[58:61], v3 offset:1072
	s_waitcnt lgkmcnt(20)
	v_dual_mul_f32 v4, v62, v4 :: v_dual_add_nc_u32 v1, 0xc00, v110
	s_delay_alu instid0(VALU_DEP_1) | instskip(SKIP_3) | instid1(VALU_DEP_3)
	v_fma_f32 v5, -v4, v77, v5
	s_waitcnt lgkmcnt(11)
	v_fma_f32 v96, -v4, v85, v96
	v_fma_f32 v6, -v4, v6, v97
	v_mul_f32_e32 v5, v78, v5
	ds_load_2addr_b32 v[102:103], v2 offset0:208 offset1:232
	ds_load_b128 v[62:65], v3 offset:1088
	ds_load_b128 v[66:69], v3 offset:1152
	ds_load_2addr_b32 v[104:105], v1 offset1:24
	ds_load_b128 v[70:73], v3 offset:1168
	ds_load_b128 v[74:77], v3 offset:1184
	ds_load_2addr_b32 v[106:107], v1 offset0:48 offset1:72
	ds_load_b32 v113, v3 offset:1200
	ds_load_b128 v[78:81], v3 offset:1248
	ds_load_b128 v[82:85], v3 offset:1344
	v_fma_f32 v86, -v5, v86, v96
	s_waitcnt lgkmcnt(12)
	v_fma_f32 v10, -v4, v10, v100
	v_fma_f32 v7, -v5, v7, v6
	;; [unrolled: 1-line block ×3, first 2 shown]
	ds_load_2addr_b32 v[96:97], v1 offset0:96 offset1:120
	ds_load_2addr_b32 v[108:109], v1 offset0:144 offset1:168
	v_mul_f32_e32 v6, v87, v86
	v_fma_f32 v10, -v5, v11, v10
	s_delay_alu instid0(VALU_DEP_2)
	v_fma_f32 v7, -v6, v8, v7
	v_fma_f32 v8, -v5, v15, v14
	s_waitcnt lgkmcnt(11)
	v_fma_f32 v18, -v4, v18, v102
	v_fma_f32 v22, -v4, v22, v103
	v_mul_f32_e32 v7, v9, v7
	v_fma_f32 v10, -v6, v12, v10
	v_fma_f32 v8, -v6, v16, v8
	;; [unrolled: 1-line block ×3, first 2 shown]
	s_waitcnt lgkmcnt(8)
	v_fma_f32 v11, -v4, v30, v104
	v_fma_f32 v15, -v5, v23, v22
	;; [unrolled: 1-line block ×6, first 2 shown]
	s_waitcnt lgkmcnt(5)
	v_fma_f32 v14, -v4, v54, v107
	v_mul_f32_e32 v8, v111, v10
	v_fma_f32 v10, -v5, v31, v11
	v_fma_f32 v11, -v6, v24, v15
	;; [unrolled: 1-line block ×9, first 2 shown]
	v_mul_f32_e32 v9, v95, v15
	v_fma_f32 v15, -v6, v40, v16
	v_fma_f32 v10, -v7, v33, v10
	;; [unrolled: 1-line block ×9, first 2 shown]
	v_mul_f32_e32 v10, v90, v16
	v_fma_f32 v11, -v9, v27, v11
	v_fma_f32 v16, -v9, v35, v18
	s_waitcnt lgkmcnt(1)
	v_fma_f32 v13, -v4, v66, v96
	v_fma_f32 v12, -v6, v48, v12
	;; [unrolled: 1-line block ×8, first 2 shown]
	v_mul_f32_e32 v11, v29, v11
	v_fma_f32 v15, -v8, v42, v15
	v_fma_f32 v21, -v8, v58, v14
	;; [unrolled: 1-line block ×6, first 2 shown]
	s_delay_alu instid0(VALU_DEP_4) | instskip(NEXT) | instid1(VALU_DEP_4)
	v_fma_f32 v19, -v9, v51, v12
	v_fma_f32 v17, -v6, v80, v17
	s_delay_alu instid0(VALU_DEP_4) | instskip(NEXT) | instid1(VALU_DEP_4)
	v_mul_f32_e32 v66, v112, v16
	v_fma_f32 v20, -v10, v44, v15
	v_fma_f32 v16, -v6, v68, v18
	;; [unrolled: 1-line block ×3, first 2 shown]
	ds_load_b128 v[12:15], v3 offset:1264
	v_fma_f32 v19, -v10, v52, v19
	v_fma_f32 v20, -v11, v45, v20
	v_fma_f32 v16, -v7, v69, v16
	v_fma_f32 v21, -v10, v60, v18
	v_fma_f32 v23, -v7, v81, v17
	v_fma_f32 v19, -v11, v53, v19
	v_fma_f32 v20, -v66, v98, v20
	ds_load_b64 v[44:45], v3 offset:1296
	v_fma_f32 v21, -v11, v61, v21
	v_mul_f32_e32 v67, v99, v20
	v_fma_f32 v20, -v8, v70, v16
	s_delay_alu instid0(VALU_DEP_3) | instskip(NEXT) | instid1(VALU_DEP_2)
	v_fma_f32 v28, -v66, v62, v21
	v_fma_f32 v20, -v9, v71, v20
	s_delay_alu instid0(VALU_DEP_2)
	v_fma_f32 v28, -v67, v63, v28
	v_add_nc_u32_e32 v63, 0xe00, v110
	v_fma_f32 v22, -v66, v91, v19
	ds_load_b128 v[16:19], v3 offset:1280
	s_waitcnt lgkmcnt(2)
	v_fma_f32 v12, -v8, v12, v23
	v_fma_f32 v29, -v10, v72, v20
	;; [unrolled: 1-line block ×3, first 2 shown]
	s_delay_alu instid0(VALU_DEP_3) | instskip(SKIP_1) | instid1(VALU_DEP_4)
	v_fma_f32 v12, -v9, v13, v12
	v_fma_f32 v13, -v4, v82, v108
	;; [unrolled: 1-line block ×3, first 2 shown]
	s_delay_alu instid0(VALU_DEP_4)
	v_mul_f32_e32 v68, v93, v22
	ds_load_b96 v[48:50], v3 offset:1392
	ds_load_b128 v[20:23], v3 offset:1440
	ds_load_b128 v[24:27], v3 offset:1360
	v_fma_f32 v12, -v10, v14, v12
	v_fma_f32 v13, -v5, v83, v13
	;; [unrolled: 1-line block ×4, first 2 shown]
	ds_load_2addr_b32 v[46:47], v1 offset0:192 offset1:216
	v_fma_f32 v12, -v11, v15, v12
	v_fma_f32 v13, -v6, v84, v13
	v_mul_f32_e32 v64, v65, v14
	v_fma_f32 v40, -v67, v75, v28
	s_waitcnt lgkmcnt(4)
	v_fma_f32 v16, -v66, v16, v12
	v_fma_f32 v41, -v7, v85, v13
	ds_load_b128 v[12:15], v3 offset:1376
	ds_load_b128 v[28:31], v3 offset:1488
	;; [unrolled: 1-line block ×4, first 2 shown]
	v_fma_f32 v40, -v68, v76, v40
	v_fma_f32 v16, -v67, v17, v16
	ds_load_2addr_b32 v[51:52], v63 offset0:112 offset1:136
	s_waitcnt lgkmcnt(7)
	v_fma_f32 v20, -v4, v20, v109
	s_waitcnt lgkmcnt(6)
	v_fma_f32 v24, -v8, v24, v41
	v_fma_f32 v16, -v68, v18, v16
	s_delay_alu instid0(VALU_DEP_3) | instskip(NEXT) | instid1(VALU_DEP_3)
	v_fma_f32 v17, -v5, v21, v20
	v_fma_f32 v20, -v9, v25, v24
	;; [unrolled: 1-line block ×3, first 2 shown]
	s_delay_alu instid0(VALU_DEP_4) | instskip(NEXT) | instid1(VALU_DEP_4)
	v_fma_f32 v53, -v64, v19, v16
	v_fma_f32 v17, -v6, v22, v17
	s_delay_alu instid0(VALU_DEP_4) | instskip(NEXT) | instid1(VALU_DEP_4)
	v_fma_f32 v20, -v10, v26, v20
	v_mul_f32_e32 v69, v113, v21
	s_waitcnt lgkmcnt(2)
	v_fma_f32 v32, -v4, v32, v46
	v_fma_f32 v40, -v7, v23, v17
	ds_load_b128 v[16:19], v3 offset:1632
	v_fma_f32 v54, -v11, v27, v20
	ds_load_b128 v[24:27], v3 offset:1552
	ds_load_b128 v[20:23], v3 offset:1472
	s_waitcnt lgkmcnt(4)
	v_fma_f32 v36, -v8, v36, v40
	v_fma_f32 v32, -v5, v33, v32
	ds_load_b64 v[55:56], v3 offset:1696
	ds_load_b128 v[40:43], v3 offset:1728
	v_fma_f32 v12, -v66, v12, v54
	v_fma_f32 v33, -v69, v44, v53
	;; [unrolled: 1-line block ×4, first 2 shown]
	v_add_nc_u32_e32 v65, 0x1000, v110
	v_fma_f32 v12, -v67, v13, v12
	v_mul_f32_e32 v70, v45, v33
	v_fma_f32 v36, -v10, v38, v36
	v_fma_f32 v13, -v7, v35, v32
	ds_load_b128 v[32:35], v3 offset:1648
	v_fma_f32 v12, -v68, v14, v12
	ds_load_2addr_b32 v[57:58], v65 offset0:32 offset1:56
	v_fma_f32 v44, -v11, v39, v36
	ds_load_b128 v[36:39], v3 offset:1568
	s_waitcnt lgkmcnt(7)
	v_fma_f32 v16, -v4, v16, v47
	s_waitcnt lgkmcnt(6)
	v_fma_f32 v13, -v8, v24, v13
	v_fma_f32 v12, -v64, v15, v12
	ds_load_2addr_b32 v[59:60], v65 offset0:80 offset1:104
	v_fma_f32 v14, -v5, v17, v16
	v_fma_f32 v13, -v9, v25, v13
	s_waitcnt lgkmcnt(6)
	v_fma_f32 v16, -v66, v20, v44
	s_waitcnt lgkmcnt(4)
	v_fma_f32 v17, -v4, v40, v51
	ds_load_b128 v[44:47], v3 offset:1744
	v_fma_f32 v14, -v6, v18, v14
	v_fma_f32 v13, -v10, v26, v13
	;; [unrolled: 1-line block ×9, first 2 shown]
	s_waitcnt lgkmcnt(4)
	v_fma_f32 v19, -v8, v32, v14
	ds_load_b128 v[12:15], v3 offset:1664
	s_waitcnt lgkmcnt(3)
	v_fma_f32 v36, -v66, v36, v18
	v_fma_f32 v24, -v7, v43, v17
	;; [unrolled: 1-line block ×3, first 2 shown]
	s_delay_alu instid0(VALU_DEP_3) | instskip(SKIP_4) | instid1(VALU_DEP_3)
	v_fma_f32 v36, -v67, v37, v36
	v_fma_f32 v37, -v70, v49, v40
	s_waitcnt lgkmcnt(1)
	v_fma_f32 v41, -v8, v44, v24
	v_fma_f32 v33, -v10, v34, v33
	v_mul_f32_e32 v71, v50, v37
	v_fma_f32 v32, -v64, v23, v16
	ds_load_b128 v[16:19], v3 offset:1824
	ds_load_b128 v[20:23], v3 offset:1760
	v_fma_f32 v34, -v9, v45, v41
	ds_load_b128 v[24:27], v3 offset:1584
	v_fma_f32 v28, -v69, v28, v32
	v_fma_f32 v32, -v68, v38, v36
	;; [unrolled: 1-line block ×4, first 2 shown]
	s_delay_alu instid0(VALU_DEP_4) | instskip(NEXT) | instid1(VALU_DEP_4)
	v_fma_f32 v28, -v70, v29, v28
	v_fma_f32 v29, -v64, v39, v32
	ds_load_b128 v[32:35], v3 offset:1680
	s_waitcnt lgkmcnt(4)
	v_fma_f32 v12, -v66, v12, v36
	v_fma_f32 v40, -v11, v47, v37
	ds_load_b32 v61, v3 offset:1600
	ds_load_b128 v[36:39], v3 offset:1840
	v_fma_f32 v12, -v67, v13, v12
	s_waitcnt lgkmcnt(5)
	v_fma_f32 v16, -v4, v16, v52
	s_waitcnt lgkmcnt(4)
	v_fma_f32 v13, -v66, v20, v40
	ds_load_b128 v[40:43], v3 offset:1776
	v_fma_f32 v12, -v68, v14, v12
	ds_load_b128 v[44:47], v3 offset:1888
	ds_load_b128 v[48:51], v3 offset:1920
	v_fma_f32 v16, -v5, v17, v16
	v_fma_f32 v13, -v67, v21, v13
	ds_load_b96 v[52:54], v3 offset:1792
	v_fma_f32 v12, -v64, v15, v12
	v_fma_f32 v15, -v71, v30, v28
	;; [unrolled: 1-line block ×4, first 2 shown]
	s_delay_alu instid0(VALU_DEP_3)
	v_mul_f32_e32 v72, v31, v15
	s_waitcnt lgkmcnt(7)
	v_fma_f32 v20, -v69, v24, v29
	v_fma_f32 v14, -v7, v19, v14
	s_waitcnt lgkmcnt(6)
	v_fma_f32 v12, -v69, v32, v12
	v_fma_f32 v13, -v64, v23, v13
	;; [unrolled: 1-line block ×3, first 2 shown]
	s_waitcnt lgkmcnt(4)
	v_fma_f32 v17, -v8, v36, v14
	v_fma_f32 v18, -v70, v33, v12
	s_waitcnt lgkmcnt(3)
	v_fma_f32 v19, -v69, v40, v13
	ds_load_b128 v[12:15], v3 offset:1856
	v_fma_f32 v16, -v71, v26, v16
	v_fma_f32 v17, -v9, v37, v17
	;; [unrolled: 1-line block ×4, first 2 shown]
	s_delay_alu instid0(VALU_DEP_4)
	v_fma_f32 v24, -v72, v27, v16
	s_waitcnt lgkmcnt(2)
	v_fma_f32 v27, -v4, v48, v57
	v_fma_f32 v28, -v10, v38, v17
	ds_load_b128 v[16:19], v3 offset:1936
	ds_load_b32 v73, v3 offset:2000
	ds_load_b128 v[20:23], v3 offset:2016
	v_fma_f32 v29, -v72, v35, v25
	v_mul_f32_e32 v74, v61, v24
	v_fma_f32 v27, -v5, v49, v27
	v_fma_f32 v30, -v71, v42, v26
	;; [unrolled: 1-line block ×3, first 2 shown]
	s_delay_alu instid0(VALU_DEP_4) | instskip(NEXT) | instid1(VALU_DEP_4)
	v_fma_f32 v36, -v74, v55, v29
	v_fma_f32 v33, -v6, v50, v27
	ds_load_b64 v[61:62], v3 offset:2096
	ds_load_b128 v[24:27], v3 offset:2112
	v_fma_f32 v37, -v72, v43, v30
	s_waitcnt lgkmcnt(5)
	v_fma_f32 v12, -v66, v12, v32
	ds_load_b128 v[28:31], v3 offset:1872
	v_fma_f32 v40, -v7, v51, v33
	ds_load_b128 v[32:35], v3 offset:2208
	v_mul_f32_e32 v75, v56, v36
	v_fma_f32 v48, -v74, v52, v37
	v_fma_f32 v12, -v67, v13, v12
	ds_load_b128 v[36:39], v3 offset:1952
	s_waitcnt lgkmcnt(7)
	v_fma_f32 v13, -v8, v16, v40
	s_waitcnt lgkmcnt(5)
	v_fma_f32 v16, -v4, v20, v58
	ds_load_b128 v[40:43], v3 offset:2032
	ds_load_b96 v[55:57], v3 offset:2192
	v_fma_f32 v20, -v75, v53, v48
	v_fma_f32 v12, -v68, v14, v12
	v_fma_f32 v13, -v9, v17, v13
	v_fma_f32 v14, -v5, v21, v16
	ds_load_b128 v[48:51], v3 offset:2128
	v_mul_f32_e32 v52, v54, v20
	v_fma_f32 v20, -v64, v15, v12
	s_waitcnt lgkmcnt(6)
	v_fma_f32 v16, -v4, v24, v59
	v_fma_f32 v17, -v6, v22, v14
	;; [unrolled: 1-line block ×3, first 2 shown]
	ds_load_b128 v[12:15], v3 offset:2224
	s_waitcnt lgkmcnt(6)
	v_fma_f32 v28, -v69, v28, v20
	v_fma_f32 v16, -v5, v25, v16
	s_waitcnt lgkmcnt(5)
	v_fma_f32 v21, -v4, v32, v60
	v_fma_f32 v22, -v7, v23, v17
	;; [unrolled: 1-line block ×6, first 2 shown]
	ds_load_b128 v[16:19], v3 offset:2048
	s_waitcnt lgkmcnt(4)
	v_fma_f32 v22, -v8, v40, v22
	v_fma_f32 v25, -v66, v36, v23
	;; [unrolled: 1-line block ×6, first 2 shown]
	ds_load_b128 v[20:23], v3 offset:2144
	s_waitcnt lgkmcnt(3)
	v_fma_f32 v32, -v8, v48, v24
	v_fma_f32 v36, -v67, v37, v25
	;; [unrolled: 1-line block ×4, first 2 shown]
	ds_load_b128 v[24:27], v3 offset:1968
	v_fma_f32 v41, -v9, v49, v32
	ds_load_b128 v[32:35], v3 offset:2240
	s_waitcnt lgkmcnt(4)
	v_fma_f32 v12, -v8, v12, v37
	v_fma_f32 v37, -v11, v43, v40
	;; [unrolled: 1-line block ×4, first 2 shown]
	ds_load_b128 v[40:43], v3 offset:2064
	v_fma_f32 v12, -v9, v13, v12
	s_waitcnt lgkmcnt(4)
	v_fma_f32 v13, -v66, v16, v37
	v_fma_f32 v29, -v64, v39, v29
	;; [unrolled: 1-line block ×3, first 2 shown]
	ds_load_b128 v[36:39], v3 offset:2160
	v_fma_f32 v12, -v10, v14, v12
	v_fma_f32 v17, -v67, v17, v13
	ds_load_b128 v[48:51], v3 offset:2256
	s_waitcnt lgkmcnt(5)
	v_fma_f32 v16, -v66, v20, v16
	v_fma_f32 v20, -v11, v15, v12
	ds_load_b128 v[12:15], v3 offset:1984
	v_fma_f32 v17, -v68, v18, v17
	s_waitcnt lgkmcnt(5)
	v_fma_f32 v18, -v69, v24, v29
	v_fma_f32 v16, -v67, v21, v16
	s_waitcnt lgkmcnt(4)
	v_fma_f32 v20, -v66, v32, v20
	v_fma_f32 v21, -v64, v19, v17
	;; [unrolled: 1-line block ×4, first 2 shown]
	s_delay_alu instid0(VALU_DEP_4)
	v_fma_f32 v20, -v67, v33, v20
	ds_load_b128 v[16:19], v3 offset:2080
	s_waitcnt lgkmcnt(4)
	v_fma_f32 v21, -v69, v40, v21
	v_fma_f32 v25, -v72, v31, v28
	;; [unrolled: 1-line block ×6, first 2 shown]
	ds_load_b128 v[20:23], v3 offset:2176
	s_waitcnt lgkmcnt(4)
	v_fma_f32 v28, -v69, v36, v28
	v_fma_f32 v30, -v74, v44, v25
	;; [unrolled: 1-line block ×6, first 2 shown]
	ds_load_b128 v[24:27], v3 offset:2272
	s_waitcnt lgkmcnt(4)
	v_fma_f32 v31, -v69, v48, v31
	v_fma_f32 v30, -v75, v45, v30
	s_waitcnt lgkmcnt(3)
	v_fma_f32 v12, -v74, v12, v32
	v_fma_f32 v29, -v72, v43, v29
	;; [unrolled: 1-line block ×6, first 2 shown]
	s_waitcnt lgkmcnt(2)
	v_fma_f32 v13, -v74, v16, v29
	v_fma_f32 v16, -v72, v39, v28
	;; [unrolled: 1-line block ×3, first 2 shown]
	v_mul_f32_e32 v29, v47, v30
	v_fma_f32 v12, -v52, v14, v12
	v_fma_f32 v13, -v75, v17, v13
	s_waitcnt lgkmcnt(1)
	v_fma_f32 v14, -v74, v20, v16
	v_fma_f32 v16, -v72, v51, v28
	;; [unrolled: 1-line block ×4, first 2 shown]
	s_delay_alu instid0(VALU_DEP_4)
	v_fma_f32 v20, -v75, v21, v14
	ds_load_b128 v[12:15], v3 offset:2288
	s_waitcnt lgkmcnt(1)
	v_fma_f32 v16, -v74, v24, v16
	v_mul_f32_e32 v3, v73, v17
	v_fma_f32 v17, -v29, v19, v18
	v_fma_f32 v18, -v52, v22, v20
	ds_store_2addr_b32 v2, v4, v5 offset0:64 offset1:88
	ds_store_2addr_b32 v2, v6, v7 offset0:112 offset1:136
	;; [unrolled: 1-line block ×4, first 2 shown]
	v_fma_f32 v16, -v75, v25, v16
	ds_store_2addr_b32 v1, v66, v67 offset1:24
	ds_store_2addr_b32 v1, v68, v64 offset0:48 offset1:72
	ds_store_2addr_b32 v1, v69, v70 offset0:96 offset1:120
	;; [unrolled: 1-line block ×3, first 2 shown]
	v_fma_f32 v17, -v3, v61, v17
	v_fma_f32 v18, -v29, v23, v18
	;; [unrolled: 1-line block ×3, first 2 shown]
	s_delay_alu instid0(VALU_DEP_3) | instskip(NEXT) | instid1(VALU_DEP_3)
	v_mul_f32_e32 v17, v62, v17
	v_fma_f32 v18, -v3, v55, v18
	s_delay_alu instid0(VALU_DEP_3) | instskip(NEXT) | instid1(VALU_DEP_2)
	v_fma_f32 v16, -v29, v27, v16
	v_fma_f32 v18, -v17, v56, v18
	s_waitcnt lgkmcnt(8)
	s_delay_alu instid0(VALU_DEP_2) | instskip(NEXT) | instid1(VALU_DEP_2)
	v_fma_f32 v12, -v3, v12, v16
	v_mul_f32_e32 v16, v57, v18
	s_delay_alu instid0(VALU_DEP_2) | instskip(NEXT) | instid1(VALU_DEP_1)
	v_fma_f32 v12, -v17, v13, v12
	v_fma_f32 v2, -v16, v14, v12
	s_delay_alu instid0(VALU_DEP_1)
	v_mul_f32_e32 v2, v15, v2
	ds_store_2addr_b32 v1, v74, v75 offset0:192 offset1:216
	ds_store_2addr_b32 v63, v52, v29 offset0:112 offset1:136
	;; [unrolled: 1-line block ×4, first 2 shown]
.LBB26_20:
	s_cmp_lt_i32 s4, s15
	s_cbranch_scc0 .LBB26_37
; %bb.21:
	s_add_i32 s11, s4, 19
	s_delay_alu instid0(SALU_CYCLE_1)
	s_cmp_ge_u32 s11, s15
	s_cbranch_scc1 .LBB26_26
; %bb.22:
	s_mul_i32 s12, s4, 24
	s_and_not1_b32 vcc_lo, exec_lo, s10
	v_add_lshl_u32 v21, s12, v0, 2
	s_add_i32 s13, s12, 0x1c8
	s_delay_alu instid0(SALU_CYCLE_1) | instskip(NEXT) | instid1(VALU_DEP_2)
	v_add_lshl_u32 v19, s13, v0, 2
	v_add_nc_u32_e32 v1, 0x800, v21
	v_add_nc_u32_e32 v2, 0xc00, v21
	ds_load_2addr_b32 v[17:18], v1 offset0:64 offset1:88
	ds_load_2addr_b32 v[15:16], v1 offset0:112 offset1:136
	;; [unrolled: 1-line block ×4, first 2 shown]
	ds_load_2addr_b32 v[9:10], v2 offset1:24
	ds_load_2addr_b32 v[7:8], v2 offset0:48 offset1:72
	ds_load_2addr_b32 v[5:6], v2 offset0:96 offset1:120
	;; [unrolled: 1-line block ×4, first 2 shown]
	ds_load_b32 v20, v21 offset:4032
	ds_load_b32 v19, v19 offset:2304
	s_cbranch_vccnz .LBB26_25
; %bb.23:
	v_lshl_or_b32 v22, v0, 2, 0x900
	s_mul_i32 s10, s4, 0x60
	s_mov_b32 s13, 0
.LBB26_24:                              ; =>This Inner Loop Header: Depth=1
	v_mov_b32_e32 v31, s10
	v_add_nc_u32_e64 v33, 0x200, s10
	v_add_nc_u32_e64 v41, 0x400, s10
	ds_load_b32 v43, v22
	v_add_nc_u32_e32 v22, 0x60, v22
	ds_load_2addr_b32 v[23:24], v31 offset1:24
	ds_load_2addr_b32 v[25:26], v31 offset0:48 offset1:72
	ds_load_2addr_b32 v[27:28], v31 offset0:96 offset1:120
	;; [unrolled: 1-line block ×9, first 2 shown]
	s_add_i32 s13, s13, 1
	s_add_i32 s10, s10, 4
	s_cmp_lt_u32 s13, s4
	s_waitcnt lgkmcnt(9)
	v_fma_f32 v17, -v43, v23, v17
	v_fma_f32 v18, -v43, v24, v18
	s_waitcnt lgkmcnt(8)
	v_fma_f32 v15, -v43, v25, v15
	v_fma_f32 v16, -v43, v26, v16
	;; [unrolled: 3-line block ×10, first 2 shown]
	s_cbranch_scc1 .LBB26_24
.LBB26_25:
	s_mul_i32 s29, s4, 0x64
	s_delay_alu instid0(SALU_CYCLE_1)
	v_dual_mov_b32 v42, s29 :: v_dual_add_nc_u32 v21, 0x900, v21
	s_add_i32 s27, s12, 24
	s_add_i32 s22, s12, 48
	;; [unrolled: 1-line block ×4, first 2 shown]
	s_lshl_b32 s10, s10, 2
	s_lshl_b32 s13, s13, 2
	ds_load_2addr_b32 v[40:41], v42 offset1:100
	v_dual_mov_b32 v22, s10 :: v_dual_mov_b32 v23, s13
	ds_load_b64 v[34:35], v22
	ds_load_b96 v[37:39], v23
	s_add_i32 s23, s12, 0x48
	s_add_i32 s25, s12, 0x60
	;; [unrolled: 1-line block ×3, first 2 shown]
	s_or_b32 s13, s25, s4
	s_lshl_b32 s10, s10, 2
	s_add_i32 s28, s12, 0x78
	v_mov_b32_e32 v22, s10
	s_lshl_b32 s10, s13, 2
	s_add_i32 s19, s12, 0x90
	v_mov_b32_e32 v26, s10
	s_add_i32 s10, s28, s4
	s_add_i32 s13, s19, s4
	s_lshl_b32 s10, s10, 2
	s_waitcnt lgkmcnt(2)
	v_mul_f32_e32 v45, v40, v17
	v_mov_b32_e32 v43, s10
	ds_load_b128 v[22:25], v22
	ds_load_b128 v[26:29], v26
	s_lshl_b32 s13, s13, 2
	s_waitcnt lgkmcnt(3)
	v_fma_f32 v17, -v45, v34, v18
	ds_load_b128 v[30:33], v43
	s_waitcnt lgkmcnt(3)
	v_fma_f32 v15, -v45, v37, v15
	s_add_i32 s10, s12, 0xa8
	s_mul_i32 s11, s11, 24
	v_mul_f32_e32 v46, v35, v17
	s_add_i32 s18, s10, s4
	v_add_lshl_u32 v63, s19, v0, 2
	s_lshl_b32 s18, s18, 2
	s_delay_alu instid0(VALU_DEP_2)
	v_fma_f32 v15, -v46, v38, v15
	v_mov_b32_e32 v40, s13
	s_add_i32 s13, s12, 0xc0
	v_mov_b32_e32 v44, s18
	s_or_b32 s20, s13, s4
	v_mul_f32_e32 v47, v39, v15
	ds_load_b128 v[34:37], v40
	s_waitcnt lgkmcnt(3)
	v_fma_f32 v16, -v45, v22, v16
	s_add_i32 s18, s12, 0xd8
	s_lshl_b32 s20, s20, 2
	s_waitcnt lgkmcnt(2)
	v_fma_f32 v13, -v45, v26, v13
	v_mov_b32_e32 v26, s20
	v_fma_f32 v22, -v46, v23, v16
	ds_load_b64 v[38:39], v43 offset:16
	ds_load_b128 v[15:18], v44
	s_add_i32 s20, s18, s4
	s_waitcnt lgkmcnt(3)
	v_fma_f32 v14, -v45, v30, v14
	s_lshl_b32 s20, s20, 2
	v_fma_f32 v22, -v47, v24, v22
	v_mov_b32_e32 v43, s20
	v_fma_f32 v13, -v46, v27, v13
	v_fma_f32 v14, -v46, v31, v14
	ds_load_b64 v[30:31], v40 offset:16
	v_mul_f32_e32 v48, v25, v22
	ds_load_b128 v[22:25], v26
	v_fma_f32 v13, -v47, v28, v13
	v_fma_f32 v14, -v47, v32, v14
	s_waitcnt lgkmcnt(4)
	v_fma_f32 v11, -v45, v34, v11
	s_add_i32 s20, s12, 0xf0
	v_fma_f32 v13, -v48, v29, v13
	v_fma_f32 v14, -v48, v33, v14
	s_delay_alu instid0(VALU_DEP_3)
	v_fma_f32 v11, -v46, v35, v11
	s_add_i32 s21, s20, s4
	s_waitcnt lgkmcnt(2)
	v_fma_f32 v12, -v45, v15, v12
	v_mul_f32_e32 v49, v41, v13
	ds_load_b96 v[33:35], v44 offset:16
	v_fma_f32 v27, -v47, v36, v11
	s_lshl_b32 s21, s21, 2
	v_fma_f32 v16, -v46, v16, v12
	v_fma_f32 v15, -v49, v38, v14
	ds_load_2addr_b32 v[40:41], v42 offset0:150 offset1:175
	ds_load_b128 v[11:14], v43
	v_mov_b32_e32 v36, s21
	s_add_i32 s21, s12, 0x108
	s_waitcnt lgkmcnt(3)
	v_fma_f32 v9, -v45, v22, v9
	v_mul_f32_e32 v50, v39, v15
	v_fma_f32 v15, -v48, v37, v27
	v_fma_f32 v16, -v47, v17, v16
	s_add_i32 s24, s21, s4
	v_fma_f32 v9, -v46, v23, v9
	s_lshl_b32 s24, s24, 2
	v_fma_f32 v15, -v49, v30, v15
	ds_load_b32 v38, v43 offset:32
	v_fma_f32 v9, -v47, v24, v9
	v_fma_f32 v23, -v50, v31, v15
	s_waitcnt lgkmcnt(2)
	s_delay_alu instid0(VALU_DEP_1)
	v_mul_f32_e32 v51, v40, v23
	v_fma_f32 v22, -v48, v18, v16
	s_waitcnt lgkmcnt(1)
	v_fma_f32 v10, -v45, v11, v10
	v_mov_b32_e32 v40, s24
	s_add_i32 s24, s12, 0x120
	v_fma_f32 v9, -v48, v25, v9
	v_fma_f32 v22, -v49, v33, v22
	s_or_b32 s30, s24, s4
	ds_load_b128 v[30:33], v43 offset:16
	s_lshl_b32 s30, s30, 2
	v_fma_f32 v10, -v46, v12, v10
	v_fma_f32 v11, -v50, v34, v22
	s_delay_alu instid0(VALU_DEP_2) | instskip(NEXT) | instid1(VALU_DEP_2)
	v_fma_f32 v10, -v47, v13, v10
	v_fma_f32 v11, -v51, v35, v11
	ds_load_2addr_b32 v[34:35], v42 offset0:200 offset1:225
	v_fma_f32 v14, -v48, v14, v10
	v_dual_mul_f32 v52, v41, v11 :: v_dual_mov_b32 v41, s30
	s_add_i32 s30, s12, 0x138
	ds_load_b128 v[26:29], v26 offset:16
	s_add_i32 s31, s30, s4
	s_delay_alu instid0(SALU_CYCLE_1)
	s_lshl_b32 s31, s31, 2
	s_waitcnt lgkmcnt(2)
	v_fma_f32 v23, -v49, v30, v14
	v_mov_b32_e32 v43, s31
	ds_load_b128 v[15:18], v36
	s_add_i32 s31, s12, 0x150
	v_add_nc_u32_e64 v30, 0x200, s29
	s_add_i32 s33, s31, s4
	s_delay_alu instid0(SALU_CYCLE_1) | instskip(NEXT) | instid1(SALU_CYCLE_1)
	s_lshl_b32 s33, s33, 2
	v_mov_b32_e32 v44, s33
	s_add_i32 s33, s12, 0x168
	s_delay_alu instid0(SALU_CYCLE_1) | instskip(NEXT) | instid1(SALU_CYCLE_1)
	s_add_i32 s34, s33, s4
	s_lshl_b32 s34, s34, 2
	s_waitcnt lgkmcnt(1)
	v_fma_f32 v9, -v49, v26, v9
	s_delay_alu instid0(VALU_DEP_1)
	v_fma_f32 v13, -v50, v27, v9
	s_waitcnt lgkmcnt(0)
	v_fma_f32 v7, -v45, v15, v7
	ds_load_b128 v[9:12], v36 offset:16
	v_fma_f32 v22, -v51, v28, v13
	v_fma_f32 v7, -v46, v16, v7
	ds_load_b128 v[13:16], v40
	v_fma_f32 v26, -v52, v29, v22
	v_fma_f32 v7, -v47, v17, v7
	s_delay_alu instid0(VALU_DEP_2) | instskip(NEXT) | instid1(VALU_DEP_2)
	v_mul_f32_e32 v53, v34, v26
	v_fma_f32 v7, -v48, v18, v7
	v_fma_f32 v17, -v50, v31, v23
	ds_load_b128 v[22:25], v41
	ds_load_b64 v[36:37], v36 offset:32
	ds_load_b128 v[26:29], v40 offset:16
	s_waitcnt lgkmcnt(4)
	v_fma_f32 v7, -v49, v9, v7
	v_fma_f32 v17, -v51, v32, v17
	s_delay_alu instid0(VALU_DEP_2)
	v_fma_f32 v18, -v50, v10, v7
	s_waitcnt lgkmcnt(3)
	v_fma_f32 v13, -v45, v13, v8
	ds_load_b128 v[7:10], v43
	v_fma_f32 v17, -v52, v33, v17
	v_fma_f32 v11, -v51, v11, v18
	;; [unrolled: 1-line block ×3, first 2 shown]
	s_delay_alu instid0(VALU_DEP_3)
	v_fma_f32 v17, -v53, v38, v17
	ds_load_2addr_b32 v[38:39], v30 offset0:122 offset1:147
	ds_load_b128 v[30:33], v41 offset:16
	s_waitcnt lgkmcnt(5)
	v_fma_f32 v5, -v45, v22, v5
	v_fma_f32 v13, -v47, v15, v13
	;; [unrolled: 1-line block ×3, first 2 shown]
	v_mul_f32_e32 v54, v35, v17
	s_delay_alu instid0(VALU_DEP_4) | instskip(NEXT) | instid1(VALU_DEP_4)
	v_fma_f32 v5, -v46, v23, v5
	v_fma_f32 v23, -v48, v16, v13
	ds_load_b128 v[11:14], v44
	ds_load_b128 v[15:18], v43 offset:16
	v_fma_f32 v5, -v47, v24, v5
	s_waitcnt lgkmcnt(4)
	v_fma_f32 v6, -v45, v7, v6
	v_fma_f32 v7, -v53, v36, v22
	ds_load_b96 v[34:36], v40 offset:32
	v_fma_f32 v22, -v49, v26, v23
	v_fma_f32 v23, -v48, v25, v5
	v_fma_f32 v24, -v46, v8, v6
	v_fma_f32 v25, -v54, v37, v7
	v_mov_b32_e32 v37, s34
	v_fma_f32 v22, -v50, v27, v22
	s_waitcnt lgkmcnt(3)
	v_fma_f32 v23, -v49, v30, v23
	ds_load_b128 v[5:8], v41 offset:32
	v_mul_f32_e32 v55, v38, v25
	v_fma_f32 v9, -v47, v9, v24
	v_fma_f32 v26, -v51, v28, v22
	;; [unrolled: 1-line block ×3, first 2 shown]
	s_waitcnt lgkmcnt(3)
	v_fma_f32 v3, -v45, v11, v3
	v_fma_f32 v9, -v48, v10, v9
	;; [unrolled: 1-line block ×4, first 2 shown]
	s_delay_alu instid0(VALU_DEP_4)
	v_fma_f32 v3, -v46, v12, v3
	s_waitcnt lgkmcnt(2)
	v_fma_f32 v15, -v49, v15, v9
	s_waitcnt lgkmcnt(1)
	v_fma_f32 v26, -v53, v34, v26
	v_fma_f32 v30, -v52, v33, v27
	ds_load_b128 v[9:12], v43 offset:32
	v_fma_f32 v3, -v47, v13, v3
	v_fma_f32 v15, -v50, v16, v15
	;; [unrolled: 1-line block ×3, first 2 shown]
	ds_load_b128 v[26:29], v37
	s_waitcnt lgkmcnt(2)
	v_fma_f32 v5, -v53, v5, v30
	v_fma_f32 v3, -v48, v14, v3
	;; [unrolled: 1-line block ×3, first 2 shown]
	v_add_nc_u32_e64 v17, 0x400, s29
	v_fma_f32 v30, -v55, v36, v13
	v_fma_f32 v5, -v54, v6, v5
	s_add_i32 s29, s4, 20
	v_fma_f32 v6, -v52, v18, v15
	s_delay_alu instid0(VALU_DEP_2) | instskip(SKIP_1) | instid1(VALU_DEP_2)
	v_fma_f32 v5, -v55, v7, v5
	s_waitcnt lgkmcnt(1)
	v_fma_f32 v6, -v53, v9, v6
	s_waitcnt lgkmcnt(0)
	v_fma_f32 v4, -v45, v26, v4
	v_add_lshl_u32 v26, s27, v0, 2
	s_add_i32 s27, s12, 0x180
	v_fma_f32 v6, -v54, v10, v6
	s_or_b32 s34, s27, s4
	v_fma_f32 v4, -v46, v27, v4
	s_lshl_b32 s34, s34, 2
	v_add_lshl_u32 v27, s22, v0, 2
	v_mov_b32_e32 v57, s34
	ds_load_b128 v[22:25], v44 offset:16
	ds_load_b128 v[13:16], v44 offset:32
	ds_load_2addr_b32 v[41:42], v17 offset0:44 offset1:144
	ds_load_b64 v[17:18], v43 offset:48
	s_add_i32 s22, s12, 0x198
	v_fma_f32 v4, -v47, v28, v4
	v_add_lshl_u32 v28, s23, v0, 2
	s_add_i32 s23, s22, s4
	s_addk_i32 s12, 0x1b0
	s_lshl_b32 s23, s23, 2
	ds_load_b96 v[34:36], v44 offset:48
	v_mov_b32_e32 v60, s23
	s_add_i32 s23, s12, s4
	v_fma_f32 v6, -v55, v11, v6
	s_lshl_b32 s23, s23, 2
	s_delay_alu instid0(SALU_CYCLE_1)
	v_dual_mul_f32 v56, v39, v30 :: v_dual_mov_b32 v61, s23
	ds_load_b128 v[30:33], v37 offset:16
	v_fma_f32 v9, -v48, v29, v4
	s_add_i32 s4, s11, s4
	v_fma_f32 v5, -v56, v8, v5
	v_fma_f32 v8, -v56, v12, v6
	s_waitcnt lgkmcnt(5)
	v_fma_f32 v3, -v49, v22, v3
	s_lshl_b32 s4, s4, 2
	v_add_lshl_u32 v29, s25, v0, 2
	s_waitcnt lgkmcnt(3)
	v_mul_f32_e32 v58, v41, v5
	v_fma_f32 v3, -v50, v23, v3
	s_waitcnt lgkmcnt(2)
	s_delay_alu instid0(VALU_DEP_2) | instskip(NEXT) | instid1(VALU_DEP_2)
	v_fma_f32 v8, -v58, v17, v8
	v_fma_f32 v3, -v51, v24, v3
	s_delay_alu instid0(VALU_DEP_2) | instskip(NEXT) | instid1(VALU_DEP_2)
	v_mul_f32_e32 v59, v18, v8
	v_fma_f32 v3, -v52, v25, v3
	s_waitcnt lgkmcnt(0)
	v_fma_f32 v9, -v49, v30, v9
	v_add_lshl_u32 v30, s28, v0, 2
	s_delay_alu instid0(VALU_DEP_3) | instskip(NEXT) | instid1(VALU_DEP_3)
	v_fma_f32 v3, -v53, v13, v3
	v_fma_f32 v11, -v50, v31, v9
	s_delay_alu instid0(VALU_DEP_2) | instskip(SKIP_4) | instid1(VALU_DEP_1)
	v_fma_f32 v7, -v54, v14, v3
	ds_load_b128 v[3:6], v57
	v_fma_f32 v32, -v51, v32, v11
	ds_load_b128 v[11:14], v57 offset:16
	v_fma_f32 v7, -v55, v15, v7
	v_fma_f32 v7, -v56, v16, v7
	ds_load_b128 v[15:18], v60
	v_fma_f32 v31, -v58, v34, v7
	ds_load_b128 v[7:10], v37 offset:32
	ds_load_b64 v[43:44], v60 offset:64
	ds_load_b128 v[22:25], v61
	v_mov_b32_e32 v62, s4
	ds_store_b32 v21, v45
	ds_store_b32 v26, v46 offset:2304
	ds_store_b32 v27, v47 offset:2304
	;; [unrolled: 1-line block ×5, first 2 shown]
	v_fma_f32 v21, -v59, v35, v31
	s_waitcnt lgkmcnt(11)
	v_fma_f32 v1, -v45, v3, v1
	v_fma_f32 v3, -v52, v33, v32
	ds_load_b128 v[26:29], v62
	ds_load_b128 v[30:33], v37 offset:48
	ds_load_b128 v[38:41], v57 offset:32
	v_fma_f32 v1, -v46, v4, v1
	v_mul_f32_e32 v64, v36, v21
	ds_load_b128 v[34:37], v61 offset:16
	ds_store_b32 v63, v51 offset:2304
	s_mov_b32 s4, s29
	v_fma_f32 v1, -v47, v5, v1
	s_waitcnt lgkmcnt(14)
	v_fma_f32 v2, -v45, v15, v2
	s_waitcnt lgkmcnt(13)
	v_fma_f32 v7, -v53, v7, v3
	v_fma_f32 v1, -v48, v6, v1
	ds_load_b128 v[3:6], v60 offset:16
	v_fma_f32 v2, -v46, v16, v2
	v_fma_f32 v7, -v54, v8, v7
	s_waitcnt lgkmcnt(12)
	v_fma_f32 v8, -v45, v22, v20
	v_fma_f32 v1, -v49, v11, v1
	;; [unrolled: 1-line block ×4, first 2 shown]
	s_delay_alu instid0(VALU_DEP_4) | instskip(NEXT) | instid1(VALU_DEP_4)
	v_fma_f32 v8, -v46, v23, v8
	v_fma_f32 v1, -v50, v12, v1
	s_waitcnt lgkmcnt(5)
	v_fma_f32 v9, -v45, v26, v19
	ds_load_b128 v[20:23], v62 offset:16
	v_fma_f32 v2, -v48, v18, v2
	v_fma_f32 v11, -v47, v24, v8
	;; [unrolled: 1-line block ×5, first 2 shown]
	ds_load_b128 v[7:10], v60 offset:32
	v_fma_f32 v11, -v48, v25, v11
	v_fma_f32 v15, -v52, v14, v1
	;; [unrolled: 1-line block ×3, first 2 shown]
	s_waitcnt lgkmcnt(6)
	v_fma_f32 v19, -v58, v30, v19
	s_waitcnt lgkmcnt(4)
	v_fma_f32 v18, -v49, v34, v11
	ds_load_b128 v[11:14], v57 offset:48
	s_waitcnt lgkmcnt(3)
	v_fma_f32 v2, -v49, v3, v2
	v_fma_f32 v24, -v48, v29, v16
	;; [unrolled: 1-line block ×6, first 2 shown]
	ds_load_b128 v[1:4], v61 offset:32
	s_waitcnt lgkmcnt(3)
	v_fma_f32 v20, -v49, v20, v24
	v_fma_f32 v28, -v54, v39, v25
	;; [unrolled: 1-line block ×3, first 2 shown]
	s_delay_alu instid0(VALU_DEP_3) | instskip(NEXT) | instid1(VALU_DEP_2)
	v_fma_f32 v20, -v50, v21, v20
	v_fma_f32 v5, -v52, v6, v5
	v_fma_f32 v6, -v51, v36, v26
	ds_load_b128 v[24:27], v60 offset:48
	v_fma_f32 v19, -v51, v22, v20
	v_fma_f32 v20, -v55, v40, v28
	s_waitcnt lgkmcnt(3)
	v_fma_f32 v5, -v53, v7, v5
	v_fma_f32 v6, -v52, v37, v6
	;; [unrolled: 1-line block ×4, first 2 shown]
	s_delay_alu instid0(VALU_DEP_4)
	v_fma_f32 v21, -v54, v8, v5
	s_waitcnt lgkmcnt(1)
	v_fma_f32 v1, -v53, v1, v6
	ds_load_b128 v[5:8], v61 offset:48
	v_fma_f32 v11, -v58, v11, v28
	v_fma_f32 v9, -v55, v9, v21
	;; [unrolled: 1-line block ×3, first 2 shown]
	s_delay_alu instid0(VALU_DEP_2) | instskip(SKIP_1) | instid1(VALU_DEP_3)
	v_fma_f32 v9, -v56, v10, v9
	v_fma_f32 v10, -v64, v32, v29
	v_fma_f32 v1, -v55, v3, v1
	v_fma_f32 v3, -v59, v12, v11
	s_waitcnt lgkmcnt(1)
	v_fma_f32 v9, -v58, v24, v9
	v_mul_f32_e32 v12, v33, v10
	v_fma_f32 v1, -v56, v4, v1
	v_fma_f32 v3, -v64, v13, v3
	s_delay_alu instid0(VALU_DEP_4)
	v_fma_f32 v4, -v59, v25, v9
	ds_load_b96 v[9:11], v61 offset:64
	s_waitcnt lgkmcnt(1)
	v_fma_f32 v1, -v58, v5, v1
	v_fma_f32 v5, -v12, v14, v3
	;; [unrolled: 1-line block ×3, first 2 shown]
	s_delay_alu instid0(VALU_DEP_3) | instskip(NEXT) | instid1(VALU_DEP_3)
	v_fma_f32 v6, -v59, v6, v1
	v_mul_f32_e32 v5, v42, v5
	s_delay_alu instid0(VALU_DEP_3) | instskip(NEXT) | instid1(VALU_DEP_3)
	v_fma_f32 v13, -v12, v27, v13
	v_fma_f32 v6, -v64, v7, v6
	s_delay_alu instid0(VALU_DEP_2) | instskip(NEXT) | instid1(VALU_DEP_2)
	v_fma_f32 v13, -v5, v43, v13
	v_fma_f32 v6, -v12, v8, v6
	v_add_lshl_u32 v8, s18, v0, 2
	s_delay_alu instid0(VALU_DEP_3)
	v_mul_f32_e32 v13, v44, v13
	ds_load_b128 v[15:18], v62 offset:32
	ds_load_b128 v[19:22], v62 offset:48
	s_waitcnt lgkmcnt(2)
	v_fma_f32 v6, -v5, v9, v6
	v_add_lshl_u32 v9, s30, v0, 2
	s_delay_alu instid0(VALU_DEP_2) | instskip(NEXT) | instid1(VALU_DEP_1)
	v_fma_f32 v6, -v13, v10, v6
	v_mul_f32_e32 v6, v11, v6
	s_waitcnt lgkmcnt(1)
	v_fma_f32 v2, -v53, v15, v23
	v_add_lshl_u32 v15, s10, v0, 2
	s_delay_alu instid0(VALU_DEP_2) | instskip(SKIP_3) | instid1(VALU_DEP_1)
	v_fma_f32 v2, -v54, v16, v2
	ds_store_b32 v15, v52 offset:2304
	v_add_lshl_u32 v15, s20, v0, 2
	v_fma_f32 v2, -v55, v17, v2
	v_fma_f32 v2, -v56, v18, v2
	s_waitcnt lgkmcnt(1)
	s_delay_alu instid0(VALU_DEP_1)
	v_fma_f32 v14, -v58, v19, v2
	ds_load_b128 v[1:4], v62 offset:64
	v_fma_f32 v7, -v59, v20, v14
	v_add_lshl_u32 v14, s13, v0, 2
	ds_store_b32 v14, v53 offset:2304
	ds_store_b32 v8, v54 offset:2304
	;; [unrolled: 1-line block ×3, first 2 shown]
	v_fma_f32 v7, -v64, v21, v7
	v_add_lshl_u32 v8, s24, v0, 2
	s_delay_alu instid0(VALU_DEP_2) | instskip(SKIP_1) | instid1(VALU_DEP_1)
	v_fma_f32 v7, -v12, v22, v7
	s_waitcnt lgkmcnt(3)
	v_fma_f32 v1, -v5, v1, v7
	v_add_lshl_u32 v7, s21, v0, 2
	ds_store_b32 v7, v56 offset:2304
	ds_store_b32 v8, v58 offset:2304
	;; [unrolled: 1-line block ×3, first 2 shown]
	v_fma_f32 v1, -v13, v2, v1
	v_add_lshl_u32 v2, s31, v0, 2
	v_add_lshl_u32 v7, s27, v0, 2
	v_add_lshl_u32 v8, s22, v0, 2
	v_add_lshl_u32 v9, s12, v0, 2
	v_fma_f32 v1, -v6, v3, v1
	v_add_lshl_u32 v3, s33, v0, 2
	s_delay_alu instid0(VALU_DEP_2)
	v_mul_f32_e32 v1, v4, v1
	v_add_lshl_u32 v4, s11, v0, 2
	ds_store_b32 v2, v64 offset:2304
	ds_store_b32 v3, v12 offset:2304
	;; [unrolled: 1-line block ×6, first 2 shown]
.LBB26_26:
	s_cmp_ge_i32 s4, s15
	s_cbranch_scc1 .LBB26_37
; %bb.27:
	v_lshl_or_b32 v1, v0, 2, 0x900
	s_add_i32 s10, s4, -1
	s_mul_i32 s11, s4, 0x60
	s_mov_b32 s12, 0
	s_mov_b32 s13, s4
	s_branch .LBB26_29
.LBB26_28:                              ;   in Loop: Header=BB26_29 Depth=1
	s_mul_i32 s18, s4, 0x64
	s_delay_alu instid0(SALU_CYCLE_1)
	v_dual_mov_b32 v3, s18 :: v_dual_add_nc_u32 v2, 0x900, v4
	v_add_nc_u16 v4, s13, 1
	s_add_i32 s4, s4, 1
	s_add_i32 s12, s12, 1
	s_addk_i32 s11, 0x60
	ds_load_b32 v3, v3
	v_readfirstlane_b32 s13, v4
	s_cmp_ge_i32 s4, s15
	s_waitcnt lgkmcnt(0)
	v_mul_f32_e32 v3, v3, v5
	ds_store_b32 v2, v3
	s_cbranch_scc1 .LBB26_37
.LBB26_29:                              ; =>This Loop Header: Depth=1
                                        ;     Child Loop BB26_32 Depth 2
                                        ;     Child Loop BB26_36 Depth 2
	s_mul_i32 s18, s4, 24
	s_cmp_eq_u32 s4, 0
	v_add_lshl_u32 v4, s18, v0, 2
	ds_load_b32 v5, v4 offset:2304
	s_cbranch_scc1 .LBB26_28
; %bb.30:                               ;   in Loop: Header=BB26_29 Depth=1
	s_add_i32 s18, s10, s12
	s_delay_alu instid0(SALU_CYCLE_1)
	s_cmp_lt_u32 s18, 7
	s_cbranch_scc1 .LBB26_34
; %bb.31:                               ;   in Loop: Header=BB26_29 Depth=1
	v_mov_b32_e32 v2, v1
	s_and_b32 s18, s4, -8
	s_mov_b32 s19, 0
	s_mov_b32 s20, s11
	s_set_inst_prefetch_distance 0x1
	.p2align	6
.LBB26_32:                              ;   Parent Loop BB26_29 Depth=1
                                        ; =>  This Inner Loop Header: Depth=2
	v_mov_b32_e32 v3, s20
	s_add_i32 s19, s19, 8
	s_add_i32 s20, s20, 32
	s_cmp_lg_u32 s18, s19
	ds_load_2addr_b32 v[14:15], v2 offset1:24
	ds_load_b128 v[6:9], v3
	ds_load_2addr_b32 v[16:17], v2 offset0:48 offset1:72
	ds_load_2addr_b32 v[18:19], v2 offset0:96 offset1:120
	ds_load_b128 v[10:13], v3 offset:16
	s_waitcnt lgkmcnt(3)
	v_fma_f32 v3, -v14, v6, v5
	ds_load_2addr_b32 v[5:6], v2 offset0:144 offset1:168
	v_add_nc_u32_e32 v2, 0x300, v2
	v_fma_f32 v3, -v15, v7, v3
	s_waitcnt lgkmcnt(3)
	s_delay_alu instid0(VALU_DEP_1) | instskip(NEXT) | instid1(VALU_DEP_1)
	v_fma_f32 v3, -v16, v8, v3
	v_fma_f32 v3, -v17, v9, v3
	s_waitcnt lgkmcnt(1)
	s_delay_alu instid0(VALU_DEP_1) | instskip(NEXT) | instid1(VALU_DEP_1)
	v_fma_f32 v3, -v18, v10, v3
	v_fma_f32 v3, -v19, v11, v3
	s_waitcnt lgkmcnt(0)
	s_delay_alu instid0(VALU_DEP_1) | instskip(NEXT) | instid1(VALU_DEP_1)
	v_fma_f32 v3, -v5, v12, v3
	v_fma_f32 v5, -v6, v13, v3
	s_cbranch_scc1 .LBB26_32
; %bb.33:                               ;   in Loop: Header=BB26_29 Depth=1
	s_set_inst_prefetch_distance 0x2
	s_and_b32 s19, s4, 7
	s_delay_alu instid0(SALU_CYCLE_1)
	s_cmp_eq_u32 s19, 0
	s_cbranch_scc0 .LBB26_35
	s_branch .LBB26_28
.LBB26_34:                              ;   in Loop: Header=BB26_29 Depth=1
	s_mov_b32 s18, 0
	s_and_b32 s19, s4, 7
	s_delay_alu instid0(SALU_CYCLE_1)
	s_cmp_eq_u32 s19, 0
	s_cbranch_scc1 .LBB26_28
.LBB26_35:                              ;   in Loop: Header=BB26_29 Depth=1
	v_mad_u64_u32 v[2:3], null, 0x60, s18, v[1:2]
	s_and_b32 s19, s13, 7
	s_lshl_b32 s18, s18, 2
.LBB26_36:                              ;   Parent Loop BB26_29 Depth=1
                                        ; =>  This Inner Loop Header: Depth=2
	s_delay_alu instid0(SALU_CYCLE_1)
	s_add_i32 s20, s11, s18
	s_add_i32 s19, s19, -1
	v_mov_b32_e32 v3, s20
	s_add_i32 s18, s18, 4
	s_cmp_lg_u32 s19, 0
	ds_load_b32 v6, v2
	ds_load_b32 v3, v3
	v_add_nc_u32_e32 v2, 0x60, v2
	s_waitcnt lgkmcnt(0)
	v_fma_f32 v5, -v6, v3, v5
	s_cbranch_scc1 .LBB26_36
	s_branch .LBB26_28
.LBB26_37:
	s_mov_b32 s4, 0
.LBB26_38:
	s_delay_alu instid0(SALU_CYCLE_1)
	s_and_b32 vcc_lo, exec_lo, s4
	s_cbranch_vccz .LBB26_60
; %bb.39:
	s_cmp_gt_i32 s6, 23
	s_mov_b32 s4, s26
	s_cbranch_scc0 .LBB26_41
; %bb.40:
	s_mul_i32 s39, s15, 24
	s_mul_i32 s4, s26, 24
	;; [unrolled: 1-line block ×3, first 2 shown]
	v_add_lshl_u32 v8, s4, v0, 2
	s_sub_i32 s4, s39, 24
	s_add_i32 s22, s15, -4
	s_add_i32 s18, s15, s4
	s_add_i32 s23, s22, s4
	s_lshl_b32 s18, s18, 2
	s_sub_i32 s13, s39, 48
	s_add_i32 s18, s18, -8
	v_add_lshl_u32 v1, s13, v0, 2
	v_mov_b32_e32 v9, s18
	s_add_i32 s18, s30, 0xffffff9c
	s_add_i32 s12, s39, 0xffffffb8
	v_mov_b32_e32 v11, s18
	s_lshl_b32 s18, s23, 2
	ds_load_b32 v8, v8 offset:2304
	ds_load_b32 v15, v1 offset:2304
	v_mov_b32_e32 v12, s18
	ds_load_2addr_b32 v[9:10], v9 offset1:1
	s_add_i32 s23, s22, s13
	s_add_i32 s11, s39, 0xffffffa0
	v_add_lshl_u32 v2, s12, v0, 2
	s_add_i32 s10, s39, 0xffffff88
	s_lshl_b32 s23, s23, 2
	s_add_i32 s22, s22, s12
	v_add_lshl_u32 v3, s11, v0, 2
	s_add_i32 s21, s39, 0xffffff70
	v_add_lshl_u32 v4, s10, v0, 2
	s_add_i32 s20, s39, 0xffffff58
	s_lshl_b32 s18, s22, 2
	v_mov_b32_e32 v13, s23
	v_add_lshl_u32 v5, s21, v0, 2
	s_add_i32 s19, s39, 0xffffff40
	v_add_lshl_u32 v6, s20, v0, 2
	v_add_lshl_u32 v7, s19, v0, 2
	ds_load_b32 v20, v2 offset:2304
	ds_load_b32 v22, v3 offset:2304
	;; [unrolled: 1-line block ×6, first 2 shown]
	s_add_i32 s24, s15, -6
	s_add_i32 s31, s15, -8
	s_waitcnt lgkmcnt(6)
	v_mul_f32_e32 v8, v10, v8
	v_mov_b32_e32 v10, s18
	ds_load_b32 v21, v11
	ds_load_2addr_b32 v[11:12], v12 offset1:1
	ds_load_2addr_b32 v[13:14], v13 offset1:1
	s_add_i32 s18, s24, s4
	s_add_i32 s25, s24, s12
	s_lshl_b32 s18, s18, 2
	ds_load_2addr_b32 v[16:17], v10 offset1:1
	v_mov_b32_e32 v10, s18
	v_fma_f32 v9, -v8, v9, v15
	s_add_i32 s18, s30, 0xfffffed4
	s_lshl_b32 s25, s25, 2
	v_mov_b32_e32 v15, s18
	ds_load_2addr_b32 v[18:19], v10 offset1:1
	s_add_i32 s22, s24, s13
	s_add_i32 s27, s24, s11
	s_lshl_b32 s18, s22, 2
	s_add_i32 s24, s24, s10
	s_lshl_b32 s27, s27, 2
	s_lshl_b32 s24, s24, 2
	s_add_i32 s33, s30, 0xfffffda8
	s_waitcnt lgkmcnt(4)
	v_mul_f32_e32 v10, v21, v9
	s_waitcnt lgkmcnt(3)
	v_fma_f32 v9, -v8, v12, v20
	v_fma_f32 v11, -v8, v11, v22
	s_add_i32 s29, s39, 0xffffff28
	s_add_i32 s28, s39, 0xffffff10
	;; [unrolled: 1-line block ×3, first 2 shown]
	s_waitcnt lgkmcnt(2)
	v_fma_f32 v12, -v10, v14, v9
	v_mov_b32_e32 v24, s18
	ds_load_b32 v25, v15
	ds_load_2addr_b32 v[20:21], v24 offset1:1
	s_waitcnt lgkmcnt(3)
	v_mul_f32_e32 v15, v17, v12
	s_waitcnt lgkmcnt(2)
	v_fma_f32 v17, -v8, v19, v23
	v_mov_b32_e32 v19, s25
	v_fma_f32 v13, -v10, v13, v11
	s_add_i32 s25, s31, s4
	v_fma_f32 v18, -v8, v18, v31
	s_lshl_b32 s25, s25, 2
	v_add_lshl_u32 v9, s29, v0, 2
	v_fma_f32 v16, -v15, v16, v13
	v_add_lshl_u32 v12, s28, v0, 2
	v_mov_b32_e32 v23, s27
	s_add_i32 s22, s39, 0xfffffee0
	v_add_lshl_u32 v11, s23, v0, 2
	s_add_i32 s18, s39, 0xfffffec8
	v_add_lshl_u32 v13, s22, v0, 2
	;; [unrolled: 2-line block ×3, first 2 shown]
	s_add_i32 s38, s15, -14
	s_waitcnt lgkmcnt(1)
	v_dual_mul_f32 v16, v25, v16 :: v_dual_mov_b32 v25, s24
	s_waitcnt lgkmcnt(0)
	v_fma_f32 v17, -v10, v21, v17
	ds_load_2addr_b32 v[21:22], v19 offset1:1
	ds_load_2addr_b32 v[23:24], v23 offset1:1
	;; [unrolled: 1-line block ×3, first 2 shown]
	s_add_i32 s24, s31, s13
	v_fma_f32 v18, -v10, v20, v18
	s_lshl_b32 s24, s24, 2
	s_add_i32 s40, s38, s29
	v_mov_b32_e32 v19, s24
	s_lshl_b32 s40, s40, 2
	s_add_i32 s41, s38, s28
	s_add_i32 s37, s39, 0xfffffe08
	ds_load_2addr_b32 v[29:30], v19 offset1:1
	s_waitcnt lgkmcnt(3)
	v_fma_f32 v17, -v15, v22, v17
	v_fma_f32 v18, -v15, v21, v18
	s_waitcnt lgkmcnt(2)
	s_delay_alu instid0(VALU_DEP_2)
	v_fma_f32 v17, -v16, v24, v17
	v_mov_b32_e32 v27, s25
	s_add_i32 s25, s31, s12
	v_fma_f32 v18, -v16, v23, v18
	s_lshl_b32 s24, s25, 2
	s_add_i32 s25, s30, 0xfffffe0c
	ds_load_2addr_b32 v[27:28], v27 offset1:1
	v_mov_b32_e32 v32, s24
	s_add_i32 s24, s31, s11
	v_mov_b32_e32 v19, s25
	s_add_i32 s25, s31, s21
	s_lshl_b32 s24, s24, 2
	s_lshl_b32 s25, s25, 2
	v_mov_b32_e32 v33, s24
	ds_load_2addr_b32 v[31:32], v32 offset1:1
	v_mov_b32_e32 v21, s25
	s_add_i32 s24, s31, s10
	ds_load_b32 v38, v19
	s_lshl_b32 s24, s24, 2
	ds_load_2addr_b32 v[33:34], v33 offset1:1
	ds_load_2addr_b32 v[23:24], v21 offset1:1
	v_mov_b32_e32 v19, s24
	s_add_i32 s24, s39, 0xfffffeb0
	s_add_i32 s25, s39, 0xfffffe80
	;; [unrolled: 1-line block ×3, first 2 shown]
	s_waitcnt lgkmcnt(4)
	v_fma_f32 v20, -v8, v28, v35
	ds_load_2addr_b32 v[35:36], v19 offset1:1
	s_lshl_b32 s31, s31, 2
	v_fma_f32 v19, -v10, v30, v20
	v_mul_f32_e32 v20, v26, v17
	v_fma_f32 v26, -v8, v27, v37
	v_add_lshl_u32 v17, s24, v0, 2
	v_mov_b32_e32 v30, s31
	s_waitcnt lgkmcnt(4)
	v_fma_f32 v19, -v15, v32, v19
	v_fma_f32 v21, -v20, v25, v18
	v_mov_b32_e32 v25, s33
	s_add_i32 s33, s15, -10
	v_add_lshl_u32 v18, s27, v0, 2
	s_waitcnt lgkmcnt(2)
	v_fma_f32 v22, -v16, v34, v19
	v_mul_f32_e32 v21, v38, v21
	s_add_i32 s34, s33, s4
	v_add_lshl_u32 v19, s25, v0, 2
	s_lshl_b32 s34, s34, 2
	ds_load_b32 v32, v9 offset:2304
	ds_load_b32 v41, v12 offset:2304
	ds_load_b32 v42, v11 offset:2304
	ds_load_b32 v46, v13 offset:2304
	ds_load_b32 v49, v14 offset:2304
	ds_load_b32 v57, v17 offset:2304
	ds_load_b32 v58, v18 offset:2304
	ds_load_b32 v38, v19 offset:2304
	s_waitcnt lgkmcnt(8)
	v_fma_f32 v22, -v20, v36, v22
	ds_load_b32 v34, v25
	s_add_i32 s35, s33, s13
	v_mov_b32_e32 v25, s34
	s_lshl_b32 s34, s35, 2
	v_fma_f32 v22, -v21, v24, v22
	v_fma_f32 v24, -v10, v29, v26
	v_mov_b32_e32 v26, s34
	s_add_i32 s34, s33, s12
	ds_load_b32 v44, v30
	s_lshl_b32 s34, s34, 2
	v_fma_f32 v28, -v15, v31, v24
	ds_load_2addr_b32 v[24:25], v25 offset1:1
	ds_load_2addr_b32 v[26:27], v26 offset1:1
	v_mov_b32_e32 v29, s34
	s_add_i32 s34, s33, s11
	v_fma_f32 v43, -v16, v33, v28
	s_lshl_b32 s31, s34, 2
	s_add_i32 s34, s30, 0xfffffd44
	v_mov_b32_e32 v31, s31
	s_add_i32 s31, s33, s10
	ds_load_2addr_b32 v[28:29], v29 offset1:1
	s_lshl_b32 s31, s31, 2
	v_mov_b32_e32 v39, s34
	v_mov_b32_e32 v33, s31
	s_add_i32 s31, s33, s21
	s_add_i32 s34, s15, -12
	s_lshl_b32 s31, s31, 2
	ds_load_b32 v45, v39
	v_mov_b32_e32 v36, s31
	s_add_i32 s31, s33, s20
	s_waitcnt lgkmcnt(5)
	v_mul_f32_e32 v22, v34, v22
	s_lshl_b32 s31, s31, 2
	s_add_i32 s35, s34, s12
	ds_load_2addr_b32 v[36:37], v36 offset1:1
	s_waitcnt lgkmcnt(4)
	v_fma_f32 v25, -v8, v25, v32
	ds_load_2addr_b32 v[32:33], v33 offset1:1
	v_fma_f32 v24, -v8, v24, v41
	s_add_i32 s36, s34, s28
	s_waitcnt lgkmcnt(4)
	v_fma_f32 v25, -v10, v27, v25
	v_mov_b32_e32 v27, s31
	s_add_i32 s31, s33, s19
	v_fma_f32 v24, -v10, v26, v24
	s_lshl_b32 s31, s31, 2
	s_waitcnt lgkmcnt(3)
	v_fma_f32 v25, -v15, v29, v25
	ds_load_2addr_b32 v[39:40], v27 offset1:1
	ds_load_2addr_b32 v[30:31], v31 offset1:1
	v_mov_b32_e32 v29, s31
	s_add_i32 s31, s30, 0xfffffce0
	v_fma_f32 v27, -v20, v35, v43
	v_mov_b32_e32 v26, s31
	s_add_i32 s31, s34, s4
	ds_load_2addr_b32 v[34:35], v29 offset1:1
	s_lshl_b32 s31, s31, 2
	v_fma_f32 v23, -v21, v23, v27
	v_mov_b32_e32 v27, s31
	s_add_i32 s31, s34, s13
	v_fma_f32 v24, -v15, v28, v24
	s_lshl_b32 s31, s31, 2
	s_add_i32 s33, s33, s29
	ds_load_2addr_b32 v[27:28], v27 offset1:1
	v_mov_b32_e32 v29, s31
	s_lshl_b32 s31, s35, 2
	s_lshl_b32 s33, s33, 2
	ds_load_b32 v26, v26
	s_addk_i32 s30, 0xfc7c
	s_waitcnt lgkmcnt(3)
	v_fma_f32 v25, -v16, v31, v25
	v_fma_f32 v24, -v16, v30, v24
	ds_load_2addr_b32 v[29:30], v29 offset1:1
	v_mov_b32_e32 v31, s31
	s_add_i32 s31, s34, s11
	v_fma_f32 v25, -v20, v33, v25
	v_mov_b32_e32 v33, s33
	s_lshl_b32 s31, s31, 2
	v_fma_f32 v24, -v20, v32, v24
	ds_load_2addr_b32 v[31:32], v31 offset1:1
	ds_load_b32 v47, v33
	v_fma_f32 v25, -v21, v37, v25
	v_mov_b32_e32 v37, s31
	s_add_i32 s31, s34, s10
	s_add_i32 s33, s34, s21
	s_lshl_b32 s31, s31, 2
	v_fma_f32 v25, -v22, v40, v25
	v_mov_b32_e32 v33, s31
	ds_load_2addr_b32 v[40:41], v37 offset1:1
	s_lshl_b32 s31, s33, 2
	v_fma_f32 v23, -v22, v44, v23
	s_waitcnt lgkmcnt(5)
	v_fma_f32 v28, -v8, v28, v42
	ds_load_2addr_b32 v[42:43], v33 offset1:1
	v_mov_b32_e32 v33, s30
	v_mov_b32_e32 v37, s31
	s_add_i32 s31, s34, s20
	v_mul_f32_e32 v23, v45, v23
	s_lshl_b32 s30, s31, 2
	s_waitcnt lgkmcnt(4)
	v_fma_f32 v28, -v10, v30, v28
	v_mov_b32_e32 v30, s30
	v_fma_f32 v24, -v21, v36, v24
	ds_load_b32 v36, v33
	ds_load_2addr_b32 v[44:45], v37 offset1:1
	v_fma_f32 v25, -v23, v35, v25
	s_waitcnt lgkmcnt(5)
	v_fma_f32 v28, -v15, v32, v28
	ds_load_2addr_b32 v[32:33], v30 offset1:1
	v_fma_f32 v24, -v22, v39, v24
	s_add_i32 s30, s34, s19
	v_mul_f32_e32 v26, v26, v25
	s_lshl_b32 s30, s30, 2
	s_waitcnt lgkmcnt(4)
	v_fma_f32 v28, -v16, v41, v28
	v_mov_b32_e32 v30, s30
	v_fma_f32 v25, -v23, v34, v24
	v_fma_f32 v37, -v8, v27, v46
	s_add_i32 s35, s34, s29
	s_waitcnt lgkmcnt(3)
	v_fma_f32 v28, -v20, v43, v28
	ds_load_2addr_b32 v[34:35], v30 offset1:1
	v_fma_f32 v30, -v26, v47, v25
	v_fma_f32 v29, -v10, v29, v37
	s_lshl_b32 s35, s35, 2
	s_add_i32 s34, s34, s23
	s_add_i32 s30, s39, 0xfffffe68
	s_waitcnt lgkmcnt(3)
	v_dual_mul_f32 v27, v36, v30 :: v_dual_mov_b32 v30, s35
	s_lshl_b32 s35, s36, 2
	s_waitcnt lgkmcnt(2)
	v_fma_f32 v28, -v21, v45, v28
	v_fma_f32 v29, -v15, v31, v29
	v_mov_b32_e32 v31, s35
	s_add_i32 s35, s38, s4
	s_add_i32 s36, s38, s13
	s_lshl_b32 s35, s35, 2
	s_waitcnt lgkmcnt(1)
	v_fma_f32 v28, -v22, v33, v28
	v_mov_b32_e32 v33, s35
	s_lshl_b32 s35, s36, 2
	s_lshl_b32 s34, s34, 2
	v_mov_b32_e32 v39, s35
	v_mov_b32_e32 v43, s34
	ds_load_2addr_b32 v[36:37], v33 offset1:1
	s_add_i32 s34, s38, s12
	v_fma_f32 v29, -v16, v40, v29
	ds_load_2addr_b32 v[39:40], v39 offset1:1
	s_lshl_b32 s34, s34, 2
	s_add_i32 s35, s38, s11
	v_mov_b32_e32 v33, s34
	s_lshl_b32 s34, s35, 2
	v_fma_f32 v50, -v20, v42, v29
	ds_load_2addr_b32 v[29:30], v30 offset1:1
	ds_load_2addr_b32 v[41:42], v31 offset1:1
	;; [unrolled: 1-line block ×3, first 2 shown]
	v_mov_b32_e32 v31, s34
	ds_load_2addr_b32 v[47:48], v33 offset1:1
	s_add_i32 s35, s38, s10
	v_fma_f32 v33, -v21, v44, v50
	s_lshl_b32 s35, s35, 2
	ds_load_2addr_b32 v[43:44], v31 offset1:1
	v_mov_b32_e32 v31, s35
	s_add_i32 s36, s38, s21
	s_mul_i32 s34, s15, 0x64
	s_lshl_b32 s35, s36, 2
	s_waitcnt lgkmcnt(6)
	v_fma_f32 v37, -v8, v37, v49
	v_mov_b32_e32 v51, s35
	ds_load_2addr_b32 v[49:50], v31 offset1:1
	s_add_i32 s35, s38, s20
	s_add_i32 s36, s34, 0xfffffb50
	s_lshl_b32 s35, s35, 2
	ds_load_2addr_b32 v[51:52], v51 offset1:1
	s_waitcnt lgkmcnt(7)
	v_fma_f32 v31, -v10, v40, v37
	v_mov_b32_e32 v37, s35
	s_add_i32 s35, s38, s19
	v_fma_f32 v28, -v23, v35, v28
	s_lshl_b32 s35, s35, 2
	s_waitcnt lgkmcnt(3)
	v_fma_f32 v31, -v15, v48, v31
	ds_load_2addr_b32 v[53:54], v37 offset1:1
	v_mov_b32_e32 v40, s35
	v_fma_f32 v32, -v22, v32, v33
	v_mov_b32_e32 v37, s36
	s_waitcnt lgkmcnt(3)
	v_fma_f32 v31, -v16, v44, v31
	ds_load_2addr_b32 v[55:56], v40 offset1:1
	ds_load_b32 v35, v37
	v_fma_f32 v30, -v26, v30, v28
	v_fma_f32 v32, -v23, v34, v32
	s_waitcnt lgkmcnt(4)
	v_fma_f32 v31, -v20, v50, v31
	s_add_i32 s42, s34, 0xfffffa88
	v_fma_f32 v36, -v8, v36, v57
	v_fma_f32 v30, -v27, v42, v30
	;; [unrolled: 1-line block ×3, first 2 shown]
	s_waitcnt lgkmcnt(3)
	v_fma_f32 v31, -v21, v52, v31
	v_mov_b32_e32 v42, s42
	s_add_i32 s31, s39, 0xfffffe50
	v_mul_f32_e32 v32, v46, v30
	v_fma_f32 v33, -v27, v41, v33
	s_waitcnt lgkmcnt(2)
	v_fma_f32 v34, -v22, v54, v31
	s_add_i32 s33, s39, 0xfffffe38
	s_add_i32 s36, s39, 0xfffffe20
	;; [unrolled: 1-line block ×3, first 2 shown]
	v_fma_f32 v64, -v32, v45, v33
	v_mov_b32_e32 v33, s40
	s_lshl_b32 s40, s41, 2
	s_add_i32 s41, s38, s18
	v_mov_b32_e32 v37, s40
	s_lshl_b32 s40, s41, 2
	s_add_i32 s41, s15, -16
	s_waitcnt lgkmcnt(1)
	v_fma_f32 v54, -v23, v56, v34
	v_mov_b32_e32 v34, s40
	s_add_i32 s40, s41, s4
	s_add_i32 s42, s41, s13
	s_lshl_b32 s40, s40, 2
	s_lshl_b32 s42, s42, 2
	v_mov_b32_e32 v44, s40
	ds_load_2addr_b32 v[40:41], v34 offset1:1
	ds_load_b32 v73, v42
	ds_load_2addr_b32 v[44:45], v44 offset1:1
	v_fma_f32 v34, -v10, v39, v36
	s_add_i32 s40, s38, s23
	s_add_i32 s38, s38, s22
	v_mov_b32_e32 v36, s42
	s_lshl_b32 s38, s38, 2
	s_lshl_b32 s40, s40, 2
	v_fma_f32 v34, -v15, v47, v34
	v_mov_b32_e32 v50, s38
	s_add_i32 s38, s41, s12
	v_mov_b32_e32 v39, s40
	s_add_i32 s40, s41, s11
	s_lshl_b32 s38, s38, 2
	ds_load_2addr_b32 v[46:47], v36 offset1:1
	s_lshl_b32 s40, s40, 2
	v_fma_f32 v34, -v16, v43, v34
	v_mov_b32_e32 v36, s38
	v_mov_b32_e32 v42, s40
	s_add_i32 s38, s41, s10
	s_add_i32 s40, s41, s21
	v_fma_f32 v52, -v20, v49, v34
	ds_load_2addr_b32 v[48:49], v36 offset1:1
	ds_load_2addr_b32 v[56:57], v42 offset1:1
	s_waitcnt lgkmcnt(3)
	v_fma_f32 v45, -v8, v45, v58
	ds_load_2addr_b32 v[33:34], v33 offset1:1
	ds_load_2addr_b32 v[36:37], v37 offset1:1
	;; [unrolled: 1-line block ×4, first 2 shown]
	s_lshl_b32 s38, s38, 2
	v_fma_f32 v52, -v21, v51, v52
	v_mov_b32_e32 v60, s38
	s_lshl_b32 s38, s40, 2
	s_add_i32 s40, s41, s19
	v_mov_b32_e32 v39, s38
	s_add_i32 s38, s41, s20
	ds_load_2addr_b32 v[60:61], v60 offset1:1
	s_lshl_b32 s38, s38, 2
	s_waitcnt lgkmcnt(7)
	v_fma_f32 v45, -v10, v47, v45
	ds_load_2addr_b32 v[50:51], v39 offset1:1
	v_mov_b32_e32 v39, s38
	s_lshl_b32 s38, s40, 2
	v_mul_f32_e32 v35, v35, v64
	v_mov_b32_e32 v47, s38
	s_add_i32 s38, s41, s29
	s_waitcnt lgkmcnt(5)
	v_fma_f32 v34, -v26, v34, v54
	s_lshl_b32 s38, s38, 2
	v_fma_f32 v45, -v15, v49, v45
	v_mov_b32_e32 v49, s38
	s_add_i32 s38, s41, s28
	s_waitcnt lgkmcnt(4)
	v_fma_f32 v34, -v27, v37, v34
	s_lshl_b32 s38, s38, 2
	ds_load_2addr_b32 v[62:63], v39 offset1:1
	v_mov_b32_e32 v37, s38
	v_fma_f32 v45, -v16, v57, v45
	s_waitcnt lgkmcnt(4)
	v_fma_f32 v34, -v32, v43, v34
	s_add_i32 s38, s39, 0xfffffdd8
	s_addk_i32 s39, 0xfdc0
	ds_load_2addr_b32 v[64:65], v37 offset1:1
	v_fma_f32 v39, -v22, v53, v52
	ds_load_2addr_b32 v[52:53], v47 offset1:1
	s_waitcnt lgkmcnt(4)
	v_fma_f32 v45, -v20, v61, v45
	v_fma_f32 v37, -v35, v59, v34
	v_add_lshl_u32 v34, s39, v0, 2
	v_fma_f32 v39, -v23, v55, v39
	ds_load_2addr_b32 v[54:55], v49 offset1:1
	s_add_i32 s39, s41, s23
	s_add_i32 s40, s41, s18
	s_lshl_b32 s39, s39, 2
	v_fma_f32 v33, -v26, v33, v39
	s_waitcnt lgkmcnt(4)
	v_fma_f32 v39, -v21, v51, v45
	s_lshl_b32 s40, s40, 2
	v_fma_f32 v38, -v8, v44, v38
	v_mov_b32_e32 v59, s40
	v_fma_f32 v33, -v27, v36, v33
	s_waitcnt lgkmcnt(3)
	v_fma_f32 v36, -v22, v63, v39
	s_add_i32 s42, s34, 0xfffff9c0
	v_add_lshl_u32 v24, s30, v0, 2
	v_add_lshl_u32 v25, s31, v0, 2
	v_fma_f32 v39, -v32, v42, v33
	s_waitcnt lgkmcnt(1)
	v_fma_f32 v42, -v23, v53, v36
	v_mul_f32_e32 v36, v41, v37
	v_fma_f32 v38, -v10, v46, v38
	v_mov_b32_e32 v45, s42
	v_fma_f32 v39, -v35, v58, v39
	s_waitcnt lgkmcnt(0)
	v_fma_f32 v43, -v26, v55, v42
	v_add_lshl_u32 v28, s33, v0, 2
	v_add_lshl_u32 v29, s36, v0, 2
	;; [unrolled: 1-line block ×3, first 2 shown]
	v_fma_f32 v40, -v36, v40, v39
	v_mov_b32_e32 v39, s39
	s_add_i32 s39, s41, s22
	v_fma_f32 v51, -v27, v65, v43
	s_lshl_b32 s39, s39, 2
	v_add_lshl_u32 v31, s35, v0, 2
	v_mov_b32_e32 v53, s39
	s_add_i32 s39, s41, s27
	v_add_lshl_u32 v33, s38, v0, 2
	s_lshl_b32 s39, s39, 2
	ds_load_b32 v49, v24 offset:2304
	ds_load_b32 v74, v25 offset:2304
	;; [unrolled: 1-line block ×8, first 2 shown]
	v_mov_b32_e32 v43, s39
	s_sub_i32 s39, s15, 18
	v_fma_f32 v38, -v15, v48, v38
	s_add_i32 s40, s39, s4
	s_add_i32 s42, s39, s12
	s_lshl_b32 s40, s40, 2
	s_add_i32 s41, s41, s24
	v_mov_b32_e32 v46, s40
	s_add_i32 s40, s39, s13
	ds_load_2addr_b32 v[43:44], v43 offset1:1
	ds_load_b32 v76, v45
	ds_load_2addr_b32 v[45:46], v46 offset1:1
	s_lshl_b32 s40, s40, 2
	s_lshl_b32 s41, s41, 2
	v_mov_b32_e32 v47, s40
	s_lshl_b32 s40, s42, 2
	v_mov_b32_e32 v61, s41
	v_mov_b32_e32 v55, s40
	s_add_i32 s40, s39, s11
	ds_load_2addr_b32 v[47:48], v47 offset1:1
	v_fma_f32 v63, -v16, v56, v38
	ds_load_2addr_b32 v[38:39], v39 offset1:1
	ds_load_2addr_b32 v[55:56], v55 offset1:1
	s_lshl_b32 s40, s40, 2
	ds_load_2addr_b32 v[57:58], v53 offset1:1
	ds_load_2addr_b32 v[65:66], v59 offset1:1
	;; [unrolled: 1-line block ×3, first 2 shown]
	v_mov_b32_e32 v59, s40
	s_add_i32 s40, s39, s10
	v_fma_f32 v53, -v20, v60, v63
	s_lshl_b32 s40, s40, 2
	s_add_i32 s41, s39, s21
	ds_load_2addr_b32 v[59:60], v59 offset1:1
	s_waitcnt lgkmcnt(7)
	v_fma_f32 v46, -v8, v46, v49
	v_mov_b32_e32 v49, s40
	s_lshl_b32 s40, s41, 2
	v_fma_f32 v50, -v21, v50, v53
	v_mov_b32_e32 v53, s40
	s_add_i32 s40, s39, s20
	s_add_i32 s41, s39, s19
	s_lshl_b32 s40, s40, 2
	s_waitcnt lgkmcnt(6)
	v_fma_f32 v46, -v10, v48, v46
	ds_load_2addr_b32 v[48:49], v49 offset1:1
	v_fma_f32 v61, -v22, v62, v50
	s_waitcnt lgkmcnt(6)
	v_fma_f32 v39, -v32, v39, v51
	ds_load_2addr_b32 v[50:51], v53 offset1:1
	v_mov_b32_e32 v53, s40
	s_waitcnt lgkmcnt(6)
	v_fma_f32 v46, -v15, v56, v46
	s_lshl_b32 s40, s41, 2
	v_fma_f32 v56, -v23, v52, v61
	v_mov_b32_e32 v61, s40
	s_add_i32 s40, s39, s29
	ds_load_2addr_b32 v[52:53], v53 offset1:1
	s_lshl_b32 s40, s40, 2
	s_waitcnt lgkmcnt(3)
	v_fma_f32 v46, -v16, v60, v46
	v_fma_f32 v54, -v26, v54, v56
	v_mov_b32_e32 v56, s40
	s_add_i32 s40, s39, s28
	s_add_i32 s41, s39, s22
	s_lshl_b32 s40, s40, 2
	v_fma_f32 v39, -v35, v58, v39
	ds_load_2addr_b32 v[62:63], v56 offset1:1
	s_waitcnt lgkmcnt(3)
	v_fma_f32 v46, -v20, v49, v46
	v_mov_b32_e32 v49, s40
	s_add_i32 s40, s39, s23
	v_fma_f32 v56, -v27, v64, v54
	s_lshl_b32 s40, s40, 2
	s_waitcnt lgkmcnt(2)
	v_fma_f32 v46, -v21, v51, v46
	ds_load_2addr_b32 v[69:70], v49 offset1:1
	v_mov_b32_e32 v49, s40
	s_lshl_b32 s40, s41, 2
	v_fma_f32 v39, -v36, v66, v39
	v_mov_b32_e32 v51, s40
	s_waitcnt lgkmcnt(2)
	v_fma_f32 v46, -v22, v53, v46
	ds_load_2addr_b32 v[53:54], v49 offset1:1
	ds_load_2addr_b32 v[60:61], v61 offset1:1
	s_add_i32 s40, s39, s18
	ds_load_2addr_b32 v[71:72], v51 offset1:1
	v_fma_f32 v51, -v32, v38, v56
	v_mul_f32_e32 v38, v73, v40
	s_lshl_b32 s40, s40, 2
	s_add_i32 s41, s39, s27
	v_mov_b32_e32 v49, s40
	v_fma_f32 v40, -v35, v57, v51
	v_fma_f32 v39, -v38, v68, v39
	s_add_i32 s40, s39, s24
	s_lshl_b32 s41, s41, 2
	s_lshl_b32 s40, s40, 2
	v_fma_f32 v40, -v36, v65, v40
	v_mul_f32_e32 v39, v44, v39
	v_fma_f32 v44, -v8, v45, v74
	v_mov_b32_e32 v56, s40
	s_sub_i32 s40, s15, 20
	v_fma_f32 v40, -v38, v67, v40
	v_mov_b32_e32 v66, s41
	s_add_i32 s41, s40, s11
	ds_load_2addr_b32 v[56:57], v56 offset1:1
	s_lshl_b32 s41, s41, 2
	v_fma_f32 v40, -v39, v43, v40
	v_fma_f32 v43, -v10, v47, v44
	s_add_i32 s42, s40, s4
	s_add_i32 s43, s40, s12
	s_lshl_b32 s42, s42, 2
	v_mul_f32_e32 v40, v76, v40
	v_fma_f32 v43, -v15, v55, v43
	s_delay_alu instid0(VALU_DEP_1) | instskip(NEXT) | instid1(VALU_DEP_1)
	v_fma_f32 v43, -v16, v59, v43
	v_fma_f32 v43, -v20, v48, v43
	s_delay_alu instid0(VALU_DEP_1) | instskip(SKIP_1) | instid1(VALU_DEP_2)
	v_fma_f32 v43, -v21, v50, v43
	v_mov_b32_e32 v50, s41
	v_fma_f32 v43, -v22, v52, v43
	ds_load_2addr_b32 v[50:51], v50 offset1:1
	s_waitcnt lgkmcnt(3)
	v_fma_f32 v46, -v23, v61, v46
	v_fma_f32 v43, -v23, v60, v43
	s_delay_alu instid0(VALU_DEP_2) | instskip(SKIP_3) | instid1(VALU_DEP_2)
	v_fma_f32 v46, -v26, v63, v46
	ds_load_2addr_b32 v[63:64], v49 offset1:1
	v_fma_f32 v43, -v26, v62, v43
	v_fma_f32 v46, -v27, v70, v46
	;; [unrolled: 1-line block ×3, first 2 shown]
	s_delay_alu instid0(VALU_DEP_2) | instskip(NEXT) | instid1(VALU_DEP_2)
	v_fma_f32 v46, -v32, v54, v46
	v_fma_f32 v43, -v32, v53, v43
	s_waitcnt lgkmcnt(3)
	s_delay_alu instid0(VALU_DEP_2) | instskip(NEXT) | instid1(VALU_DEP_2)
	v_fma_f32 v45, -v35, v72, v46
	v_fma_f32 v43, -v35, v71, v43
	s_waitcnt lgkmcnt(0)
	s_delay_alu instid0(VALU_DEP_2) | instskip(NEXT) | instid1(VALU_DEP_2)
	v_fma_f32 v44, -v36, v64, v45
	v_fma_f32 v43, -v36, v63, v43
	s_delay_alu instid0(VALU_DEP_2) | instskip(SKIP_2) | instid1(VALU_DEP_3)
	v_fma_f32 v80, -v38, v57, v44
	v_mov_b32_e32 v44, s42
	s_add_i32 s42, s40, s13
	v_fma_f32 v43, -v38, v56, v43
	s_lshl_b32 s42, s42, 2
	ds_load_2addr_b32 v[44:45], v44 offset1:1
	v_mov_b32_e32 v46, s42
	s_lshl_b32 s42, s43, 2
	s_add_i32 s43, s40, s21
	v_mov_b32_e32 v48, s42
	s_add_i32 s42, s39, s25
	ds_load_2addr_b32 v[46:47], v46 offset1:1
	s_lshl_b32 s41, s42, 2
	s_add_i32 s42, s40, s10
	ds_load_2addr_b32 v[48:49], v48 offset1:1
	s_lshl_b32 s42, s42, 2
	v_mov_b32_e32 v68, s41
	v_mov_b32_e32 v52, s42
	s_lshl_b32 s42, s43, 2
	s_add_i32 s41, s40, s19
	v_mov_b32_e32 v57, s42
	s_add_i32 s42, s40, s20
	ds_load_2addr_b32 v[54:55], v52 offset1:1
	s_lshl_b32 s42, s42, 2
	s_lshl_b32 s41, s41, 2
	s_waitcnt lgkmcnt(3)
	v_fma_f32 v45, -v8, v45, v75
	ds_load_2addr_b32 v[57:58], v57 offset1:1
	s_add_i32 s39, s39, s30
	v_fma_f32 v44, -v8, v44, v78
	s_lshl_b32 s39, s39, 2
	s_waitcnt lgkmcnt(3)
	v_fma_f32 v45, -v10, v47, v45
	v_mov_b32_e32 v47, s42
	s_add_i32 s42, s40, s24
	v_fma_f32 v44, -v10, v46, v44
	s_waitcnt lgkmcnt(2)
	v_fma_f32 v45, -v15, v49, v45
	ds_load_2addr_b32 v[59:60], v47 offset1:1
	v_mov_b32_e32 v47, s41
	s_add_i32 s41, s40, s29
	v_fma_f32 v45, -v16, v51, v45
	s_lshl_b32 s41, s41, 2
	ds_load_2addr_b32 v[51:52], v47 offset1:1
	v_mov_b32_e32 v47, s41
	s_add_i32 s41, s40, s28
	s_waitcnt lgkmcnt(3)
	v_fma_f32 v45, -v20, v55, v45
	s_lshl_b32 s41, s41, 2
	s_delay_alu instid0(SALU_CYCLE_1)
	v_mov_b32_e32 v49, s41
	ds_load_2addr_b32 v[61:62], v47 offset1:1
	s_waitcnt lgkmcnt(3)
	v_fma_f32 v45, -v21, v58, v45
	s_add_i32 s41, s40, s22
	ds_load_2addr_b32 v[64:65], v49 offset1:1
	v_mov_b32_e32 v47, s39
	s_add_i32 s39, s40, s23
	s_waitcnt lgkmcnt(3)
	v_fma_f32 v45, -v22, v60, v45
	s_lshl_b32 s39, s39, 2
	ds_load_2addr_b32 v[66:67], v66 offset1:1
	ds_load_2addr_b32 v[68:69], v68 offset1:1
	;; [unrolled: 1-line block ×3, first 2 shown]
	v_mov_b32_e32 v49, s39
	s_lshl_b32 s39, s41, 2
	s_add_i32 s41, s40, s18
	v_mov_b32_e32 v47, s39
	s_waitcnt lgkmcnt(5)
	v_fma_f32 v45, -v23, v52, v45
	ds_load_2addr_b32 v[52:53], v49 offset1:1
	s_lshl_b32 s41, s41, 2
	s_add_i32 s39, s34, 0xfffff8f8
	ds_load_2addr_b32 v[72:73], v47 offset1:1
	v_mov_b32_e32 v47, s41
	s_lshl_b32 s41, s42, 2
	s_waitcnt lgkmcnt(6)
	v_fma_f32 v45, -v26, v62, v45
	v_mov_b32_e32 v49, s39
	v_mov_b32_e32 v55, s41
	ds_load_2addr_b32 v[62:63], v47 offset1:1
	s_add_i32 s39, s40, s27
	s_waitcnt lgkmcnt(6)
	v_fma_f32 v45, -v27, v65, v45
	ds_load_b32 v49, v49
	s_lshl_b32 s39, s39, 2
	ds_load_2addr_b32 v[74:75], v55 offset1:1
	v_mov_b32_e32 v47, s39
	s_add_i32 s39, s40, s25
	s_add_i32 s42, s40, s30
	s_lshl_b32 s39, s39, 2
	s_lshl_b32 s42, s42, 2
	s_waitcnt lgkmcnt(4)
	v_fma_f32 v45, -v32, v53, v45
	v_mov_b32_e32 v53, s39
	ds_load_2addr_b32 v[76:77], v47 offset1:1
	s_sub_i32 s39, s15, 22
	s_waitcnt lgkmcnt(4)
	v_fma_f32 v45, -v35, v73, v45
	ds_load_2addr_b32 v[55:56], v53 offset1:1
	v_fma_f32 v47, -v39, v67, v80
	v_fma_f32 v53, -v39, v66, v43
	s_add_i32 s41, s39, s4
	s_waitcnt lgkmcnt(4)
	v_fma_f32 v45, -v36, v63, v45
	s_lshl_b32 s41, s41, 2
	v_fma_f32 v47, -v40, v69, v47
	s_add_i32 s43, s39, s12
	v_mov_b32_e32 v66, s42
	s_waitcnt lgkmcnt(2)
	v_fma_f32 v45, -v38, v75, v45
	s_add_i32 s42, s39, s19
	v_mul_f32_e32 v43, v71, v47
	v_fma_f32 v47, -v40, v68, v53
	s_lshl_b32 s42, s42, 2
	s_waitcnt lgkmcnt(1)
	v_fma_f32 v45, -v39, v77, v45
	s_delay_alu instid0(VALU_DEP_2) | instskip(SKIP_2) | instid1(VALU_DEP_3)
	v_fma_f32 v46, -v43, v70, v47
	v_fma_f32 v47, -v15, v48, v44
	s_waitcnt lgkmcnt(0)
	v_fma_f32 v80, -v40, v56, v45
	s_delay_alu instid0(VALU_DEP_3) | instskip(NEXT) | instid1(VALU_DEP_3)
	v_mul_f32_e32 v44, v49, v46
	v_fma_f32 v45, -v16, v50, v47
	v_mov_b32_e32 v46, s41
	s_add_i32 s41, s39, s13
	s_delay_alu instid0(SALU_CYCLE_1) | instskip(NEXT) | instid1(VALU_DEP_2)
	s_lshl_b32 s41, s41, 2
	v_fma_f32 v49, -v20, v54, v45
	ds_load_2addr_b32 v[45:46], v46 offset1:1
	v_mov_b32_e32 v47, s41
	s_lshl_b32 s41, s43, 2
	s_delay_alu instid0(SALU_CYCLE_1)
	v_mov_b32_e32 v50, s41
	s_add_i32 s41, s39, s11
	ds_load_2addr_b32 v[47:48], v47 offset1:1
	s_lshl_b32 s41, s41, 2
	v_fma_f32 v53, -v21, v57, v49
	ds_load_2addr_b32 v[49:50], v50 offset1:1
	v_mov_b32_e32 v54, s41
	s_add_i32 s41, s39, s10
	s_delay_alu instid0(SALU_CYCLE_1)
	s_lshl_b32 s41, s41, 2
	v_fma_f32 v56, -v22, v59, v53
	v_mov_b32_e32 v57, s41
	s_add_i32 s41, s39, s21
	ds_load_2addr_b32 v[53:54], v54 offset1:1
	s_lshl_b32 s41, s41, 2
	v_fma_f32 v51, -v23, v51, v56
	v_mov_b32_e32 v58, s41
	ds_load_2addr_b32 v[56:57], v57 offset1:1
	s_add_i32 s41, s39, s20
	s_delay_alu instid0(SALU_CYCLE_1)
	s_lshl_b32 s41, s41, 2
	ds_load_2addr_b32 v[58:59], v58 offset1:1
	s_waitcnt lgkmcnt(5)
	v_fma_f32 v46, -v8, v46, v79
	v_fma_f32 v51, -v26, v61, v51
	;; [unrolled: 1-line block ×3, first 2 shown]
	s_waitcnt lgkmcnt(4)
	s_delay_alu instid0(VALU_DEP_3)
	v_fma_f32 v46, -v10, v48, v46
	v_mov_b32_e32 v48, s41
	v_fma_f32 v60, -v27, v64, v51
	s_add_i32 s41, s40, s31
	s_add_i32 s40, s40, s33
	s_waitcnt lgkmcnt(3)
	v_fma_f32 v46, -v15, v50, v46
	ds_load_2addr_b32 v[50:51], v48 offset1:1
	v_mov_b32_e32 v48, s42
	s_lshl_b32 s41, s41, 2
	v_fma_f32 v52, -v32, v52, v60
	s_waitcnt lgkmcnt(3)
	v_fma_f32 v46, -v16, v54, v46
	v_mov_b32_e32 v54, s41
	ds_load_2addr_b32 v[60:61], v48 offset1:1
	s_add_i32 s41, s39, s29
	s_lshl_b32 s40, s40, 2
	s_waitcnt lgkmcnt(3)
	v_fma_f32 v46, -v20, v57, v46
	s_lshl_b32 s41, s41, 2
	v_fma_f32 v48, -v35, v72, v52
	v_dual_mov_b32 v52, s41 :: v_dual_mov_b32 v57, s40
	s_waitcnt lgkmcnt(2)
	v_fma_f32 v46, -v21, v59, v46
	s_add_i32 s40, s39, s28
	v_fma_f32 v48, -v36, v62, v48
	s_lshl_b32 s40, s40, 2
	ds_load_2addr_b32 v[62:63], v52 offset1:1
	s_add_i32 s41, s39, s23
	s_waitcnt lgkmcnt(2)
	v_fma_f32 v46, -v22, v51, v46
	v_mov_b32_e32 v51, s40
	s_lshl_b32 s40, s41, 2
	s_add_i32 s41, s39, s24
	v_mov_b32_e32 v59, s40
	s_add_i32 s40, s39, s22
	ds_load_2addr_b32 v[51:52], v51 offset1:1
	s_lshl_b32 s40, s40, 2
	s_waitcnt lgkmcnt(2)
	v_fma_f32 v46, -v23, v61, v46
	ds_load_2addr_b32 v[64:65], v59 offset1:1
	v_mov_b32_e32 v59, s40
	s_add_i32 s40, s39, s18
	ds_load_2addr_b32 v[66:67], v66 offset1:1
	ds_load_2addr_b32 v[68:69], v54 offset1:1
	;; [unrolled: 1-line block ×3, first 2 shown]
	s_lshl_b32 s40, s40, 2
	v_fma_f32 v48, -v38, v74, v48
	ds_load_2addr_b32 v[72:73], v59 offset1:1
	v_mov_b32_e32 v54, s40
	s_lshl_b32 s40, s41, 2
	s_waitcnt lgkmcnt(6)
	v_fma_f32 v46, -v26, v63, v46
	s_add_i32 s41, s34, 0xfffff830
	v_mov_b32_e32 v57, s40
	ds_load_2addr_b32 v[74:75], v54 offset1:1
	s_add_i32 s40, s39, s27
	v_fma_f32 v48, -v39, v76, v48
	s_lshl_b32 s40, s40, 2
	ds_load_2addr_b32 v[76:77], v57 offset1:1
	s_waitcnt lgkmcnt(7)
	v_fma_f32 v46, -v27, v52, v46
	v_mov_b32_e32 v52, s41
	v_fma_f32 v48, -v40, v55, v48
	s_add_i32 s41, s39, s33
	s_waitcnt lgkmcnt(5)
	v_fma_f32 v57, -v43, v67, v80
	v_fma_f32 v46, -v32, v65, v46
	ds_load_b32 v52, v52
	v_mov_b32_e32 v54, s40
	s_add_i32 s40, s39, s25
	s_waitcnt lgkmcnt(5)
	v_fma_f32 v57, -v44, v69, v57
	s_lshl_b32 s40, s40, 2
	v_fma_f32 v48, -v43, v66, v48
	ds_load_2addr_b32 v[78:79], v54 offset1:1
	v_mov_b32_e32 v54, s40
	s_waitcnt lgkmcnt(4)
	v_fma_f32 v46, -v35, v73, v46
	v_mul_f32_e32 v73, v71, v57
	v_fma_f32 v48, -v44, v68, v48
	s_add_i32 s40, s39, s30
	ds_load_2addr_b32 v[54:55], v54 offset1:1
	s_waitcnt lgkmcnt(4)
	v_fma_f32 v46, -v36, v75, v46
	s_lshl_b32 s40, s40, 2
	v_fma_f32 v48, -v73, v70, v48
	v_mov_b32_e32 v57, s40
	s_add_i32 s40, s39, s31
	s_waitcnt lgkmcnt(3)
	v_fma_f32 v46, -v38, v77, v46
	s_lshl_b32 s40, s40, 2
	s_waitcnt lgkmcnt(2)
	v_dual_mul_f32 v75, v52, v48 :: v_dual_mov_b32 v52, s40
	s_lshl_b32 s40, s41, 2
	v_fma_f32 v42, -v10, v47, v42
	s_add_i32 s41, s39, s36
	ds_load_2addr_b32 v[65:66], v57 offset1:1
	s_waitcnt lgkmcnt(2)
	v_fma_f32 v46, -v39, v79, v46
	s_lshl_b32 s41, s41, 2
	v_fma_f32 v42, -v15, v49, v42
	v_mov_b32_e32 v49, s41
	s_add_i32 s39, s39, s37
	s_waitcnt lgkmcnt(1)
	v_fma_f32 v59, -v40, v55, v46
	v_mov_b32_e32 v55, s40
	s_sub_i32 s40, s15, 24
	v_fma_f32 v42, -v16, v53, v42
	s_add_i32 s42, s40, s4
	s_add_i32 s13, s40, s13
	s_lshl_b32 s42, s42, 2
	s_lshl_b32 s13, s13, 2
	v_mov_b32_e32 v45, s42
	v_mov_b32_e32 v47, s13
	v_fma_f32 v42, -v20, v56, v42
	s_add_i32 s12, s40, s12
	s_add_i32 s10, s40, s10
	ds_load_2addr_b32 v[45:46], v45 offset1:1
	ds_load_2addr_b32 v[47:48], v47 offset1:1
	s_lshl_b32 s12, s12, 2
	s_lshl_b32 s10, s10, 2
	ds_load_2addr_b32 v[52:53], v52 offset1:1
	ds_load_2addr_b32 v[67:68], v55 offset1:1
	;; [unrolled: 1-line block ×3, first 2 shown]
	v_mov_b32_e32 v49, s12
	v_fma_f32 v61, -v21, v58, v42
	v_mov_b32_e32 v42, s10
	s_add_i32 s11, s40, s11
	s_add_i32 s10, s40, s21
	s_lshl_b32 s11, s11, 2
	ds_load_2addr_b32 v[55:56], v49 offset1:1
	s_lshl_b32 s10, s10, 2
	v_fma_f32 v50, -v22, v50, v61
	s_waitcnt lgkmcnt(6)
	v_fma_f32 v63, -v43, v66, v59
	s_add_i32 s12, s40, s31
	s_delay_alu instid0(SALU_CYCLE_1)
	s_lshl_b32 s12, s12, 2
	v_fma_f32 v50, -v23, v60, v50
	s_waitcnt lgkmcnt(5)
	v_fma_f32 v46, -v8, v46, v41
	ds_load_2addr_b32 v[41:42], v42 offset1:1
	v_mov_b32_e32 v49, s11
	s_add_i32 s11, s40, s19
	v_fma_f32 v50, -v26, v62, v50
	s_waitcnt lgkmcnt(5)
	v_fma_f32 v46, -v10, v48, v46
	s_waitcnt lgkmcnt(4)
	v_fma_f32 v53, -v44, v53, v63
	ds_load_2addr_b32 v[57:58], v49 offset1:1
	v_mov_b32_e32 v49, s10
	s_add_i32 s10, s40, s20
	v_fma_f32 v37, -v8, v45, v37
	s_lshl_b32 s10, s10, 2
	s_waitcnt lgkmcnt(2)
	v_fma_f32 v46, -v15, v56, v46
	v_mov_b32_e32 v59, s10
	s_lshl_b32 s10, s11, 2
	ds_load_2addr_b32 v[48:49], v49 offset1:1
	v_mov_b32_e32 v56, s10
	s_add_i32 s10, s40, s29
	ds_load_2addr_b32 v[79:80], v59 offset1:1
	s_lshl_b32 s10, s10, 2
	v_fma_f32 v37, -v10, v47, v37
	v_mov_b32_e32 v60, s10
	s_add_i32 s10, s40, s28
	s_add_i32 s11, s40, s18
	s_lshl_b32 s10, s10, 2
	v_fma_f32 v37, -v15, v55, v37
	ds_load_2addr_b32 v[60:61], v60 offset1:1
	s_waitcnt lgkmcnt(3)
	v_fma_f32 v46, -v16, v58, v46
	v_fma_f32 v37, -v16, v57, v37
	s_delay_alu instid0(VALU_DEP_2)
	v_fma_f32 v42, -v20, v42, v46
	v_fma_f32 v46, -v27, v51, v50
	v_mov_b32_e32 v50, s10
	s_lshl_b32 s10, s39, 2
	v_fma_f32 v51, -v73, v68, v53
	v_mov_b32_e32 v53, s10
	s_add_i32 s10, s40, s23
	v_fma_f32 v46, -v32, v64, v46
	s_lshl_b32 s10, s10, 2
	v_fma_f32 v37, -v20, v41, v37
	ds_load_2addr_b32 v[62:63], v53 offset1:1
	ds_load_2addr_b32 v[58:59], v56 offset1:1
	s_waitcnt lgkmcnt(4)
	v_fma_f32 v42, -v21, v49, v42
	ds_load_2addr_b32 v[49:50], v50 offset1:1
	v_mov_b32_e32 v56, s10
	s_add_i32 s10, s40, s22
	v_fma_f32 v46, -v35, v72, v46
	s_waitcnt lgkmcnt(4)
	v_fma_f32 v42, -v22, v80, v42
	s_lshl_b32 s10, s10, 2
	v_fma_f32 v37, -v21, v48, v37
	v_mov_b32_e32 v45, s10
	s_lshl_b32 s10, s11, 2
	s_add_i32 s11, s40, s24
	v_mov_b32_e32 v47, s10
	s_lshl_b32 s10, s11, 2
	v_fma_f32 v37, -v22, v79, v37
	v_mov_b32_e32 v55, s10
	s_add_i32 s10, s40, s27
	s_add_i32 s11, s40, s25
	s_lshl_b32 s10, s10, 2
	s_waitcnt lgkmcnt(1)
	v_fma_f32 v42, -v23, v59, v42
	v_fma_f32 v59, -v75, v70, v51
	ds_load_2addr_b32 v[70:71], v56 offset1:1
	v_fma_f32 v51, -v36, v74, v46
	ds_load_2addr_b32 v[45:46], v45 offset1:1
	;; [unrolled: 2-line block ×3, first 2 shown]
	v_mov_b32_e32 v41, s10
	v_fma_f32 v53, -v38, v76, v51
	v_fma_f32 v37, -v23, v58, v37
	s_waitcnt lgkmcnt(3)
	v_fma_f32 v42, -v27, v50, v42
	ds_load_2addr_b32 v[50:51], v47 offset1:1
	s_lshl_b32 s10, s11, 2
	v_fma_f32 v47, -v39, v78, v53
	v_mov_b32_e32 v48, s10
	v_fma_f32 v37, -v26, v60, v37
	s_add_i32 s11, s40, s30
	s_add_i32 s10, s34, 0xfffff768
	v_fma_f32 v47, -v40, v54, v47
	s_lshl_b32 s11, s11, 2
	v_fma_f32 v37, -v27, v49, v37
	v_mov_b32_e32 v58, s10
	s_waitcnt lgkmcnt(3)
	v_fma_f32 v53, -v32, v71, v42
	ds_load_2addr_b32 v[41:42], v41 offset1:1
	v_fma_f32 v57, -v43, v65, v47
	v_fma_f32 v37, -v32, v70, v37
	s_add_i32 s10, s40, s33
	s_waitcnt lgkmcnt(3)
	v_fma_f32 v53, -v35, v46, v53
	ds_load_2addr_b32 v[46:47], v48 offset1:1
	s_lshl_b32 s10, s10, 2
	v_fma_f32 v37, -v35, v45, v37
	v_mov_b32_e32 v45, s10
	s_waitcnt lgkmcnt(2)
	v_fma_f32 v48, -v36, v51, v53
	v_mov_b32_e32 v51, s11
	v_mov_b32_e32 v53, s12
	v_fma_f32 v37, -v36, v50, v37
	s_add_i32 s11, s40, s36
	v_fma_f32 v56, -v38, v56, v48
	ds_load_2addr_b32 v[48:49], v51 offset1:1
	ds_load_2addr_b32 v[53:54], v53 offset1:1
	s_lshl_b32 s10, s11, 2
	ds_load_2addr_b32 v[50:51], v45 offset1:1
	v_fma_f32 v37, -v38, v55, v37
	ds_load_b32 v58, v58
	s_waitcnt lgkmcnt(5)
	v_fma_f32 v42, -v39, v42, v56
	v_fma_f32 v52, -v44, v52, v57
	v_mul_f32_e32 v59, v63, v59
	v_fma_f32 v37, -v39, v41, v37
	s_waitcnt lgkmcnt(4)
	v_fma_f32 v42, -v40, v47, v42
	v_mov_b32_e32 v47, s10
	s_add_i32 s10, s40, s37
	v_fma_f32 v37, -v40, v46, v37
	s_lshl_b32 s10, s10, 2
	v_fma_f32 v52, -v73, v67, v52
	ds_load_2addr_b32 v[55:56], v47 offset1:1
	v_mov_b32_e32 v45, s10
	s_add_i32 s10, s40, s35
	s_waitcnt lgkmcnt(4)
	v_fma_f32 v47, -v43, v49, v42
	s_lshl_b32 s10, s10, 2
	v_fma_f32 v37, -v43, v48, v37
	ds_load_2addr_b32 v[41:42], v45 offset1:1
	v_mov_b32_e32 v49, s10
	s_waitcnt lgkmcnt(4)
	v_fma_f32 v47, -v44, v54, v47
	s_add_i32 s40, s40, s38
	v_fma_f32 v48, -v75, v69, v52
	s_lshl_b32 s10, s40, 2
	ds_load_2addr_b32 v[45:46], v49 offset1:1
	v_mov_b32_e32 v49, s10
	s_waitcnt lgkmcnt(4)
	v_fma_f32 v51, -v73, v51, v47
	v_fma_f32 v37, -v44, v53, v37
	v_fma_f32 v52, -v59, v62, v48
	ds_load_2addr_b32 v[47:48], v49 offset1:1
	s_waitcnt lgkmcnt(3)
	v_fma_f32 v49, -v75, v56, v51
	v_fma_f32 v37, -v73, v50, v37
	v_add_lshl_u32 v50, s4, v0, 2
	s_add_i32 s4, s34, 0xfffff6a0
	v_mul_f32_e32 v51, v58, v52
	s_waitcnt lgkmcnt(2)
	v_fma_f32 v42, -v59, v42, v49
	v_fma_f32 v37, -v75, v55, v37
	v_mov_b32_e32 v49, s4
	ds_store_b32 v50, v8 offset:2304
	s_sub_i32 s4, s15, 25
	v_fma_f32 v37, -v59, v41, v37
	ds_load_b32 v41, v49
	s_waitcnt lgkmcnt(3)
	v_fma_f32 v8, -v51, v46, v42
	ds_store_b32 v1, v10 offset:2304
	ds_store_b32 v2, v15 offset:2304
	;; [unrolled: 1-line block ×9, first 2 shown]
	v_fma_f32 v2, -v51, v45, v37
	ds_store_b32 v11, v32 offset:2304
	ds_store_b32 v13, v35 offset:2304
	;; [unrolled: 1-line block ×8, first 2 shown]
	s_waitcnt lgkmcnt(19)
	v_mul_f32_e32 v1, v48, v8
	s_delay_alu instid0(VALU_DEP_1) | instskip(SKIP_1) | instid1(VALU_DEP_1)
	v_fma_f32 v2, -v1, v47, v2
	s_waitcnt lgkmcnt(17)
	v_mul_f32_e32 v2, v41, v2
	ds_store_b32 v28, v73 offset:2304
	ds_store_b32 v29, v75 offset:2304
	;; [unrolled: 1-line block ×6, first 2 shown]
.LBB26_41:
	s_cmp_gt_i32 s4, -1
	s_cbranch_scc0 .LBB26_60
; %bb.42:
	s_cmp_lt_u32 s4, 19
	s_cbranch_scc1 .LBB26_47
; %bb.43:
	s_mul_i32 s10, s4, 24
	s_delay_alu instid0(SALU_CYCLE_1) | instskip(SKIP_3) | instid1(VALU_DEP_2)
	v_add_lshl_u32 v20, s10, v0, 2
	s_sub_i32 s11, s10, 24
	s_cmp_le_i32 s26, s4
	v_add_lshl_u32 v21, s11, v0, 2
	v_add_nc_u32_e32 v1, 0x600, v20
	v_add_nc_u32_e32 v2, 0x400, v20
	ds_load_b32 v19, v20 offset:2304
	ds_load_b32 v22, v21 offset:2304
	ds_load_2addr_b32 v[17:18], v1 offset0:120 offset1:144
	ds_load_2addr_b32 v[15:16], v2 offset0:200 offset1:224
	;; [unrolled: 1-line block ×9, first 2 shown]
	s_cbranch_scc1 .LBB26_46
; %bb.44:
	v_lshlrev_b32_e32 v23, 2, v0
	s_mul_i32 s12, s15, 0x60
	s_lshl_b32 s13, s4, 2
	s_delay_alu instid0(SALU_CYCLE_1) | instskip(NEXT) | instid1(VALU_DEP_1)
	s_add_i32 s13, s12, s13
	v_add3_u32 v23, s12, v23, 0x8a0
	s_add_i32 s12, s13, 0xffffff54
	s_mov_b32 s13, s26
.LBB26_45:                              ; =>This Inner Loop Header: Depth=1
	v_mov_b32_e32 v42, s12
	ds_load_b32 v44, v23
	v_add_nc_u32_e32 v23, 0xffffffa0, v23
	s_add_i32 s13, s13, -1
	s_addk_i32 s12, 0xffa0
	ds_load_2addr_b32 v[24:25], v42 offset0:18 offset1:19
	ds_load_2addr_b32 v[26:27], v42 offset0:16 offset1:17
	;; [unrolled: 1-line block ×9, first 2 shown]
	ds_load_2addr_b32 v[42:43], v42 offset1:1
	s_cmp_gt_i32 s13, s4
	s_waitcnt lgkmcnt(9)
	v_fma_f32 v19, -v44, v25, v19
	v_fma_f32 v22, -v44, v24, v22
	s_waitcnt lgkmcnt(8)
	v_fma_f32 v18, -v44, v27, v18
	v_fma_f32 v17, -v44, v26, v17
	;; [unrolled: 3-line block ×10, first 2 shown]
	s_cbranch_scc1 .LBB26_45
.LBB26_46:
	s_mul_i32 s12, s4, 0x64
	s_add_i32 s18, s4, -3
	s_add_i32 s13, s12, -4
	s_delay_alu instid0(SALU_CYCLE_1)
	v_dual_mov_b32 v23, s13 :: v_dual_add_nc_u32 v20, 0x900, v20
	s_sub_i32 s13, s11, 24
	s_add_i32 s21, s18, s10
	s_add_i32 s20, s4, -5
	s_add_i32 s22, s18, s11
	ds_load_2addr_b32 v[23:24], v23 offset1:1
	s_add_i32 s18, s18, s13
	s_lshl_b32 s21, s21, 2
	s_delay_alu instid0(SALU_CYCLE_1)
	v_dual_mov_b32 v26, s21 :: v_dual_add_nc_u32 v21, 0x900, v21
	s_add_i32 s19, s12, 0xffffff9c
	s_add_i32 s21, s20, s10
	s_lshl_b32 s18, s18, 2
	s_lshl_b32 s22, s22, 2
	v_mov_b32_e32 v29, s18
	s_lshl_b32 s18, s21, 2
	s_delay_alu instid0(SALU_CYCLE_1)
	v_dual_mov_b32 v25, s19 :: v_dual_mov_b32 v32, s18
	ds_load_b32 v33, v25
	ds_load_2addr_b32 v[25:26], v26 offset1:1
	v_mov_b32_e32 v27, s22
	s_add_i32 s19, s12, 0xfffffed4
	s_add_i32 s22, s20, s11
	s_waitcnt lgkmcnt(2)
	v_mul_f32_e32 v19, v24, v19
	s_sub_i32 s18, s11, 48
	s_add_i32 s21, s20, s13
	s_add_i32 s23, s4, -7
	s_lshl_b32 s21, s21, 2
	v_fma_f32 v35, -v19, v23, v22
	v_mov_b32_e32 v31, s19
	s_lshl_b32 s19, s22, 2
	ds_load_2addr_b32 v[29:30], v29 offset1:1
	v_mov_b32_e32 v24, s19
	ds_load_2addr_b32 v[27:28], v27 offset1:1
	ds_load_b32 v34, v31
	ds_load_2addr_b32 v[31:32], v32 offset1:1
	s_add_i32 s19, s11, 0xffffffb8
	s_add_i32 s22, s20, s18
	ds_load_2addr_b32 v[22:23], v24 offset1:1
	s_add_i32 s20, s20, s19
	s_waitcnt lgkmcnt(5)
	v_fma_f32 v24, -v19, v26, v18
	v_mul_f32_e32 v18, v33, v35
	s_lshl_b32 s20, s20, 2
	s_add_i32 s24, s23, s10
	s_lshl_b32 s22, s22, 2
	s_lshl_b32 s24, s24, 2
	s_add_i32 s27, s4, -11
	s_add_i32 s29, s4, -13
	s_add_i32 s28, s27, s11
	s_add_i32 s31, s4, -15
	s_add_i32 s34, s12, 0xfffffa24
	v_add_lshl_u32 v48, s13, v0, 2
	v_add_lshl_u32 v50, s18, v0, 2
	;; [unrolled: 1-line block ×3, first 2 shown]
	s_waitcnt lgkmcnt(3)
	v_fma_f32 v24, -v18, v28, v24
	v_mov_b32_e32 v28, s20
	v_fma_f32 v17, -v19, v25, v17
	s_waitcnt lgkmcnt(1)
	v_fma_f32 v16, -v19, v32, v16
	s_add_i32 s20, s23, s11
	v_fma_f32 v15, -v19, v31, v15
	s_lshl_b32 s20, s20, 2
	v_fma_f32 v25, -v18, v27, v17
	v_dual_mul_f32 v17, v30, v24 :: v_dual_mov_b32 v30, s24
	v_mov_b32_e32 v24, s21
	s_waitcnt lgkmcnt(0)
	v_fma_f32 v23, -v18, v23, v16
	v_mov_b32_e32 v32, s20
	v_fma_f32 v26, -v17, v29, v25
	v_mov_b32_e32 v27, s22
	ds_load_2addr_b32 v[24:25], v24 offset1:1
	s_add_i32 s20, s23, s13
	s_add_i32 s21, s12, 0xfffffe0c
	v_mul_f32_e32 v16, v34, v26
	ds_load_2addr_b32 v[26:27], v27 offset1:1
	ds_load_2addr_b32 v[28:29], v28 offset1:1
	;; [unrolled: 1-line block ×3, first 2 shown]
	s_lshl_b32 s20, s20, 2
	v_fma_f32 v15, -v18, v22, v15
	v_mov_b32_e32 v35, s20
	ds_load_2addr_b32 v[32:33], v32 offset1:1
	s_add_i32 s20, s23, s18
	s_add_i32 s22, s11, 0xffffff88
	s_lshl_b32 s20, s20, 2
	v_mov_b32_e32 v34, s21
	s_add_i32 s21, s11, 0xffffffa0
	s_add_i32 s24, s4, -9
	v_add_lshl_u32 v52, s21, v0, 2
	s_add_i32 s25, s24, s13
	s_waitcnt lgkmcnt(4)
	v_fma_f32 v25, -v17, v25, v23
	v_mov_b32_e32 v23, s20
	ds_load_b32 v36, v34
	ds_load_2addr_b32 v[34:35], v35 offset1:1
	s_add_i32 s20, s23, s19
	s_waitcnt lgkmcnt(5)
	v_fma_f32 v27, -v16, v27, v25
	s_lshl_b32 s20, s20, 2
	ds_load_2addr_b32 v[22:23], v23 offset1:1
	v_mov_b32_e32 v37, s20
	v_fma_f32 v15, -v17, v24, v15
	s_waitcnt lgkmcnt(4)
	v_fma_f32 v31, -v19, v31, v14
	v_mul_f32_e32 v14, v29, v27
	s_add_i32 s20, s23, s21
	ds_load_2addr_b32 v[24:25], v37 offset1:1
	v_fma_f32 v15, -v16, v26, v15
	s_waitcnt lgkmcnt(4)
	v_fma_f32 v26, -v18, v33, v31
	s_lshl_b32 s20, s20, 2
	s_add_i32 s23, s23, s22
	v_mov_b32_e32 v27, s20
	s_lshl_b32 s23, s23, 2
	s_add_i32 s20, s12, 0xfffffda8
	v_mov_b32_e32 v33, s23
	s_add_i32 s23, s24, s19
	s_waitcnt lgkmcnt(2)
	v_fma_f32 v26, -v17, v35, v26
	s_lshl_b32 s23, s23, 2
	v_fma_f32 v13, -v19, v30, v13
	v_fma_f32 v15, -v14, v28, v15
	s_waitcnt lgkmcnt(1)
	v_fma_f32 v23, -v16, v23, v26
	ds_load_2addr_b32 v[26:27], v27 offset1:1
	v_fma_f32 v13, -v18, v32, v13
	s_waitcnt lgkmcnt(1)
	v_fma_f32 v25, -v14, v25, v23
	v_mov_b32_e32 v23, s20
	s_add_i32 s20, s24, s10
	v_fma_f32 v13, -v17, v34, v13
	s_lshl_b32 s20, s20, 2
	ds_load_b32 v40, v23
	v_mov_b32_e32 v23, s20
	s_add_i32 s20, s24, s11
	v_fma_f32 v13, -v16, v22, v13
	s_lshl_b32 s20, s20, 2
	ds_load_2addr_b32 v[28:29], v23 offset1:1
	v_mov_b32_e32 v23, s20
	s_lshl_b32 s20, s25, 2
	s_add_i32 s25, s24, s21
	v_mov_b32_e32 v32, s20
	s_add_i32 s20, s24, s18
	ds_load_2addr_b32 v[30:31], v23 offset1:1
	s_lshl_b32 s20, s20, 2
	s_delay_alu instid0(SALU_CYCLE_1)
	v_dual_mul_f32 v15, v36, v15 :: v_dual_mov_b32 v34, s20
	ds_load_2addr_b32 v[22:23], v32 offset1:1
	ds_load_b32 v41, v33
	s_add_i32 s20, s12, 0xfffffd44
	v_fma_f32 v13, -v14, v24, v13
	v_mov_b32_e32 v38, s20
	ds_load_2addr_b32 v[32:33], v34 offset1:1
	v_mov_b32_e32 v34, s23
	s_lshl_b32 s23, s25, 2
	s_waitcnt lgkmcnt(6)
	v_fma_f32 v13, -v15, v26, v13
	s_add_i32 s25, s11, 0xffffff70
	s_waitcnt lgkmcnt(4)
	v_fma_f32 v12, -v19, v29, v12
	v_mov_b32_e32 v29, s23
	ds_load_2addr_b32 v[34:35], v34 offset1:1
	s_add_i32 s23, s24, s22
	v_fma_f32 v26, -v19, v28, v11
	s_lshl_b32 s20, s23, 2
	ds_load_2addr_b32 v[36:37], v29 offset1:1
	s_waitcnt lgkmcnt(5)
	v_fma_f32 v12, -v18, v31, v12
	v_mov_b32_e32 v31, s20
	ds_load_b32 v29, v38
	s_add_i32 s20, s24, s25
	s_add_i32 s23, s27, s10
	s_waitcnt lgkmcnt(5)
	v_fma_f32 v12, -v17, v23, v12
	ds_load_2addr_b32 v[38:39], v31 offset1:1
	v_fma_f32 v23, -v15, v27, v25
	s_lshl_b32 s20, s20, 2
	s_lshl_b32 s23, s23, 2
	s_waitcnt lgkmcnt(4)
	v_fma_f32 v25, -v16, v33, v12
	v_mov_b32_e32 v24, s20
	v_mul_f32_e32 v12, v40, v23
	s_add_i32 s20, s12, 0xfffffce0
	s_waitcnt lgkmcnt(3)
	v_fma_f32 v25, -v14, v35, v25
	ds_load_2addr_b32 v[23:24], v24 offset1:1
	v_fma_f32 v13, -v12, v41, v13
	s_waitcnt lgkmcnt(3)
	v_fma_f32 v25, -v15, v37, v25
	s_waitcnt lgkmcnt(2)
	s_delay_alu instid0(VALU_DEP_2) | instskip(SKIP_1) | instid1(VALU_DEP_2)
	v_mul_f32_e32 v11, v29, v13
	s_waitcnt lgkmcnt(1)
	v_fma_f32 v35, -v12, v39, v25
	v_fma_f32 v25, -v18, v30, v26
	s_delay_alu instid0(VALU_DEP_1)
	v_fma_f32 v22, -v17, v22, v25
	v_mov_b32_e32 v25, s23
	s_lshl_b32 s23, s28, 2
	s_add_i32 s28, s27, s21
	v_mov_b32_e32 v27, s23
	s_add_i32 s23, s27, s13
	ds_load_2addr_b32 v[25:26], v25 offset1:1
	s_lshl_b32 s23, s23, 2
	v_fma_f32 v22, -v16, v32, v22
	ds_load_2addr_b32 v[27:28], v27 offset1:1
	v_mov_b32_e32 v29, s23
	s_add_i32 s23, s27, s18
	s_delay_alu instid0(SALU_CYCLE_1)
	s_lshl_b32 s23, s23, 2
	v_fma_f32 v22, -v14, v34, v22
	v_mov_b32_e32 v32, s23
	s_add_i32 s23, s12, 0xfffffc7c
	v_mov_b32_e32 v13, s20
	s_add_i32 s20, s11, 0xffffff58
	v_fma_f32 v22, -v15, v36, v22
	s_add_i32 s24, s24, s20
	s_delay_alu instid0(SALU_CYCLE_1)
	s_lshl_b32 s24, s24, 2
	ds_load_b32 v13, v13
	v_mov_b32_e32 v31, s24
	s_add_i32 s24, s27, s19
	ds_load_2addr_b32 v[29:30], v29 offset1:1
	ds_load_b32 v37, v31
	s_lshl_b32 s24, s24, 2
	ds_load_2addr_b32 v[31:32], v32 offset1:1
	v_mov_b32_e32 v33, s24
	s_lshl_b32 s24, s28, 2
	s_waitcnt lgkmcnt(5)
	v_fma_f32 v10, -v19, v26, v10
	v_mov_b32_e32 v26, s24
	s_add_i32 s24, s27, s22
	ds_load_2addr_b32 v[33:34], v33 offset1:1
	s_lshl_b32 s24, s24, 2
	s_waitcnt lgkmcnt(5)
	v_fma_f32 v10, -v18, v28, v10
	v_mov_b32_e32 v28, s24
	ds_load_2addr_b32 v[39:40], v26 offset1:1
	s_add_i32 s24, s27, s25
	v_fma_f32 v22, -v12, v38, v22
	v_fma_f32 v24, -v11, v24, v35
	ds_load_2addr_b32 v[41:42], v28 offset1:1
	v_mov_b32_e32 v26, s23
	s_lshl_b32 s23, s24, 2
	s_waitcnt lgkmcnt(5)
	v_fma_f32 v10, -v17, v30, v10
	v_mov_b32_e32 v30, s23
	s_add_i32 s23, s27, s20
	ds_load_b32 v26, v26
	v_fma_f32 v9, -v19, v25, v9
	s_lshl_b32 s23, s23, 2
	v_fma_f32 v22, -v11, v23, v22
	v_mov_b32_e32 v23, s23
	s_add_i32 s23, s11, 0xffffff40
	s_waitcnt lgkmcnt(4)
	v_fma_f32 v28, -v16, v32, v10
	v_mul_f32_e32 v10, v13, v24
	v_fma_f32 v24, -v18, v27, v9
	s_add_i32 s24, s27, s23
	ds_load_2addr_b32 v[35:36], v30 offset1:1
	s_lshl_b32 s28, s24, 2
	s_add_i32 s24, s10, 0xffffff10
	v_fma_f32 v24, -v17, v29, v24
	s_add_i32 s27, s27, s24
	v_fma_f32 v22, -v10, v37, v22
	s_lshl_b32 s27, s27, 2
	s_waitcnt lgkmcnt(4)
	v_fma_f32 v13, -v14, v34, v28
	v_mov_b32_e32 v30, s27
	s_add_i32 s27, s29, s10
	v_fma_f32 v24, -v16, v31, v24
	v_mov_b32_e32 v28, s28
	s_lshl_b32 s27, s27, 2
	s_add_i32 s28, s29, s11
	v_mov_b32_e32 v25, s27
	s_lshl_b32 s27, s28, 2
	s_add_i32 s28, s12, 0xfffffbb4
	s_waitcnt lgkmcnt(1)
	v_mul_f32_e32 v9, v26, v22
	v_fma_f32 v24, -v14, v33, v24
	v_mov_b32_e32 v32, s28
	ds_load_2addr_b32 v[22:23], v23 offset1:1
	v_fma_f32 v13, -v15, v40, v13
	v_mov_b32_e32 v26, s27
	v_fma_f32 v34, -v15, v39, v24
	ds_load_2addr_b32 v[24:25], v25 offset1:1
	s_add_i32 s27, s29, s13
	v_fma_f32 v13, -v12, v42, v13
	ds_load_2addr_b32 v[26:27], v26 offset1:1
	s_lshl_b32 s27, s27, 2
	ds_load_2addr_b32 v[28:29], v28 offset1:1
	ds_load_2addr_b32 v[30:31], v30 offset1:1
	ds_load_b32 v42, v32
	v_mov_b32_e32 v33, s27
	s_add_i32 s28, s29, s18
	s_waitcnt lgkmcnt(6)
	v_fma_f32 v13, -v11, v36, v13
	s_lshl_b32 s27, s28, 2
	s_add_i32 s28, s29, s21
	v_mov_b32_e32 v36, s27
	ds_load_2addr_b32 v[32:33], v33 offset1:1
	s_add_i32 s27, s29, s19
	s_delay_alu instid0(SALU_CYCLE_1)
	s_lshl_b32 s27, s27, 2
	s_waitcnt lgkmcnt(6)
	v_fma_f32 v13, -v10, v23, v13
	v_fma_f32 v23, -v12, v41, v34
	ds_load_2addr_b32 v[36:37], v36 offset1:1
	v_mov_b32_e32 v34, s27
	s_lshl_b32 s27, s28, 2
	s_waitcnt lgkmcnt(6)
	v_fma_f32 v8, -v19, v25, v8
	v_mov_b32_e32 v25, s27
	v_fma_f32 v23, -v11, v35, v23
	ds_load_2addr_b32 v[38:39], v34 offset1:1
	s_add_i32 s27, s29, s22
	s_waitcnt lgkmcnt(6)
	v_fma_f32 v8, -v18, v27, v8
	ds_load_2addr_b32 v[34:35], v25 offset1:1
	s_lshl_b32 s27, s27, 2
	s_waitcnt lgkmcnt(6)
	v_fma_f32 v13, -v9, v29, v13
	v_mov_b32_e32 v27, s27
	s_add_i32 s27, s29, s25
	s_waitcnt lgkmcnt(3)
	v_fma_f32 v29, -v17, v33, v8
	s_lshl_b32 s27, s27, 2
	v_fma_f32 v25, -v10, v22, v23
	ds_load_2addr_b32 v[22:23], v27 offset1:1
	v_dual_mov_b32 v27, s27 :: v_dual_mul_f32 v8, v31, v13
	s_waitcnt lgkmcnt(3)
	v_fma_f32 v13, -v16, v37, v29
	s_add_i32 s27, s29, s20
	v_fma_f32 v25, -v9, v28, v25
	ds_load_2addr_b32 v[27:28], v27 offset1:1
	s_lshl_b32 s27, s27, 2
	s_add_i32 s28, s29, s23
	s_waitcnt lgkmcnt(3)
	v_fma_f32 v13, -v14, v39, v13
	v_mov_b32_e32 v29, s27
	v_fma_f32 v25, -v8, v30, v25
	s_add_i32 s27, s10, 0xfffffef8
	s_lshl_b32 s28, s28, 2
	s_waitcnt lgkmcnt(2)
	v_fma_f32 v13, -v15, v35, v13
	v_fma_f32 v35, -v19, v24, v7
	ds_load_2addr_b32 v[29:30], v29 offset1:1
	v_mul_f32_e32 v7, v42, v25
	s_add_i32 s30, s29, s27
	s_add_i32 s33, s31, s27
	v_fma_f32 v25, -v18, v26, v35
	s_waitcnt lgkmcnt(2)
	v_fma_f32 v13, -v12, v23, v13
	v_mov_b32_e32 v23, s28
	s_lshl_b32 s30, s30, 2
	s_add_i32 s28, s29, s24
	v_fma_f32 v25, -v17, v32, v25
	v_mov_b32_e32 v33, s30
	s_add_i32 s30, s31, s10
	ds_load_2addr_b32 v[39:40], v23 offset1:1
	s_waitcnt lgkmcnt(2)
	v_fma_f32 v13, -v11, v28, v13
	v_fma_f32 v28, -v16, v36, v25
	s_lshl_b32 s28, s28, 2
	s_lshl_b32 s30, s30, 2
	v_mov_b32_e32 v31, s28
	s_add_i32 s28, s10, 0xfffffee0
	v_mov_b32_e32 v26, s30
	s_add_i32 s30, s31, s11
	s_add_i32 s29, s29, s28
	s_lshl_b32 s30, s30, 2
	v_fma_f32 v28, -v14, v38, v28
	s_waitcnt lgkmcnt(1)
	v_fma_f32 v13, -v10, v30, v13
	v_mov_b32_e32 v30, s30
	s_lshl_b32 s29, s29, 2
	s_add_i32 s30, s31, s13
	v_mov_b32_e32 v36, s29
	s_lshl_b32 s30, s30, 2
	s_add_i32 s29, s31, s18
	v_fma_f32 v28, -v15, v34, v28
	v_mov_b32_e32 v32, s30
	s_lshl_b32 s29, s29, 2
	s_add_i32 s30, s31, s19
	v_mov_b32_e32 v34, s29
	s_lshl_b32 s29, s30, 2
	v_fma_f32 v22, -v12, v22, v28
	v_mov_b32_e32 v28, s29
	ds_load_2addr_b32 v[23:24], v31 offset1:1
	ds_load_2addr_b32 v[41:42], v33 offset1:1
	;; [unrolled: 1-line block ×7, first 2 shown]
	s_add_i32 s29, s31, s21
	ds_load_2addr_b32 v[43:44], v28 offset1:1
	s_lshl_b32 s29, s29, 2
	s_add_i32 s30, s31, s25
	v_fma_f32 v22, -v11, v27, v22
	s_waitcnt lgkmcnt(8)
	v_fma_f32 v13, -v9, v40, v13
	s_lshl_b32 s33, s33, 2
	s_delay_alu instid0(VALU_DEP_2) | instskip(SKIP_1) | instid1(VALU_DEP_2)
	v_fma_f32 v22, -v10, v29, v22
	s_waitcnt lgkmcnt(7)
	v_fma_f32 v13, -v8, v24, v13
	s_delay_alu instid0(VALU_DEP_2)
	v_fma_f32 v22, -v9, v39, v22
	s_waitcnt lgkmcnt(5)
	v_fma_f32 v6, -v19, v26, v6
	v_mov_b32_e32 v26, s29
	s_add_i32 s29, s31, s22
	v_fma_f32 v5, -v19, v25, v5
	s_lshl_b32 s29, s29, 2
	s_waitcnt lgkmcnt(4)
	v_fma_f32 v6, -v18, v31, v6
	ds_load_2addr_b32 v[26:27], v26 offset1:1
	v_mov_b32_e32 v28, s29
	s_lshl_b32 s29, s30, 2
	s_add_i32 s30, s12, 0xfffffaec
	v_mov_b32_e32 v31, s29
	s_add_i32 s29, s31, s20
	ds_load_2addr_b32 v[45:46], v28 offset1:1
	s_lshl_b32 s29, s29, 2
	s_waitcnt lgkmcnt(4)
	v_fma_f32 v6, -v17, v33, v6
	v_mov_b32_e32 v33, s29
	s_add_i32 s29, s31, s23
	v_fma_f32 v13, -v7, v42, v13
	s_lshl_b32 s29, s29, 2
	v_fma_f32 v6, -v16, v35, v6
	v_mov_b32_e32 v24, s29
	ds_load_2addr_b32 v[28:29], v31 offset1:1
	ds_load_2addr_b32 v[38:39], v33 offset1:1
	v_mov_b32_e32 v31, s30
	s_waitcnt lgkmcnt(4)
	v_fma_f32 v6, -v14, v44, v6
	s_add_i32 s30, s31, s24
	v_mul_f32_e32 v49, v37, v13
	s_lshl_b32 s30, s30, 2
	s_add_i32 s29, s10, 0xfffffec8
	s_waitcnt lgkmcnt(3)
	v_fma_f32 v6, -v15, v27, v6
	v_fma_f32 v27, -v8, v23, v22
	ds_load_2addr_b32 v[22:23], v24 offset1:1
	ds_load_b32 v47, v31
	v_mov_b32_e32 v24, s30
	s_add_i32 s30, s31, s28
	s_waitcnt lgkmcnt(4)
	v_fma_f32 v6, -v12, v46, v6
	v_fma_f32 v13, -v7, v41, v27
	v_mov_b32_e32 v27, s33
	s_lshl_b32 s30, s30, 2
	s_add_i32 s33, s31, s29
	v_mov_b32_e32 v25, s34
	v_fma_f32 v13, -v49, v36, v13
	s_waitcnt lgkmcnt(3)
	v_fma_f32 v6, -v11, v29, v6
	s_lshl_b32 s33, s33, 2
	v_fma_f32 v37, -v18, v30, v5
	v_mov_b32_e32 v33, s33
	s_sub_i32 s33, s4, 17
	s_waitcnt lgkmcnt(2)
	v_fma_f32 v6, -v10, v39, v6
	s_add_i32 s34, s33, s19
	s_waitcnt lgkmcnt(1)
	s_delay_alu instid0(VALU_DEP_1) | instskip(SKIP_4) | instid1(SALU_CYCLE_1)
	v_fma_f32 v31, -v9, v23, v6
	ds_load_2addr_b32 v[23:24], v24 offset1:1
	ds_load_2addr_b32 v[35:36], v27 offset1:1
	v_mov_b32_e32 v27, s30
	s_add_i32 s30, s10, 0xfffffeb0
	s_add_i32 s31, s31, s30
	;; [unrolled: 1-line block ×3, first 2 shown]
	s_lshl_b32 s31, s31, 2
	s_delay_alu instid0(SALU_CYCLE_1) | instskip(SKIP_1) | instid1(SALU_CYCLE_1)
	v_mov_b32_e32 v6, s31
	s_add_i32 s31, s33, s10
	s_lshl_b32 s31, s31, 2
	s_delay_alu instid0(SALU_CYCLE_1)
	v_mov_b32_e32 v29, s31
	s_add_i32 s31, s33, s11
	ds_load_2addr_b32 v[5:6], v6 offset1:1
	ds_load_b32 v53, v25
	ds_load_2addr_b32 v[29:30], v29 offset1:1
	s_lshl_b32 s31, s31, 2
	ds_load_2addr_b32 v[39:40], v27 offset1:1
	ds_load_2addr_b32 v[41:42], v33 offset1:1
	v_mov_b32_e32 v25, s31
	s_waitcnt lgkmcnt(6)
	v_fma_f32 v27, -v8, v24, v31
	s_add_i32 s31, s33, s13
	v_fma_f32 v31, -v17, v32, v37
	s_lshl_b32 s31, s31, 2
	ds_load_2addr_b32 v[24:25], v25 offset1:1
	s_waitcnt lgkmcnt(6)
	v_fma_f32 v54, -v7, v36, v27
	v_mov_b32_e32 v27, s31
	v_fma_f32 v33, -v16, v34, v31
	s_add_i32 s31, s33, s18
	s_delay_alu instid0(SALU_CYCLE_1)
	s_lshl_b32 s31, s31, 2
	ds_load_2addr_b32 v[31:32], v27 offset1:1
	v_mov_b32_e32 v27, s31
	s_lshl_b32 s31, s34, 2
	v_fma_f32 v36, -v14, v43, v33
	v_mov_b32_e32 v37, s31
	s_add_i32 s31, s33, s21
	s_waitcnt lgkmcnt(4)
	v_fma_f32 v4, -v19, v30, v4
	s_lshl_b32 s31, s31, 2
	v_fma_f32 v30, -v15, v26, v36
	v_mov_b32_e32 v36, s31
	s_add_i32 s31, s33, s22
	ds_load_2addr_b32 v[33:34], v27 offset1:1
	s_lshl_b32 s31, s31, 2
	s_waitcnt lgkmcnt(2)
	v_fma_f32 v4, -v18, v25, v4
	v_mov_b32_e32 v25, s31
	s_add_i32 s31, s33, s25
	v_fma_f32 v30, -v12, v45, v30
	s_lshl_b32 s31, s31, 2
	v_fma_f32 v3, -v19, v29, v3
	s_add_i32 s34, s33, s29
	s_waitcnt lgkmcnt(1)
	v_fma_f32 v4, -v17, v32, v4
	v_mov_b32_e32 v32, s31
	s_add_i32 s31, s33, s20
	s_delay_alu instid0(SALU_CYCLE_1)
	s_lshl_b32 s31, s31, 2
	ds_load_2addr_b32 v[45:46], v32 offset1:1
	ds_load_2addr_b32 v[43:44], v25 offset1:1
	ds_load_2addr_b32 v[26:27], v37 offset1:1
	ds_load_2addr_b32 v[36:37], v36 offset1:1
	v_fma_f32 v25, -v11, v28, v30
	s_waitcnt lgkmcnt(4)
	v_fma_f32 v4, -v16, v34, v4
	v_mov_b32_e32 v28, s31
	s_add_i32 s31, s33, s23
	s_delay_alu instid0(SALU_CYCLE_1) | instskip(SKIP_3) | instid1(SALU_CYCLE_1)
	s_lshl_b32 s31, s31, 2
	v_fma_f32 v25, -v10, v38, v25
	v_mov_b32_e32 v30, s31
	s_add_i32 s31, s33, s24
	s_lshl_b32 s31, s31, 2
	s_delay_alu instid0(VALU_DEP_2) | instskip(SKIP_2) | instid1(SALU_CYCLE_1)
	v_fma_f32 v22, -v9, v22, v25
	v_mov_b32_e32 v25, s31
	s_add_i32 s31, s33, s27
	s_lshl_b32 s31, s31, 2
	s_delay_alu instid0(SALU_CYCLE_1) | instskip(SKIP_4) | instid1(SALU_CYCLE_1)
	v_mov_b32_e32 v32, s31
	s_waitcnt lgkmcnt(1)
	v_fma_f32 v4, -v14, v27, v4
	ds_load_2addr_b32 v[27:28], v28 offset1:1
	s_add_i32 s31, s33, s28
	s_lshl_b32 s31, s31, 2
	s_waitcnt lgkmcnt(1)
	v_fma_f32 v4, -v15, v37, v4
	ds_load_2addr_b32 v[37:38], v30 offset1:1
	v_fma_f32 v30, -v8, v23, v22
	ds_load_2addr_b32 v[22:23], v25 offset1:1
	v_fma_f32 v4, -v12, v44, v4
	v_mul_f32_e32 v44, v47, v13
	v_fma_f32 v25, -v7, v35, v30
	ds_load_2addr_b32 v[34:35], v32 offset1:1
	v_fma_f32 v13, -v49, v40, v54
	v_fma_f32 v4, -v11, v46, v4
	;; [unrolled: 1-line block ×3, first 2 shown]
	s_delay_alu instid0(VALU_DEP_3) | instskip(SKIP_1) | instid1(VALU_DEP_3)
	v_fma_f32 v13, -v44, v42, v13
	s_waitcnt lgkmcnt(3)
	v_fma_f32 v4, -v10, v28, v4
	v_mov_b32_e32 v28, s31
	s_lshl_b32 s31, s34, 2
	s_sub_i32 s34, s4, 19
	v_mov_b32_e32 v30, s31
	s_waitcnt lgkmcnt(2)
	v_fma_f32 v29, -v9, v38, v4
	ds_load_2addr_b32 v[3:4], v28 offset1:1
	v_fma_f32 v28, -v49, v39, v25
	v_mul_f32_e32 v38, v6, v13
	ds_load_2addr_b32 v[24:25], v30 offset1:1
	s_waitcnt lgkmcnt(3)
	v_fma_f32 v23, -v8, v23, v29
	v_fma_f32 v29, -v17, v31, v32
	;; [unrolled: 1-line block ×3, first 2 shown]
	s_add_i32 s11, s34, s11
	v_add_lshl_u32 v30, s22, v0, 2
	s_waitcnt lgkmcnt(2)
	v_fma_f32 v13, -v7, v35, v23
	v_fma_f32 v23, -v16, v33, v29
	v_fma_f32 v5, -v38, v5, v6
	s_lshl_b32 s11, s11, 2
	ds_store_b32 v20, v19
	ds_store_b32 v21, v18
	ds_store_b32 v48, v17 offset:2304
	ds_store_b32 v50, v16 offset:2304
	;; [unrolled: 1-line block ×5, first 2 shown]
	v_mov_b32_e32 v20, s11
	v_fma_f32 v6, -v14, v26, v23
	s_add_i32 s11, s34, s13
	v_mul_f32_e32 v40, v53, v5
	s_add_i32 s31, s10, 0xfffffe98
	s_add_i32 s36, s34, s10
	s_waitcnt lgkmcnt(8)
	v_fma_f32 v4, -v49, v4, v13
	v_fma_f32 v5, -v15, v36, v6
	s_lshl_b32 s11, s11, 2
	s_lshl_b32 s36, s36, 2
	v_mov_b32_e32 v23, s11
	s_add_i32 s11, s33, s31
	s_waitcnt lgkmcnt(7)
	v_fma_f32 v13, -v44, v25, v4
	v_fma_f32 v4, -v12, v43, v5
	s_lshl_b32 s11, s11, 2
	s_delay_alu instid0(SALU_CYCLE_1)
	v_dual_mov_b32 v5, s36 :: v_dual_mov_b32 v32, s11
	ds_load_2addr_b32 v[20:21], v20 offset1:1
	ds_load_2addr_b32 v[25:26], v23 offset1:1
	v_fma_f32 v6, -v11, v45, v4
	ds_load_2addr_b32 v[4:5], v5 offset1:1
	s_lshl_b32 s13, s35, 2
	s_add_i32 s11, s10, 0xfffffe80
	v_mov_b32_e32 v30, s13
	v_fma_f32 v6, -v10, v27, v6
	s_add_i32 s13, s34, s18
	s_add_i32 s33, s33, s11
	s_lshl_b32 s13, s13, 2
	s_add_i32 s18, s34, s22
	v_fma_f32 v6, -v9, v37, v6
	v_mov_b32_e32 v23, s13
	s_add_i32 s13, s34, s19
	v_add_lshl_u32 v39, s25, v0, 2
	s_lshl_b32 s13, s13, 2
	v_fma_f32 v6, -v8, v22, v6
	s_sub_i32 s4, s4, 20
	s_delay_alu instid0(VALU_DEP_1)
	v_fma_f32 v27, -v7, v34, v6
	s_waitcnt lgkmcnt(0)
	v_fma_f32 v2, -v19, v5, v2
	v_mov_b32_e32 v5, s13
	s_lshl_b32 s13, s33, 2
	v_fma_f32 v1, -v19, v4, v1
	v_fma_f32 v41, -v49, v3, v27
	v_fma_f32 v2, -v18, v21, v2
	v_mov_b32_e32 v21, s13
	s_add_i32 s13, s34, s21
	v_fma_f32 v1, -v18, v20, v1
	s_lshl_b32 s13, s13, 2
	v_fma_f32 v26, -v17, v26, v2
	v_mov_b32_e32 v2, s13
	s_lshl_b32 s13, s18, 2
	s_add_i32 s18, s34, s25
	v_mov_b32_e32 v27, s13
	s_lshl_b32 s13, s18, 2
	ds_load_2addr_b32 v[2:3], v2 offset1:1
	v_mov_b32_e32 v28, s13
	ds_load_2addr_b32 v[22:23], v23 offset1:1
	s_add_i32 s13, s12, 0xfffff95c
	s_add_i32 s18, s34, s23
	v_mov_b32_e32 v36, s13
	ds_load_2addr_b32 v[5:6], v5 offset1:1
	s_add_i32 s13, s34, s20
	v_fma_f32 v1, -v17, v25, v1
	s_lshl_b32 s13, s13, 2
	v_fma_f32 v17, -v44, v24, v41
	s_addk_i32 s12, 0xf894
	s_waitcnt lgkmcnt(1)
	v_fma_f32 v23, -v16, v23, v26
	ds_load_2addr_b32 v[26:27], v27 offset1:1
	ds_load_2addr_b32 v[28:29], v28 offset1:1
	;; [unrolled: 1-line block ×5, first 2 shown]
	ds_load_b32 v42, v36
	v_fma_f32 v1, -v16, v22, v1
	s_waitcnt lgkmcnt(6)
	v_fma_f32 v6, -v14, v6, v23
	v_mov_b32_e32 v23, s13
	s_lshl_b32 s13, s18, 2
	s_add_i32 s18, s34, s31
	v_mov_b32_e32 v21, s13
	s_add_i32 s13, s34, s24
	v_fma_f32 v1, -v14, v5, v1
	s_lshl_b32 s13, s13, 2
	v_fma_f32 v6, -v15, v3, v6
	v_mov_b32_e32 v19, s13
	s_add_i32 s13, s34, s27
	v_fma_f32 v1, -v15, v2, v1
	s_lshl_b32 s13, s13, 2
	s_delay_alu instid0(SALU_CYCLE_1)
	v_mov_b32_e32 v20, s13
	s_add_i32 s13, s34, s28
	s_waitcnt lgkmcnt(5)
	v_fma_f32 v6, -v12, v27, v6
	s_lshl_b32 s13, s13, 2
	v_fma_f32 v1, -v12, v26, v1
	v_mov_b32_e32 v16, s13
	s_add_i32 s13, s34, s29
	s_waitcnt lgkmcnt(4)
	v_fma_f32 v6, -v11, v29, v6
	s_lshl_b32 s13, s13, 2
	s_waitcnt lgkmcnt(3)
	v_fma_f32 v13, -v38, v31, v13
	v_mov_b32_e32 v2, s13
	ds_load_2addr_b32 v[36:37], v23 offset1:1
	s_add_i32 s13, s34, s30
	v_fma_f32 v17, -v38, v30, v17
	s_lshl_b32 s13, s13, 2
	s_waitcnt lgkmcnt(3)
	v_fma_f32 v22, -v40, v33, v13
	v_mov_b32_e32 v12, s13
	ds_load_2addr_b32 v[3:4], v21 offset1:1
	s_lshl_b32 s13, s18, 2
	ds_load_2addr_b32 v[20:21], v20 offset1:1
	v_mov_b32_e32 v14, s13
	ds_load_2addr_b32 v[18:19], v19 offset1:1
	v_fma_f32 v13, -v11, v28, v1
	ds_load_2addr_b32 v[1:2], v2 offset1:1
	s_add_i32 s18, s34, s11
	s_add_i32 s13, s10, 0xfffffe68
	s_lshl_b32 s18, s18, 2
	s_add_i32 s19, s34, s13
	s_waitcnt lgkmcnt(4)
	v_fma_f32 v6, -v10, v37, v6
	s_waitcnt lgkmcnt(3)
	s_delay_alu instid0(VALU_DEP_1)
	v_fma_f32 v6, -v9, v4, v6
	ds_load_2addr_b32 v[4:5], v16 offset1:1
	v_fma_f32 v16, -v10, v36, v13
	ds_load_2addr_b32 v[12:13], v12 offset1:1
	ds_load_2addr_b32 v[14:15], v14 offset1:1
	s_waitcnt lgkmcnt(4)
	v_fma_f32 v6, -v8, v19, v6
	v_fma_f32 v3, -v9, v3, v16
	s_delay_alu instid0(VALU_DEP_2) | instskip(SKIP_1) | instid1(VALU_DEP_3)
	v_fma_f32 v6, -v7, v21, v6
	v_fma_f32 v21, -v40, v32, v17
	;; [unrolled: 1-line block ×3, first 2 shown]
	s_delay_alu instid0(VALU_DEP_1)
	v_fma_f32 v18, -v7, v20, v3
	s_waitcnt lgkmcnt(2)
	v_fma_f32 v19, -v49, v5, v6
	v_mov_b32_e32 v5, s18
	s_lshl_b32 s18, s19, 2
	s_add_i32 s19, s10, 0xfffffe50
	v_mov_b32_e32 v16, s18
	v_fma_f32 v19, -v44, v2, v19
	ds_load_2addr_b32 v[5:6], v5 offset1:1
	s_add_i32 s34, s34, s19
	v_fma_f32 v4, -v49, v4, v18
	ds_load_2addr_b32 v[2:3], v16 offset1:1
	s_lshl_b32 s18, s34, 2
	s_waitcnt lgkmcnt(3)
	v_fma_f32 v13, -v38, v13, v19
	v_dual_mov_b32 v20, s18 :: v_dual_mov_b32 v19, s12
	v_fma_f32 v1, -v44, v1, v4
	s_addk_i32 s10, 0xfe38
	s_waitcnt lgkmcnt(2)
	v_fma_f32 v13, -v40, v15, v13
	ds_load_b32 v15, v19
	ds_load_2addr_b32 v[16:17], v20 offset1:1
	v_mul_f32_e32 v18, v35, v22
	v_fma_f32 v1, -v38, v12, v1
	v_add_lshl_u32 v12, s20, v0, 2
	ds_store_b32 v39, v11 offset:2304
	ds_store_b32 v12, v10 offset:2304
	v_fma_f32 v4, -v18, v34, v21
	s_waitcnt lgkmcnt(5)
	v_fma_f32 v6, -v18, v6, v13
	v_fma_f32 v1, -v40, v14, v1
	v_add_lshl_u32 v13, s23, v0, 2
	v_add_lshl_u32 v14, s19, v0, 2
	v_mul_f32_e32 v4, v42, v4
	v_add_lshl_u32 v10, s30, v0, 2
	v_add_lshl_u32 v11, s31, v0, 2
	ds_store_b32 v13, v9 offset:2304
	v_add_lshl_u32 v9, s29, v0, 2
	s_waitcnt lgkmcnt(5)
	v_fma_f32 v3, -v4, v3, v6
	v_add_lshl_u32 v6, s27, v0, 2
	v_add_lshl_u32 v12, s11, v0, 2
	;; [unrolled: 1-line block ×3, first 2 shown]
	s_waitcnt lgkmcnt(3)
	v_mul_f32_e32 v3, v17, v3
	v_fma_f32 v1, -v18, v5, v1
	v_add_lshl_u32 v5, s24, v0, 2
	s_delay_alu instid0(VALU_DEP_2) | instskip(SKIP_1) | instid1(VALU_DEP_2)
	v_fma_f32 v1, -v4, v2, v1
	v_add_lshl_u32 v2, s28, v0, 2
	v_fma_f32 v1, -v3, v16, v1
	s_delay_alu instid0(VALU_DEP_1)
	v_mul_f32_e32 v1, v15, v1
	v_add_lshl_u32 v15, s10, v0, 2
	ds_store_b32 v5, v8 offset:2304
	ds_store_b32 v6, v7 offset:2304
	;; [unrolled: 1-line block ×10, first 2 shown]
.LBB26_47:
	s_cmp_lt_i32 s4, 0
	s_cbranch_scc1 .LBB26_60
; %bb.48:
	s_bitcmp1_b32 s4, 0
	s_cselect_b32 s10, -1, 0
	s_delay_alu instid0(SALU_CYCLE_1)
	s_and_b32 vcc_lo, exec_lo, s10
	s_mov_b32 s10, s4
	s_cbranch_vccnz .LBB26_53
; %bb.49:
	s_mul_i32 s10, s4, 24
	s_cmp_le_i32 s26, s4
	v_add_lshl_u32 v2, s10, v0, 2
	ds_load_b32 v1, v2 offset:2304
	s_cbranch_scc1 .LBB26_52
; %bb.50:
	v_lshlrev_b32_e32 v3, 2, v0
	s_mul_i32 s10, s15, 0x60
	s_lshl_b32 s11, s4, 2
	s_delay_alu instid0(SALU_CYCLE_1) | instskip(NEXT) | instid1(VALU_DEP_1)
	s_add_i32 s11, s10, s11
	v_add3_u32 v3, s10, v3, 0x8a0
	s_add_i32 s10, s11, 0xffffffa0
	s_mov_b32 s11, s26
.LBB26_51:                              ; =>This Inner Loop Header: Depth=1
	v_mov_b32_e32 v4, s10
	s_add_i32 s11, s11, -1
	s_addk_i32 s10, 0xffa0
	s_cmp_gt_i32 s11, s4
	ds_load_b32 v5, v3
	ds_load_b32 v4, v4
	v_add_nc_u32_e32 v3, 0xffffffa0, v3
	s_waitcnt lgkmcnt(0)
	v_fma_f32 v1, -v5, v4, v1
	s_cbranch_scc1 .LBB26_51
.LBB26_52:
	s_mul_i32 s10, s4, 0x64
	s_delay_alu instid0(SALU_CYCLE_1)
	v_dual_mov_b32 v3, s10 :: v_dual_add_nc_u32 v2, 0x900, v2
	s_add_i32 s10, s4, -1
	ds_load_b32 v3, v3
	s_waitcnt lgkmcnt(0)
	v_mul_f32_e32 v1, v3, v1
	ds_store_b32 v2, v1
.LBB26_53:
	s_cmp_eq_u32 s4, 0
	s_cbranch_scc1 .LBB26_60
; %bb.54:
	v_lshlrev_b32_e32 v1, 2, v0
	s_mul_i32 s4, s15, 0x60
	s_lshl_b32 s11, s10, 2
	s_delay_alu instid0(SALU_CYCLE_1) | instskip(NEXT) | instid1(VALU_DEP_1)
	s_add_i32 s11, s4, s11
	v_add3_u32 v1, s4, v1, 0x8a0
	s_add_i32 s4, s11, 0xffffffa0
	s_addk_i32 s11, 0xff9c
	s_branch .LBB26_56
.LBB26_55:                              ;   in Loop: Header=BB26_56 Depth=1
	s_addk_i32 s12, 0xff9c
	s_add_i32 s4, s4, -8
	v_mov_b32_e32 v3, s12
	s_add_i32 s12, s10, -2
	s_add_i32 s11, s11, -8
	s_cmp_lt_i32 s10, 2
	s_mov_b32 s10, s12
	ds_load_b32 v3, v3
	s_waitcnt lgkmcnt(0)
	v_mul_f32_e32 v3, v3, v4
	ds_store_b32 v2, v3
	s_cbranch_scc1 .LBB26_60
.LBB26_56:                              ; =>This Loop Header: Depth=1
                                        ;     Child Loop BB26_57 Depth 2
                                        ;     Child Loop BB26_59 Depth 2
	s_mul_i32 s12, s10, 24
	v_mov_b32_e32 v4, v1
	v_add_lshl_u32 v2, s12, v0, 2
	s_cmp_le_i32 s26, s10
	s_mov_b32 s12, s4
	s_mov_b32 s13, s26
	ds_load_b32 v3, v2 offset:2304
	s_cbranch_scc1 .LBB26_58
.LBB26_57:                              ;   Parent Loop BB26_56 Depth=1
                                        ; =>  This Inner Loop Header: Depth=2
	v_mov_b32_e32 v5, s12
	s_add_i32 s13, s13, -1
	s_addk_i32 s12, 0xffa0
	s_cmp_gt_i32 s13, s10
	ds_load_b32 v6, v4
	ds_load_b32 v5, v5
	v_add_nc_u32_e32 v4, 0xffffffa0, v4
	s_waitcnt lgkmcnt(0)
	v_fma_f32 v3, -v6, v5, v3
	s_cbranch_scc1 .LBB26_57
.LBB26_58:                              ;   in Loop: Header=BB26_56 Depth=1
	s_mul_i32 s12, s10, 0x64
	s_delay_alu instid0(SALU_CYCLE_1)
	v_dual_mov_b32 v2, s12 :: v_dual_add_nc_u32 v5, 0x900, v2
	s_cmp_lt_i32 s26, s10
	s_mov_b32 s13, s11
	s_mov_b32 s18, s15
	ds_load_b32 v6, v2
	v_add_nc_u32_e32 v2, 0xffffffa0, v5
	s_waitcnt lgkmcnt(0)
	v_dual_mul_f32 v6, v6, v3 :: v_dual_mov_b32 v3, v1
	ds_load_b32 v4, v2
	ds_store_b32 v5, v6
	s_cbranch_scc1 .LBB26_55
.LBB26_59:                              ;   Parent Loop BB26_56 Depth=1
                                        ; =>  This Inner Loop Header: Depth=2
	v_mov_b32_e32 v5, s13
	s_add_i32 s18, s18, -1
	s_addk_i32 s13, 0xffa0
	s_cmp_gt_i32 s18, s10
	ds_load_b32 v6, v3
	ds_load_b32 v5, v5
	v_add_nc_u32_e32 v3, 0xffffffa0, v3
	s_waitcnt lgkmcnt(0)
	v_fma_f32 v4, -v6, v5, v4
	s_cbranch_scc1 .LBB26_59
	s_branch .LBB26_55
.LBB26_60:
	s_waitcnt vmcnt(0) lgkmcnt(0)
	s_waitcnt_vscnt null, 0x0
	; wave barrier
	s_waitcnt lgkmcnt(0)
	buffer_gl0_inv
	s_and_saveexec_b32 s4, s14
	s_cbranch_execz .LBB26_67
; %bb.61:
	s_cmp_lt_i32 s6, 8
	s_mov_b32 s4, 0
	s_cbranch_scc1 .LBB26_64
; %bb.62:
	v_mad_i64_i32 v[1:2], null, s16, v0, 0
	v_lshl_or_b32 v3, v0, 2, 0x900
	s_lshl_b32 s4, s15, 2
	s_delay_alu instid0(VALU_DEP_2) | instskip(NEXT) | instid1(VALU_DEP_1)
	v_lshlrev_b64 v[1:2], 2, v[1:2]
	v_add_co_u32 v1, vcc_lo, s5, v1
	s_delay_alu instid0(VALU_DEP_2)
	v_add_co_ci_u32_e32 v2, vcc_lo, s7, v2, vcc_lo
	s_and_b32 s5, s4, 0x60
	s_mov_b32 s4, 0
	s_mov_b64 s[6:7], 0
	.p2align	6
.LBB26_63:                              ; =>This Inner Loop Header: Depth=1
	ds_load_2addr_b32 v[4:5], v3 offset1:24
	ds_load_2addr_b32 v[6:7], v3 offset0:48 offset1:72
	ds_load_2addr_b32 v[8:9], v3 offset0:96 offset1:120
	ds_load_2addr_b32 v[10:11], v3 offset0:144 offset1:168
	v_add_co_u32 v12, vcc_lo, v1, s6
	v_add_co_ci_u32_e32 v13, vcc_lo, s7, v2, vcc_lo
	s_add_i32 s4, s4, 8
	v_add_nc_u32_e32 v3, 0x300, v3
	s_add_u32 s6, s6, 32
	s_addc_u32 s7, s7, 0
	s_cmp_lg_u32 s5, s6
	s_waitcnt lgkmcnt(2)
	global_store_b128 v[12:13], v[4:7], off
	s_waitcnt lgkmcnt(0)
	global_store_b128 v[12:13], v[8:11], off offset:16
	s_cbranch_scc1 .LBB26_63
.LBB26_64:
	s_and_b32 s6, s15, 7
	s_mov_b32 s5, 0
	s_cmp_eq_u32 s6, 0
	s_cbranch_scc1 .LBB26_67
; %bb.65:
	v_lshlrev_b32_e32 v2, 2, v0
	s_lshl_b64 s[8:9], s[8:9], 2
	s_lshl_b64 s[10:11], s[4:5], 2
	s_delay_alu instid0(SALU_CYCLE_1) | instskip(NEXT) | instid1(VALU_DEP_1)
	s_add_u32 s2, s2, s10
	v_add_co_u32 v3, s5, s8, v2
	s_delay_alu instid0(VALU_DEP_1) | instskip(SKIP_3) | instid1(VALU_DEP_1)
	v_add_co_ci_u32_e64 v4, null, s9, 0, s5
	s_addc_u32 s3, s3, s11
	s_add_u32 s0, s2, s0
	s_addc_u32 s1, s3, s1
	v_mul_lo_u32 v4, v4, s16
	v_mad_u64_u32 v[0:1], null, v3, s16, s[0:1]
	v_mul_lo_u32 v3, v3, s17
	s_mul_i32 s0, s4, 0x60
	s_delay_alu instid0(SALU_CYCLE_1) | instskip(NEXT) | instid1(VALU_DEP_2)
	v_add3_u32 v2, s0, v2, 0x900
	v_add3_u32 v1, v4, v1, v3
.LBB26_66:                              ; =>This Inner Loop Header: Depth=1
	ds_load_b32 v3, v2
	v_add_nc_u32_e32 v2, 0x60, v2
	s_add_i32 s6, s6, -1
	s_delay_alu instid0(SALU_CYCLE_1)
	s_cmp_lg_u32 s6, 0
	s_waitcnt lgkmcnt(0)
	global_store_b32 v[0:1], v3, off
	v_add_co_u32 v0, vcc_lo, v0, 4
	v_add_co_ci_u32_e32 v1, vcc_lo, 0, v1, vcc_lo
	s_cbranch_scc1 .LBB26_66
.LBB26_67:
	s_nop 0
	s_sendmsg sendmsg(MSG_DEALLOC_VGPRS)
	s_endpgm
	.section	.rodata,"a",@progbits
	.p2align	6, 0x0
	.amdhsa_kernel _ZL38rocblas_trsm_small_left_device_sharedBILi24ELi24ELb0EffPKPKfPKPfEv13rocblas_fill_18rocblas_operation_17rocblas_diagonal_iiT3_T4_lilT5_lili
		.amdhsa_group_segment_fixed_size 4608
		.amdhsa_private_segment_fixed_size 0
		.amdhsa_kernarg_size 352
		.amdhsa_user_sgpr_count 14
		.amdhsa_user_sgpr_dispatch_ptr 0
		.amdhsa_user_sgpr_queue_ptr 0
		.amdhsa_user_sgpr_kernarg_segment_ptr 1
		.amdhsa_user_sgpr_dispatch_id 0
		.amdhsa_user_sgpr_private_segment_size 0
		.amdhsa_wavefront_size32 1
		.amdhsa_uses_dynamic_stack 0
		.amdhsa_enable_private_segment 0
		.amdhsa_system_sgpr_workgroup_id_x 1
		.amdhsa_system_sgpr_workgroup_id_y 0
		.amdhsa_system_sgpr_workgroup_id_z 1
		.amdhsa_system_sgpr_workgroup_info 0
		.amdhsa_system_vgpr_workitem_id 0
		.amdhsa_next_free_vgpr 114
		.amdhsa_next_free_sgpr 44
		.amdhsa_reserve_vcc 1
		.amdhsa_float_round_mode_32 0
		.amdhsa_float_round_mode_16_64 0
		.amdhsa_float_denorm_mode_32 3
		.amdhsa_float_denorm_mode_16_64 3
		.amdhsa_dx10_clamp 1
		.amdhsa_ieee_mode 1
		.amdhsa_fp16_overflow 0
		.amdhsa_workgroup_processor_mode 1
		.amdhsa_memory_ordered 1
		.amdhsa_forward_progress 0
		.amdhsa_shared_vgpr_count 0
		.amdhsa_exception_fp_ieee_invalid_op 0
		.amdhsa_exception_fp_denorm_src 0
		.amdhsa_exception_fp_ieee_div_zero 0
		.amdhsa_exception_fp_ieee_overflow 0
		.amdhsa_exception_fp_ieee_underflow 0
		.amdhsa_exception_fp_ieee_inexact 0
		.amdhsa_exception_int_div_zero 0
	.end_amdhsa_kernel
	.section	.text._ZL38rocblas_trsm_small_left_device_sharedBILi24ELi24ELb0EffPKPKfPKPfEv13rocblas_fill_18rocblas_operation_17rocblas_diagonal_iiT3_T4_lilT5_lili,"axG",@progbits,_ZL38rocblas_trsm_small_left_device_sharedBILi24ELi24ELb0EffPKPKfPKPfEv13rocblas_fill_18rocblas_operation_17rocblas_diagonal_iiT3_T4_lilT5_lili,comdat
.Lfunc_end26:
	.size	_ZL38rocblas_trsm_small_left_device_sharedBILi24ELi24ELb0EffPKPKfPKPfEv13rocblas_fill_18rocblas_operation_17rocblas_diagonal_iiT3_T4_lilT5_lili, .Lfunc_end26-_ZL38rocblas_trsm_small_left_device_sharedBILi24ELi24ELb0EffPKPKfPKPfEv13rocblas_fill_18rocblas_operation_17rocblas_diagonal_iiT3_T4_lilT5_lili
                                        ; -- End function
	.section	.AMDGPU.csdata,"",@progbits
; Kernel info:
; codeLenInByte = 21964
; NumSgprs: 46
; NumVgprs: 114
; ScratchSize: 0
; MemoryBound: 0
; FloatMode: 240
; IeeeMode: 1
; LDSByteSize: 4608 bytes/workgroup (compile time only)
; SGPRBlocks: 5
; VGPRBlocks: 14
; NumSGPRsForWavesPerEU: 46
; NumVGPRsForWavesPerEU: 114
; Occupancy: 7
; WaveLimiterHint : 1
; COMPUTE_PGM_RSRC2:SCRATCH_EN: 0
; COMPUTE_PGM_RSRC2:USER_SGPR: 14
; COMPUTE_PGM_RSRC2:TRAP_HANDLER: 0
; COMPUTE_PGM_RSRC2:TGID_X_EN: 1
; COMPUTE_PGM_RSRC2:TGID_Y_EN: 0
; COMPUTE_PGM_RSRC2:TGID_Z_EN: 1
; COMPUTE_PGM_RSRC2:TIDIG_COMP_CNT: 0
	.section	.text._ZL30rocblas_trsm_small_left_deviceILi24ELi24ELb0EffPKPKfPKPfEv13rocblas_fill_18rocblas_operation_17rocblas_diagonal_iiT3_T4_lilT5_lili,"axG",@progbits,_ZL30rocblas_trsm_small_left_deviceILi24ELi24ELb0EffPKPKfPKPfEv13rocblas_fill_18rocblas_operation_17rocblas_diagonal_iiT3_T4_lilT5_lili,comdat
	.globl	_ZL30rocblas_trsm_small_left_deviceILi24ELi24ELb0EffPKPKfPKPfEv13rocblas_fill_18rocblas_operation_17rocblas_diagonal_iiT3_T4_lilT5_lili ; -- Begin function _ZL30rocblas_trsm_small_left_deviceILi24ELi24ELb0EffPKPKfPKPfEv13rocblas_fill_18rocblas_operation_17rocblas_diagonal_iiT3_T4_lilT5_lili
	.p2align	8
	.type	_ZL30rocblas_trsm_small_left_deviceILi24ELi24ELb0EffPKPKfPKPfEv13rocblas_fill_18rocblas_operation_17rocblas_diagonal_iiT3_T4_lilT5_lili,@function
_ZL30rocblas_trsm_small_left_deviceILi24ELi24ELb0EffPKPKfPKPfEv13rocblas_fill_18rocblas_operation_17rocblas_diagonal_iiT3_T4_lilT5_lili: ; @_ZL30rocblas_trsm_small_left_deviceILi24ELi24ELb0EffPKPKfPKPfEv13rocblas_fill_18rocblas_operation_17rocblas_diagonal_iiT3_T4_lilT5_lili
; %bb.0:
	s_clause 0x1
	s_load_b128 s[8:11], s[0:1], 0x38
	s_load_b128 s[4:7], s[0:1], 0x4
	s_mov_b32 s2, s15
	s_mov_b32 s3, 0
	s_delay_alu instid0(SALU_CYCLE_1)
	s_lshl_b64 s[22:23], s[2:3], 3
	s_waitcnt lgkmcnt(0)
	s_add_u32 s8, s8, s22
	s_addc_u32 s9, s9, s23
	s_load_b32 s15, s[0:1], 0x14
	s_load_b64 s[12:13], s[8:9], 0x0
	s_min_i32 s2, s6, 24
	s_mov_b32 s9, exec_lo
	s_add_i32 s8, s2, -1
	v_cmpx_gt_i32_e64 s2, v0
	s_cbranch_execz .LBB27_10
; %bb.1:
	s_clause 0x1
	s_load_b32 s20, s[0:1], 0x28
	s_load_b128 s[16:19], s[0:1], 0x18
	v_lshlrev_b32_e32 v3, 2, v0
	s_waitcnt lgkmcnt(0)
	s_ashr_i32 s21, s20, 31
	s_add_u32 s16, s16, s22
	s_addc_u32 s17, s17, s23
	s_cmp_lt_u32 s8, 3
	s_load_b64 s[16:17], s[16:17], 0x0
	s_cbranch_scc1 .LBB27_4
; %bb.2:
	s_lshl_b64 s[22:23], s[18:19], 2
	v_mov_b32_e32 v4, v3
	s_waitcnt lgkmcnt(0)
	s_add_u32 s3, s16, s22
	s_addc_u32 s22, s17, s23
	v_add_co_u32 v1, s3, s3, v3
	s_delay_alu instid0(VALU_DEP_1)
	v_add_co_ci_u32_e64 v2, null, s22, 0, s3
	s_and_b32 s3, s2, -4
	s_mul_hi_i32 s28, s20, 12
	s_mul_i32 s29, s20, 12
	s_lshl_b64 s[22:23], s[20:21], 4
	s_lshl_b64 s[24:25], s[20:21], 3
	;; [unrolled: 1-line block ×3, first 2 shown]
	s_mov_b32 s30, 0
	.p2align	6
.LBB27_3:                               ; =>This Inner Loop Header: Depth=1
	v_add_co_u32 v5, vcc_lo, v1, s26
	v_add_co_ci_u32_e32 v6, vcc_lo, s27, v2, vcc_lo
	v_add_co_u32 v7, vcc_lo, v1, s24
	v_add_co_ci_u32_e32 v8, vcc_lo, s25, v2, vcc_lo
	;; [unrolled: 2-line block ×3, first 2 shown]
	s_clause 0x3
	global_load_b32 v11, v[1:2], off
	global_load_b32 v5, v[5:6], off
	;; [unrolled: 1-line block ×4, first 2 shown]
	v_add_co_u32 v1, vcc_lo, v1, s22
	v_add_co_ci_u32_e32 v2, vcc_lo, s23, v2, vcc_lo
	s_add_i32 s30, s30, 4
	s_waitcnt vmcnt(2)
	ds_store_2addr_b32 v4, v11, v5 offset1:24
	s_waitcnt vmcnt(0)
	ds_store_2addr_b32 v4, v6, v7 offset0:48 offset1:72
	v_add_nc_u32_e32 v4, 0x180, v4
	s_cmp_eq_u32 s3, s30
	s_cbranch_scc0 .LBB27_3
.LBB27_4:
	s_and_b32 s22, s2, 3
	s_delay_alu instid0(SALU_CYCLE_1)
	s_cmp_eq_u32 s22, 0
	s_cbranch_scc1 .LBB27_7
; %bb.5:
	s_mul_i32 s23, s21, s3
	s_mul_hi_u32 s24, s20, s3
	s_lshl_b64 s[18:19], s[18:19], 2
	s_add_i32 s25, s24, s23
	s_mul_i32 s24, s20, s3
	s_mulk_i32 s3, 0x60
	s_lshl_b64 s[24:25], s[24:25], 2
	v_lshl_add_u32 v4, v0, 2, s3
	s_add_u32 s3, s24, s18
	s_addc_u32 s18, s25, s19
	s_waitcnt lgkmcnt(0)
	s_add_u32 s3, s16, s3
	s_addc_u32 s16, s17, s18
	v_add_co_u32 v1, s3, s3, v3
	s_delay_alu instid0(VALU_DEP_1)
	v_add_co_ci_u32_e64 v2, null, s16, 0, s3
	s_lshl_b64 s[16:17], s[20:21], 2
.LBB27_6:                               ; =>This Inner Loop Header: Depth=1
	global_load_b32 v3, v[1:2], off
	v_add_co_u32 v1, vcc_lo, v1, s16
	v_add_co_ci_u32_e32 v2, vcc_lo, s17, v2, vcc_lo
	s_add_i32 s22, s22, -1
	s_delay_alu instid0(SALU_CYCLE_1)
	s_cmp_lg_u32 s22, 0
	s_waitcnt vmcnt(0)
	ds_store_b32 v4, v3
	v_add_nc_u32_e32 v4, 0x60, v4
	s_cbranch_scc1 .LBB27_6
.LBB27_7:
	v_mul_u32_u24_e32 v1, 25, v0
	s_cmpk_lg_i32 s5, 0x84
	s_delay_alu instid0(VALU_DEP_1)
	v_dual_mov_b32 v2, 1.0 :: v_dual_lshlrev_b32 v1, 2, v1
	s_cbranch_scc0 .LBB27_9
; %bb.8:
	ds_load_b32 v2, v1
	s_waitcnt lgkmcnt(0)
	v_div_scale_f32 v3, null, v2, v2, 1.0
	s_delay_alu instid0(VALU_DEP_1) | instskip(SKIP_2) | instid1(VALU_DEP_1)
	v_rcp_f32_e32 v4, v3
	s_waitcnt_depctr 0xfff
	v_fma_f32 v5, -v3, v4, 1.0
	v_fmac_f32_e32 v4, v5, v4
	v_div_scale_f32 v5, vcc_lo, 1.0, v2, 1.0
	s_delay_alu instid0(VALU_DEP_1) | instskip(NEXT) | instid1(VALU_DEP_1)
	v_mul_f32_e32 v6, v5, v4
	v_fma_f32 v7, -v3, v6, v5
	s_delay_alu instid0(VALU_DEP_1) | instskip(NEXT) | instid1(VALU_DEP_1)
	v_fmac_f32_e32 v6, v7, v4
	v_fma_f32 v3, -v3, v6, v5
	s_delay_alu instid0(VALU_DEP_1) | instskip(NEXT) | instid1(VALU_DEP_1)
	v_div_fmas_f32 v3, v3, v4, v6
	v_div_fixup_f32 v2, v3, v2, 1.0
.LBB27_9:
	ds_store_b32 v1, v2
.LBB27_10:
	s_or_b32 exec_lo, exec_lo, s9
	s_load_b32 s3, s[0:1], 0x60
	s_mul_i32 s5, s14, 0xffffffe8
	s_waitcnt lgkmcnt(0)
	s_add_i32 s5, s5, s7
	; wave barrier
	buffer_gl0_inv
	s_add_i32 s3, s3, -1
	s_delay_alu instid0(SALU_CYCLE_1) | instskip(SKIP_1) | instid1(SALU_CYCLE_1)
	s_cmp_ge_u32 s14, s3
	s_cselect_b32 s3, s5, 24
	v_cmp_gt_i32_e32 vcc_lo, s3, v0
	s_mov_b32 s3, -1
	s_and_saveexec_b32 s5, vcc_lo
	s_cbranch_execz .LBB27_54
; %bb.11:
	s_load_b32 s0, s[0:1], 0x48
	v_mad_u64_u32 v[1:2], null, s14, 24, v[0:1]
	s_waitcnt lgkmcnt(0)
	s_delay_alu instid0(VALU_DEP_1) | instskip(SKIP_1) | instid1(SALU_CYCLE_1)
	v_mad_i64_i32 v[2:3], null, s0, v1, 0
	s_lshl_b64 s[0:1], s[10:11], 2
	s_add_u32 s5, s12, s0
	s_addc_u32 s7, s13, s1
	s_cmpk_eq_i32 s4, 0x6f
	s_delay_alu instid0(VALU_DEP_1) | instskip(NEXT) | instid1(VALU_DEP_1)
	v_lshlrev_b64 v[57:58], 2, v[2:3]
	v_add_co_u32 v55, vcc_lo, s5, v57
	s_delay_alu instid0(VALU_DEP_2)
	v_add_co_ci_u32_e32 v56, vcc_lo, s7, v58, vcc_lo
	s_cbranch_scc1 .LBB27_32
; %bb.12:
	s_cmp_gt_i32 s6, 23
	s_mov_b32 s4, 0
	s_cselect_b32 s3, -1, 0
	s_delay_alu instid0(SALU_CYCLE_1)
	s_and_b32 vcc_lo, exec_lo, s3
	s_cbranch_vccz .LBB27_14
; %bb.13:
	s_clause 0x3
	global_load_b128 v[30:33], v[55:56], off
	global_load_b128 v[44:47], v[55:56], off offset:16
	global_load_b128 v[8:11], v[55:56], off offset:32
	;; [unrolled: 1-line block ×3, first 2 shown]
	v_mov_b32_e32 v59, 0
	s_mov_b32 s4, 24
	s_waitcnt vmcnt(3)
	v_mul_f32_e32 v12, s15, v30
	ds_load_b32 v0, v59
	ds_load_b64 v[34:35], v59 offset:96
	ds_load_b96 v[1:3], v59 offset:192
	ds_load_b128 v[51:54], v59 offset:288
	s_waitcnt lgkmcnt(3)
	v_mul_f32_e32 v0, v0, v12
	ds_load_b128 v[20:23], v59 offset:384
	ds_load_b128 v[16:19], v59 offset:576
	ds_load_b128 v[12:15], v59 offset:672
	s_waitcnt lgkmcnt(5)
	v_mul_f32_e32 v24, v0, v34
	s_waitcnt lgkmcnt(4)
	v_mul_f32_e32 v1, v0, v1
	s_delay_alu instid0(VALU_DEP_2) | instskip(NEXT) | instid1(VALU_DEP_2)
	v_fma_f32 v34, v31, s15, -v24
	v_fma_f32 v32, v32, s15, -v1
	ds_load_b128 v[28:31], v59 offset:768
	ds_load_b128 v[24:27], v59 offset:864
	s_waitcnt lgkmcnt(5)
	v_dual_mul_f32 v1, v35, v34 :: v_dual_mul_f32 v60, v0, v51
	ds_load_b128 v[40:43], v59 offset:960
	ds_load_b128 v[48:51], v59 offset:480
	;; [unrolled: 1-line block ×3, first 2 shown]
	s_waitcnt lgkmcnt(6)
	v_mul_f32_e32 v16, v0, v16
	v_fma_f32 v60, v33, s15, -v60
	v_fma_f32 v2, -v1, v2, v32
	ds_load_b128 v[32:35], v59 offset:1344
	ds_load_b32 v141, v59 offset:400
	ds_load_b64 v[131:132], v59 offset:496
	s_waitcnt lgkmcnt(8)
	v_mul_f32_e32 v12, v0, v12
	s_waitcnt vmcnt(2)
	v_fma_f32 v16, v46, s15, -v16
	v_fma_f32 v52, -v1, v52, v60
	ds_load_b96 v[128:130], v59 offset:592
	ds_load_b128 v[60:63], v59 offset:688
	ds_load_b128 v[64:67], v59 offset:880
	;; [unrolled: 1-line block ×3, first 2 shown]
	ds_load_b64 v[133:134], v59 offset:896
	ds_load_b128 v[72:75], v59 offset:1152
	ds_load_b128 v[76:79], v59 offset:1088
	;; [unrolled: 1-line block ×3, first 2 shown]
	v_mul_f32_e32 v2, v3, v2
	ds_load_b32 v142, v59 offset:1200
	ds_load_b64 v[135:136], v59 offset:1296
	s_waitcnt lgkmcnt(17)
	v_mul_f32_e32 v28, v0, v28
	s_waitcnt lgkmcnt(16)
	v_mul_f32_e32 v24, v0, v24
	v_fma_f32 v3, -v2, v53, v52
	s_waitcnt lgkmcnt(15)
	v_mul_f32_e32 v40, v0, v40
	v_mul_f32_e32 v20, v0, v20
	s_waitcnt lgkmcnt(13)
	v_mul_f32_e32 v36, v0, v36
	s_waitcnt vmcnt(1)
	v_fma_f32 v28, v8, s15, -v28
	v_fma_f32 v24, v9, s15, -v24
	v_mul_f32_e32 v3, v54, v3
	v_fma_f32 v40, v10, s15, -v40
	v_fma_f32 v36, v11, s15, -v36
	v_mul_f32_e32 v48, v0, v48
	v_fma_f32 v20, v44, s15, -v20
	v_fma_f32 v12, v47, s15, -v12
	s_waitcnt lgkmcnt(4)
	v_mul_f32_e32 v8, v0, v72
	v_fma_f32 v16, -v1, v17, v16
	s_waitcnt lgkmcnt(2)
	v_mul_f32_e32 v9, v0, v80
	v_fma_f32 v48, v45, s15, -v48
	v_fma_f32 v12, -v1, v13, v12
	s_waitcnt vmcnt(0)
	v_fma_f32 v72, v4, s15, -v8
	v_mul_f32_e32 v4, v0, v32
	v_fma_f32 v80, v5, s15, -v9
	ds_load_b96 v[52:54], v59 offset:1392
	ds_load_b128 v[8:11], v59 offset:1440
	v_fma_f32 v13, -v1, v29, v28
	v_fma_f32 v20, -v1, v21, v20
	v_fma_f32 v32, v6, s15, -v4
	v_fma_f32 v21, -v1, v49, v48
	v_fma_f32 v16, -v2, v18, v16
	;; [unrolled: 1-line block ×12, first 2 shown]
	s_delay_alu instid0(VALU_DEP_4) | instskip(SKIP_2) | instid1(VALU_DEP_2)
	v_fma_f32 v13, -v2, v26, v13
	s_waitcnt lgkmcnt(0)
	v_mul_f32_e32 v4, v0, v8
	v_fma_f32 v22, -v3, v27, v13
	v_fma_f32 v13, -v1, v41, v40
	s_delay_alu instid0(VALU_DEP_3)
	v_fma_f32 v8, v7, s15, -v4
	ds_load_b128 v[4:7], v59 offset:1536
	ds_load_b128 v[44:47], v59 offset:1488
	s_clause 0x1
	global_load_b128 v[84:87], v[55:56], off offset:64
	global_load_b128 v[88:91], v[55:56], off offset:80
	v_fma_f32 v13, -v2, v42, v13
	ds_load_b128 v[92:95], v59 offset:1632
	ds_load_b128 v[96:99], v59 offset:1648
	ds_load_b64 v[137:138], v59 offset:1696
	ds_load_b128 v[100:103], v59 offset:1728
	ds_load_b128 v[104:107], v59 offset:1824
	;; [unrolled: 1-line block ×3, first 2 shown]
	v_fma_f32 v8, -v1, v9, v8
	v_fma_f32 v24, -v3, v43, v13
	;; [unrolled: 1-line block ×3, first 2 shown]
	s_delay_alu instid0(VALU_DEP_3) | instskip(NEXT) | instid1(VALU_DEP_2)
	v_fma_f32 v8, -v2, v10, v8
	v_fma_f32 v13, -v2, v38, v13
	s_delay_alu instid0(VALU_DEP_1) | instskip(SKIP_3) | instid1(VALU_DEP_2)
	v_fma_f32 v25, -v3, v39, v13
	v_fma_f32 v13, -v1, v73, v72
	s_waitcnt lgkmcnt(7)
	v_mul_f32_e32 v4, v0, v4
	v_fma_f32 v13, -v2, v74, v13
	s_delay_alu instid0(VALU_DEP_1) | instskip(SKIP_1) | instid1(VALU_DEP_1)
	v_fma_f32 v28, -v3, v75, v13
	v_fma_f32 v13, -v1, v81, v80
	;; [unrolled: 1-line block ×3, first 2 shown]
	s_delay_alu instid0(VALU_DEP_1) | instskip(SKIP_2) | instid1(VALU_DEP_2)
	v_fma_f32 v36, -v3, v83, v13
	v_fma_f32 v13, -v1, v33, v32
	;; [unrolled: 1-line block ×4, first 2 shown]
	s_delay_alu instid0(VALU_DEP_1) | instskip(SKIP_4) | instid1(VALU_DEP_2)
	v_fma_f32 v32, -v3, v35, v13
	s_waitcnt vmcnt(1)
	v_fma_f32 v4, v84, s15, -v4
	s_waitcnt lgkmcnt(5)
	v_mul_f32_e32 v84, v0, v92
	v_fma_f32 v4, -v1, v5, v4
	s_delay_alu instid0(VALU_DEP_2) | instskip(SKIP_2) | instid1(VALU_DEP_3)
	v_fma_f32 v92, v85, s15, -v84
	s_waitcnt lgkmcnt(2)
	v_mul_f32_e32 v84, v0, v100
	v_fma_f32 v4, -v2, v6, v4
	s_delay_alu instid0(VALU_DEP_2) | instskip(SKIP_2) | instid1(VALU_DEP_3)
	v_fma_f32 v100, v86, s15, -v84
	s_waitcnt lgkmcnt(1)
	v_mul_f32_e32 v84, v0, v104
	v_fma_f32 v34, -v3, v7, v4
	v_fma_f32 v4, -v1, v93, v92
	s_delay_alu instid0(VALU_DEP_3)
	v_fma_f32 v104, v87, s15, -v84
	ds_load_b128 v[84:87], v59 offset:1920
	ds_load_b128 v[112:115], v59 offset:1888
	ds_load_b32 v143, v59 offset:2000
	ds_load_b128 v[116:119], v59 offset:2016
	v_fma_f32 v4, -v2, v94, v4
	ds_load_b64 v[139:140], v59 offset:2096
	ds_load_b128 v[120:123], v59 offset:2112
	v_fma_f32 v35, -v3, v95, v4
	v_fma_f32 v4, -v1, v101, v100
	s_delay_alu instid0(VALU_DEP_1) | instskip(NEXT) | instid1(VALU_DEP_1)
	v_fma_f32 v4, -v2, v102, v4
	v_fma_f32 v37, -v3, v103, v4
	s_waitcnt lgkmcnt(5)
	v_mul_f32_e32 v84, v0, v84
	v_fma_f32 v4, -v1, v105, v104
	s_waitcnt vmcnt(0)
	s_delay_alu instid0(VALU_DEP_2) | instskip(SKIP_3) | instid1(VALU_DEP_2)
	v_fma_f32 v84, v88, s15, -v84
	s_waitcnt lgkmcnt(2)
	v_mul_f32_e32 v88, v0, v116
	v_fma_f32 v4, -v2, v106, v4
	v_fma_f32 v116, v89, s15, -v88
	s_waitcnt lgkmcnt(0)
	v_mul_f32_e32 v88, v0, v120
	s_delay_alu instid0(VALU_DEP_3) | instskip(SKIP_2) | instid1(VALU_DEP_4)
	v_fma_f32 v38, -v3, v107, v4
	v_mul_f32_e32 v4, v141, v20
	v_fma_f32 v13, -v1, v117, v116
	v_fma_f32 v120, v90, s15, -v88
	ds_load_b96 v[88:90], v59 offset:2192
	ds_load_b128 v[124:127], v59 offset:2208
	v_fma_f32 v5, -v4, v131, v21
	ds_load_b128 v[8:11], v59 offset:784
	v_fma_f32 v20, -v1, v121, v120
	v_mul_f32_e32 v5, v132, v5
	v_fma_f32 v6, -v4, v128, v16
	v_fma_f32 v7, -v4, v60, v12
	v_fma_f32 v12, -v1, v85, v84
	v_fma_f32 v16, -v2, v118, v13
	v_fma_f32 v20, -v2, v122, v20
	v_fma_f32 v6, -v5, v129, v6
	v_fma_f32 v7, -v5, v61, v7
	v_fma_f32 v12, -v2, v86, v12
	v_fma_f32 v48, -v3, v119, v16
	v_fma_f32 v22, -v4, v64, v22
	v_mul_f32_e32 v6, v130, v6
	v_fma_f32 v64, -v3, v123, v20
	v_fma_f32 v40, -v3, v87, v12
	s_waitcnt lgkmcnt(1)
	v_mul_f32_e32 v124, v0, v124
	ds_load_b128 v[12:15], v59 offset:976
	v_fma_f32 v7, -v6, v62, v7
	ds_load_b96 v[60:62], v59 offset:992
	v_fma_f32 v26, -v5, v65, v22
	v_fma_f32 v91, v91, s15, -v124
	v_fma_f32 v29, -v4, v68, v25
	v_mul_f32_e32 v7, v63, v7
	ds_load_b32 v63, v59 offset:800
	s_waitcnt lgkmcnt(3)
	v_fma_f32 v8, -v4, v8, v17
	ds_load_b128 v[16:19], v59 offset:1168
	v_fma_f32 v21, -v1, v125, v91
	v_fma_f32 v26, -v6, v66, v26
	v_fma_f32 v8, -v5, v9, v8
	s_delay_alu instid0(VALU_DEP_3)
	v_fma_f32 v9, -v2, v126, v21
	ds_load_b128 v[20:23], v59 offset:1264
	v_fma_f32 v66, -v7, v67, v26
	v_fma_f32 v8, -v6, v10, v8
	;; [unrolled: 1-line block ×3, first 2 shown]
	s_waitcnt lgkmcnt(4)
	v_fma_f32 v12, -v4, v12, v24
	ds_load_b128 v[24:27], v59 offset:1184
	v_fma_f32 v65, -v7, v11, v8
	ds_load_b128 v[8:11], v59 offset:1360
	v_fma_f32 v12, -v5, v13, v12
	v_fma_f32 v13, -v5, v69, v29
	s_waitcnt lgkmcnt(3)
	v_fma_f32 v16, -v4, v16, v28
	ds_load_b128 v[28:31], v59 offset:1456
	v_fma_f32 v12, -v6, v14, v12
	v_fma_f32 v16, -v5, v17, v16
	;; [unrolled: 1-line block ×3, first 2 shown]
	s_delay_alu instid0(VALU_DEP_3)
	v_fma_f32 v67, -v7, v15, v12
	ds_load_b128 v[12:15], v59 offset:1280
	s_waitcnt lgkmcnt(4)
	v_fma_f32 v20, -v4, v20, v36
	v_fma_f32 v16, -v6, v18, v16
	;; [unrolled: 1-line block ×4, first 2 shown]
	s_delay_alu instid0(VALU_DEP_4) | instskip(NEXT) | instid1(VALU_DEP_4)
	v_fma_f32 v20, -v5, v21, v20
	v_fma_f32 v69, -v7, v19, v16
	ds_load_b128 v[16:19], v59 offset:1376
	s_waitcnt lgkmcnt(3)
	v_fma_f32 v8, -v4, v8, v32
	v_fma_f32 v32, -v4, v96, v35
	;; [unrolled: 1-line block ×3, first 2 shown]
	s_delay_alu instid0(VALU_DEP_3) | instskip(SKIP_1) | instid1(VALU_DEP_4)
	v_fma_f32 v8, -v5, v9, v8
	v_fma_f32 v9, -v6, v22, v20
	;; [unrolled: 1-line block ×3, first 2 shown]
	s_delay_alu instid0(VALU_DEP_4) | instskip(NEXT) | instid1(VALU_DEP_4)
	v_fma_f32 v36, -v6, v110, v36
	v_fma_f32 v8, -v6, v10, v8
	s_delay_alu instid0(VALU_DEP_4)
	v_fma_f32 v70, -v7, v23, v9
	ds_load_b128 v[20:23], v59 offset:1552
	v_fma_f32 v32, -v6, v98, v32
	v_fma_f32 v81, -v7, v111, v36
	;; [unrolled: 1-line block ×3, first 2 shown]
	ds_load_b128 v[8:11], v59 offset:1472
	s_waitcnt lgkmcnt(4)
	v_fma_f32 v28, -v4, v28, v33
	v_fma_f32 v75, -v7, v99, v32
	s_delay_alu instid0(VALU_DEP_2) | instskip(NEXT) | instid1(VALU_DEP_1)
	v_fma_f32 v28, -v5, v29, v28
	v_fma_f32 v28, -v6, v30, v28
	s_delay_alu instid0(VALU_DEP_1)
	v_fma_f32 v73, -v7, v31, v28
	ds_load_b128 v[28:31], v59 offset:1568
	s_waitcnt lgkmcnt(2)
	v_fma_f32 v20, -v4, v20, v34
	ds_load_b128 v[32:35], v59 offset:1760
	v_fma_f32 v20, -v5, v21, v20
	s_delay_alu instid0(VALU_DEP_1) | instskip(NEXT) | instid1(VALU_DEP_1)
	v_fma_f32 v20, -v6, v22, v20
	v_fma_f32 v74, -v7, v23, v20
	ds_load_b128 v[20:23], v59 offset:1744
	s_waitcnt lgkmcnt(0)
	v_fma_f32 v20, -v4, v20, v37
	ds_load_b128 v[36:39], v59 offset:1952
	v_fma_f32 v20, -v5, v21, v20
	s_delay_alu instid0(VALU_DEP_1) | instskip(NEXT) | instid1(VALU_DEP_1)
	v_fma_f32 v20, -v6, v22, v20
	v_fma_f32 v80, -v7, v23, v20
	ds_load_b128 v[20:23], v59 offset:1936
	s_waitcnt lgkmcnt(0)
	v_fma_f32 v20, -v4, v20, v40
	s_delay_alu instid0(VALU_DEP_1) | instskip(NEXT) | instid1(VALU_DEP_1)
	v_fma_f32 v20, -v5, v21, v20
	v_fma_f32 v20, -v6, v22, v20
	s_delay_alu instid0(VALU_DEP_1) | instskip(SKIP_4) | instid1(VALU_DEP_1)
	v_fma_f32 v82, -v7, v23, v20
	ds_load_b128 v[20:23], v59 offset:2032
	ds_load_b128 v[40:43], v59 offset:2048
	s_waitcnt lgkmcnt(1)
	v_fma_f32 v20, -v4, v20, v48
	v_fma_f32 v20, -v5, v21, v20
	s_delay_alu instid0(VALU_DEP_1) | instskip(NEXT) | instid1(VALU_DEP_1)
	v_fma_f32 v20, -v6, v22, v20
	v_fma_f32 v83, -v7, v23, v20
	ds_load_b128 v[20:23], v59 offset:2128
	ds_load_b128 v[48:51], v59 offset:2144
	s_waitcnt lgkmcnt(1)
	v_fma_f32 v20, -v4, v20, v64
	s_delay_alu instid0(VALU_DEP_1) | instskip(NEXT) | instid1(VALU_DEP_1)
	v_fma_f32 v20, -v5, v21, v20
	v_fma_f32 v20, -v6, v22, v20
	s_delay_alu instid0(VALU_DEP_1) | instskip(SKIP_1) | instid1(VALU_DEP_1)
	v_fma_f32 v84, -v7, v23, v20
	v_mul_f32_e32 v20, v63, v65
	v_fma_f32 v21, -v20, v133, v66
	v_fma_f32 v22, -v20, v60, v67
	;; [unrolled: 1-line block ×5, first 2 shown]
	v_mul_f32_e32 v21, v134, v21
	v_fma_f32 v16, -v20, v16, v71
	v_fma_f32 v8, -v20, v8, v73
	;; [unrolled: 1-line block ×3, first 2 shown]
	s_delay_alu instid0(VALU_DEP_4)
	v_fma_f32 v22, -v21, v61, v22
	v_fma_f32 v23, -v21, v77, v23
	;; [unrolled: 1-line block ×5, first 2 shown]
	v_mul_f32_e32 v22, v62, v22
	ds_load_b128 v[60:63], v59 offset:2224
	ds_load_b128 v[64:67], v59 offset:2240
	v_fma_f32 v8, -v21, v9, v8
	v_fma_f32 v28, -v21, v29, v28
	;; [unrolled: 1-line block ×8, first 2 shown]
	v_mul_f32_e32 v23, v79, v23
	v_fma_f32 v32, -v21, v33, v29
	s_delay_alu instid0(VALU_DEP_2)
	v_fma_f32 v69, -v23, v19, v9
	ds_load_b128 v[16:19], v59 offset:1680
	v_fma_f32 v70, -v23, v11, v8
	ds_load_b128 v[8:11], v59 offset:1872
	s_waitcnt lgkmcnt(3)
	v_fma_f32 v60, -v4, v60, v72
	s_delay_alu instid0(VALU_DEP_1) | instskip(SKIP_1) | instid1(VALU_DEP_2)
	v_fma_f32 v60, -v5, v61, v60
	v_fma_f32 v61, -v23, v15, v12
	;; [unrolled: 1-line block ×3, first 2 shown]
	s_delay_alu instid0(VALU_DEP_1)
	v_fma_f32 v68, -v7, v63, v60
	v_fma_f32 v60, -v23, v27, v13
	ds_load_b128 v[24:27], v59 offset:1664
	ds_load_b128 v[12:15], v59 offset:1856
	s_waitcnt lgkmcnt(1)
	v_fma_f32 v24, -v20, v24, v75
	s_waitcnt lgkmcnt(0)
	v_fma_f32 v12, -v20, v12, v81
	s_delay_alu instid0(VALU_DEP_2) | instskip(NEXT) | instid1(VALU_DEP_2)
	v_fma_f32 v24, -v21, v25, v24
	v_fma_f32 v12, -v21, v13, v12
	;; [unrolled: 1-line block ×3, first 2 shown]
	s_delay_alu instid0(VALU_DEP_3)
	v_fma_f32 v13, -v22, v26, v24
	v_fma_f32 v24, -v22, v34, v32
	;; [unrolled: 1-line block ×4, first 2 shown]
	v_mul_f32_e32 v12, v142, v60
	v_fma_f32 v77, -v23, v27, v13
	v_fma_f32 v13, -v20, v40, v83
	;; [unrolled: 1-line block ×5, first 2 shown]
	ds_load_b128 v[28:31], v59 offset:1584
	ds_load_b32 v76, v59 offset:1600
	v_fma_f32 v79, -v23, v15, v14
	v_fma_f32 v14, -v21, v41, v13
	;; [unrolled: 1-line block ×3, first 2 shown]
	v_mul_f32_e32 v13, v136, v36
	v_fma_f32 v40, -v20, v48, v84
	v_fma_f32 v78, -v23, v35, v24
	;; [unrolled: 1-line block ×6, first 2 shown]
	ds_load_b128 v[24:27], v59 offset:1776
	ds_load_b96 v[72:74], v59 offset:1792
	v_fma_f32 v41, -v20, v64, v68
	v_fma_f32 v49, -v13, v53, v42
	;; [unrolled: 1-line block ×6, first 2 shown]
	ds_load_b128 v[40:43], v59 offset:1968
	ds_load_b128 v[68:71], v59 offset:1984
	v_mul_f32_e32 v14, v54, v49
	v_fma_f32 v44, -v13, v45, v44
	v_fma_f32 v54, -v23, v51, v15
	s_waitcnt lgkmcnt(5)
	v_fma_f32 v15, -v12, v28, v75
	ds_load_b128 v[32:35], v59 offset:2064
	v_fma_f32 v16, -v12, v16, v77
	v_fma_f32 v28, -v14, v46, v44
	ds_load_b128 v[60:63], v59 offset:2160
	v_fma_f32 v29, -v13, v29, v15
	v_fma_f32 v8, -v12, v8, v79
	s_waitcnt lgkmcnt(5)
	v_fma_f32 v24, -v12, v24, v78
	v_mul_f32_e32 v15, v47, v28
	v_fma_f32 v16, -v13, v17, v16
	v_fma_f32 v17, -v14, v30, v29
	;; [unrolled: 1-line block ×7, first 2 shown]
	s_waitcnt lgkmcnt(3)
	v_fma_f32 v28, -v12, v40, v52
	v_fma_f32 v24, -v14, v26, v24
	ds_load_b128 v[48:51], v59 offset:2080
	v_fma_f32 v16, -v15, v19, v16
	v_mul_f32_e32 v8, v76, v17
	s_waitcnt lgkmcnt(2)
	v_fma_f32 v29, -v12, v32, v53
	v_fma_f32 v19, -v13, v41, v28
	;; [unrolled: 1-line block ×6, first 2 shown]
	ds_load_b128 v[64:67], v59 offset:2176
	s_waitcnt lgkmcnt(2)
	v_fma_f32 v18, -v12, v60, v54
	v_fma_f32 v24, -v13, v33, v29
	;; [unrolled: 1-line block ×4, first 2 shown]
	v_mul_f32_e32 v9, v138, v16
	v_fma_f32 v10, -v8, v72, v10
	v_fma_f32 v16, -v13, v61, v18
	;; [unrolled: 1-line block ×10, first 2 shown]
	v_mul_f32_e32 v10, v74, v10
	v_fma_f32 v16, -v15, v63, v16
	s_waitcnt lgkmcnt(1)
	v_fma_f32 v18, -v8, v48, v18
	v_fma_f32 v19, -v9, v69, v19
	ds_load_b128 v[36:39], v59 offset:2256
	ds_load_b128 v[44:47], v59 offset:2272
	v_fma_f32 v11, -v10, v114, v11
	s_waitcnt lgkmcnt(2)
	v_fma_f32 v24, -v8, v64, v16
	v_fma_f32 v25, -v9, v49, v18
	;; [unrolled: 1-line block ×3, first 2 shown]
	v_mul_f32_e32 v11, v115, v11
	s_delay_alu instid0(VALU_DEP_4) | instskip(NEXT) | instid1(VALU_DEP_4)
	v_fma_f32 v24, -v9, v65, v24
	v_fma_f32 v25, -v10, v50, v25
	s_delay_alu instid0(VALU_DEP_3) | instskip(NEXT) | instid1(VALU_DEP_3)
	v_fma_f32 v26, -v11, v71, v26
	v_fma_f32 v28, -v10, v66, v24
	s_delay_alu instid0(VALU_DEP_3) | instskip(NEXT) | instid1(VALU_DEP_3)
	v_fma_f32 v25, -v11, v51, v25
	v_mul_f32_e32 v24, v143, v26
	s_delay_alu instid0(VALU_DEP_1) | instskip(NEXT) | instid1(VALU_DEP_1)
	v_fma_f32 v25, -v24, v139, v25
	v_mul_f32_e32 v25, v140, v25
	s_waitcnt lgkmcnt(1)
	v_fma_f32 v17, -v12, v36, v75
	s_delay_alu instid0(VALU_DEP_1) | instskip(NEXT) | instid1(VALU_DEP_1)
	v_fma_f32 v17, -v13, v37, v17
	v_fma_f32 v17, -v14, v38, v17
	s_delay_alu instid0(VALU_DEP_1)
	v_fma_f32 v27, -v15, v39, v17
	ds_load_b128 v[16:19], v59 offset:2288
	s_clause 0x1
	global_store_b128 v[55:56], v[0:3], off
	global_store_b128 v[55:56], v[4:7], off offset:16
	s_waitcnt lgkmcnt(1)
	v_fma_f32 v27, -v8, v44, v27
	s_delay_alu instid0(VALU_DEP_1) | instskip(SKIP_1) | instid1(VALU_DEP_2)
	v_fma_f32 v26, -v9, v45, v27
	v_fma_f32 v27, -v11, v67, v28
	;; [unrolled: 1-line block ×3, first 2 shown]
	s_delay_alu instid0(VALU_DEP_2) | instskip(NEXT) | instid1(VALU_DEP_2)
	v_fma_f32 v27, -v24, v88, v27
	v_fma_f32 v26, -v11, v47, v26
	s_delay_alu instid0(VALU_DEP_2) | instskip(SKIP_1) | instid1(VALU_DEP_2)
	v_fma_f32 v27, -v25, v89, v27
	s_waitcnt lgkmcnt(0)
	v_fma_f32 v16, -v24, v16, v26
	s_delay_alu instid0(VALU_DEP_2) | instskip(NEXT) | instid1(VALU_DEP_2)
	v_mul_f32_e32 v26, v90, v27
	v_fma_f32 v16, -v25, v17, v16
	s_delay_alu instid0(VALU_DEP_1) | instskip(NEXT) | instid1(VALU_DEP_1)
	v_fma_f32 v16, -v26, v18, v16
	v_mul_f32_e32 v27, v19, v16
	s_clause 0x3
	global_store_b128 v[55:56], v[20:23], off offset:32
	global_store_b128 v[55:56], v[12:15], off offset:48
	global_store_b128 v[55:56], v[8:11], off offset:64
	global_store_b128 v[55:56], v[24:27], off offset:80
.LBB27_14:
	s_cmp_lt_i32 s4, s2
	s_cbranch_scc0 .LBB27_31
; %bb.15:
	s_add_i32 s5, s4, 19
	s_delay_alu instid0(SALU_CYCLE_1)
	s_cmp_ge_u32 s5, s2
	s_cbranch_scc1 .LBB27_20
; %bb.16:
	s_lshl_b32 s7, s4, 2
	s_delay_alu instid0(SALU_CYCLE_1)
	v_add_co_u32 v0, vcc_lo, v55, s7
	v_add_co_ci_u32_e32 v1, vcc_lo, 0, v56, vcc_lo
	s_and_not1_b32 vcc_lo, exec_lo, s3
	s_mov_b32 s3, 0
	s_clause 0x4
	global_load_b128 v[2:5], v[0:1], off
	global_load_b128 v[6:9], v[0:1], off offset:16
	global_load_b128 v[24:27], v[0:1], off offset:32
	global_load_b128 v[28:31], v[0:1], off offset:48
	global_load_b128 v[32:35], v[0:1], off offset:64
	s_waitcnt vmcnt(4)
	v_dual_mul_f32 v23, s15, v2 :: v_dual_mul_f32 v22, s15, v3
	v_dual_mul_f32 v21, s15, v4 :: v_dual_mul_f32 v20, s15, v5
	s_waitcnt vmcnt(3)
	v_dual_mul_f32 v19, s15, v6 :: v_dual_mul_f32 v18, s15, v7
	v_dual_mul_f32 v17, s15, v8 :: v_dual_mul_f32 v16, s15, v9
	s_waitcnt vmcnt(2)
	v_dual_mul_f32 v15, s15, v24 :: v_dual_mul_f32 v14, s15, v25
	v_dual_mul_f32 v13, s15, v26 :: v_dual_mul_f32 v12, s15, v27
	s_waitcnt vmcnt(1)
	v_dual_mul_f32 v11, s15, v28 :: v_dual_mul_f32 v10, s15, v29
	v_dual_mul_f32 v9, s15, v30 :: v_dual_mul_f32 v8, s15, v31
	s_waitcnt vmcnt(0)
	v_dual_mul_f32 v7, s15, v32 :: v_dual_mul_f32 v6, s15, v33
	v_dual_mul_f32 v5, s15, v34 :: v_dual_mul_f32 v4, s15, v35
	s_cbranch_vccnz .LBB27_19
; %bb.17:
	v_dual_mov_b32 v2, v55 :: v_dual_mov_b32 v3, v56
	s_mul_i32 s7, s4, 0x60
.LBB27_18:                              ; =>This Inner Loop Header: Depth=1
	global_load_b32 v44, v[2:3], off
	v_mov_b32_e32 v32, s7
	v_add_nc_u32_e64 v34, 0x200, s7
	v_add_nc_u32_e64 v42, 0x400, s7
	v_add_co_u32 v2, vcc_lo, v2, 4
	ds_load_2addr_b32 v[24:25], v32 offset1:24
	ds_load_2addr_b32 v[26:27], v32 offset0:48 offset1:72
	ds_load_2addr_b32 v[28:29], v32 offset0:96 offset1:120
	;; [unrolled: 1-line block ×9, first 2 shown]
	v_add_co_ci_u32_e32 v3, vcc_lo, 0, v3, vcc_lo
	s_add_i32 s3, s3, 1
	s_add_i32 s7, s7, 4
	s_cmp_lt_u32 s3, s4
	s_waitcnt vmcnt(0) lgkmcnt(9)
	v_fma_f32 v23, -v44, v24, v23
	v_fma_f32 v22, -v44, v25, v22
	s_waitcnt lgkmcnt(8)
	v_fma_f32 v21, -v44, v26, v21
	v_fma_f32 v20, -v44, v27, v20
	s_waitcnt lgkmcnt(7)
	;; [unrolled: 3-line block ×9, first 2 shown]
	v_fma_f32 v5, -v44, v42, v5
	v_fma_f32 v4, -v44, v43, v4
	s_cbranch_scc1 .LBB27_18
.LBB27_19:
	s_or_b32 s7, s4, 1
	s_mul_i32 s3, s4, 0x64
	s_mul_i32 s7, s7, 24
	s_delay_alu instid0(SALU_CYCLE_1) | instskip(SKIP_2) | instid1(SALU_CYCLE_1)
	s_add_i32 s9, s7, s4
	s_add_i32 s10, s7, 0xa8
	s_lshl_b32 s9, s9, 2
	v_dual_mov_b32 v2, s3 :: v_dual_mov_b32 v3, s9
	s_add_i32 s9, s7, 0x48
	s_or_b32 s14, s10, s4
	s_or_b32 s11, s9, s4
	ds_load_2addr_b32 v[69:70], v2 offset1:100
	ds_load_b64 v[33:34], v3
	ds_load_b96 v[49:51], v3 offset:96
	s_add_i32 s9, s9, s4
	s_lshl_b32 s11, s11, 2
	ds_load_b128 v[24:27], v3 offset:192
	s_lshl_b32 s9, s9, 2
	s_delay_alu instid0(SALU_CYCLE_1)
	v_dual_mov_b32 v28, s11 :: v_dual_mov_b32 v3, s9
	ds_load_b128 v[28:31], v28
	ds_load_2addr_b32 v[71:72], v2 offset0:150 offset1:175
	ds_load_b128 v[35:38], v3 offset:96
	ds_load_b128 v[39:42], v3 offset:192
	s_add_i32 s10, s10, s4
	s_lshl_b32 s9, s14, 2
	s_addk_i32 s7, 0x108
	s_lshl_b32 s10, s10, 2
	s_delay_alu instid0(SALU_CYCLE_1)
	v_dual_mov_b32 v52, s9 :: v_dual_mov_b32 v75, s10
	s_waitcnt lgkmcnt(7)
	v_mul_f32_e32 v32, v69, v23
	s_or_b32 s11, s7, s4
	s_add_i32 s7, s7, s4
	ds_load_2addr_b32 v[73:74], v2 offset0:200 offset1:225
	s_lshl_b32 s7, s7, 2
	s_waitcnt lgkmcnt(7)
	v_fma_f32 v22, -v32, v33, v22
	s_lshl_b32 s11, s11, 2
	s_delay_alu instid0(VALU_DEP_1)
	v_mul_f32_e32 v33, v34, v22
	s_waitcnt lgkmcnt(6)
	v_fma_f32 v43, -v32, v49, v21
	s_waitcnt lgkmcnt(5)
	v_fma_f32 v24, -v32, v24, v20
	ds_load_b128 v[20:23], v3 offset:288
	s_waitcnt lgkmcnt(5)
	v_fma_f32 v19, -v32, v28, v19
	s_waitcnt lgkmcnt(2)
	v_fma_f32 v17, -v32, v39, v17
	v_fma_f32 v34, -v33, v50, v43
	ds_load_2addr_b64 v[43:46], v3 offset0:14 offset1:26
	ds_load_b128 v[47:50], v52
	v_fma_f32 v24, -v33, v25, v24
	v_fma_f32 v17, -v33, v40, v17
	v_mul_f32_e32 v34, v51, v34
	ds_load_b96 v[67:69], v3 offset:304
	ds_load_b128 v[51:54], v52 offset:16
	v_fma_f32 v3, -v32, v35, v18
	v_fma_f32 v18, -v33, v29, v19
	ds_load_b128 v[59:62], v75 offset:96
	ds_load_b128 v[63:66], v75 offset:112
	v_fma_f32 v19, -v34, v26, v24
	v_fma_f32 v3, -v33, v36, v3
	;; [unrolled: 1-line block ×3, first 2 shown]
	s_delay_alu instid0(VALU_DEP_3)
	v_mul_f32_e32 v35, v27, v19
	ds_load_b32 v76, v75 offset:128
	ds_load_b128 v[24:27], v75 offset:192
	s_waitcnt lgkmcnt(8)
	v_fma_f32 v16, -v32, v20, v16
	v_fma_f32 v3, -v34, v37, v3
	;; [unrolled: 1-line block ×3, first 2 shown]
	s_waitcnt lgkmcnt(6)
	v_fma_f32 v19, -v32, v47, v15
	v_fma_f32 v16, -v33, v21, v16
	;; [unrolled: 1-line block ×3, first 2 shown]
	ds_load_b128 v[28:31], v75 offset:208
	v_mul_f32_e32 v15, v70, v18
	v_fma_f32 v18, -v33, v48, v19
	v_fma_f32 v16, -v34, v22, v16
	s_waitcnt lgkmcnt(4)
	v_fma_f32 v14, -v32, v59, v14
	ds_load_b128 v[19:22], v75 offset:288
	ds_load_b128 v[36:39], v75 offset:304
	v_fma_f32 v3, -v15, v43, v3
	v_fma_f32 v23, -v35, v23, v16
	s_delay_alu instid0(VALU_DEP_2) | instskip(SKIP_4) | instid1(VALU_DEP_3)
	v_mul_f32_e32 v16, v44, v3
	v_fma_f32 v3, -v33, v60, v14
	s_waitcnt lgkmcnt(3)
	v_fma_f32 v13, -v32, v24, v13
	v_add_nc_u32_e64 v44, 0x200, s3
	v_fma_f32 v3, -v34, v61, v3
	v_mov_b32_e32 v61, s7
	v_fma_f32 v17, -v34, v41, v17
	v_fma_f32 v18, -v34, v49, v18
	;; [unrolled: 1-line block ×3, first 2 shown]
	ds_load_b64 v[48:49], v75 offset:224
	ds_load_2addr_b32 v[59:60], v44 offset0:122 offset1:147
	s_waitcnt lgkmcnt(3)
	v_fma_f32 v12, -v32, v19, v12
	v_fma_f32 v14, -v35, v50, v18
	v_mov_b32_e32 v50, s11
	v_fma_f32 v17, -v35, v42, v17
	v_fma_f32 v18, -v15, v67, v23
	v_fma_f32 v3, -v35, v62, v3
	v_fma_f32 v14, -v15, v51, v14
	v_fma_f32 v13, -v34, v26, v13
	v_fma_f32 v17, -v15, v45, v17
	v_fma_f32 v18, -v16, v68, v18
	v_fma_f32 v3, -v15, v63, v3
	v_fma_f32 v14, -v16, v52, v14
	ds_load_b128 v[23:26], v50
	v_fma_f32 v17, -v16, v46, v17
	v_fma_f32 v13, -v35, v27, v13
	v_fma_f32 v3, -v16, v64, v3
	v_fma_f32 v12, -v33, v20, v12
	ds_load_b128 v[40:43], v61 offset:96
	v_mul_f32_e32 v17, v71, v17
	v_fma_f32 v13, -v15, v28, v13
	ds_load_b128 v[44:47], v61 offset:112
	v_fma_f32 v12, -v34, v21, v12
	v_fma_f32 v18, -v17, v69, v18
	;; [unrolled: 1-line block ×3, first 2 shown]
	s_delay_alu instid0(VALU_DEP_3) | instskip(NEXT) | instid1(VALU_DEP_3)
	v_fma_f32 v22, -v35, v22, v12
	v_mul_f32_e32 v18, v72, v18
	v_fma_f32 v14, -v17, v53, v14
	v_fma_f32 v3, -v17, v65, v3
	;; [unrolled: 1-line block ×3, first 2 shown]
	ds_load_b128 v[27:30], v50 offset:16
	s_waitcnt lgkmcnt(3)
	v_fma_f32 v23, -v32, v23, v11
	v_fma_f32 v14, -v18, v54, v14
	;; [unrolled: 1-line block ×3, first 2 shown]
	ds_load_b96 v[52:54], v75 offset:320
	v_fma_f32 v22, -v15, v36, v22
	v_fma_f32 v21, -v18, v31, v21
	v_mul_f32_e32 v19, v73, v14
	ds_load_b128 v[11:14], v2 offset:1344
	v_fma_f32 v22, -v16, v37, v22
	v_fma_f32 v3, -v19, v76, v3
	s_delay_alu instid0(VALU_DEP_1) | instskip(SKIP_2) | instid1(VALU_DEP_2)
	v_mul_f32_e32 v20, v74, v3
	v_fma_f32 v3, -v33, v24, v23
	v_fma_f32 v21, -v19, v48, v21
	;; [unrolled: 1-line block ×3, first 2 shown]
	s_delay_alu instid0(VALU_DEP_2) | instskip(NEXT) | instid1(VALU_DEP_2)
	v_fma_f32 v21, -v20, v49, v21
	v_fma_f32 v3, -v35, v26, v3
	;; [unrolled: 1-line block ×3, first 2 shown]
	ds_load_b128 v[22:25], v50 offset:32
	ds_load_b128 v[48:51], v2 offset:1360
	s_waitcnt lgkmcnt(2)
	v_fma_f32 v9, -v32, v11, v9
	v_fma_f32 v3, -v15, v27, v3
	;; [unrolled: 1-line block ×3, first 2 shown]
	v_mul_f32_e32 v21, v59, v21
	s_delay_alu instid0(VALU_DEP_4) | instskip(NEXT) | instid1(VALU_DEP_4)
	v_fma_f32 v26, -v33, v12, v9
	v_fma_f32 v3, -v16, v28, v3
	s_delay_alu instid0(VALU_DEP_4) | instskip(NEXT) | instid1(VALU_DEP_3)
	v_fma_f32 v27, -v19, v52, v11
	v_fma_f32 v13, -v34, v13, v26
	s_delay_alu instid0(VALU_DEP_3) | instskip(NEXT) | instid1(VALU_DEP_3)
	v_fma_f32 v3, -v17, v29, v3
	v_fma_f32 v36, -v20, v53, v27
	ds_load_b128 v[26:29], v2 offset:1440
	v_fma_f32 v10, -v32, v40, v10
	v_fma_f32 v13, -v35, v14, v13
	;; [unrolled: 1-line block ×3, first 2 shown]
	v_add_nc_u32_e64 v30, 0x400, s3
	v_fma_f32 v14, -v21, v54, v36
	v_fma_f32 v10, -v33, v41, v10
	s_waitcnt lgkmcnt(1)
	v_fma_f32 v13, -v15, v48, v13
	v_fma_f32 v3, -v19, v22, v3
	s_mul_i32 s3, s5, 24
	v_mul_f32_e32 v22, v60, v14
	v_fma_f32 v10, -v34, v42, v10
	s_add_i32 s3, s3, s4
	v_fma_f32 v3, -v20, v23, v3
	v_fma_f32 v23, -v16, v49, v13
	s_lshl_b32 s3, s3, 2
	v_fma_f32 v10, -v35, v43, v10
	s_add_i32 s4, s4, 20
	v_fma_f32 v3, -v21, v24, v3
	v_fma_f32 v23, -v17, v50, v23
	s_waitcnt lgkmcnt(0)
	v_fma_f32 v8, -v32, v26, v8
	v_fma_f32 v31, -v15, v44, v10
	ds_load_b128 v[9:12], v61 offset:128
	v_fma_f32 v3, -v22, v25, v3
	v_fma_f32 v23, -v18, v51, v23
	;; [unrolled: 1-line block ×4, first 2 shown]
	s_delay_alu instid0(VALU_DEP_2) | instskip(NEXT) | instid1(VALU_DEP_2)
	v_fma_f32 v24, -v34, v28, v24
	v_fma_f32 v40, -v17, v46, v31
	ds_load_b128 v[36:39], v2 offset:1376
	ds_load_2addr_b32 v[30:31], v30 offset0:44 offset1:144
	ds_load_b64 v[13:14], v61 offset:144
	v_fma_f32 v24, -v35, v29, v24
	v_fma_f32 v40, -v18, v47, v40
	s_waitcnt lgkmcnt(3)
	s_delay_alu instid0(VALU_DEP_1) | instskip(SKIP_4) | instid1(VALU_DEP_2)
	v_fma_f32 v9, -v19, v9, v40
	ds_load_b128 v[40:43], v2 offset:1456
	v_fma_f32 v9, -v20, v10, v9
	s_waitcnt lgkmcnt(3)
	v_fma_f32 v26, -v19, v36, v23
	v_fma_f32 v25, -v21, v11, v9
	ds_load_b96 v[52:54], v2 offset:1392
	ds_load_b128 v[8:11], v2 offset:1536
	s_waitcnt lgkmcnt(4)
	v_dual_mul_f32 v23, v30, v3 :: v_dual_mov_b32 v30, s3
	v_fma_f32 v3, -v22, v12, v25
	v_fma_f32 v12, -v20, v37, v26
	ds_load_b128 v[25:28], v2 offset:1472
	s_waitcnt lgkmcnt(4)
	v_fma_f32 v3, -v23, v13, v3
	v_fma_f32 v12, -v21, v38, v12
	s_waitcnt lgkmcnt(3)
	v_fma_f32 v13, -v15, v40, v24
	s_delay_alu instid0(VALU_DEP_3) | instskip(NEXT) | instid1(VALU_DEP_3)
	v_mul_f32_e32 v24, v14, v3
	v_fma_f32 v3, -v22, v39, v12
	s_delay_alu instid0(VALU_DEP_3)
	v_fma_f32 v12, -v16, v41, v13
	ds_load_b128 v[36:39], v2 offset:1632
	ds_load_b128 v[44:47], v2 offset:1552
	ds_load_b128 v[48:51], v2 offset:1728
	ds_load_b128 v[63:66], v2 offset:1568
	s_waitcnt lgkmcnt(5)
	v_fma_f32 v7, -v32, v8, v7
	v_fma_f32 v8, -v17, v42, v12
	;; [unrolled: 1-line block ×3, first 2 shown]
	ds_load_b128 v[67:70], v30 offset:16
	v_fma_f32 v7, -v33, v9, v7
	v_fma_f32 v12, -v18, v43, v8
	;; [unrolled: 1-line block ×3, first 2 shown]
	ds_load_b64 v[52:53], v2 offset:1696
	ds_load_b128 v[40:43], v2 offset:1488
	v_fma_f32 v13, -v34, v10, v7
	ds_load_b128 v[7:10], v30
	s_waitcnt lgkmcnt(8)
	v_fma_f32 v29, -v19, v25, v12
	v_mul_f32_e32 v25, v54, v3
	v_fma_f32 v59, -v35, v11, v13
	ds_load_b128 v[11:14], v2 offset:1648
	s_waitcnt lgkmcnt(8)
	v_fma_f32 v6, -v32, v36, v6
	v_fma_f32 v3, -v20, v26, v29
	s_waitcnt lgkmcnt(6)
	v_fma_f32 v5, -v32, v48, v5
	v_fma_f32 v26, -v15, v44, v59
	ds_load_b128 v[59:62], v2 offset:1744
	v_fma_f32 v6, -v33, v37, v6
	v_fma_f32 v3, -v21, v27, v3
	;; [unrolled: 1-line block ×4, first 2 shown]
	s_delay_alu instid0(VALU_DEP_4) | instskip(NEXT) | instid1(VALU_DEP_4)
	v_fma_f32 v6, -v34, v38, v6
	v_fma_f32 v44, -v22, v28, v3
	s_delay_alu instid0(VALU_DEP_3)
	v_fma_f32 v26, -v17, v46, v26
	s_waitcnt lgkmcnt(2)
	v_fma_f32 v4, -v32, v7, v4
	v_fma_f32 v6, -v35, v39, v6
	;; [unrolled: 1-line block ×3, first 2 shown]
	ds_load_b128 v[36:39], v2 offset:1584
	v_fma_f32 v45, -v18, v47, v26
	ds_load_b128 v[26:29], v2 offset:1760
	v_fma_f32 v8, -v33, v8, v4
	s_waitcnt lgkmcnt(3)
	v_fma_f32 v11, -v15, v11, v6
	ds_load_b128 v[3:6], v2 offset:1664
	v_fma_f32 v7, -v35, v51, v7
	v_fma_f32 v40, -v23, v40, v44
	;; [unrolled: 1-line block ×5, first 2 shown]
	s_waitcnt lgkmcnt(3)
	v_fma_f32 v7, -v15, v59, v7
	v_fma_f32 v40, -v24, v41, v40
	;; [unrolled: 1-line block ×6, first 2 shown]
	ds_load_b128 v[7:10], v30 offset:32
	v_fma_f32 v11, -v15, v67, v11
	v_fma_f32 v44, -v18, v14, v13
	;; [unrolled: 1-line block ×4, first 2 shown]
	s_delay_alu instid0(VALU_DEP_4)
	v_fma_f32 v47, -v16, v68, v11
	ds_load_b128 v[11:14], v2 offset:1680
	s_waitcnt lgkmcnt(2)
	v_fma_f32 v3, -v19, v3, v44
	v_fma_f32 v44, -v18, v62, v45
	;; [unrolled: 1-line block ×3, first 2 shown]
	s_delay_alu instid0(VALU_DEP_3) | instskip(NEXT) | instid1(VALU_DEP_3)
	v_fma_f32 v3, -v20, v4, v3
	v_fma_f32 v4, -v19, v26, v44
	ds_load_b128 v[44:47], v2 offset:1776
	v_fma_f32 v26, -v18, v70, v41
	v_fma_f32 v41, -v22, v66, v48
	;; [unrolled: 1-line block ×4, first 2 shown]
	ds_load_b128 v[48:51], v30 offset:48
	s_waitcnt lgkmcnt(3)
	v_fma_f32 v5, -v19, v7, v26
	v_fma_f32 v7, -v23, v36, v41
	;; [unrolled: 1-line block ×7, first 2 shown]
	s_waitcnt lgkmcnt(2)
	v_fma_f32 v3, -v23, v11, v3
	v_fma_f32 v4, -v22, v29, v4
	ds_load_b96 v[27:29], v2 offset:1792
	v_fma_f32 v5, -v21, v9, v5
	v_mul_f32_e32 v26, v43, v6
	v_fma_f32 v6, -v25, v38, v7
	v_fma_f32 v3, -v24, v12, v3
	s_waitcnt lgkmcnt(2)
	v_fma_f32 v2, -v23, v44, v4
	v_fma_f32 v4, -v22, v10, v5
	;; [unrolled: 1-line block ×4, first 2 shown]
	s_delay_alu instid0(VALU_DEP_4)
	v_fma_f32 v8, -v24, v45, v2
	s_waitcnt lgkmcnt(1)
	v_fma_f32 v9, -v23, v48, v4
	ds_load_b128 v[2:5], v30 offset:64
	v_mul_f32_e32 v6, v31, v6
	v_fma_f32 v7, -v26, v14, v7
	v_fma_f32 v8, -v25, v46, v8
	;; [unrolled: 1-line block ×3, first 2 shown]
	s_delay_alu instid0(VALU_DEP_3) | instskip(NEXT) | instid1(VALU_DEP_3)
	v_fma_f32 v7, -v6, v52, v7
	v_fma_f32 v8, -v26, v47, v8
	s_delay_alu instid0(VALU_DEP_3) | instskip(NEXT) | instid1(VALU_DEP_3)
	v_fma_f32 v9, -v25, v50, v9
	v_mul_f32_e32 v7, v53, v7
	s_waitcnt lgkmcnt(1)
	s_delay_alu instid0(VALU_DEP_3) | instskip(NEXT) | instid1(VALU_DEP_3)
	v_fma_f32 v8, -v6, v27, v8
	v_fma_f32 v9, -v26, v51, v9
	s_delay_alu instid0(VALU_DEP_2) | instskip(SKIP_1) | instid1(VALU_DEP_2)
	v_fma_f32 v8, -v7, v28, v8
	s_waitcnt lgkmcnt(0)
	v_fma_f32 v2, -v6, v2, v9
	s_delay_alu instid0(VALU_DEP_2) | instskip(NEXT) | instid1(VALU_DEP_2)
	v_mul_f32_e32 v8, v29, v8
	v_fma_f32 v2, -v7, v3, v2
	s_delay_alu instid0(VALU_DEP_1) | instskip(NEXT) | instid1(VALU_DEP_1)
	v_fma_f32 v2, -v8, v4, v2
	v_mul_f32_e32 v9, v5, v2
	s_clause 0x4
	global_store_b128 v[0:1], v[32:35], off
	global_store_b128 v[0:1], v[15:18], off offset:16
	global_store_b128 v[0:1], v[19:22], off offset:32
	;; [unrolled: 1-line block ×4, first 2 shown]
.LBB27_20:
	s_cmp_ge_i32 s4, s2
	s_cbranch_scc1 .LBB27_31
; %bb.21:
	s_add_i32 s3, s4, -1
	s_add_u32 s5, s12, s0
	s_addc_u32 s7, s13, s1
	v_add_co_u32 v6, vcc_lo, s5, v57
	v_add_co_ci_u32_e32 v7, vcc_lo, s7, v58, vcc_lo
	s_mul_i32 s7, s4, 0x60
	s_delay_alu instid0(VALU_DEP_2) | instskip(NEXT) | instid1(VALU_DEP_2)
	v_add_co_u32 v0, vcc_lo, v6, 28
	v_add_co_ci_u32_e32 v1, vcc_lo, 0, v7, vcc_lo
	s_mov_b32 s11, 0
	s_mov_b32 s14, s4
	;; [unrolled: 1-line block ×3, first 2 shown]
	s_branch .LBB27_23
.LBB27_22:                              ;   in Loop: Header=BB27_23 Depth=1
	s_mul_i32 s5, s4, 0x64
	v_add_nc_u16 v5, s14, 1
	v_mov_b32_e32 v4, s5
	s_add_i32 s4, s4, 1
	s_add_i32 s9, s9, 1
	s_addk_i32 s7, 0x60
	v_readfirstlane_b32 s14, v5
	ds_load_b32 v4, v4
	s_cmp_ge_i32 s4, s2
	s_waitcnt lgkmcnt(0)
	v_mul_f32_e32 v4, v4, v8
	global_store_b32 v[2:3], v4, off
	s_cbranch_scc1 .LBB27_31
.LBB27_23:                              ; =>This Loop Header: Depth=1
                                        ;     Child Loop BB27_26 Depth 2
                                        ;     Child Loop BB27_30 Depth 2
	s_ashr_i32 s5, s4, 31
	s_delay_alu instid0(SALU_CYCLE_1)
	s_lshl_b64 s[16:17], s[4:5], 2
	s_cmp_eq_u32 s4, 0
	v_add_co_u32 v2, vcc_lo, v55, s16
	v_add_co_ci_u32_e32 v3, vcc_lo, s17, v56, vcc_lo
	global_load_b32 v4, v[2:3], off
	s_waitcnt vmcnt(0)
	v_mul_f32_e32 v8, s15, v4
	s_cbranch_scc1 .LBB27_22
; %bb.24:                               ;   in Loop: Header=BB27_23 Depth=1
	s_add_i32 s5, s3, s9
	s_delay_alu instid0(SALU_CYCLE_1)
	s_cmp_lt_u32 s5, 7
	s_cbranch_scc1 .LBB27_28
; %bb.25:                               ;   in Loop: Header=BB27_23 Depth=1
	v_dual_mov_b32 v5, v1 :: v_dual_mov_b32 v4, v0
	s_and_b32 s10, s4, -8
	s_mov_b32 s5, 0
	s_mov_b32 s16, s7
	.p2align	6
.LBB27_26:                              ;   Parent Loop BB27_23 Depth=1
                                        ; =>  This Inner Loop Header: Depth=2
	s_clause 0x1
	global_load_b128 v[9:12], v[4:5], off offset:-28
	global_load_b128 v[13:16], v[4:5], off offset:-12
	v_mov_b32_e32 v21, s16
	v_add_co_u32 v4, vcc_lo, v4, 32
	v_add_co_ci_u32_e32 v5, vcc_lo, 0, v5, vcc_lo
	ds_load_b128 v[17:20], v21
	ds_load_b128 v[21:24], v21 offset:16
	s_add_i32 s5, s5, 8
	s_add_i32 s16, s16, 32
	s_cmp_lg_u32 s10, s5
	s_waitcnt vmcnt(1) lgkmcnt(1)
	v_fma_f32 v8, -v9, v17, v8
	s_delay_alu instid0(VALU_DEP_1) | instskip(NEXT) | instid1(VALU_DEP_1)
	v_fma_f32 v8, -v10, v18, v8
	v_fma_f32 v8, -v11, v19, v8
	s_delay_alu instid0(VALU_DEP_1) | instskip(SKIP_1) | instid1(VALU_DEP_1)
	v_fma_f32 v8, -v12, v20, v8
	s_waitcnt vmcnt(0) lgkmcnt(0)
	v_fma_f32 v8, -v13, v21, v8
	s_delay_alu instid0(VALU_DEP_1) | instskip(NEXT) | instid1(VALU_DEP_1)
	v_fma_f32 v8, -v14, v22, v8
	v_fma_f32 v8, -v15, v23, v8
	s_delay_alu instid0(VALU_DEP_1)
	v_fma_f32 v8, -v16, v24, v8
	s_cbranch_scc1 .LBB27_26
; %bb.27:                               ;   in Loop: Header=BB27_23 Depth=1
	s_and_b32 s5, s4, 7
	s_delay_alu instid0(SALU_CYCLE_1)
	s_cmp_eq_u32 s5, 0
	s_cbranch_scc0 .LBB27_29
	s_branch .LBB27_22
.LBB27_28:                              ;   in Loop: Header=BB27_23 Depth=1
	s_mov_b32 s10, 0
	s_and_b32 s5, s4, 7
	s_delay_alu instid0(SALU_CYCLE_1)
	s_cmp_eq_u32 s5, 0
	s_cbranch_scc1 .LBB27_22
.LBB27_29:                              ;   in Loop: Header=BB27_23 Depth=1
	s_lshl_b64 s[16:17], s[10:11], 2
	s_and_b32 s5, s14, 7
	v_add_co_u32 v4, vcc_lo, v6, s16
	v_add_co_ci_u32_e32 v5, vcc_lo, s17, v7, vcc_lo
	s_lshl_b32 s10, s10, 2
.LBB27_30:                              ;   Parent Loop BB27_23 Depth=1
                                        ; =>  This Inner Loop Header: Depth=2
	global_load_b32 v9, v[4:5], off
	s_add_i32 s16, s7, s10
	v_add_co_u32 v4, vcc_lo, v4, 4
	v_mov_b32_e32 v10, s16
	v_add_co_ci_u32_e32 v5, vcc_lo, 0, v5, vcc_lo
	s_add_i32 s5, s5, -1
	s_add_i32 s10, s10, 4
	ds_load_b32 v10, v10
	s_cmp_lg_u32 s5, 0
	s_waitcnt vmcnt(0) lgkmcnt(0)
	v_fma_f32 v8, -v9, v10, v8
	s_cbranch_scc1 .LBB27_30
	s_branch .LBB27_22
.LBB27_31:
	s_mov_b32 s3, 0
.LBB27_32:
	s_delay_alu instid0(SALU_CYCLE_1)
	s_and_b32 vcc_lo, exec_lo, s3
	s_cbranch_vccz .LBB27_54
; %bb.33:
	s_cmp_gt_i32 s6, 23
	s_mov_b32 s4, s8
	s_cbranch_scc0 .LBB27_35
; %bb.34:
	s_ashr_i32 s9, s8, 31
	s_mov_b32 s3, 0
	s_lshl_b64 s[4:5], s[8:9], 2
	s_mul_i32 s10, s8, 0x64
	v_add_co_u32 v23, vcc_lo, v55, s4
	v_add_co_ci_u32_e32 v24, vcc_lo, s5, v56, vcc_lo
	s_lshl_b64 s[4:5], s[2:3], 2
	s_add_i32 s6, s2, -4
	v_add_co_u32 v4, vcc_lo, v55, s4
	global_load_b32 v25, v[23:24], off
	v_add_co_ci_u32_e32 v5, vcc_lo, s5, v56, vcc_lo
	s_clause 0x4
	global_load_b128 v[16:19], v[4:5], off offset:-32
	global_load_b128 v[12:15], v[4:5], off offset:-48
	global_load_b96 v[20:22], v[4:5], off offset:-16
	global_load_b128 v[8:11], v[4:5], off offset:-64
	global_load_b128 v[0:3], v[4:5], off offset:-80
	s_mul_i32 s4, s8, 24
	s_mul_i32 s3, s2, 0x64
	s_add_i32 s24, s2, s4
	s_add_i32 s25, s10, 0xffffff9c
	s_lshl_b32 s24, s24, 2
	s_add_i32 s26, s6, s4
	s_add_i32 s33, s10, 0xfffffda8
	;; [unrolled: 1-line block ×3, first 2 shown]
	s_add_i32 s24, s24, -8
	s_add_i32 s9, s2, -6
	s_sub_i32 s27, s4, 24
	s_sub_i32 s28, s4, 48
	s_add_i32 s5, s4, 0xffffff88
	s_add_i32 s35, s3, 0xfffffc7c
	s_delay_alu instid0(SALU_CYCLE_1) | instskip(SKIP_1) | instid1(SALU_CYCLE_1)
	v_dual_mov_b32 v34, s25 :: v_dual_mov_b32 v69, s35
	s_lshl_b32 s25, s26, 2
	v_dual_mov_b32 v26, s33 :: v_dual_mov_b32 v35, s25
	v_dual_mov_b32 v70, s39 :: v_dual_mov_b32 v27, s24
	s_add_i32 s11, s2, -9
	s_add_i32 s18, s2, -13
	s_add_i32 s29, s10, 0xfffffed4
	s_add_i32 s30, s9, s4
	;; [unrolled: 1-line block ×10, first 2 shown]
	s_delay_alu instid0(SALU_CYCLE_1)
	v_dual_mov_b32 v30, s29 :: v_dual_mov_b32 v67, s41
	s_lshl_b32 s29, s30, 2
	s_add_i32 s30, s5, s11
	s_add_i32 s11, s11, s34
	;; [unrolled: 1-line block ×4, first 2 shown]
	s_lshl_b32 s25, s26, 2
	s_lshl_b32 s26, s6, 2
	;; [unrolled: 1-line block ×3, first 2 shown]
	s_add_i32 s37, s3, 0xfffffbb4
	s_lshl_b32 s11, s11, 2
	s_lshl_b32 s18, s18, 2
	v_dual_mov_b32 v28, s26 :: v_dual_mov_b32 v65, s11
	v_dual_mov_b32 v64, s28 :: v_dual_mov_b32 v59, s18
	ds_load_b32 v79, v26
	ds_load_2addr_b32 v[26:27], v27 offset1:1
	v_dual_mov_b32 v50, s37 :: v_dual_mov_b32 v31, s29
	global_load_b128 v[4:7], v[4:5], off offset:-96
	ds_load_2addr_b32 v[28:29], v28 offset1:1
	ds_load_b32 v87, v30
	ds_load_2addr_b32 v[30:31], v31 offset1:1
	ds_load_2addr_b32 v[32:33], v64 offset0:112 offset1:113
	s_lshl_b32 s9, s9, 2
	s_add_i32 s14, s2, -10
	s_add_i32 s24, s9, 0xffffffa0
	s_add_i32 s16, s2, -11
	s_add_i32 s17, s2, -12
	s_add_i32 s31, s10, 0xfffffe0c
	s_add_i32 s36, s4, 0xffffff28
	s_add_i32 s19, s2, -14
	s_add_i32 s20, s2, -15
	;; [unrolled: 1-line block ×3, first 2 shown]
	s_add_i32 s40, s4, 0xfffffec8
	s_add_i32 s34, s34, s14
	;; [unrolled: 1-line block ×3, first 2 shown]
	v_mov_b32_e32 v80, s24
	s_add_i32 s43, s3, 0xfffff95c
	s_delay_alu instid0(SALU_CYCLE_1)
	v_dual_mov_b32 v54, s31 :: v_dual_mov_b32 v83, s43
	s_add_i32 s31, s5, s16
	s_add_i32 s16, s16, s36
	;; [unrolled: 1-line block ×3, first 2 shown]
	s_lshl_b32 s27, s27, 2
	s_lshl_b32 s29, s30, 2
	s_add_i32 s38, s38, s19
	s_add_i32 s35, s5, s20
	;; [unrolled: 1-line block ×4, first 2 shown]
	s_lshl_b32 s14, s14, 2
	s_add_i32 s19, s19, s5
	s_lshl_b32 s30, s34, 2
	s_lshl_b32 s34, s36, 2
	s_delay_alu instid0(SALU_CYCLE_1)
	v_dual_mov_b32 v38, s27 :: v_dual_mov_b32 v71, s34
	s_add_i32 s27, s29, 0xffffffa0
	s_sub_i32 s22, s2, 17
	s_sub_i32 s23, s2, 18
	s_add_i32 s42, s4, 0xfffffe98
	s_add_i32 s17, s17, s5
	s_lshl_b32 s36, s38, 2
	s_lshl_b32 s38, s40, 2
	s_delay_alu instid0(SALU_CYCLE_1) | instskip(SKIP_1) | instid1(SALU_CYCLE_1)
	v_dual_mov_b32 v40, s14 :: v_dual_mov_b32 v75, s38
	s_lshl_b32 s19, s19, 2
	v_dual_mov_b32 v66, s30 :: v_dual_mov_b32 v73, s19
	s_add_i32 s37, s5, s22
	s_add_i32 s22, s22, s42
	;; [unrolled: 1-line block ×3, first 2 shown]
	s_lshl_b32 s31, s31, 2
	s_lshl_b32 s16, s16, 2
	s_lshl_b32 s17, s17, 2
	s_lshl_b32 s33, s33, 2
	s_lshl_b32 s20, s20, 2
	v_dual_mov_b32 v36, s25 :: v_dual_mov_b32 v63, s9
	s_add_i32 s25, s9, 0xffffff40
	s_lshl_b32 s22, s22, 2
	s_lshl_b32 s40, s42, 2
	s_sub_i32 s26, s28, 32
	s_add_i32 s28, s31, 0xffffffa0
	s_add_i32 s29, s31, 0xffffff40
	;; [unrolled: 1-line block ×3, first 2 shown]
	v_dual_mov_b32 v68, s16 :: v_dual_mov_b32 v77, s22
	v_dual_mov_b32 v48, s17 :: v_dual_mov_b32 v81, s25
	s_add_i32 s16, s33, 0xffffffa0
	s_add_i32 s17, s33, 0xffffff40
	;; [unrolled: 1-line block ×4, first 2 shown]
	s_addk_i32 s33, 0xfe20
	s_add_i32 s18, s36, 0x420
	s_delay_alu instid0(SALU_CYCLE_1)
	v_dual_mov_b32 v74, s20 :: v_dual_mov_b32 v61, s18
	s_add_i32 s20, s38, 0x4e0
	ds_load_b32 v90, v34
	ds_load_2addr_b32 v[34:35], v35 offset1:1
	ds_load_2addr_b32 v[36:37], v36 offset1:1
	;; [unrolled: 1-line block ×4, first 2 shown]
	ds_load_2addr_b32 v[42:43], v66 offset0:168 offset1:169
	ds_load_2addr_b32 v[44:45], v66 offset0:144 offset1:145
	ds_load_2addr_b32 v[46:47], v71 offset0:216 offset1:217
	ds_load_2addr_b32 v[48:49], v48 offset1:1
	ds_load_b32 v91, v50
	v_dual_mov_b32 v72, s36 :: v_dual_mov_b32 v51, s26
	s_add_i32 s52, s40, 0x540
	s_add_i32 s45, s38, 0x420
	;; [unrolled: 1-line block ×3, first 2 shown]
	s_lshl_b32 s37, s37, 2
	s_lshl_b32 s21, s21, 2
	s_add_i32 s23, s23, s5
	s_add_i32 s44, s38, 0x480
	s_delay_alu instid0(SALU_CYCLE_1)
	v_dual_mov_b32 v76, s21 :: v_dual_mov_b32 v85, s44
	s_add_i32 s21, s37, 0xffffffa0
	s_add_i32 s38, s37, 0xffffff40
	;; [unrolled: 1-line block ×8, first 2 shown]
	s_addk_i32 s37, 0xfca0
	s_lshl_b32 s23, s23, 2
	s_add_i32 s22, s40, 0x5a0
	s_add_i32 s53, s40, 0x4e0
	v_dual_mov_b32 v78, s23 :: v_dual_mov_b32 v89, s22
	s_add_i32 s54, s40, 0x480
	s_lshl_b32 s35, s35, 2
	s_addk_i32 s40, 0x420
	s_add_i32 s19, s35, 0xffffffa0
	s_sub_i32 s7, s2, 19
	s_add_i32 s36, s35, 0xffffff40
	s_add_i32 s39, s5, s7
	;; [unrolled: 1-line block ×3, first 2 shown]
	s_lshl_b32 s6, s39, 2
	s_add_i32 s39, s35, 0xfffffee0
	s_add_i32 s55, s6, 0xffffff40
	;; [unrolled: 1-line block ×5, first 2 shown]
	s_addk_i32 s35, 0xfd60
	s_add_i32 s9, s6, 0xfffffe20
	s_add_i32 s23, s6, 0xffffffa0
	s_add_i32 s10, s4, 0xfffffe68
	s_add_i32 s11, s6, 0xfffffe80
	s_add_i32 s7, s7, s10
	v_mov_b32_e32 v99, s55
	s_lshl_b32 s7, s7, 2
	s_waitcnt vmcnt(6)
	v_dual_mul_f32 v25, s15, v25 :: v_dual_mov_b32 v82, s27
	s_waitcnt lgkmcnt(14)
	s_delay_alu instid0(VALU_DEP_1) | instskip(SKIP_3) | instid1(VALU_DEP_3)
	v_dual_mul_f32 v25, v27, v25 :: v_dual_mov_b32 v52, s33
	v_mov_b32_e32 v84, s20
	v_mov_b32_e32 v86, s45
	s_waitcnt lgkmcnt(11)
	v_dual_mov_b32 v88, s37 :: v_dual_mul_f32 v27, v25, v31
	v_mul_f32_e32 v92, v25, v30
	s_waitcnt lgkmcnt(10)
	v_mul_f32_e32 v93, v25, v33
	v_mul_f32_e32 v94, v25, v32
	ds_load_2addr_b32 v[50:51], v51 offset1:1
	ds_load_2addr_b32 v[52:53], v52 offset1:1
	;; [unrolled: 1-line block ×6, first 2 shown]
	s_waitcnt vmcnt(5)
	v_fma_f32 v74, v19, s15, -v27
	v_fma_f32 v84, v18, s15, -v92
	;; [unrolled: 1-line block ×4, first 2 shown]
	ds_load_2addr_b32 v[16:17], v71 offset0:192 offset1:193
	ds_load_2addr_b32 v[18:19], v64 offset0:88 offset1:89
	v_mul_f32_e32 v26, v25, v26
	s_waitcnt lgkmcnt(12)
	v_mul_f32_e32 v27, v25, v43
	v_mul_f32_e32 v42, v25, v42
	s_waitcnt lgkmcnt(10)
	v_mul_f32_e32 v43, v25, v47
	v_mul_f32_e32 v46, v25, v46
	s_waitcnt vmcnt(3)
	v_fma_f32 v22, v22, s15, -v26
	v_fma_f32 v47, v15, s15, -v27
	v_mul_f32_e32 v27, v25, v35
	v_mul_f32_e32 v34, v25, v34
	v_fma_f32 v94, v14, s15, -v42
	v_mul_f32_e32 v22, v90, v22
	v_fma_f32 v95, v13, s15, -v43
	s_waitcnt lgkmcnt(4)
	v_mul_f32_e32 v35, v25, v62
	s_waitcnt lgkmcnt(2)
	v_mul_f32_e32 v62, v25, v33
	v_mul_f32_e32 v32, v25, v32
	v_mul_f32_e32 v61, v25, v61
	v_fma_f32 v39, -v22, v39, v74
	v_fma_f32 v74, -v22, v38, v84
	s_waitcnt vmcnt(2)
	v_fma_f32 v62, v9, s15, -v62
	s_waitcnt lgkmcnt(0)
	v_fma_f32 v90, -v22, v18, v93
	v_mov_b32_e32 v93, s16
	v_fma_f32 v46, v12, s15, -v46
	ds_load_2addr_b32 v[12:13], v72 offset0:168 offset1:169
	ds_load_2addr_b32 v[14:15], v85 offset1:1
	ds_load_2addr_b32 v[42:43], v86 offset1:1
	v_fma_f32 v85, v21, s15, -v27
	v_fma_f32 v86, v20, s15, -v34
	ds_load_2addr_b32 v[26:27], v88 offset1:1
	ds_load_2addr_b32 v[33:34], v77 offset1:1
	;; [unrolled: 1-line block ×3, first 2 shown]
	v_fma_f32 v32, v8, s15, -v32
	ds_load_2addr_b32 v[8:9], v72 offset0:240 offset1:241
	v_mov_b32_e32 v88, s28
	v_fma_f32 v77, v11, s15, -v35
	v_mov_b32_e32 v35, s52
	v_fma_f32 v61, v10, s15, -v61
	ds_load_2addr_b32 v[10:11], v64 offset0:64 offset1:65
	v_fma_f32 v86, -v22, v36, v86
	v_fma_f32 v84, -v22, v19, v92
	ds_load_2addr_b32 v[18:19], v66 offset0:120 offset1:121
	ds_load_2addr_b32 v[35:36], v35 offset1:1
	v_fma_f32 v85, -v22, v37, v85
	v_fma_f32 v47, -v22, v45, v47
	;; [unrolled: 1-line block ×3, first 2 shown]
	ds_load_2addr_b32 v[37:38], v63 offset1:1
	ds_load_2addr_b32 v[44:45], v73 offset1:1
	v_fma_f32 v46, -v22, v16, v46
	s_waitcnt lgkmcnt(10)
	v_fma_f32 v32, -v22, v14, v32
	v_mov_b32_e32 v89, s29
	s_waitcnt lgkmcnt(6)
	v_mul_f32_e32 v21, v25, v21
	v_mul_f32_e32 v20, v25, v20
	s_waitcnt lgkmcnt(5)
	v_fma_f32 v73, -v22, v9, v77
	v_fma_f32 v61, -v22, v8, v61
	v_mov_b32_e32 v77, s30
	s_waitcnt vmcnt(1)
	v_fma_f32 v8, v3, s15, -v21
	v_fma_f32 v9, v2, s15, -v20
	ds_load_2addr_b32 v[2:3], v71 offset0:168 offset1:169
	v_fma_f32 v63, -v22, v17, v95
	ds_load_2addr_b32 v[16:17], v72 offset0:216 offset1:217
	v_mul_f32_e32 v21, v29, v85
	s_waitcnt lgkmcnt(4)
	v_fma_f32 v94, -v22, v35, v9
	v_mov_b32_e32 v35, s53
	v_fma_f32 v20, -v22, v15, v62
	v_fma_f32 v62, -v22, v36, v8
	;; [unrolled: 1-line block ×3, first 2 shown]
	ds_load_2addr_b32 v[8:9], v80 offset1:1
	ds_load_2addr_b32 v[14:15], v81 offset1:1
	ds_load_b32 v54, v54
	ds_load_2addr_b32 v[28:29], v64 offset0:40 offset1:41
	ds_load_2addr_b32 v[35:36], v35 offset1:1
	v_fma_f32 v97, -v21, v43, v20
	v_dual_mov_b32 v85, s17 :: v_dual_mul_f32 v20, v87, v86
	v_fma_f32 v80, -v21, v11, v84
	v_fma_f32 v81, -v21, v10, v90
	ds_load_2addr_b32 v[10:11], v71 offset0:144 offset1:145
	s_waitcnt lgkmcnt(9)
	v_fma_f32 v74, -v21, v37, v74
	v_mov_b32_e32 v37, s54
	v_fma_f32 v39, -v21, v38, v39
	s_waitcnt lgkmcnt(7)
	v_fma_f32 v95, -v21, v3, v63
	v_fma_f32 v96, -v21, v2, v46
	ds_load_2addr_b32 v[2:3], v72 offset0:192 offset1:193
	s_waitcnt lgkmcnt(7)
	v_fma_f32 v72, -v21, v17, v73
	v_fma_f32 v73, -v21, v16, v61
	ds_load_2addr_b32 v[16:17], v66 offset0:96 offset1:97
	v_mov_b32_e32 v46, s40
	v_fma_f32 v90, -v21, v19, v47
	v_fma_f32 v92, -v21, v18, v92
	ds_load_2addr_b32 v[18:19], v64 offset0:16 offset1:17
	v_fma_f32 v32, -v21, v42, v32
	ds_load_2addr_b32 v[37:38], v37 offset1:1
	ds_load_2addr_b32 v[42:43], v46 offset1:1
	;; [unrolled: 1-line block ×3, first 2 shown]
	s_waitcnt lgkmcnt(7)
	v_fma_f32 v78, -v21, v36, v62
	v_fma_f32 v86, -v21, v35, v94
	ds_load_2addr_b32 v[35:36], v75 offset0:240 offset1:241
	ds_load_2addr_b32 v[61:62], v68 offset1:1
	v_fma_f32 v39, -v20, v9, v39
	v_fma_f32 v74, -v20, v8, v74
	v_fma_f32 v80, -v20, v29, v80
	v_fma_f32 v81, -v20, v28, v81
	ds_load_2addr_b32 v[28:29], v82 offset1:1
	ds_load_2addr_b32 v[63:64], v65 offset1:1
	ds_load_2addr_b32 v[8:9], v66 offset0:72 offset1:73
	s_waitcnt lgkmcnt(11)
	v_fma_f32 v10, -v20, v10, v96
	s_waitcnt lgkmcnt(10)
	v_fma_f32 v2, -v20, v2, v73
	v_fma_f32 v3, -v20, v3, v72
	v_mov_b32_e32 v84, s31
	s_waitcnt lgkmcnt(9)
	v_fma_f32 v82, -v20, v17, v90
	v_fma_f32 v87, -v20, v16, v92
	ds_load_2addr_b32 v[16:17], v71 offset0:120 offset1:121
	ds_load_2addr_b32 v[65:66], v76 offset1:1
	ds_load_b32 v90, v67
	v_fma_f32 v71, -v20, v11, v95
	v_mul_f32_e32 v11, v15, v39
	ds_load_2addr_b32 v[67:68], v75 offset0:216 offset1:217
	v_dual_mov_b32 v72, s34 :: v_dual_mov_b32 v75, s39
	v_mov_b32_e32 v73, s19
	v_fma_f32 v14, -v11, v14, v74
	s_waitcnt lgkmcnt(8)
	v_fma_f32 v15, -v20, v36, v97
	v_fma_f32 v19, -v11, v19, v80
	;; [unrolled: 1-line block ×5, first 2 shown]
	s_waitcnt lgkmcnt(4)
	v_fma_f32 v9, -v11, v9, v82
	v_fma_f32 v39, -v11, v13, v3
	;; [unrolled: 1-line block ×3, first 2 shown]
	v_dual_mov_b32 v74, s36 :: v_dual_mov_b32 v81, s43
	s_waitcnt lgkmcnt(3)
	v_fma_f32 v36, -v11, v16, v10
	v_mul_f32_e32 v10, v54, v14
	v_fma_f32 v35, -v11, v17, v71
	v_dual_mov_b32 v76, s41 :: v_dual_mov_b32 v71, s21
	s_waitcnt lgkmcnt(0)
	v_fma_f32 v14, -v11, v68, v15
	v_fma_f32 v2, -v10, v51, v19
	v_mov_b32_e32 v54, s48
	v_fma_f32 v41, -v10, v41, v9
	v_fma_f32 v18, -v10, v50, v18
	;; [unrolled: 1-line block ×3, first 2 shown]
	v_mul_f32_e32 v9, v79, v2
	ds_load_b32 v79, v69
	ds_load_2addr_b32 v[2:3], v88 offset1:1
	ds_load_2addr_b32 v[12:13], v89 offset1:1
	;; [unrolled: 1-line block ×3, first 2 shown]
	v_fma_f32 v67, -v10, v40, v8
	v_fma_f32 v77, -v10, v49, v35
	;; [unrolled: 1-line block ×6, first 2 shown]
	ds_load_2addr_b32 v[18:19], v93 offset1:1
	ds_load_2addr_b32 v[35:36], v85 offset1:1
	ds_load_2addr_b32 v[39:40], v84 offset1:1
	ds_load_2addr_b32 v[44:45], v72 offset1:1
	v_fma_f32 v41, -v9, v28, v41
	v_mul_f32_e32 v8, v64, v8
	v_fma_f32 v85, -v10, v66, v14
	ds_load_b32 v84, v70
	ds_load_2addr_b32 v[28:29], v73 offset1:1
	ds_load_2addr_b32 v[48:49], v74 offset1:1
	;; [unrolled: 1-line block ×3, first 2 shown]
	v_fma_f32 v93, -v10, v65, v15
	v_dual_mov_b32 v80, s42 :: v_dual_mov_b32 v87, s38
	v_fma_f32 v14, -v8, v63, v41
	v_mov_b32_e32 v96, s49
	v_dual_mov_b32 v94, s46 :: v_dual_mov_b32 v97, s51
	s_waitcnt lgkmcnt(10)
	v_fma_f32 v3, -v9, v3, v67
	v_fma_f32 v2, -v9, v2, v77
	v_dual_mul_f32 v15, v79, v14 :: v_dual_mov_b32 v82, s35
	v_mov_b32_e32 v95, s47
	s_waitcnt lgkmcnt(9)
	v_fma_f32 v3, -v8, v13, v3
	v_fma_f32 v13, -v20, v38, v78
	s_waitcnt lgkmcnt(7)
	v_fma_f32 v14, -v9, v19, v88
	v_fma_f32 v12, -v8, v12, v2
	ds_load_2addr_b32 v[63:64], v76 offset1:1
	ds_load_2addr_b32 v[65:66], v80 offset1:1
	;; [unrolled: 1-line block ×4, first 2 shown]
	v_fma_f32 v38, -v15, v17, v3
	v_fma_f32 v19, -v9, v18, v89
	ds_load_2addr_b32 v[2:3], v71 offset1:1
	ds_load_2addr_b32 v[17:18], v87 offset1:1
	;; [unrolled: 1-line block ×4, first 2 shown]
	v_fma_f32 v13, -v11, v43, v13
	s_waitcnt lgkmcnt(14)
	v_fma_f32 v36, -v8, v36, v14
	v_fma_f32 v12, -v15, v16, v12
	v_mul_f32_e32 v14, v62, v38
	v_fma_f32 v19, -v8, v35, v19
	v_fma_f32 v16, -v10, v47, v13
	s_waitcnt lgkmcnt(10)
	v_fma_f32 v13, -v9, v29, v92
	v_fma_f32 v29, -v15, v40, v36
	;; [unrolled: 1-line block ×3, first 2 shown]
	v_mov_b32_e32 v32, s50
	ds_load_2addr_b32 v[75:76], v54 offset1:1
	ds_load_2addr_b32 v[77:78], v96 offset1:1
	;; [unrolled: 1-line block ×4, first 2 shown]
	v_fma_f32 v28, -v9, v28, v85
	s_waitcnt lgkmcnt(13)
	v_fma_f32 v32, -v8, v49, v13
	v_mul_f32_e32 v13, v91, v12
	v_fma_f32 v19, -v15, v39, v19
	v_fma_f32 v29, -v14, v45, v29
	s_waitcnt lgkmcnt(7)
	v_fma_f32 v3, -v9, v3, v93
	v_fma_f32 v12, -v8, v48, v28
	;; [unrolled: 1-line block ×5, first 2 shown]
	s_waitcnt lgkmcnt(6)
	v_fma_f32 v3, -v8, v18, v3
	v_fma_f32 v18, -v15, v50, v12
	v_fma_f32 v28, -v14, v64, v28
	v_fma_f32 v19, -v13, v52, v19
	v_mul_f32_e32 v12, v60, v29
	v_fma_f32 v2, -v9, v2, v16
	v_fma_f32 v16, -v14, v63, v18
	;; [unrolled: 1-line block ×3, first 2 shown]
	s_waitcnt lgkmcnt(5)
	v_fma_f32 v3, -v15, v72, v3
	v_fma_f32 v19, -v12, v59, v19
	v_mov_b32_e32 v98, s23
	v_fma_f32 v16, -v13, v65, v16
	v_fma_f32 v18, -v12, v68, v18
	s_waitcnt lgkmcnt(4)
	v_fma_f32 v3, -v14, v74, v3
	v_mul_f32_e32 v19, v84, v19
	v_fma_f32 v29, -v20, v37, v86
	v_fma_f32 v16, -v12, v67, v16
	v_mov_b32_e32 v52, s7
	s_waitcnt lgkmcnt(3)
	v_fma_f32 v28, -v13, v76, v3
	v_fma_f32 v18, -v19, v70, v18
	;; [unrolled: 1-line block ×4, first 2 shown]
	s_add_i32 s7, s6, 0xfffffd60
	v_mov_b32_e32 v32, s11
	v_dual_mul_f32 v18, v31, v18 :: v_dual_mov_b32 v31, s14
	v_fma_f32 v17, -v8, v17, v2
	ds_load_b32 v51, v83
	ds_load_2addr_b32 v[2:3], v98 offset1:1
	v_fma_f32 v35, -v10, v46, v29
	v_fma_f32 v16, -v18, v30, v16
	ds_load_2addr_b32 v[30:31], v31 offset1:1
	v_fma_f32 v17, -v15, v71, v17
	s_sub_i32 s11, s2, 20
	s_delay_alu instid0(SALU_CYCLE_1) | instskip(SKIP_1) | instid1(VALU_DEP_1)
	s_add_i32 s14, s10, s11
	s_add_i32 s11, s11, s5
	v_fma_f32 v17, -v14, v73, v17
	s_delay_alu instid0(VALU_DEP_1) | instskip(SKIP_3) | instid1(VALU_DEP_3)
	v_fma_f32 v36, -v13, v75, v17
	v_mul_f32_e32 v17, v90, v16
	s_waitcnt lgkmcnt(5)
	v_fma_f32 v28, -v12, v78, v28
	v_fma_f32 v16, -v12, v77, v36
	s_waitcnt lgkmcnt(1)
	v_fma_f32 v3, -v9, v3, v35
	ds_load_2addr_b32 v[35:36], v32 offset1:1
	v_fma_f32 v28, -v19, v80, v28
	v_fma_f32 v16, -v19, v79, v16
	s_delay_alu instid0(VALU_DEP_2) | instskip(SKIP_4) | instid1(SALU_CYCLE_1)
	v_fma_f32 v37, -v18, v82, v28
	ds_load_2addr_b32 v[28:29], v99 offset1:1
	v_fma_f32 v27, -v17, v27, v37
	v_mov_b32_e32 v37, s9
	s_lshl_b32 s9, s14, 2
	s_add_i32 s10, s9, 0x660
	ds_load_2addr_b32 v[37:38], v37 offset1:1
	s_waitcnt lgkmcnt(1)
	v_fma_f32 v3, -v8, v29, v3
	v_mov_b32_e32 v29, s7
	s_add_i32 s7, s9, 0x600
	s_delay_alu instid0(SALU_CYCLE_1) | instskip(NEXT) | instid1(VALU_DEP_3)
	v_dual_mov_b32 v32, s10 :: v_dual_mov_b32 v43, s7
	v_fma_f32 v3, -v15, v31, v3
	s_add_i32 s7, s9, 0x5a0
	s_add_i32 s10, s6, 0xfffffdc0
	ds_load_2addr_b32 v[39:40], v32 offset1:1
	ds_load_2addr_b32 v[31:32], v29 offset1:1
	v_fma_f32 v3, -v14, v36, v3
	v_mov_b32_e32 v29, s7
	s_add_i32 s7, s9, 0x540
	v_mov_b32_e32 v41, s10
	v_fma_f32 v36, -v18, v81, v16
	v_mov_b32_e32 v16, s7
	s_add_i32 s7, s9, 0x4e0
	ds_load_2addr_b32 v[43:44], v43 offset1:1
	s_waitcnt lgkmcnt(3)
	v_fma_f32 v3, -v13, v38, v3
	v_mov_b32_e32 v38, s7
	ds_load_2addr_b32 v[41:42], v41 offset1:1
	ds_load_2addr_b32 v[45:46], v29 offset1:1
	s_lshl_b32 s7, s11, 2
	s_add_i32 s9, s6, 0xfffffd00
	ds_load_2addr_b32 v[49:50], v38 offset1:1
	ds_load_2addr_b32 v[47:48], v16 offset1:1
	s_add_i32 s10, s4, 0xfffffe38
	s_sub_i32 s11, s2, 22
	s_waitcnt lgkmcnt(6)
	v_mul_f32_e32 v29, v25, v40
	s_add_i32 s14, s10, s11
	s_add_i32 s11, s11, s5
	s_delay_alu instid0(VALU_DEP_1)
	v_fma_f32 v1, v1, s15, -v29
	v_mov_b32_e32 v29, s7
	s_add_i32 s7, s3, 0xfffff894
	v_mul_f32_e32 v16, v34, v27
	v_fma_f32 v34, -v17, v26, v36
	ds_load_2addr_b32 v[26:27], v29 offset1:1
	v_mov_b32_e32 v29, s7
	s_waitcnt lgkmcnt(4)
	v_fma_f32 v3, -v12, v42, v3
	s_add_i32 s7, s6, 0xfffffca0
	v_fma_f32 v34, -v16, v33, v34
	v_mov_b32_e32 v36, s7
	ds_load_b32 v54, v29
	v_fma_f32 v1, -v22, v44, v1
	v_fma_f32 v3, -v19, v32, v3
	v_dual_mov_b32 v32, s9 :: v_dual_mul_f32 v29, v25, v39
	s_add_i32 s7, s6, 0xfffffc40
	s_waitcnt lgkmcnt(4)
	v_fma_f32 v1, -v21, v46, v1
	v_mov_b32_e32 v40, s7
	s_sub_i32 s7, s2, 21
	s_addk_i32 s6, 0xfbe0
	s_add_i32 s9, s5, s7
	s_waitcnt lgkmcnt(2)
	v_fma_f32 v1, -v20, v48, v1
	v_fma_f32 v0, v0, s15, -v29
	v_mov_b32_e32 v29, s6
	s_lshl_b32 s6, s9, 2
	s_add_i32 s7, s7, s10
	v_fma_f32 v1, -v11, v50, v1
	s_add_i32 s9, s6, 0xffffffa0
	v_fma_f32 v44, -v22, v43, v0
	s_add_i32 s16, s6, 0xfffffd00
	s_lshl_b32 s7, s7, 2
	s_waitcnt lgkmcnt(1)
	v_fma_f32 v27, -v10, v27, v1
	ds_load_2addr_b32 v[0:1], v32 offset1:1
	v_mov_b32_e32 v32, s9
	s_add_i32 s9, s6, 0xffffff40
	ds_load_2addr_b32 v[38:39], v36 offset1:1
	ds_load_2addr_b32 v[42:43], v40 offset1:1
	v_fma_f32 v2, -v9, v2, v27
	v_fma_f32 v27, -v21, v45, v44
	ds_load_2addr_b32 v[44:45], v32 offset1:1
	v_mov_b32_e32 v36, s9
	s_add_i32 s9, s6, 0xfffffee0
	v_fma_f32 v2, -v8, v28, v2
	v_fma_f32 v32, -v20, v47, v27
	v_mov_b32_e32 v40, s9
	ds_load_2addr_b32 v[27:28], v36 offset1:1
	ds_load_2addr_b32 v[46:47], v29 offset1:1
	s_add_i32 s9, s6, 0xfffffe80
	v_fma_f32 v2, -v15, v30, v2
	v_fma_f32 v32, -v11, v49, v32
	ds_load_2addr_b32 v[29:30], v40 offset1:1
	v_mov_b32_e32 v36, s9
	s_add_i32 s9, s6, 0xfffffe20
	v_fma_f32 v35, -v14, v35, v2
	v_fma_f32 v26, -v10, v26, v32
	s_waitcnt lgkmcnt(6)
	v_fma_f32 v3, -v18, v1, v3
	ds_load_2addr_b32 v[32:33], v36 offset1:1
	ds_load_2addr_b32 v[1:2], v52 offset1:1
	s_waitcnt lgkmcnt(5)
	v_fma_f32 v26, -v9, v45, v26
	v_fma_f32 v36, -v17, v39, v3
	v_mul_f32_e32 v3, v51, v34
	v_fma_f32 v34, -v13, v37, v35
	v_mov_b32_e32 v35, s9
	s_add_i32 s9, s6, 0xfffffdc0
	s_waitcnt lgkmcnt(4)
	v_fma_f32 v26, -v8, v28, v26
	v_fma_f32 v43, -v16, v43, v36
	v_mov_b32_e32 v36, s9
	s_lshl_b32 s9, s14, 2
	v_fma_f32 v28, -v12, v41, v34
	s_add_i32 s14, s9, 0x720
	s_waitcnt lgkmcnt(2)
	v_fma_f32 v26, -v15, v30, v26
	v_mov_b32_e32 v30, s14
	s_add_i32 s14, s6, 0xfffffd60
	v_fma_f32 v28, -v19, v31, v28
	v_mov_b32_e32 v37, s14
	v_mov_b32_e32 v41, s16
	ds_load_2addr_b32 v[30:31], v30 offset1:1
	s_add_i32 s14, s9, 0x6c0
	s_waitcnt lgkmcnt(2)
	v_fma_f32 v26, -v14, v33, v26
	v_fma_f32 v0, -v18, v0, v28
	ds_load_2addr_b32 v[33:34], v35 offset1:1
	ds_load_2addr_b32 v[35:36], v36 offset1:1
	;; [unrolled: 1-line block ×4, first 2 shown]
	v_mov_b32_e32 v37, s7
	s_add_i32 s7, s6, 0xfffffca0
	v_mov_b32_e32 v28, s14
	s_add_i32 s14, s9, 0x660
	s_add_i32 s10, s9, 0x600
	ds_load_2addr_b32 v[59:60], v37 offset1:1
	v_mov_b32_e32 v37, s7
	ds_load_2addr_b32 v[50:51], v28 offset1:1
	v_dual_mov_b32 v28, s14 :: v_dual_mov_b32 v41, s10
	s_addk_i32 s9, 0x5a0
	s_lshl_b32 s7, s11, 2
	v_fma_f32 v0, -v17, v38, v0
	ds_load_2addr_b32 v[52:53], v28 offset1:1
	ds_load_2addr_b32 v[61:62], v41 offset1:1
	s_waitcnt lgkmcnt(8)
	v_dual_mul_f32 v28, v25, v31 :: v_dual_mov_b32 v31, s9
	s_waitcnt lgkmcnt(7)
	v_fma_f32 v26, -v13, v34, v26
	v_fma_f32 v0, -v16, v42, v0
	s_waitcnt vmcnt(0)
	v_fma_f32 v7, v7, s15, -v28
	ds_load_2addr_b32 v[63:64], v31 offset1:1
	v_mov_b32_e32 v28, s7
	ds_load_2addr_b32 v[65:66], v28 offset1:1
	ds_load_2addr_b32 v[67:68], v37 offset1:1
	s_waitcnt lgkmcnt(5)
	v_fma_f32 v7, -v22, v51, v7
	s_add_i32 s7, s6, 0xfffffc40
	v_fma_f32 v26, -v12, v36, v26
	v_mov_b32_e32 v31, s7
	s_add_i32 s7, s6, 0xfffffbe0
	s_waitcnt lgkmcnt(4)
	v_fma_f32 v7, -v21, v53, v7
	v_mov_b32_e32 v28, s7
	v_fma_f32 v26, -v19, v40, v26
	ds_load_2addr_b32 v[36:37], v31 offset1:1
	s_add_i32 s7, s6, 0xfffffb80
	s_waitcnt lgkmcnt(4)
	v_fma_f32 v7, -v20, v62, v7
	ds_load_2addr_b32 v[40:41], v28 offset1:1
	v_fma_f32 v31, -v3, v47, v43
	v_mov_b32_e32 v28, s7
	v_fma_f32 v26, -v18, v49, v26
	s_waitcnt lgkmcnt(4)
	v_fma_f32 v7, -v11, v64, v7
	v_fma_f32 v0, -v3, v46, v0
	v_mul_f32_e32 v2, v2, v31
	ds_load_2addr_b32 v[42:43], v28 offset1:1
	s_waitcnt lgkmcnt(3)
	v_fma_f32 v26, -v17, v68, v26
	v_fma_f32 v7, -v10, v66, v7
	s_addk_i32 s6, 0xfb20
	v_mul_f32_e32 v28, v25, v30
	v_mov_b32_e32 v30, s6
	s_sub_i32 s6, s2, 23
	v_fma_f32 v31, -v9, v44, v7
	v_fma_f32 v0, -v2, v1, v0
	v_fma_f32 v28, v6, s15, -v28
	s_waitcnt lgkmcnt(2)
	v_fma_f32 v26, -v16, v37, v26
	s_add_i32 s5, s5, s6
	v_fma_f32 v27, -v8, v27, v31
	ds_load_2addr_b32 v[6:7], v30 offset1:1
	s_lshl_b32 s5, s5, 2
	s_add_i32 s7, s3, 0xfffff7cc
	s_add_i32 s9, s5, 0xffffffa0
	s_waitcnt lgkmcnt(2)
	v_fma_f32 v30, -v3, v41, v26
	v_mul_f32_e32 v1, v54, v0
	v_fma_f32 v0, -v22, v50, v28
	v_mov_b32_e32 v26, s7
	v_fma_f32 v28, -v15, v29, v27
	v_mov_b32_e32 v27, s9
	s_add_i32 s7, s5, 0xffffff40
	v_fma_f32 v0, -v21, v52, v0
	v_mov_b32_e32 v29, s7
	ds_load_b32 v41, v26
	ds_load_2addr_b32 v[26:27], v27 offset1:1
	v_fma_f32 v31, -v14, v32, v28
	s_add_i32 s7, s5, 0xfffffee0
	v_fma_f32 v0, -v20, v61, v0
	ds_load_2addr_b32 v[28:29], v29 offset1:1
	s_waitcnt lgkmcnt(4)
	v_fma_f32 v30, -v2, v43, v30
	v_mov_b32_e32 v32, s7
	s_add_i32 s7, s5, 0xfffffe80
	v_fma_f32 v0, -v11, v63, v0
	v_fma_f32 v33, -v13, v33, v31
	s_waitcnt lgkmcnt(3)
	v_fma_f32 v7, -v1, v7, v30
	ds_load_2addr_b32 v[30:31], v32 offset1:1
	v_mov_b32_e32 v32, s7
	s_add_i32 s7, s4, 0xfffffe08
	s_sub_i32 s4, s2, 24
	v_fma_f32 v0, -v10, v65, v0
	s_add_i32 s4, s7, s4
	v_fma_f32 v34, -v12, v35, v33
	ds_load_2addr_b32 v[32:33], v32 offset1:1
	s_lshl_b32 s4, s4, 2
	s_waitcnt lgkmcnt(3)
	v_fma_f32 v0, -v9, v27, v0
	s_add_i32 s10, s4, 0x7e0
	s_add_i32 s9, s5, 0xfffffe20
	v_mov_b32_e32 v35, s10
	v_mov_b32_e32 v27, s9
	s_add_i32 s9, s5, 0xfffffdc0
	s_add_i32 s10, s5, 0xfffffd60
	s_waitcnt lgkmcnt(2)
	v_fma_f32 v0, -v8, v29, v0
	v_mov_b32_e32 v29, s9
	v_mov_b32_e32 v45, s10
	v_fma_f32 v39, -v19, v39, v34
	ds_load_2addr_b32 v[34:35], v35 offset1:1
	ds_load_2addr_b32 v[37:38], v27 offset1:1
	;; [unrolled: 1-line block ×4, first 2 shown]
	s_add_i32 s9, s4, 0x780
	s_waitcnt lgkmcnt(5)
	v_fma_f32 v0, -v15, v31, v0
	v_mov_b32_e32 v31, s9
	s_add_i32 s6, s6, s7
	s_add_i32 s9, s4, 0x720
	s_lshl_b32 s6, s6, 2
	s_waitcnt lgkmcnt(4)
	v_fma_f32 v27, -v14, v33, v0
	v_mov_b32_e32 v29, s9
	ds_load_2addr_b32 v[49:50], v31 offset1:1
	v_dual_mul_f32 v0, v60, v7 :: v_dual_mov_b32 v7, s6
	s_add_i32 s6, s4, 0x6c0
	ds_load_2addr_b32 v[51:52], v29 offset1:1
	v_fma_f32 v31, -v18, v48, v39
	s_add_i32 s7, s3, 0xfffff704
	ds_load_2addr_b32 v[47:48], v7 offset1:1
	v_mov_b32_e32 v29, s6
	s_add_i32 s6, s4, 0x660
	s_waitcnt lgkmcnt(6)
	v_mul_f32_e32 v7, v25, v35
	s_waitcnt lgkmcnt(5)
	v_fma_f32 v27, -v13, v38, v27
	v_mov_b32_e32 v38, s7
	ds_load_2addr_b32 v[53:54], v29 offset1:1
	s_add_i32 s7, s5, 0xfffffc40
	v_mov_b32_e32 v29, s6
	s_add_i32 s6, s4, 0x600
	v_fma_f32 v5, v5, s15, -v7
	v_mov_b32_e32 v7, s6
	v_mul_f32_e32 v35, v25, v34
	ds_load_2addr_b32 v[33:34], v29 offset1:1
	ds_load_b32 v60, v38
	s_waitcnt lgkmcnt(5)
	v_fma_f32 v29, -v22, v50, v5
	s_add_i32 s6, s5, 0xfffffd00
	v_fma_f32 v35, v4, s15, -v35
	ds_load_2addr_b32 v[4:5], v7 offset1:1
	v_mov_b32_e32 v7, s6
	s_waitcnt lgkmcnt(5)
	v_fma_f32 v29, -v21, v52, v29
	s_add_i32 s6, s5, 0xfffffca0
	v_fma_f32 v35, -v22, v49, v35
	v_add_nc_u32_e64 v49, 0x400, s4
	v_fma_f32 v27, -v12, v44, v27
	s_addk_i32 s3, 0xf6a0
	s_waitcnt lgkmcnt(3)
	v_fma_f32 v29, -v20, v54, v29
	v_fma_f32 v35, -v21, v51, v35
	ds_load_2addr_b32 v[38:39], v49 offset0:80 offset1:104
	v_mov_b32_e32 v51, s6
	s_add_i32 s6, s5, 0xfffffbe0
	v_mov_b32_e32 v54, s7
	v_fma_f32 v50, -v20, v53, v35
	s_waitcnt lgkmcnt(3)
	v_fma_f32 v29, -v11, v34, v29
	ds_load_2addr_b32 v[34:35], v7 offset1:1
	ds_load_2addr_b32 v[51:52], v51 offset1:1
	v_fma_f32 v31, -v17, v67, v31
	v_fma_f32 v7, -v11, v33, v50
	s_waitcnt lgkmcnt(3)
	v_fma_f32 v5, -v10, v5, v29
	ds_load_2addr_b32 v[49:50], v49 offset0:32 offset1:56
	v_mov_b32_e32 v29, s6
	v_fma_f32 v33, -v19, v46, v27
	v_fma_f32 v4, -v10, v4, v7
	;; [unrolled: 1-line block ×3, first 2 shown]
	v_add_nc_u32_e64 v7, 0x200, s4
	s_add_i32 s6, s5, 0xfffffb80
	s_add_i32 s7, s5, 0xfffffb20
	s_delay_alu instid0(VALU_DEP_2)
	v_fma_f32 v44, -v8, v28, v5
	s_waitcnt lgkmcnt(3)
	v_fma_f32 v39, -v9, v39, v4
	ds_load_2addr_b32 v[4:5], v7 offset0:112 offset1:136
	ds_load_2addr_b32 v[26:27], v54 offset1:1
	ds_load_2addr_b32 v[28:29], v29 offset1:1
	v_fma_f32 v7, -v16, v36, v31
	v_fma_f32 v30, -v15, v30, v44
	;; [unrolled: 1-line block ×3, first 2 shown]
	v_mov_b32_e32 v44, s4
	s_waitcnt lgkmcnt(5)
	v_fma_f32 v33, -v18, v35, v33
	v_fma_f32 v7, -v3, v40, v7
	;; [unrolled: 1-line block ×3, first 2 shown]
	s_waitcnt lgkmcnt(3)
	v_fma_f32 v35, -v15, v50, v31
	ds_load_2addr_b32 v[30:31], v44 offset0:192 offset1:216
	v_fma_f32 v38, -v17, v52, v33
	v_fma_f32 v7, -v2, v42, v7
	;; [unrolled: 1-line block ×4, first 2 shown]
	v_mov_b32_e32 v35, s6
	s_add_i32 s6, s5, 0xfffffac0
	v_mov_b32_e32 v37, s7
	v_fma_f32 v39, -v12, v43, v32
	s_waitcnt lgkmcnt(3)
	v_fma_f32 v5, -v13, v5, v33
	ds_load_2addr_b32 v[32:33], v44 offset0:144 offset1:168
	ds_load_2addr_b32 v[35:36], v35 offset1:1
	v_mov_b32_e32 v42, s6
	v_fma_f32 v39, -v19, v45, v39
	v_fma_f32 v40, -v12, v4, v5
	ds_load_2addr_b32 v[4:5], v37 offset1:1
	s_waitcnt lgkmcnt(5)
	v_fma_f32 v27, -v16, v27, v38
	s_addk_i32 s5, 0xfa60
	v_fma_f32 v34, -v18, v34, v39
	v_fma_f32 v6, -v1, v6, v7
	s_waitcnt lgkmcnt(3)
	v_fma_f32 v31, -v19, v31, v40
	ds_load_2addr_b32 v[39:40], v42 offset1:1
	ds_load_2addr_b32 v[37:38], v44 offset0:96 offset1:120
	v_mov_b32_e32 v42, s5
	v_fma_f32 v34, -v17, v51, v34
	v_fma_f32 v31, -v18, v30, v31
	;; [unrolled: 1-line block ×4, first 2 shown]
	ds_load_2addr_b32 v[29:30], v42 offset1:1
	v_fma_f32 v34, -v16, v26, v34
	s_waitcnt lgkmcnt(5)
	v_fma_f32 v31, -v17, v33, v31
	ds_load_2addr_b32 v[26:27], v44 offset0:48 offset1:72
	s_waitcnt lgkmcnt(5)
	v_fma_f32 v7, -v2, v36, v7
	s_addk_i32 s4, 0xffa0
	v_fma_f32 v28, -v3, v28, v34
	v_fma_f32 v31, -v16, v32, v31
	s_waitcnt lgkmcnt(4)
	v_fma_f32 v5, -v1, v5, v7
	v_mul_f32_e32 v7, v41, v6
	v_fma_f32 v28, -v2, v35, v28
	s_waitcnt lgkmcnt(2)
	v_fma_f32 v33, -v3, v38, v31
	ds_load_2addr_b32 v[31:32], v44 offset1:24
	v_fma_f32 v5, -v0, v40, v5
	v_fma_f32 v4, -v1, v4, v28
	v_mov_b32_e32 v28, s4
	v_fma_f32 v6, -v2, v37, v33
	s_waitcnt lgkmcnt(2)
	v_fma_f32 v5, -v7, v30, v5
	v_fma_f32 v4, -v0, v39, v4
	ds_load_b32 v28, v28
	s_waitcnt lgkmcnt(2)
	v_fma_f32 v27, -v1, v27, v6
	v_mov_b32_e32 v30, s3
	v_mul_f32_e32 v6, v48, v5
	v_fma_f32 v4, -v7, v29, v4
	s_ashr_i32 s3, s2, 31
	v_fma_f32 v5, -v0, v26, v27
	ds_load_b32 v29, v30
	s_lshl_b64 s[4:5], s[2:3], 2
	v_fma_f32 v4, -v6, v47, v4
	s_waitcnt lgkmcnt(2)
	v_fma_f32 v26, -v7, v32, v5
	s_delay_alu instid0(VALU_DEP_2) | instskip(NEXT) | instid1(VALU_DEP_2)
	v_mul_f32_e32 v5, v60, v4
	v_fma_f32 v4, -v6, v31, v26
	v_add_co_u32 v26, vcc_lo, v55, s4
	v_add_co_ci_u32_e32 v27, vcc_lo, s5, v56, vcc_lo
	s_waitcnt lgkmcnt(1)
	s_delay_alu instid0(VALU_DEP_3)
	v_fma_f32 v4, -v5, v28, v4
	s_sub_i32 s4, s2, 25
	s_clause 0x4
	global_store_b32 v[23:24], v25, off
	global_store_b96 v[26:27], v[20:22], off offset:-16
	global_store_b128 v[26:27], v[8:11], off offset:-32
	global_store_b128 v[26:27], v[12:15], off offset:-48
	;; [unrolled: 1-line block ×3, first 2 shown]
	s_waitcnt lgkmcnt(0)
	v_mul_f32_e32 v4, v29, v4
	s_clause 0x1
	global_store_b128 v[26:27], v[0:3], off offset:-80
	global_store_b128 v[26:27], v[4:7], off offset:-96
.LBB27_35:
	s_cmp_gt_i32 s4, -1
	s_cbranch_scc0 .LBB27_54
; %bb.36:
	s_cmp_lt_u32 s4, 19
	s_cbranch_scc1 .LBB27_41
; %bb.37:
	s_mov_b32 s5, 0
	s_delay_alu instid0(SALU_CYCLE_1)
	s_lshl_b64 s[6:7], s[4:5], 2
	s_cmp_le_i32 s8, s4
	v_add_co_u32 v11, vcc_lo, v55, s6
	v_add_co_ci_u32_e32 v12, vcc_lo, s7, v56, vcc_lo
	s_clause 0x4
	global_load_b128 v[0:3], v[11:12], off offset:-12
	global_load_b128 v[4:7], v[11:12], off offset:-28
	;; [unrolled: 1-line block ×5, first 2 shown]
	s_waitcnt vmcnt(4)
	v_dual_mul_f32 v16, s15, v3 :: v_dual_mul_f32 v9, s15, v1
	s_waitcnt vmcnt(3)
	v_dual_mul_f32 v10, s15, v2 :: v_dual_mul_f32 v23, s15, v7
	v_dual_mul_f32 v8, s15, v0 :: v_dual_mul_f32 v3, s15, v5
	;; [unrolled: 1-line block ×3, first 2 shown]
	s_waitcnt vmcnt(2)
	v_dual_mul_f32 v2, s15, v20 :: v_dual_mul_f32 v7, s15, v19
	s_waitcnt vmcnt(1)
	v_dual_mul_f32 v6, s15, v18 :: v_dual_mul_f32 v5, s15, v27
	;; [unrolled: 2-line block ×3, first 2 shown]
	v_dual_mul_f32 v4, s15, v26 :: v_dual_mul_f32 v19, s15, v25
	v_dual_mul_f32 v18, s15, v24 :: v_dual_mul_f32 v15, s15, v30
	;; [unrolled: 1-line block ×3, first 2 shown]
	s_cbranch_scc1 .LBB27_40
; %bb.38:
	s_mul_i32 s3, s2, 0x60
	s_lshl_b32 s5, s4, 2
	s_ashr_i32 s9, s8, 31
	s_add_i32 s3, s3, s5
	s_lshl_b64 s[6:7], s[8:9], 2
	s_addk_i32 s3, 0xff54
	s_add_u32 s5, s12, s6
	s_addc_u32 s6, s13, s7
	s_add_u32 s5, s5, s0
	s_addc_u32 s6, s6, s1
	v_add_co_u32 v0, vcc_lo, s5, v57
	v_add_co_ci_u32_e32 v1, vcc_lo, s6, v58, vcc_lo
	s_mov_b32 s5, s8
.LBB27_39:                              ; =>This Inner Loop Header: Depth=1
	global_load_b32 v44, v[0:1], off
	v_mov_b32_e32 v42, s3
	v_add_co_u32 v0, vcc_lo, v0, -4
	v_add_co_ci_u32_e32 v1, vcc_lo, -1, v1, vcc_lo
	ds_load_2addr_b32 v[24:25], v42 offset0:18 offset1:19
	ds_load_2addr_b32 v[26:27], v42 offset0:16 offset1:17
	;; [unrolled: 1-line block ×9, first 2 shown]
	ds_load_2addr_b32 v[42:43], v42 offset1:1
	s_add_i32 s5, s5, -1
	s_addk_i32 s3, 0xffa0
	s_cmp_gt_i32 s5, s4
	s_waitcnt vmcnt(0) lgkmcnt(9)
	v_fma_f32 v16, -v44, v25, v16
	v_fma_f32 v10, -v44, v24, v10
	s_waitcnt lgkmcnt(8)
	v_fma_f32 v9, -v44, v27, v9
	v_fma_f32 v8, -v44, v26, v8
	s_waitcnt lgkmcnt(7)
	;; [unrolled: 3-line block ×9, first 2 shown]
	v_fma_f32 v14, -v44, v43, v14
	v_fma_f32 v13, -v44, v42, v13
	s_cbranch_scc1 .LBB27_39
.LBB27_40:
	s_mul_i32 s3, s4, 0x64
	s_add_i32 s9, s4, -3
	s_add_i32 s5, s3, -4
	s_add_i32 s7, s3, 0xffffff9c
	v_mov_b32_e32 v0, s5
	s_mul_i32 s5, s4, 24
	s_add_i32 s14, s3, 0xfffffed4
	s_add_i32 s10, s9, s5
	v_mov_b32_e32 v24, s7
	s_lshl_b32 s10, s10, 2
	s_sub_i32 s6, s5, 24
	v_mov_b32_e32 v25, s10
	ds_load_2addr_b32 v[0:1], v0 offset1:1
	s_add_i32 s10, s9, s6
	s_add_i32 s11, s4, -5
	s_lshl_b32 s10, s10, 2
	s_add_i32 s17, s11, s5
	s_sub_i32 s7, s5, 48
	s_add_i32 s16, s4, -7
	s_add_i32 s9, s9, s7
	s_add_i32 s18, s16, s5
	s_lshl_b32 s9, s9, 2
	s_lshl_b32 s18, s18, 2
	s_add_i32 s20, s4, -11
	s_add_i32 s22, s4, -13
	s_add_i32 s21, s20, s6
	s_add_i32 s24, s4, -15
	s_add_i32 s27, s3, 0xfffffa24
	s_waitcnt lgkmcnt(0)
	v_dual_mul_f32 v16, v1, v16 :: v_dual_mov_b32 v1, s14
	ds_load_b32 v30, v24
	ds_load_2addr_b32 v[24:25], v25 offset1:1
	s_lshl_b32 s14, s17, 2
	s_delay_alu instid0(SALU_CYCLE_1)
	v_dual_mov_b32 v26, s10 :: v_dual_mov_b32 v31, s14
	s_add_i32 s17, s11, s6
	v_fma_f32 v0, -v16, v0, v10
	s_lshl_b32 s14, s17, 2
	v_mov_b32_e32 v28, s9
	ds_load_2addr_b32 v[26:27], v26 offset1:1
	s_add_i32 s10, s5, 0xffffffb8
	s_add_i32 s9, s5, 0xffffffa0
	;; [unrolled: 1-line block ×3, first 2 shown]
	s_delay_alu instid0(SALU_CYCLE_1)
	s_lshl_b32 s17, s17, 2
	s_waitcnt lgkmcnt(1)
	v_fma_f32 v9, -v16, v25, v9
	v_mov_b32_e32 v25, s14
	ds_load_2addr_b32 v[28:29], v28 offset1:1
	v_mul_f32_e32 v10, v30, v0
	ds_load_b32 v30, v1
	v_fma_f32 v8, -v16, v24, v8
	ds_load_2addr_b32 v[24:25], v25 offset1:1
	ds_load_2addr_b32 v[0:1], v31 offset1:1
	s_waitcnt lgkmcnt(4)
	v_fma_f32 v9, -v10, v27, v9
	s_add_i32 s14, s11, s7
	s_add_i32 s11, s11, s9
	s_lshl_b32 s14, s14, 2
	s_lshl_b32 s11, s11, 2
	s_waitcnt lgkmcnt(3)
	v_mul_f32_e32 v9, v29, v9
	v_fma_f32 v8, -v10, v26, v8
	v_mov_b32_e32 v26, s14
	s_add_i32 s14, s3, 0xfffffe0c
	s_delay_alu instid0(VALU_DEP_2)
	v_fma_f32 v8, -v9, v28, v8
	v_mov_b32_e32 v28, s17
	ds_load_2addr_b32 v[26:27], v26 offset1:1
	v_mov_b32_e32 v31, s11
	s_waitcnt lgkmcnt(1)
	v_fma_f32 v1, -v16, v1, v23
	v_mov_b32_e32 v23, s18
	s_add_i32 s11, s16, s6
	v_mul_f32_e32 v8, v30, v8
	s_lshl_b32 s11, s11, 2
	ds_load_2addr_b32 v[28:29], v28 offset1:1
	ds_load_2addr_b32 v[30:31], v31 offset1:1
	v_mov_b32_e32 v34, s11
	ds_load_2addr_b32 v[32:33], v23 offset1:1
	s_add_i32 s11, s16, s7
	v_fma_f32 v25, -v10, v25, v1
	s_lshl_b32 s11, s11, 2
	ds_load_2addr_b32 v[34:35], v34 offset1:1
	v_dual_mov_b32 v23, s14 :: v_dual_mov_b32 v36, s11
	v_fma_f32 v22, -v16, v0, v22
	s_add_i32 s11, s16, s10
	s_add_i32 s14, s16, s9
	ds_load_b32 v37, v23
	ds_load_2addr_b32 v[0:1], v36 offset1:1
	s_lshl_b32 s11, s11, 2
	s_waitcnt lgkmcnt(6)
	v_fma_f32 v23, -v9, v27, v25
	v_fma_f32 v22, -v10, v24, v22
	v_mov_b32_e32 v24, s11
	s_lshl_b32 s14, s14, 2
	s_add_i32 s11, s5, 0xffffff88
	s_waitcnt lgkmcnt(5)
	v_fma_f32 v25, -v8, v29, v23
	v_fma_f32 v26, -v9, v26, v22
	ds_load_2addr_b32 v[22:23], v24 offset1:1
	s_waitcnt lgkmcnt(4)
	v_fma_f32 v24, -v16, v33, v3
	s_add_i32 s17, s16, s11
	v_mul_f32_e32 v3, v31, v25
	v_fma_f32 v25, -v8, v28, v26
	s_lshl_b32 s17, s17, 2
	s_waitcnt lgkmcnt(3)
	v_fma_f32 v24, -v10, v35, v24
	s_add_i32 s18, s4, -9
	v_fma_f32 v21, -v16, v32, v21
	v_fma_f32 v38, -v3, v30, v25
	v_mov_b32_e32 v25, s17
	s_waitcnt lgkmcnt(1)
	v_fma_f32 v1, -v9, v1, v24
	v_mov_b32_e32 v24, s14
	s_add_i32 s14, s5, 0xffffff70
	s_add_i32 s17, s18, s5
	;; [unrolled: 1-line block ×3, first 2 shown]
	v_fma_f32 v21, -v10, v34, v21
	s_lshl_b32 s16, s16, 2
	s_delay_alu instid0(SALU_CYCLE_1)
	v_mov_b32_e32 v27, s16
	s_add_i32 s16, s3, 0xfffffd44
	s_waitcnt lgkmcnt(0)
	v_fma_f32 v1, -v8, v23, v1
	v_mov_b32_e32 v28, s16
	s_lshl_b32 s16, s17, 2
	s_add_i32 s17, s18, s6
	v_mov_b32_e32 v29, s16
	s_lshl_b32 s16, s17, 2
	s_add_i32 s17, s3, 0xfffffda8
	v_mov_b32_e32 v30, s16
	s_add_i32 s16, s18, s7
	v_mov_b32_e32 v33, s17
	s_lshl_b32 s16, s16, 2
	ds_load_2addr_b32 v[23:24], v24 offset1:1
	ds_load_2addr_b32 v[25:26], v25 offset1:1
	v_mov_b32_e32 v31, s16
	ds_load_b32 v39, v27
	ds_load_b32 v40, v28
	ds_load_2addr_b32 v[27:28], v29 offset1:1
	ds_load_b32 v41, v33
	v_fma_f32 v0, -v9, v0, v21
	s_add_i32 s17, s18, s10
	ds_load_2addr_b32 v[31:32], v31 offset1:1
	s_lshl_b32 s16, s17, 2
	s_add_i32 s17, s18, s14
	v_fma_f32 v0, -v8, v22, v0
	s_lshl_b32 s17, s17, 2
	s_waitcnt lgkmcnt(6)
	v_fma_f32 v1, -v3, v24, v1
	s_delay_alu instid0(VALU_DEP_2) | instskip(SKIP_4) | instid1(VALU_DEP_2)
	v_fma_f32 v0, -v3, v23, v0
	s_waitcnt lgkmcnt(2)
	v_fma_f32 v21, -v16, v28, v2
	v_mul_f32_e32 v2, v37, v38
	v_fma_f32 v7, -v16, v27, v7
	v_fma_f32 v1, -v2, v26, v1
	v_mov_b32_e32 v34, s16
	s_add_i32 s16, s18, s9
	v_mov_b32_e32 v26, s17
	s_lshl_b32 s16, s16, 2
	s_waitcnt lgkmcnt(1)
	v_mul_f32_e32 v1, v41, v1
	v_mov_b32_e32 v35, s16
	ds_load_2addr_b32 v[29:30], v30 offset1:1
	ds_load_2addr_b32 v[33:34], v34 offset1:1
	s_add_i32 s16, s18, s11
	s_add_i32 s17, s5, 0xffffff40
	ds_load_2addr_b32 v[35:36], v35 offset1:1
	s_lshl_b32 s16, s16, 2
	v_fma_f32 v0, -v2, v25, v0
	v_mov_b32_e32 v28, s16
	s_add_i32 s16, s5, 0xffffff58
	s_delay_alu instid0(SALU_CYCLE_1)
	s_add_i32 s19, s18, s16
	s_add_i32 s18, s18, s17
	s_lshl_b32 s19, s19, 2
	s_lshl_b32 s18, s18, 2
	v_fma_f32 v0, -v1, v39, v0
	s_waitcnt lgkmcnt(2)
	v_fma_f32 v24, -v10, v30, v21
	ds_load_2addr_b32 v[21:22], v28 offset1:1
	v_mov_b32_e32 v28, s19
	s_add_i32 s19, s20, s5
	v_fma_f32 v7, -v10, v29, v7
	v_fma_f32 v23, -v9, v32, v24
	s_lshl_b32 s19, s19, 2
	v_mov_b32_e32 v30, s18
	s_add_i32 s18, s20, s7
	v_fma_f32 v7, -v9, v31, v7
	s_waitcnt lgkmcnt(2)
	v_fma_f32 v23, -v8, v34, v23
	s_lshl_b32 s18, s18, 2
	s_delay_alu instid0(SALU_CYCLE_1) | instskip(SKIP_3) | instid1(VALU_DEP_2)
	v_mov_b32_e32 v32, s18
	v_fma_f32 v7, -v8, v33, v7
	s_waitcnt lgkmcnt(1)
	v_fma_f32 v23, -v3, v36, v23
	v_fma_f32 v7, -v3, v35, v7
	s_waitcnt lgkmcnt(0)
	s_delay_alu instid0(VALU_DEP_2) | instskip(SKIP_2) | instid1(SALU_CYCLE_1)
	v_fma_f32 v42, -v2, v22, v23
	v_mov_b32_e32 v22, s19
	s_lshl_b32 s19, s21, 2
	v_mov_b32_e32 v24, s19
	s_add_i32 s19, s20, s10
	ds_load_2addr_b32 v[22:23], v22 offset1:1
	s_lshl_b32 s18, s19, 2
	s_add_i32 s19, s3, 0xfffffc7c
	ds_load_2addr_b32 v[24:25], v24 offset1:1
	ds_load_2addr_b32 v[26:27], v26 offset1:1
	;; [unrolled: 1-line block ×4, first 2 shown]
	v_mov_b32_e32 v34, s18
	ds_load_2addr_b32 v[32:33], v32 offset1:1
	s_add_i32 s18, s20, s9
	s_delay_alu instid0(SALU_CYCLE_1) | instskip(SKIP_3) | instid1(SALU_CYCLE_1)
	s_lshl_b32 s18, s18, 2
	ds_load_2addr_b32 v[34:35], v34 offset1:1
	v_mov_b32_e32 v36, s18
	s_add_i32 s18, s20, s11
	s_lshl_b32 s18, s18, 2
	s_delay_alu instid0(SALU_CYCLE_1)
	v_mov_b32_e32 v38, s18
	ds_load_2addr_b32 v[36:37], v36 offset1:1
	s_add_i32 s18, s20, s14
	s_waitcnt lgkmcnt(7)
	v_fma_f32 v6, -v16, v23, v6
	s_lshl_b32 s18, s18, 2
	v_mov_b32_e32 v23, s19
	ds_load_2addr_b32 v[38:39], v38 offset1:1
	s_waitcnt lgkmcnt(6)
	v_fma_f32 v27, -v1, v27, v42
	v_fma_f32 v6, -v10, v25, v6
	v_mov_b32_e32 v25, s18
	s_add_i32 s18, s20, s16
	ds_load_b32 v23, v23
	s_lshl_b32 s18, s18, 2
	v_mul_f32_e32 v0, v40, v0
	ds_load_2addr_b32 v[40:41], v25 offset1:1
	v_mov_b32_e32 v25, s18
	s_waitcnt lgkmcnt(5)
	v_fma_f32 v6, -v9, v33, v6
	v_fma_f32 v7, -v2, v21, v7
	s_add_i32 s18, s20, s17
	v_fma_f32 v21, -v0, v29, v27
	ds_load_2addr_b32 v[42:43], v25 offset1:1
	s_waitcnt lgkmcnt(5)
	v_fma_f32 v6, -v8, v35, v6
	v_fma_f32 v25, -v1, v26, v7
	;; [unrolled: 1-line block ×3, first 2 shown]
	s_lshl_b32 s18, s18, 2
	s_add_i32 s19, s5, 0xffffff28
	v_mov_b32_e32 v26, s18
	s_add_i32 s18, s20, s19
	s_waitcnt lgkmcnt(4)
	v_fma_f32 v6, -v3, v37, v6
	v_mul_f32_e32 v7, v31, v21
	v_fma_f32 v21, -v0, v28, v25
	v_fma_f32 v22, -v10, v24, v22
	s_lshl_b32 s21, s18, 2
	s_add_i32 s18, s5, 0xffffff10
	s_waitcnt lgkmcnt(3)
	v_fma_f32 v6, -v2, v39, v6
	s_add_i32 s20, s20, s18
	v_fma_f32 v21, -v7, v30, v21
	s_lshl_b32 s20, s20, 2
	v_fma_f32 v22, -v9, v32, v22
	v_mov_b32_e32 v28, s20
	s_add_i32 s20, s22, s5
	s_waitcnt lgkmcnt(1)
	v_fma_f32 v25, -v1, v41, v6
	s_lshl_b32 s20, s20, 2
	v_mul_f32_e32 v6, v23, v21
	ds_load_2addr_b32 v[20:21], v26 offset1:1
	v_fma_f32 v22, -v8, v34, v22
	v_dual_mov_b32 v23, s20 :: v_dual_mov_b32 v26, s21
	s_add_i32 s21, s22, s6
	s_waitcnt lgkmcnt(1)
	v_fma_f32 v33, -v0, v43, v25
	s_lshl_b32 s20, s21, 2
	v_fma_f32 v32, -v3, v36, v22
	v_mov_b32_e32 v24, s20
	ds_load_2addr_b32 v[22:23], v23 offset1:1
	s_add_i32 s20, s22, s7
	s_add_i32 s21, s3, 0xfffffbb4
	s_lshl_b32 s20, s20, 2
	ds_load_2addr_b32 v[24:25], v24 offset1:1
	v_dual_mov_b32 v31, s20 :: v_dual_mov_b32 v30, s21
	s_add_i32 s21, s22, s10
	ds_load_2addr_b32 v[26:27], v26 offset1:1
	ds_load_2addr_b32 v[28:29], v28 offset1:1
	ds_load_b32 v41, v30
	s_lshl_b32 s20, s21, 2
	ds_load_2addr_b32 v[30:31], v31 offset1:1
	v_mov_b32_e32 v34, s20
	s_add_i32 s20, s22, s9
	s_waitcnt lgkmcnt(6)
	v_fma_f32 v21, -v7, v21, v33
	s_lshl_b32 s20, s20, 2
	v_fma_f32 v36, -v2, v38, v32
	ds_load_2addr_b32 v[32:33], v34 offset1:1
	v_mov_b32_e32 v34, s20
	s_add_i32 s21, s22, s11
	s_waitcnt lgkmcnt(6)
	v_fma_f32 v5, -v16, v23, v5
	s_lshl_b32 s20, s21, 2
	v_fma_f32 v38, -v1, v40, v36
	ds_load_2addr_b32 v[34:35], v34 offset1:1
	v_mov_b32_e32 v23, s20
	s_waitcnt lgkmcnt(6)
	v_fma_f32 v5, -v10, v25, v5
	s_add_i32 s20, s22, s14
	s_waitcnt lgkmcnt(5)
	v_fma_f32 v21, -v6, v27, v21
	s_lshl_b32 s20, s20, 2
	ds_load_2addr_b32 v[36:37], v23 offset1:1
	v_mov_b32_e32 v25, s20
	v_fma_f32 v23, -v0, v42, v38
	s_waitcnt lgkmcnt(3)
	v_fma_f32 v5, -v9, v31, v5
	s_add_i32 s20, s22, s16
	v_fma_f32 v4, -v16, v22, v4
	s_lshl_b32 s20, s20, 2
	ds_load_2addr_b32 v[38:39], v25 offset1:1
	v_fma_f32 v20, -v7, v20, v23
	v_mov_b32_e32 v23, s20
	s_waitcnt lgkmcnt(3)
	v_fma_f32 v25, -v8, v33, v5
	s_add_i32 s20, s22, s17
	v_mul_f32_e32 v5, v29, v21
	s_lshl_b32 s20, s20, 2
	v_fma_f32 v26, -v6, v26, v20
	ds_load_2addr_b32 v[20:21], v23 offset1:1
	s_waitcnt lgkmcnt(3)
	v_fma_f32 v23, -v3, v35, v25
	v_mov_b32_e32 v25, s20
	s_add_i32 s20, s22, s19
	v_fma_f32 v27, -v5, v28, v26
	s_lshl_b32 s20, s20, 2
	s_waitcnt lgkmcnt(2)
	v_fma_f32 v23, -v2, v37, v23
	ds_load_2addr_b32 v[25:26], v25 offset1:1
	v_fma_f32 v24, -v10, v24, v4
	s_add_i32 s21, s22, s18
	v_mul_f32_e32 v4, v41, v27
	s_lshl_b32 s21, s21, 2
	s_waitcnt lgkmcnt(2)
	v_fma_f32 v28, -v1, v39, v23
	v_mov_b32_e32 v23, s20
	s_add_i32 s20, s5, 0xfffffef8
	v_mov_b32_e32 v29, s21
	s_add_i32 s23, s22, s20
	v_fma_f32 v24, -v9, v30, v24
	s_lshl_b32 s23, s23, 2
	ds_load_2addr_b32 v[22:23], v23 offset1:1
	s_waitcnt lgkmcnt(2)
	v_fma_f32 v21, -v0, v21, v28
	v_mov_b32_e32 v31, s23
	s_add_i32 s23, s24, s5
	s_add_i32 s21, s5, 0xfffffee0
	s_lshl_b32 s23, s23, 2
	s_add_i32 s22, s22, s21
	ds_load_2addr_b32 v[27:28], v29 offset1:1
	ds_load_2addr_b32 v[39:40], v31 offset1:1
	s_waitcnt lgkmcnt(3)
	v_fma_f32 v21, -v7, v26, v21
	v_mov_b32_e32 v26, s23
	s_lshl_b32 s22, s22, 2
	v_fma_f32 v24, -v8, v32, v24
	v_mov_b32_e32 v35, s22
	s_add_i32 s22, s24, s10
	ds_load_2addr_b32 v[29:30], v26 offset1:1
	s_lshl_b32 s22, s22, 2
	v_fma_f32 v24, -v3, v34, v24
	v_mov_b32_e32 v33, s22
	s_add_i32 s23, s24, s6
	s_delay_alu instid0(SALU_CYCLE_1)
	s_lshl_b32 s23, s23, 2
	s_waitcnt lgkmcnt(3)
	v_fma_f32 v21, -v6, v23, v21
	ds_load_2addr_b32 v[33:34], v33 offset1:1
	v_fma_f32 v26, -v2, v36, v24
	v_mov_b32_e32 v31, s23
	s_add_i32 s23, s24, s7
	s_waitcnt lgkmcnt(3)
	v_fma_f32 v28, -v5, v28, v21
	s_lshl_b32 s23, s23, 2
	v_fma_f32 v26, -v1, v38, v26
	ds_load_2addr_b32 v[23:24], v31 offset1:1
	v_fma_f32 v26, -v0, v20, v26
	s_waitcnt lgkmcnt(2)
	v_fma_f32 v30, -v16, v30, v19
	ds_load_2addr_b32 v[19:20], v35 offset1:1
	v_mov_b32_e32 v31, s23
	s_add_i32 s23, s24, s9
	v_fma_f32 v26, -v7, v25, v26
	s_lshl_b32 s22, s23, 2
	s_add_i32 s23, s24, s16
	ds_load_2addr_b32 v[31:32], v31 offset1:1
	v_mov_b32_e32 v36, s22
	s_add_i32 s22, s24, s11
	v_fma_f32 v26, -v6, v22, v26
	s_lshl_b32 s22, s22, 2
	v_fma_f32 v18, -v16, v29, v18
	v_mov_b32_e32 v37, s22
	ds_load_2addr_b32 v[35:36], v36 offset1:1
	s_add_i32 s22, s24, s14
	s_waitcnt lgkmcnt(3)
	v_fma_f32 v30, -v10, v24, v30
	s_lshl_b32 s22, s22, 2
	ds_load_2addr_b32 v[24:25], v37 offset1:1
	v_mov_b32_e32 v37, s22
	s_lshl_b32 s22, s23, 2
	v_fma_f32 v26, -v5, v27, v26
	v_mov_b32_e32 v27, s27
	s_sub_i32 s27, s4, 19
	ds_load_2addr_b32 v[37:38], v37 offset1:1
	s_add_i32 s23, s3, 0xfffffaec
	s_add_i32 s28, s27, s5
	s_waitcnt lgkmcnt(3)
	v_fma_f32 v30, -v9, v32, v30
	v_mov_b32_e32 v32, s22
	s_add_i32 s22, s24, s17
	s_lshl_b32 s28, s28, 2
	s_lshl_b32 s22, s22, 2
	v_fma_f32 v30, -v8, v34, v30
	v_mov_b32_e32 v34, s22
	ds_load_2addr_b32 v[41:42], v32 offset1:1
	s_add_i32 s22, s24, s19
	v_fma_f32 v28, -v4, v40, v28
	s_lshl_b32 s22, s22, 2
	ds_load_2addr_b32 v[43:44], v34 offset1:1
	v_mov_b32_e32 v32, s23
	s_waitcnt lgkmcnt(4)
	v_fma_f32 v30, -v3, v36, v30
	v_mov_b32_e32 v34, s22
	v_mul_f32_e32 v20, v20, v28
	v_fma_f32 v26, -v4, v39, v26
	ds_load_b32 v32, v32
	s_waitcnt lgkmcnt(4)
	v_fma_f32 v25, -v2, v25, v30
	ds_load_2addr_b32 v[21:22], v34 offset1:1
	s_add_i32 s22, s24, s18
	v_fma_f32 v19, -v20, v19, v26
	s_lshl_b32 s22, s22, 2
	s_waitcnt lgkmcnt(4)
	v_fma_f32 v25, -v1, v38, v25
	v_mov_b32_e32 v26, s22
	s_add_i32 s22, s24, s20
	s_add_i32 s23, s24, s21
	s_lshl_b32 s22, s22, 2
	s_waitcnt lgkmcnt(3)
	v_fma_f32 v25, -v0, v42, v25
	s_lshl_b32 s23, s23, 2
	v_fma_f32 v18, -v10, v23, v18
	v_mov_b32_e32 v34, s23
	s_add_i32 s23, s5, 0xfffffec8
	s_waitcnt lgkmcnt(2)
	v_fma_f32 v25, -v7, v44, v25
	v_fma_f32 v18, -v9, v31, v18
	s_waitcnt lgkmcnt(0)
	s_delay_alu instid0(VALU_DEP_2)
	v_fma_f32 v36, -v6, v22, v25
	ds_load_2addr_b32 v[25:26], v26 offset1:1
	v_dual_mul_f32 v19, v32, v19 :: v_dual_mov_b32 v32, s22
	s_add_i32 s22, s5, 0xfffffeb0
	v_fma_f32 v18, -v8, v33, v18
	s_add_i32 s25, s24, s22
	s_add_i32 s24, s24, s23
	s_lshl_b32 s25, s25, 2
	s_lshl_b32 s24, s24, 2
	v_mov_b32_e32 v22, s25
	s_sub_i32 s25, s4, 17
	v_mov_b32_e32 v40, s24
	s_add_i32 s26, s25, s5
	s_add_i32 s24, s25, s7
	s_lshl_b32 s26, s26, 2
	s_lshl_b32 s24, s24, 2
	v_mov_b32_e32 v28, s26
	s_add_i32 s26, s25, s6
	ds_load_2addr_b32 v[22:23], v22 offset1:1
	ds_load_b32 v53, v27
	ds_load_2addr_b32 v[27:28], v28 offset1:1
	s_lshl_b32 s26, s26, 2
	s_delay_alu instid0(SALU_CYCLE_1)
	v_dual_mov_b32 v42, s24 :: v_dual_mov_b32 v29, s26
	s_add_i32 s24, s25, s10
	v_fma_f32 v35, -v3, v35, v18
	s_lshl_b32 s24, s24, 2
	s_waitcnt lgkmcnt(3)
	v_fma_f32 v26, -v5, v26, v36
	ds_load_2addr_b32 v[29:30], v29 offset1:1
	ds_load_2addr_b32 v[31:32], v32 offset1:1
	;; [unrolled: 1-line block ×5, first 2 shown]
	v_mov_b32_e32 v18, s24
	s_add_i32 s24, s25, s9
	s_add_i32 s26, s25, s11
	s_lshl_b32 s24, s24, 2
	v_fma_f32 v24, -v2, v24, v35
	v_mov_b32_e32 v36, s24
	s_lshl_b32 s24, s26, 2
	s_add_i32 s26, s25, s16
	v_mov_b32_e32 v40, s24
	s_waitcnt lgkmcnt(5)
	v_fma_f32 v28, -v16, v28, v17
	ds_load_2addr_b32 v[17:18], v18 offset1:1
	s_add_i32 s24, s25, s14
	ds_load_2addr_b32 v[35:36], v36 offset1:1
	v_fma_f32 v24, -v1, v37, v24
	s_lshl_b32 s24, s24, 2
	ds_load_2addr_b32 v[46:47], v40 offset1:1
	s_waitcnt lgkmcnt(6)
	v_fma_f32 v26, -v4, v32, v26
	v_fma_f32 v28, -v10, v30, v28
	v_mov_b32_e32 v30, s24
	s_lshl_b32 s24, s26, 2
	v_fma_f32 v24, -v0, v41, v24
	v_mov_b32_e32 v32, s24
	s_waitcnt lgkmcnt(3)
	v_fma_f32 v28, -v9, v34, v28
	s_add_i32 s24, s25, s17
	s_add_i32 s26, s25, s20
	v_fma_f32 v24, -v7, v43, v24
	ds_load_2addr_b32 v[42:43], v32 offset1:1
	ds_load_2addr_b32 v[40:41], v30 offset1:1
	s_lshl_b32 s24, s24, 2
	v_fma_f32 v15, -v16, v27, v15
	s_waitcnt lgkmcnt(4)
	v_fma_f32 v18, -v8, v18, v28
	v_mov_b32_e32 v28, s24
	s_add_i32 s24, s25, s19
	v_fma_f32 v21, -v6, v21, v24
	s_lshl_b32 s24, s24, 2
	s_waitcnt lgkmcnt(3)
	v_fma_f32 v18, -v3, v36, v18
	v_mov_b32_e32 v30, s24
	ds_load_2addr_b32 v[36:37], v28 offset1:1
	s_add_i32 s24, s25, s18
	v_fma_f32 v21, -v5, v25, v21
	s_lshl_b32 s24, s24, 2
	s_waitcnt lgkmcnt(3)
	v_fma_f32 v18, -v2, v47, v18
	ds_load_2addr_b32 v[47:48], v30 offset1:1
	v_mov_b32_e32 v24, s24
	s_lshl_b32 s24, s26, 2
	v_fma_f32 v26, -v20, v39, v26
	v_fma_f32 v21, -v4, v31, v21
	s_waitcnt lgkmcnt(2)
	v_fma_f32 v18, -v1, v41, v18
	ds_load_2addr_b32 v[49:50], v24 offset1:1
	v_mov_b32_e32 v28, s24
	s_add_i32 s24, s25, s21
	v_fma_f32 v15, -v10, v29, v15
	s_lshl_b32 s24, s24, 2
	v_fma_f32 v30, -v19, v45, v26
	v_mov_b32_e32 v24, s24
	ds_load_2addr_b32 v[51:52], v28 offset1:1
	v_fma_f32 v18, -v0, v43, v18
	s_add_i32 s24, s25, s23
	v_fma_f32 v21, -v20, v38, v21
	ds_load_2addr_b32 v[24:25], v24 offset1:1
	s_lshl_b32 s24, s24, 2
	s_waitcnt lgkmcnt(4)
	v_fma_f32 v18, -v7, v37, v18
	v_mov_b32_e32 v28, s24
	v_fma_f32 v15, -v9, v33, v15
	v_fma_f32 v21, -v19, v44, v21
	s_add_i32 s6, s27, s6
	s_waitcnt lgkmcnt(3)
	v_fma_f32 v31, -v6, v48, v18
	ds_load_2addr_b32 v[26:27], v28 offset1:1
	v_mul_f32_e32 v18, v23, v30
	v_fma_f32 v15, -v8, v17, v15
	s_lshl_b32 s6, s6, 2
	s_waitcnt lgkmcnt(3)
	v_fma_f32 v23, -v5, v50, v31
	s_add_i32 s24, s25, s22
	v_fma_f32 v21, -v18, v22, v21
	v_fma_f32 v15, -v3, v35, v15
	s_lshl_b32 s24, s24, 2
	s_waitcnt lgkmcnt(2)
	v_fma_f32 v23, -v4, v52, v23
	v_mul_f32_e32 v17, v53, v21
	v_fma_f32 v15, -v2, v46, v15
	v_mov_b32_e32 v21, s28
	s_waitcnt lgkmcnt(1)
	v_fma_f32 v22, -v20, v25, v23
	v_mov_b32_e32 v23, s24
	s_add_i32 s24, s5, 0xfffffe98
	v_fma_f32 v15, -v1, v40, v15
	s_add_i32 s26, s25, s24
	s_addk_i32 s5, 0xfe80
	s_waitcnt lgkmcnt(0)
	v_fma_f32 v38, -v19, v27, v22
	v_mov_b32_e32 v27, s6
	ds_load_2addr_b32 v[21:22], v21 offset1:1
	s_add_i32 s6, s27, s7
	v_fma_f32 v15, -v0, v42, v15
	s_lshl_b32 s6, s6, 2
	ds_load_2addr_b32 v[27:28], v27 offset1:1
	v_mov_b32_e32 v29, s6
	s_add_i32 s6, s27, s10
	s_lshl_b32 s26, s26, 2
	s_lshl_b32 s6, s6, 2
	v_fma_f32 v15, -v7, v36, v15
	ds_load_2addr_b32 v[29:30], v29 offset1:1
	v_mov_b32_e32 v35, s6
	v_mov_b32_e32 v25, s26
	ds_load_2addr_b32 v[31:32], v23 offset1:1
	ds_load_2addr_b32 v[33:34], v25 offset1:1
	v_fma_f32 v15, -v6, v47, v15
	ds_load_2addr_b32 v[35:36], v35 offset1:1
	s_add_i32 s7, s27, s9
	s_waitcnt lgkmcnt(5)
	v_fma_f32 v14, -v16, v22, v14
	s_add_i32 s25, s25, s5
	v_fma_f32 v15, -v5, v49, v15
	s_lshl_b32 s7, s7, 2
	s_lshl_b32 s6, s25, 2
	v_mov_b32_e32 v22, s7
	s_waitcnt lgkmcnt(4)
	v_fma_f32 v25, -v10, v28, v14
	v_fma_f32 v23, -v4, v51, v15
	s_add_i32 s7, s27, s11
	v_mov_b32_e32 v37, s6
	s_add_i32 s6, s27, s14
	s_lshl_b32 s7, s7, 2
	s_lshl_b32 s6, s6, 2
	v_mov_b32_e32 v28, s7
	ds_load_2addr_b32 v[14:15], v22 offset1:1
	v_fma_f32 v39, -v20, v24, v23
	s_waitcnt lgkmcnt(4)
	v_fma_f32 v24, -v9, v30, v25
	v_mov_b32_e32 v25, s6
	v_fma_f32 v13, -v16, v21, v13
	s_add_i32 s6, s27, s16
	s_add_i32 s7, s3, 0xfffff95c
	s_waitcnt lgkmcnt(1)
	v_fma_f32 v30, -v8, v36, v24
	ds_load_2addr_b32 v[24:25], v25 offset1:1
	ds_load_2addr_b32 v[22:23], v28 offset1:1
	s_lshl_b32 s6, s6, 2
	v_fma_f32 v13, -v10, v27, v13
	v_mov_b32_e32 v40, s6
	v_mov_b32_e32 v28, s7
	s_add_i32 s6, s27, s17
	ds_load_2addr_b32 v[36:37], v37 offset1:1
	ds_load_b32 v41, v28
	s_lshl_b32 s6, s6, 2
	v_fma_f32 v28, -v18, v32, v38
	s_waitcnt lgkmcnt(4)
	v_fma_f32 v15, -v3, v15, v30
	v_fma_f32 v26, -v19, v26, v39
	ds_load_2addr_b32 v[38:39], v40 offset1:1
	v_mov_b32_e32 v21, s6
	v_fma_f32 v13, -v9, v29, v13
	s_add_i32 s7, s27, s19
	v_fma_f32 v31, -v18, v31, v26
	s_lshl_b32 s6, s7, 2
	s_add_i32 s7, s27, s20
	s_waitcnt lgkmcnt(3)
	v_fma_f32 v15, -v2, v23, v15
	v_mov_b32_e32 v23, s6
	v_fma_f32 v13, -v8, v35, v13
	s_add_i32 s6, s27, s18
	s_lshl_b32 s7, s7, 2
	v_fma_f32 v15, -v1, v25, v15
	ds_load_2addr_b32 v[25:26], v21 offset1:1
	s_lshl_b32 s6, s6, 2
	v_fma_f32 v32, -v17, v34, v28
	ds_load_2addr_b32 v[27:28], v23 offset1:1
	v_mov_b32_e32 v21, s6
	v_fma_f32 v34, -v3, v14, v13
	v_mov_b32_e32 v23, s7
	ds_load_2addr_b32 v[13:14], v21 offset1:1
	ds_load_2addr_b32 v[29:30], v23 offset1:1
	v_fma_f32 v21, -v2, v22, v34
	s_add_i32 s6, s27, s21
	s_waitcnt lgkmcnt(4)
	v_fma_f32 v15, -v0, v39, v15
	s_lshl_b32 s6, s6, 2
	s_add_i32 s7, s27, s23
	v_mov_b32_e32 v22, s6
	v_fma_f32 v24, -v1, v24, v21
	s_lshl_b32 s6, s7, 2
	s_add_i32 s7, s27, s24
	s_waitcnt lgkmcnt(3)
	v_fma_f32 v15, -v7, v26, v15
	v_mov_b32_e32 v23, s6
	ds_load_2addr_b32 v[21:22], v22 offset1:1
	v_fma_f32 v26, -v0, v38, v24
	s_add_i32 s6, s27, s22
	s_waitcnt lgkmcnt(3)
	v_fma_f32 v15, -v6, v28, v15
	ds_load_2addr_b32 v[23:24], v23 offset1:1
	s_lshl_b32 s6, s6, 2
	v_fma_f32 v25, -v7, v25, v26
	v_mov_b32_e32 v28, s6
	s_lshl_b32 s6, s7, 2
	s_waitcnt lgkmcnt(3)
	v_fma_f32 v26, -v5, v14, v15
	v_mov_b32_e32 v34, s6
	v_fma_f32 v27, -v6, v27, v25
	ds_load_2addr_b32 v[14:15], v28 offset1:1
	s_add_i32 s27, s27, s5
	s_waitcnt lgkmcnt(3)
	v_fma_f32 v28, -v4, v30, v26
	ds_load_2addr_b32 v[25:26], v34 offset1:1
	v_fma_f32 v13, -v5, v13, v27
	s_lshl_b32 s5, s27, 2
	v_fma_f32 v31, -v17, v33, v31
	v_mov_b32_e32 v30, s5
	s_waitcnt lgkmcnt(3)
	v_fma_f32 v22, -v20, v22, v28
	v_fma_f32 v13, -v4, v29, v13
	s_add_i32 s6, s5, 0xffffffa0
	s_addk_i32 s5, 0xff40
	s_addk_i32 s3, 0xf894
	s_waitcnt lgkmcnt(2)
	v_fma_f32 v22, -v19, v24, v22
	v_fma_f32 v13, -v20, v21, v13
	v_mul_f32_e32 v24, v37, v32
	v_mov_b32_e32 v34, s6
	ds_load_2addr_b32 v[27:28], v30 offset1:1
	v_mov_b32_e32 v35, s5
	v_fma_f32 v13, -v19, v23, v13
	s_waitcnt lgkmcnt(2)
	v_fma_f32 v15, -v18, v15, v22
	v_fma_f32 v23, -v24, v36, v31
	v_mov_b32_e32 v31, s3
	ds_load_2addr_b32 v[21:22], v35 offset1:1
	v_fma_f32 v13, -v18, v14, v13
	s_waitcnt lgkmcnt(2)
	v_fma_f32 v15, -v17, v26, v15
	v_mul_f32_e32 v23, v41, v23
	ds_load_b32 v26, v31
	ds_load_2addr_b32 v[29:30], v34 offset1:1
	v_fma_f32 v13, -v17, v25, v13
	s_ashr_i32 s5, s4, 31
	s_delay_alu instid0(SALU_CYCLE_1)
	s_lshl_b64 s[6:7], s[4:5], 2
	s_sub_i32 s4, s4, 20
	s_waitcnt lgkmcnt(3)
	v_fma_f32 v14, -v24, v28, v15
	v_fma_f32 v13, -v24, v27, v13
	s_waitcnt lgkmcnt(0)
	s_delay_alu instid0(VALU_DEP_2) | instskip(NEXT) | instid1(VALU_DEP_2)
	v_fma_f32 v14, -v23, v30, v14
	v_fma_f32 v15, -v23, v29, v13
	v_add_co_u32 v13, vcc_lo, v55, s6
	s_delay_alu instid0(VALU_DEP_3)
	v_mul_f32_e32 v22, v22, v14
	v_add_co_ci_u32_e32 v14, vcc_lo, s7, v56, vcc_lo
	s_clause 0x1
	global_store_b96 v[13:14], v[8:10], off offset:-12
	global_store_b128 v[13:14], v[0:3], off offset:-28
	v_fma_f32 v15, -v22, v21, v15
	s_clause 0x1
	global_store_b128 v[13:14], v[4:7], off offset:-44
	global_store_b128 v[13:14], v[17:20], off offset:-60
	v_mul_f32_e32 v21, v26, v15
	s_clause 0x1
	global_store_b32 v[11:12], v16, off
	global_store_b128 v[13:14], v[21:24], off offset:-76
.LBB27_41:
	s_cmp_lt_i32 s4, 0
	s_cbranch_scc1 .LBB27_54
; %bb.42:
	s_bitcmp1_b32 s4, 0
	s_mov_b32 s6, s4
	s_cselect_b32 s3, -1, 0
	s_delay_alu instid0(SALU_CYCLE_1)
	s_and_b32 vcc_lo, exec_lo, s3
	s_cbranch_vccnz .LBB27_47
; %bb.43:
	s_mov_b32 s5, 0
	s_delay_alu instid0(SALU_CYCLE_1)
	s_lshl_b64 s[6:7], s[4:5], 2
	s_cmp_le_i32 s8, s4
	v_add_co_u32 v0, vcc_lo, v55, s6
	v_add_co_ci_u32_e32 v1, vcc_lo, s7, v56, vcc_lo
	global_load_b32 v2, v[0:1], off
	s_waitcnt vmcnt(0)
	v_mul_f32_e32 v4, s15, v2
	s_cbranch_scc1 .LBB27_46
; %bb.44:
	s_mul_i32 s3, s2, 0x60
	s_lshl_b32 s5, s4, 2
	s_ashr_i32 s9, s8, 31
	s_add_i32 s3, s3, s5
	s_lshl_b64 s[6:7], s[8:9], 2
	s_addk_i32 s3, 0xffa0
	s_add_u32 s5, s12, s6
	s_addc_u32 s6, s13, s7
	s_add_u32 s5, s5, s0
	s_addc_u32 s6, s6, s1
	v_add_co_u32 v2, vcc_lo, s5, v57
	v_add_co_ci_u32_e32 v3, vcc_lo, s6, v58, vcc_lo
	s_mov_b32 s5, s8
.LBB27_45:                              ; =>This Inner Loop Header: Depth=1
	global_load_b32 v5, v[2:3], off
	v_mov_b32_e32 v6, s3
	v_add_co_u32 v2, vcc_lo, v2, -4
	v_add_co_ci_u32_e32 v3, vcc_lo, -1, v3, vcc_lo
	ds_load_b32 v6, v6
	s_add_i32 s5, s5, -1
	s_addk_i32 s3, 0xffa0
	s_cmp_gt_i32 s5, s4
	s_waitcnt vmcnt(0) lgkmcnt(0)
	v_fma_f32 v4, -v5, v6, v4
	s_cbranch_scc1 .LBB27_45
.LBB27_46:
	s_mul_i32 s3, s4, 0x64
	s_add_i32 s6, s4, -1
	v_mov_b32_e32 v2, s3
	ds_load_b32 v2, v2
	s_waitcnt lgkmcnt(0)
	v_mul_f32_e32 v2, v2, v4
	global_store_b32 v[0:1], v2, off
.LBB27_47:
	s_cmp_eq_u32 s4, 0
	s_mov_b32 s7, 0
	s_cbranch_scc1 .LBB27_54
; %bb.48:
	s_mul_i32 s3, s2, 0x60
	s_lshl_b32 s4, s6, 2
	s_ashr_i32 s9, s8, 31
	s_add_i32 s10, s3, s4
	s_lshl_b64 s[4:5], s[8:9], 2
	s_add_i32 s3, s10, 0xffffffa0
	s_add_u32 s4, s12, s4
	s_addc_u32 s5, s13, s5
	s_add_u32 s0, s4, s0
	s_addc_u32 s1, s5, s1
	v_add_co_u32 v0, vcc_lo, s0, v57
	v_add_co_ci_u32_e32 v1, vcc_lo, s1, v58, vcc_lo
	s_add_i32 s0, s10, 0xffffff9c
	s_branch .LBB27_50
.LBB27_49:                              ;   in Loop: Header=BB27_50 Depth=1
	s_addk_i32 s1, 0xff9c
	s_add_i32 s3, s3, -8
	v_mov_b32_e32 v4, s1
	s_add_i32 s1, s6, -2
	s_add_i32 s0, s0, -8
	s_cmp_lt_i32 s6, 2
	s_mov_b32 s6, s1
	ds_load_b32 v4, v4
	s_waitcnt lgkmcnt(0)
	v_mul_f32_e32 v4, v4, v6
	global_store_b32 v[2:3], v4, off offset:-4
	s_cbranch_scc1 .LBB27_54
.LBB27_50:                              ; =>This Loop Header: Depth=1
                                        ;     Child Loop BB27_51 Depth 2
                                        ;     Child Loop BB27_53 Depth 2
	s_lshl_b64 s[4:5], s[6:7], 2
	s_cmp_le_i32 s8, s6
	v_add_co_u32 v2, vcc_lo, v55, s4
	v_add_co_ci_u32_e32 v3, vcc_lo, s5, v56, vcc_lo
	s_mov_b32 s1, s3
	s_mov_b32 s4, s8
	global_load_b32 v2, v[2:3], off
	s_waitcnt vmcnt(0)
	v_dual_mul_f32 v4, s15, v2 :: v_dual_mov_b32 v3, v1
	v_mov_b32_e32 v2, v0
	s_cbranch_scc1 .LBB27_52
.LBB27_51:                              ;   Parent Loop BB27_50 Depth=1
                                        ; =>  This Inner Loop Header: Depth=2
	global_load_b32 v5, v[2:3], off
	v_mov_b32_e32 v6, s1
	v_add_co_u32 v2, vcc_lo, v2, -4
	v_add_co_ci_u32_e32 v3, vcc_lo, -1, v3, vcc_lo
	ds_load_b32 v6, v6
	s_add_i32 s4, s4, -1
	s_addk_i32 s1, 0xffa0
	s_cmp_gt_i32 s4, s6
	s_waitcnt vmcnt(0) lgkmcnt(0)
	v_fma_f32 v4, -v5, v6, v4
	s_cbranch_scc1 .LBB27_51
.LBB27_52:                              ;   in Loop: Header=BB27_50 Depth=1
	s_add_i32 s4, s6, -1
	s_mov_b32 s5, s7
	s_mul_i32 s1, s6, 0x64
	s_lshl_b64 s[4:5], s[4:5], 2
	s_delay_alu instid0(SALU_CYCLE_1)
	v_add_co_u32 v2, vcc_lo, v55, s4
	v_add_co_ci_u32_e32 v3, vcc_lo, s5, v56, vcc_lo
	s_ashr_i32 s5, s6, 31
	s_mov_b32 s4, s6
	global_load_b32 v5, v[2:3], off
	v_mov_b32_e32 v2, s1
	s_lshl_b64 s[4:5], s[4:5], 2
	s_cmp_lt_i32 s8, s6
	ds_load_b32 v6, v2
	v_add_co_u32 v2, vcc_lo, v55, s4
	v_add_co_ci_u32_e32 v3, vcc_lo, s5, v56, vcc_lo
	s_mov_b32 s4, s0
	s_mov_b32 s5, s2
	s_waitcnt lgkmcnt(0)
	v_mul_f32_e32 v7, v6, v4
	global_store_b32 v[2:3], v7, off
	s_waitcnt vmcnt(0)
	v_dual_mul_f32 v6, s15, v5 :: v_dual_mov_b32 v5, v1
	v_mov_b32_e32 v4, v0
	s_cbranch_scc1 .LBB27_49
.LBB27_53:                              ;   Parent Loop BB27_50 Depth=1
                                        ; =>  This Inner Loop Header: Depth=2
	global_load_b32 v7, v[4:5], off
	v_mov_b32_e32 v8, s4
	v_add_co_u32 v4, vcc_lo, v4, -4
	v_add_co_ci_u32_e32 v5, vcc_lo, -1, v5, vcc_lo
	ds_load_b32 v8, v8
	s_add_i32 s5, s5, -1
	s_addk_i32 s4, 0xffa0
	s_cmp_gt_i32 s5, s6
	s_waitcnt vmcnt(0) lgkmcnt(0)
	v_fma_f32 v6, -v7, v8, v6
	s_cbranch_scc1 .LBB27_53
	s_branch .LBB27_49
.LBB27_54:
	s_nop 0
	s_sendmsg sendmsg(MSG_DEALLOC_VGPRS)
	s_endpgm
	.section	.rodata,"a",@progbits
	.p2align	6, 0x0
	.amdhsa_kernel _ZL30rocblas_trsm_small_left_deviceILi24ELi24ELb0EffPKPKfPKPfEv13rocblas_fill_18rocblas_operation_17rocblas_diagonal_iiT3_T4_lilT5_lili
		.amdhsa_group_segment_fixed_size 2304
		.amdhsa_private_segment_fixed_size 0
		.amdhsa_kernarg_size 352
		.amdhsa_user_sgpr_count 14
		.amdhsa_user_sgpr_dispatch_ptr 0
		.amdhsa_user_sgpr_queue_ptr 0
		.amdhsa_user_sgpr_kernarg_segment_ptr 1
		.amdhsa_user_sgpr_dispatch_id 0
		.amdhsa_user_sgpr_private_segment_size 0
		.amdhsa_wavefront_size32 1
		.amdhsa_uses_dynamic_stack 0
		.amdhsa_enable_private_segment 0
		.amdhsa_system_sgpr_workgroup_id_x 1
		.amdhsa_system_sgpr_workgroup_id_y 0
		.amdhsa_system_sgpr_workgroup_id_z 1
		.amdhsa_system_sgpr_workgroup_info 0
		.amdhsa_system_vgpr_workitem_id 0
		.amdhsa_next_free_vgpr 144
		.amdhsa_next_free_sgpr 56
		.amdhsa_reserve_vcc 1
		.amdhsa_float_round_mode_32 0
		.amdhsa_float_round_mode_16_64 0
		.amdhsa_float_denorm_mode_32 3
		.amdhsa_float_denorm_mode_16_64 3
		.amdhsa_dx10_clamp 1
		.amdhsa_ieee_mode 1
		.amdhsa_fp16_overflow 0
		.amdhsa_workgroup_processor_mode 1
		.amdhsa_memory_ordered 1
		.amdhsa_forward_progress 0
		.amdhsa_shared_vgpr_count 0
		.amdhsa_exception_fp_ieee_invalid_op 0
		.amdhsa_exception_fp_denorm_src 0
		.amdhsa_exception_fp_ieee_div_zero 0
		.amdhsa_exception_fp_ieee_overflow 0
		.amdhsa_exception_fp_ieee_underflow 0
		.amdhsa_exception_fp_ieee_inexact 0
		.amdhsa_exception_int_div_zero 0
	.end_amdhsa_kernel
	.section	.text._ZL30rocblas_trsm_small_left_deviceILi24ELi24ELb0EffPKPKfPKPfEv13rocblas_fill_18rocblas_operation_17rocblas_diagonal_iiT3_T4_lilT5_lili,"axG",@progbits,_ZL30rocblas_trsm_small_left_deviceILi24ELi24ELb0EffPKPKfPKPfEv13rocblas_fill_18rocblas_operation_17rocblas_diagonal_iiT3_T4_lilT5_lili,comdat
.Lfunc_end27:
	.size	_ZL30rocblas_trsm_small_left_deviceILi24ELi24ELb0EffPKPKfPKPfEv13rocblas_fill_18rocblas_operation_17rocblas_diagonal_iiT3_T4_lilT5_lili, .Lfunc_end27-_ZL30rocblas_trsm_small_left_deviceILi24ELi24ELb0EffPKPKfPKPfEv13rocblas_fill_18rocblas_operation_17rocblas_diagonal_iiT3_T4_lilT5_lili
                                        ; -- End function
	.section	.AMDGPU.csdata,"",@progbits
; Kernel info:
; codeLenInByte = 19840
; NumSgprs: 58
; NumVgprs: 144
; ScratchSize: 0
; MemoryBound: 0
; FloatMode: 240
; IeeeMode: 1
; LDSByteSize: 2304 bytes/workgroup (compile time only)
; SGPRBlocks: 7
; VGPRBlocks: 17
; NumSGPRsForWavesPerEU: 58
; NumVGPRsForWavesPerEU: 144
; Occupancy: 10
; WaveLimiterHint : 1
; COMPUTE_PGM_RSRC2:SCRATCH_EN: 0
; COMPUTE_PGM_RSRC2:USER_SGPR: 14
; COMPUTE_PGM_RSRC2:TRAP_HANDLER: 0
; COMPUTE_PGM_RSRC2:TGID_X_EN: 1
; COMPUTE_PGM_RSRC2:TGID_Y_EN: 0
; COMPUTE_PGM_RSRC2:TGID_Z_EN: 1
; COMPUTE_PGM_RSRC2:TIDIG_COMP_CNT: 0
	.section	.text._ZL38rocblas_trsm_small_left_device_sharedBILi24ELi24ELb1EffPKPKfPKPfEv13rocblas_fill_18rocblas_operation_17rocblas_diagonal_iiT3_T4_lilT5_lili,"axG",@progbits,_ZL38rocblas_trsm_small_left_device_sharedBILi24ELi24ELb1EffPKPKfPKPfEv13rocblas_fill_18rocblas_operation_17rocblas_diagonal_iiT3_T4_lilT5_lili,comdat
	.globl	_ZL38rocblas_trsm_small_left_device_sharedBILi24ELi24ELb1EffPKPKfPKPfEv13rocblas_fill_18rocblas_operation_17rocblas_diagonal_iiT3_T4_lilT5_lili ; -- Begin function _ZL38rocblas_trsm_small_left_device_sharedBILi24ELi24ELb1EffPKPKfPKPfEv13rocblas_fill_18rocblas_operation_17rocblas_diagonal_iiT3_T4_lilT5_lili
	.p2align	8
	.type	_ZL38rocblas_trsm_small_left_device_sharedBILi24ELi24ELb1EffPKPKfPKPfEv13rocblas_fill_18rocblas_operation_17rocblas_diagonal_iiT3_T4_lilT5_lili,@function
_ZL38rocblas_trsm_small_left_device_sharedBILi24ELi24ELb1EffPKPKfPKPfEv13rocblas_fill_18rocblas_operation_17rocblas_diagonal_iiT3_T4_lilT5_lili: ; @_ZL38rocblas_trsm_small_left_device_sharedBILi24ELi24ELb1EffPKPKfPKPfEv13rocblas_fill_18rocblas_operation_17rocblas_diagonal_iiT3_T4_lilT5_lili
; %bb.0:
	s_clause 0x1
	s_load_b128 s[8:11], s[0:1], 0x38
	s_load_b128 s[4:7], s[0:1], 0x4
	s_mov_b32 s12, s15
	s_mov_b32 s13, 0
	s_delay_alu instid0(SALU_CYCLE_1)
	s_lshl_b64 s[20:21], s[12:13], 3
	s_mov_b32 s12, exec_lo
	s_waitcnt lgkmcnt(0)
	s_add_u32 s2, s8, s20
	s_addc_u32 s3, s9, s21
	s_load_b32 s27, s[0:1], 0x14
	s_load_b64 s[2:3], s[2:3], 0x0
	s_min_i32 s15, s6, 24
	s_delay_alu instid0(SALU_CYCLE_1)
	s_add_i32 s26, s15, -1
	v_cmpx_gt_i32_e64 s15, v0
	s_cbranch_execz .LBB28_10
; %bb.1:
	s_clause 0x1
	s_load_b32 s8, s[0:1], 0x28
	s_load_b128 s[16:19], s[0:1], 0x18
	s_waitcnt lgkmcnt(0)
	s_ashr_i32 s9, s8, 31
	s_add_u32 s16, s16, s20
	s_addc_u32 s17, s17, s21
	s_cmp_lt_u32 s26, 3
	s_load_b64 s[16:17], s[16:17], 0x0
	s_cbranch_scc1 .LBB28_4
; %bb.2:
	v_lshlrev_b32_e32 v3, 2, v0
	s_lshl_b64 s[20:21], s[18:19], 2
	s_mul_hi_i32 s28, s8, 12
	s_waitcnt lgkmcnt(0)
	s_add_u32 s13, s16, s20
	s_addc_u32 s20, s17, s21
	v_add_co_u32 v1, s13, s13, v3
	s_delay_alu instid0(VALU_DEP_1)
	v_add_co_ci_u32_e64 v2, null, s20, 0, s13
	s_and_b32 s13, s15, -4
	s_mul_i32 s29, s8, 12
	s_lshl_b64 s[20:21], s[8:9], 4
	s_lshl_b64 s[22:23], s[8:9], 3
	;; [unrolled: 1-line block ×3, first 2 shown]
	s_mov_b32 s30, 0
	.p2align	6
.LBB28_3:                               ; =>This Inner Loop Header: Depth=1
	v_add_co_u32 v4, vcc_lo, v1, s24
	v_add_co_ci_u32_e32 v5, vcc_lo, s25, v2, vcc_lo
	v_add_co_u32 v6, vcc_lo, v1, s22
	v_add_co_ci_u32_e32 v7, vcc_lo, s23, v2, vcc_lo
	;; [unrolled: 2-line block ×3, first 2 shown]
	s_clause 0x3
	global_load_b32 v10, v[1:2], off
	global_load_b32 v4, v[4:5], off
	;; [unrolled: 1-line block ×4, first 2 shown]
	v_add_co_u32 v1, vcc_lo, v1, s20
	v_add_co_ci_u32_e32 v2, vcc_lo, s21, v2, vcc_lo
	s_add_i32 s30, s30, 4
	s_waitcnt vmcnt(2)
	ds_store_2addr_b32 v3, v10, v4 offset1:24
	s_waitcnt vmcnt(0)
	ds_store_2addr_b32 v3, v5, v6 offset0:48 offset1:72
	v_add_nc_u32_e32 v3, 0x180, v3
	s_cmp_eq_u32 s13, s30
	s_cbranch_scc0 .LBB28_3
.LBB28_4:
	s_and_b32 s20, s15, 3
	s_delay_alu instid0(SALU_CYCLE_1)
	s_cmp_eq_u32 s20, 0
	s_cbranch_scc1 .LBB28_7
; %bb.5:
	s_mul_i32 s21, s9, s13
	s_mul_hi_u32 s22, s8, s13
	s_lshl_b64 s[18:19], s[18:19], 2
	s_add_i32 s23, s22, s21
	s_mul_i32 s22, s8, s13
	s_mulk_i32 s13, 0x60
	s_lshl_b64 s[22:23], s[22:23], 2
	v_lshlrev_b32_e32 v1, 2, v0
	v_lshl_add_u32 v3, v0, 2, s13
	s_add_u32 s13, s22, s18
	s_addc_u32 s18, s23, s19
	s_waitcnt lgkmcnt(0)
	s_add_u32 s13, s16, s13
	s_addc_u32 s16, s17, s18
	v_add_co_u32 v1, s13, s13, v1
	s_delay_alu instid0(VALU_DEP_1)
	v_add_co_ci_u32_e64 v2, null, s16, 0, s13
	s_lshl_b64 s[8:9], s[8:9], 2
.LBB28_6:                               ; =>This Inner Loop Header: Depth=1
	global_load_b32 v4, v[1:2], off
	v_add_co_u32 v1, vcc_lo, v1, s8
	v_add_co_ci_u32_e32 v2, vcc_lo, s9, v2, vcc_lo
	s_add_i32 s20, s20, -1
	s_delay_alu instid0(SALU_CYCLE_1)
	s_cmp_lg_u32 s20, 0
	s_waitcnt vmcnt(0)
	ds_store_b32 v3, v4
	v_add_nc_u32_e32 v3, 0x60, v3
	s_cbranch_scc1 .LBB28_6
.LBB28_7:
	v_mul_u32_u24_e32 v1, 25, v0
	s_cmpk_lg_i32 s5, 0x84
	s_delay_alu instid0(VALU_DEP_1)
	v_dual_mov_b32 v2, 1.0 :: v_dual_lshlrev_b32 v1, 2, v1
	s_cbranch_scc0 .LBB28_9
; %bb.8:
	ds_load_b32 v2, v1
	s_waitcnt lgkmcnt(0)
	v_div_scale_f32 v3, null, v2, v2, 1.0
	s_delay_alu instid0(VALU_DEP_1) | instskip(SKIP_2) | instid1(VALU_DEP_1)
	v_rcp_f32_e32 v4, v3
	s_waitcnt_depctr 0xfff
	v_fma_f32 v5, -v3, v4, 1.0
	v_fmac_f32_e32 v4, v5, v4
	v_div_scale_f32 v5, vcc_lo, 1.0, v2, 1.0
	s_delay_alu instid0(VALU_DEP_1) | instskip(NEXT) | instid1(VALU_DEP_1)
	v_mul_f32_e32 v6, v5, v4
	v_fma_f32 v7, -v3, v6, v5
	s_delay_alu instid0(VALU_DEP_1) | instskip(NEXT) | instid1(VALU_DEP_1)
	v_fmac_f32_e32 v6, v7, v4
	v_fma_f32 v3, -v3, v6, v5
	s_delay_alu instid0(VALU_DEP_1) | instskip(NEXT) | instid1(VALU_DEP_1)
	v_div_fmas_f32 v3, v3, v4, v6
	v_div_fixup_f32 v2, v3, v2, 1.0
.LBB28_9:
	ds_store_b32 v1, v2
.LBB28_10:
	s_or_b32 exec_lo, exec_lo, s12
	s_load_b32 s5, s[0:1], 0x60
	s_waitcnt lgkmcnt(0)
	s_load_b32 s16, s[0:1], 0x48
	s_lshl_b64 s[0:1], s[10:11], 2
	s_mul_i32 s9, s14, 0xffffffe8
	s_mul_i32 s8, s14, 24
	s_waitcnt lgkmcnt(0)
	s_ashr_i32 s17, s16, 31
	s_add_u32 s12, s2, s0
	s_addc_u32 s13, s3, s1
	s_add_i32 s5, s5, -1
	s_add_i32 s9, s9, s7
	s_mul_hi_i32 s11, s16, s8
	s_cmp_ge_u32 s14, s5
	s_mul_i32 s10, s16, s8
	s_cselect_b32 s14, s9, 24
	s_lshl_b64 s[10:11], s[10:11], 2
	s_ashr_i32 s9, s8, 31
	s_add_u32 s5, s12, s10
	s_addc_u32 s7, s13, s11
	v_cmp_gt_i32_e32 vcc_lo, s14, v0
	s_cmp_gt_i32 s6, 0
	s_mov_b32 s10, 0
	s_cselect_b32 s11, -1, 0
	s_delay_alu instid0(SALU_CYCLE_1) | instskip(NEXT) | instid1(SALU_CYCLE_1)
	s_and_b32 s14, vcc_lo, s11
	s_and_saveexec_b32 s18, s14
	s_cbranch_execz .LBB28_17
; %bb.11:
	s_cmp_lt_i32 s6, 8
	s_cbranch_scc1 .LBB28_14
; %bb.12:
	v_mad_i64_i32 v[1:2], null, s16, v0, 0
	v_lshl_or_b32 v3, v0, 2, 0x900
	s_lshl_b32 s10, s15, 2
	s_mov_b64 s[12:13], 0
	s_and_b32 s11, s10, 0x60
	s_mov_b32 s10, 0
	s_delay_alu instid0(VALU_DEP_2) | instskip(NEXT) | instid1(VALU_DEP_1)
	v_lshlrev_b64 v[1:2], 2, v[1:2]
	v_add_co_u32 v1, vcc_lo, s5, v1
	s_delay_alu instid0(VALU_DEP_2)
	v_add_co_ci_u32_e32 v2, vcc_lo, s7, v2, vcc_lo
	.p2align	6
.LBB28_13:                              ; =>This Inner Loop Header: Depth=1
	s_delay_alu instid0(VALU_DEP_2) | instskip(NEXT) | instid1(VALU_DEP_2)
	v_add_co_u32 v8, vcc_lo, v1, s12
	v_add_co_ci_u32_e32 v9, vcc_lo, s13, v2, vcc_lo
	s_add_i32 s10, s10, 8
	s_add_u32 s12, s12, 32
	s_addc_u32 s13, s13, 0
	s_clause 0x1
	global_load_b128 v[4:7], v[8:9], off
	global_load_b128 v[8:11], v[8:9], off offset:16
	s_cmp_lg_u32 s11, s12
	s_waitcnt vmcnt(1)
	v_dual_mul_f32 v4, s27, v4 :: v_dual_mul_f32 v5, s27, v5
	v_dual_mul_f32 v6, s27, v6 :: v_dual_mul_f32 v7, s27, v7
	s_waitcnt vmcnt(0)
	v_dual_mul_f32 v8, s27, v8 :: v_dual_mul_f32 v9, s27, v9
	v_dual_mul_f32 v10, s27, v10 :: v_dual_mul_f32 v11, s27, v11
	ds_store_2addr_b32 v3, v4, v5 offset1:24
	ds_store_2addr_b32 v3, v6, v7 offset0:48 offset1:72
	ds_store_2addr_b32 v3, v8, v9 offset0:96 offset1:120
	;; [unrolled: 1-line block ×3, first 2 shown]
	v_add_nc_u32_e32 v3, 0x300, v3
	s_cbranch_scc1 .LBB28_13
.LBB28_14:
	s_and_b32 s12, s15, 7
	s_mov_b32 s11, 0
	s_cmp_eq_u32 s12, 0
	s_cbranch_scc1 .LBB28_17
; %bb.15:
	v_lshlrev_b32_e32 v3, 2, v0
	s_lshl_b64 s[20:21], s[8:9], 2
	s_lshl_b64 s[22:23], s[10:11], 2
	s_mulk_i32 s10, 0x60
	s_delay_alu instid0(VALU_DEP_1) | instskip(NEXT) | instid1(VALU_DEP_1)
	v_add_co_u32 v4, s11, s20, v3
	v_add_co_ci_u32_e64 v5, null, s21, 0, s11
	s_add_u32 s11, s2, s22
	s_addc_u32 s13, s3, s23
	s_add_u32 s20, s11, s0
	s_addc_u32 s21, s13, s1
	v_mul_lo_u32 v5, v5, s16
	v_mad_u64_u32 v[1:2], null, v4, s16, s[20:21]
	v_mul_lo_u32 v4, v4, s17
	v_add3_u32 v3, s10, v3, 0x900
	s_delay_alu instid0(VALU_DEP_2)
	v_add3_u32 v2, v5, v2, v4
.LBB28_16:                              ; =>This Inner Loop Header: Depth=1
	global_load_b32 v4, v[1:2], off
	v_add_co_u32 v1, vcc_lo, v1, 4
	v_add_co_ci_u32_e32 v2, vcc_lo, 0, v2, vcc_lo
	s_add_i32 s12, s12, -1
	s_delay_alu instid0(SALU_CYCLE_1)
	s_cmp_lg_u32 s12, 0
	s_waitcnt vmcnt(0)
	v_mul_f32_e32 v4, s27, v4
	ds_store_b32 v3, v4
	v_add_nc_u32_e32 v3, 0x60, v3
	s_cbranch_scc1 .LBB28_16
.LBB28_17:
	s_or_b32 exec_lo, exec_lo, s18
	s_cmpk_eq_i32 s4, 0x6f
	s_mov_b32 s4, -1
	s_waitcnt vmcnt(0) lgkmcnt(0)
	s_waitcnt_vscnt null, 0x0
	; wave barrier
	s_waitcnt lgkmcnt(0)
	buffer_gl0_inv
	s_cbranch_scc1 .LBB28_40
; %bb.18:
	s_cmp_gt_i32 s6, 23
	s_mov_b32 s4, s26
	s_cbranch_scc0 .LBB28_20
; %bb.19:
	s_mul_i32 s4, s15, 24
	s_mul_i32 s10, s26, 24
	;; [unrolled: 1-line block ×3, first 2 shown]
	v_add_lshl_u32 v8, s10, v0, 2
	s_add_i32 s10, s4, 0xffffffb8
	s_sub_i32 s11, s4, 48
	v_add_lshl_u32 v2, s10, v0, 2
	s_add_i32 s10, s10, s26
	v_add_lshl_u32 v1, s11, v0, 2
	s_lshl_b32 s10, s10, 2
	s_delay_alu instid0(SALU_CYCLE_1)
	v_dual_mov_b32 v9, s25 :: v_dual_mov_b32 v10, s10
	s_add_i32 s11, s25, 0xffffff9c
	s_add_i32 s10, s25, 0xffffff38
	;; [unrolled: 1-line block ×3, first 2 shown]
	ds_load_b32 v13, v9
	v_dual_mov_b32 v9, s11 :: v_dual_mov_b32 v16, s10
	s_add_i32 s19, s4, 0xffffff88
	v_add_lshl_u32 v3, s18, v0, 2
	s_add_i32 s20, s4, 0xffffff70
	s_add_i32 s21, s4, 0xffffff58
	;; [unrolled: 1-line block ×3, first 2 shown]
	v_add_lshl_u32 v4, s19, v0, 2
	v_add_lshl_u32 v5, s20, v0, 2
	;; [unrolled: 1-line block ×4, first 2 shown]
	ds_load_b32 v14, v8 offset:2304
	ds_load_b32 v15, v1 offset:2304
	;; [unrolled: 1-line block ×8, first 2 shown]
	ds_load_2addr_b32 v[17:18], v9 offset1:1
	ds_load_b32 v22, v10
	ds_load_2addr_b32 v[19:20], v16 offset1:1
	s_add_i32 s18, s18, s26
	s_add_i32 s19, s19, s26
	s_lshl_b32 s18, s18, 2
	s_add_i32 s29, s4, 0xffffff28
	s_add_i32 s18, s18, -4
	s_add_i32 s13, s4, 0xffffff10
	v_add_lshl_u32 v8, s29, v0, 2
	s_add_i32 s11, s4, 0xfffffef8
	s_add_i32 s20, s20, s26
	s_waitcnt lgkmcnt(10)
	v_mul_f32_e32 v16, v13, v14
	v_add_lshl_u32 v9, s13, v0, 2
	s_add_i32 s10, s4, 0xfffffee0
	v_add_lshl_u32 v10, s11, v0, 2
	s_add_i32 s27, s4, 0xfffffec8
	;; [unrolled: 2-line block ×3, first 2 shown]
	s_add_i32 s12, s4, 0xfffffe98
	s_waitcnt lgkmcnt(2)
	v_fma_f32 v18, -v16, v18, v15
	s_add_i32 s23, s4, 0xfffffe80
	v_add_lshl_u32 v12, s27, v0, 2
	v_add_lshl_u32 v13, s24, v0, 2
	;; [unrolled: 1-line block ×3, first 2 shown]
	v_mul_f32_e32 v17, v17, v18
	s_waitcnt lgkmcnt(1)
	v_fma_f32 v18, -v16, v22, v21
	v_mov_b32_e32 v21, s18
	s_add_i32 s18, s25, 0xfffffed4
	v_add_lshl_u32 v15, s23, v0, 2
	v_mov_b32_e32 v23, s18
	s_lshl_b32 s18, s19, 2
	ds_load_2addr_b32 v[21:22], v21 offset1:1
	v_mov_b32_e32 v25, s18
	ds_load_2addr_b32 v[23:24], v23 offset1:1
	ds_load_b32 v32, v25
	s_add_i32 s18, s18, -8
	s_waitcnt lgkmcnt(3)
	v_fma_f32 v20, -v17, v20, v18
	v_mov_b32_e32 v25, s18
	s_lshl_b32 s18, s20, 2
	s_add_i32 s19, s25, 0xfffffe70
	s_add_i32 s20, s18, -4
	ds_load_b32 v44, v8 offset:2304
	ds_load_b32 v45, v9 offset:2304
	;; [unrolled: 1-line block ×8, first 2 shown]
	v_mul_f32_e32 v19, v19, v20
	ds_load_2addr_b32 v[25:26], v25 offset1:1
	v_mov_b32_e32 v29, s20
	s_add_i32 s21, s21, s26
	s_add_i32 s18, s18, -12
	s_add_i32 s28, s28, s26
	s_add_i32 s22, s4, 0xfffffe68
	s_waitcnt lgkmcnt(11)
	v_fma_f32 v20, -v16, v22, v27
	v_mov_b32_e32 v22, s19
	ds_load_2addr_b32 v[27:28], v22 offset1:1
	ds_load_2addr_b32 v[29:30], v29 offset1:1
	v_fma_f32 v20, -v17, v21, v20
	s_lshl_b32 s19, s21, 2
	s_waitcnt lgkmcnt(11)
	v_fma_f32 v21, -v16, v32, v31
	s_add_i32 s20, s19, -4
	v_add_lshl_u32 v18, s22, v0, 2
	v_mov_b32_e32 v22, s20
	v_fma_f32 v20, -v19, v24, v20
	v_mov_b32_e32 v24, s18
	s_add_i32 s18, s25, 0xfffffe0c
	s_add_i32 s29, s29, s26
	ds_load_2addr_b32 v[31:32], v22 offset1:1
	s_add_i32 s13, s13, s26
	ds_load_2addr_b32 v[33:34], v24 offset1:1
	s_waitcnt lgkmcnt(4)
	v_fma_f32 v22, -v17, v26, v21
	v_mov_b32_e32 v26, s18
	s_add_i32 s18, s19, -12
	v_mul_f32_e32 v21, v23, v20
	v_mov_b32_e32 v37, s18
	v_fma_f32 v22, -v19, v25, v22
	ds_load_2addr_b32 v[24:25], v26 offset1:1
	s_waitcnt lgkmcnt(3)
	v_fma_f32 v23, -v16, v30, v36
	s_sub_i32 s18, s19, 20
	ds_load_2addr_b32 v[38:39], v37 offset1:1
	v_mov_b32_e32 v26, s18
	v_fma_f32 v22, -v21, v28, v22
	v_fma_f32 v30, -v17, v29, v23
	s_lshl_b32 s18, s28, 2
	ds_load_b32 v37, v18 offset:2304
	ds_load_2addr_b32 v[28:29], v26 offset1:1
	v_mul_f32_e32 v23, v27, v22
	s_waitcnt lgkmcnt(5)
	v_fma_f32 v26, -v16, v32, v40
	v_mov_b32_e32 v22, s18
	s_waitcnt lgkmcnt(4)
	v_fma_f32 v27, -v19, v34, v30
	s_add_i32 s19, s18, -8
	s_lshl_b32 s28, s29, 2
	v_fma_f32 v26, -v17, v31, v26
	v_mov_b32_e32 v30, s19
	v_fma_f32 v31, -v21, v33, v27
	ds_load_b32 v34, v22
	s_add_i32 s19, s18, -16
	s_sub_i32 s18, s18, 24
	s_lshl_b32 s13, s13, 2
	s_waitcnt lgkmcnt(4)
	v_fma_f32 v25, -v23, v25, v31
	s_waitcnt lgkmcnt(3)
	v_fma_f32 v32, -v19, v39, v26
	v_mov_b32_e32 v33, s18
	s_add_i32 s18, s28, -4
	ds_load_2addr_b32 v[26:27], v30 offset1:1
	v_dual_mul_f32 v24, v24, v25 :: v_dual_mov_b32 v25, s18
	v_fma_f32 v32, -v21, v38, v32
	s_add_i32 s18, s25, 0xfffffda8
	s_add_i32 s11, s11, s26
	s_add_i32 s27, s27, s26
	ds_load_2addr_b32 v[38:39], v25 offset1:1
	v_mov_b32_e32 v30, s19
	s_waitcnt lgkmcnt(3)
	v_fma_f32 v29, -v23, v29, v32
	v_mov_b32_e32 v25, s18
	s_add_i32 s18, s28, -12
	s_waitcnt lgkmcnt(2)
	v_fma_f32 v34, -v16, v34, v41
	ds_load_2addr_b32 v[30:31], v30 offset1:1
	v_fma_f32 v29, -v24, v28, v29
	v_mov_b32_e32 v28, s18
	ds_load_2addr_b32 v[32:33], v33 offset1:1
	s_sub_i32 s18, s28, 20
	s_sub_i32 s28, s28, 28
	s_lshl_b32 s11, s11, 2
	v_mov_b32_e32 v36, s28
	ds_load_b32 v25, v25
	s_waitcnt lgkmcnt(4)
	v_fma_f32 v27, -v17, v27, v34
	v_mov_b32_e32 v34, s18
	s_add_i32 s18, s13, -8
	s_add_i32 s29, s11, -8
	s_add_i32 s28, s25, 0xfffffd44
	v_fma_f32 v26, -v19, v26, v27
	ds_load_2addr_b32 v[27:28], v28 offset1:1
	ds_load_2addr_b32 v[40:41], v34 offset1:1
	;; [unrolled: 1-line block ×3, first 2 shown]
	v_mov_b32_e32 v36, s18
	s_add_i32 s18, s13, -16
	s_waitcnt lgkmcnt(6)
	v_fma_f32 v34, -v16, v39, v44
	s_waitcnt lgkmcnt(5)
	v_fma_f32 v31, -v21, v31, v26
	v_mov_b32_e32 v26, s13
	s_add_i32 s12, s12, s26
	s_add_i32 s24, s24, s26
	v_fma_f32 v34, -v17, v38, v34
	s_lshl_b32 s24, s24, 2
	ds_load_b32 v39, v26
	s_add_i32 s23, s23, s26
	s_waitcnt lgkmcnt(4)
	v_mul_f32_e32 v26, v25, v29
	v_fma_f32 v25, -v23, v30, v31
	s_lshl_b32 s23, s23, 2
	s_add_i32 s22, s22, s26
	s_add_i32 s21, s4, 0xfffffe50
	s_lshl_b32 s22, s22, 2
	v_fma_f32 v31, -v24, v33, v25
	s_waitcnt lgkmcnt(3)
	v_fma_f32 v28, -v19, v28, v34
	v_mov_b32_e32 v33, s18
	s_sub_i32 s18, s13, 24
	s_sub_i32 s13, s13, 32
	v_fma_f32 v38, -v26, v32, v31
	v_mov_b32_e32 v44, s28
	ds_load_2addr_b32 v[29:30], v36 offset1:1
	ds_load_b32 v36, v44
	v_fma_f32 v27, -v21, v27, v28
	v_mov_b32_e32 v28, s18
	ds_load_2addr_b32 v[33:34], v33 offset1:1
	s_add_i32 s28, s25, 0xfffffce0
	s_addk_i32 s25, 0xfc7c
	s_waitcnt lgkmcnt(5)
	v_fma_f32 v27, -v23, v41, v27
	ds_load_2addr_b32 v[31:32], v28 offset1:1
	s_waitcnt lgkmcnt(4)
	v_fma_f32 v28, -v16, v39, v45
	s_add_i32 s20, s4, 0xfffffe38
	v_add_lshl_u32 v20, s21, v0, 2
	v_fma_f32 v39, -v24, v40, v27
	v_mov_b32_e32 v40, s11
	s_add_i32 s19, s4, 0xfffffe20
	v_add_lshl_u32 v22, s20, v0, 2
	s_add_i32 s18, s4, 0xfffffe08
	v_add_lshl_u32 v25, s19, v0, 2
	s_add_i32 s21, s21, s26
	s_add_i32 s20, s20, s26
	s_waitcnt lgkmcnt(3)
	v_fma_f32 v28, -v17, v30, v28
	s_waitcnt lgkmcnt(2)
	v_mul_f32_e32 v27, v36, v38
	v_fma_f32 v36, -v26, v43, v39
	ds_load_b32 v43, v40
	v_mov_b32_e32 v38, s28
	v_fma_f32 v28, -v19, v29, v28
	v_mov_b32_e32 v29, s29
	s_sub_i32 s28, s11, 24
	s_lshl_b32 s21, s21, 2
	v_mov_b32_e32 v40, s28
	s_waitcnt lgkmcnt(2)
	v_fma_f32 v28, -v21, v34, v28
	ds_load_2addr_b32 v[29:30], v29 offset1:1
	v_mov_b32_e32 v34, s13
	s_add_i32 s13, s11, -16
	ds_load_b32 v51, v38
	v_mov_b32_e32 v39, s13
	v_fma_f32 v28, -v23, v33, v28
	ds_load_2addr_b32 v[33:34], v34 offset1:1
	ds_load_2addr_b32 v[38:39], v39 offset1:1
	;; [unrolled: 1-line block ×3, first 2 shown]
	s_sub_i32 s11, s11, 32
	s_waitcnt lgkmcnt(6)
	v_fma_f32 v32, -v24, v32, v28
	v_mov_b32_e32 v44, s11
	s_waitcnt lgkmcnt(5)
	v_fma_f32 v43, -v16, v43, v46
	s_add_i32 s11, s10, s26
	s_mul_i32 s10, s15, 0x64
	s_lshl_b32 s28, s11, 2
	s_add_i32 s11, s10, 0xfffffbb4
	s_add_i32 s13, s28, -4
	v_mov_b32_e32 v45, s11
	v_mov_b32_e32 v47, s13
	s_waitcnt lgkmcnt(4)
	v_fma_f32 v30, -v17, v30, v43
	ds_load_2addr_b32 v[43:44], v44 offset1:1
	ds_load_2addr_b32 v[45:46], v45 offset1:1
	;; [unrolled: 1-line block ×3, first 2 shown]
	s_add_i32 s11, s28, -12
	v_fma_f32 v31, -v26, v31, v32
	v_fma_f32 v29, -v19, v29, v30
	;; [unrolled: 1-line block ×3, first 2 shown]
	v_mov_b32_e32 v32, s11
	s_add_i32 s13, s4, 0xfffffdf0
	s_waitcnt lgkmcnt(5)
	v_fma_f32 v34, -v27, v34, v31
	s_waitcnt lgkmcnt(4)
	v_fma_f32 v29, -v21, v39, v29
	v_mul_f32_e32 v30, v51, v30
	ds_load_2addr_b32 v[31:32], v32 offset1:1
	v_add_lshl_u32 v28, s18, v0, 2
	s_add_i32 s11, s4, 0xfffffdd8
	v_fma_f32 v36, -v23, v38, v29
	v_fma_f32 v42, -v30, v33, v34
	v_mov_b32_e32 v34, s25
	s_lshl_b32 s25, s27, 2
	s_sub_i32 s27, s28, 20
	s_waitcnt lgkmcnt(4)
	v_fma_f32 v33, -v24, v41, v36
	v_mov_b32_e32 v39, s27
	s_waitcnt lgkmcnt(1)
	v_fma_f32 v36, -v16, v48, v49
	s_add_i32 s27, s25, -8
	ds_load_b32 v55, v34
	v_fma_f32 v38, -v26, v40, v33
	v_mov_b32_e32 v33, s25
	v_fma_f32 v36, -v17, v47, v36
	v_mov_b32_e32 v40, s27
	s_sub_i32 s27, s28, 28
	s_sub_i32 s29, s25, 24
	ds_load_b32 v49, v33
	s_waitcnt lgkmcnt(2)
	v_fma_f32 v32, -v19, v32, v36
	ds_load_2addr_b32 v[33:34], v39 offset1:1
	v_fma_f32 v36, -v27, v44, v38
	ds_load_2addr_b32 v[38:39], v40 offset1:1
	v_mov_b32_e32 v44, s29
	v_fma_f32 v31, -v21, v31, v32
	v_mov_b32_e32 v32, s27
	s_sub_i32 s27, s28, 36
	s_add_i32 s28, s25, -16
	s_delay_alu instid0(SALU_CYCLE_1)
	v_dual_mov_b32 v51, s27 :: v_dual_mov_b32 v40, s28
	s_add_i32 s28, s10, 0xfffffb50
	ds_load_2addr_b32 v[40:41], v40 offset1:1
	ds_load_2addr_b32 v[47:48], v44 offset1:1
	v_mov_b32_e32 v53, s28
	s_lshl_b32 s28, s12, 2
	s_sub_i32 s27, s25, 32
	s_waitcnt lgkmcnt(4)
	v_fma_f32 v44, -v16, v49, v50
	v_mov_b32_e32 v61, s28
	ds_load_2addr_b32 v[49:50], v32 offset1:1
	ds_load_2addr_b32 v[51:52], v51 offset1:1
	;; [unrolled: 1-line block ×3, first 2 shown]
	s_waitcnt lgkmcnt(6)
	v_fma_f32 v34, -v23, v34, v31
	v_mul_f32_e32 v32, v55, v42
	s_waitcnt lgkmcnt(5)
	v_fma_f32 v39, -v17, v39, v44
	s_sub_i32 s25, s25, 40
	s_add_i32 s12, s28, -8
	v_fma_f32 v33, -v24, v33, v34
	v_mov_b32_e32 v42, s25
	v_fma_f32 v34, -v19, v38, v39
	v_mov_b32_e32 v38, s27
	s_add_i32 s27, s24, -4
	s_add_i32 s25, s10, 0xfffffaec
	v_mov_b32_e32 v55, s27
	v_fma_f32 v36, -v30, v43, v36
	v_mov_b32_e32 v43, s25
	s_sub_i32 s25, s24, 44
	s_add_i32 s27, s24, -12
	v_mov_b32_e32 v57, s25
	v_fma_f32 v36, -v32, v46, v36
	s_add_i32 s25, s10, 0xfffffa88
	s_waitcnt lgkmcnt(2)
	v_fma_f32 v46, -v26, v50, v33
	v_mov_b32_e32 v59, s25
	s_sub_i32 s25, s24, 20
	v_mul_f32_e32 v33, v45, v36
	v_mov_b32_e32 v45, s25
	s_sub_i32 s25, s24, 28
	s_sub_i32 s24, s24, 36
	v_fma_f32 v34, -v21, v41, v34
	v_fma_f32 v36, -v27, v49, v46
	v_mov_b32_e32 v49, s24
	ds_load_2addr_b32 v[38:39], v38 offset1:1
	ds_load_2addr_b32 v[41:42], v42 offset1:1
	ds_load_2addr_b32 v[43:44], v43 offset1:1
	ds_load_2addr_b32 v[55:56], v55 offset1:1
	v_mov_b32_e32 v62, s27
	ds_load_2addr_b32 v[57:58], v57 offset1:1
	ds_load_2addr_b32 v[59:60], v59 offset1:1
	ds_load_b32 v67, v61
	v_fma_f32 v34, -v23, v40, v34
	v_mov_b32_e32 v40, s12
	s_add_i32 s24, s28, -16
	ds_load_2addr_b32 v[61:62], v62 offset1:1
	s_waitcnt lgkmcnt(9)
	v_fma_f32 v36, -v30, v52, v36
	v_fma_f32 v34, -v24, v48, v34
	ds_load_2addr_b32 v[63:64], v40 offset1:1
	s_add_i32 s12, s4, 0xfffffdc0
	v_add_lshl_u32 v29, s13, v0, 2
	v_add_lshl_u32 v31, s11, v0, 2
	v_fma_f32 v34, -v26, v47, v34
	v_mov_b32_e32 v47, s25
	s_add_i32 s25, s23, -4
	ds_load_2addr_b32 v[45:46], v45 offset1:1
	ds_load_2addr_b32 v[47:48], v47 offset1:1
	;; [unrolled: 1-line block ×3, first 2 shown]
	s_waitcnt lgkmcnt(11)
	v_fma_f32 v34, -v27, v39, v34
	s_waitcnt lgkmcnt(8)
	v_fma_f32 v40, -v16, v56, v65
	v_mov_b32_e32 v65, s25
	s_sub_i32 s25, s28, 40
	v_fma_f32 v36, -v32, v51, v36
	v_mov_b32_e32 v69, s25
	v_fma_f32 v40, -v17, v55, v40
	s_waitcnt lgkmcnt(5)
	v_fma_f32 v55, -v16, v67, v66
	v_fma_f32 v38, -v30, v38, v34
	;; [unrolled: 1-line block ×3, first 2 shown]
	s_sub_i32 s25, s23, 36
	s_waitcnt lgkmcnt(4)
	v_fma_f32 v40, -v19, v62, v40
	s_waitcnt lgkmcnt(3)
	v_fma_f32 v39, -v17, v64, v55
	v_fma_f32 v38, -v32, v42, v38
	v_add_lshl_u32 v34, s12, v0, 2
	s_lshl_b32 s20, s20, 2
	v_fma_f32 v52, -v21, v61, v40
	v_mov_b32_e32 v40, s24
	s_sub_i32 s24, s28, 24
	v_fma_f32 v71, -v19, v63, v39
	v_mov_b32_e32 v55, s24
	s_sub_i32 s24, s28, 48
	ds_load_2addr_b32 v[39:40], v40 offset1:1
	v_mov_b32_e32 v61, s24
	s_add_i32 s24, s10, 0xfffffa24
	ds_load_2addr_b32 v[55:56], v55 offset1:1
	v_mov_b32_e32 v63, s24
	ds_load_2addr_b32 v[61:62], v61 offset1:1
	ds_load_2addr_b32 v[63:64], v63 offset1:1
	;; [unrolled: 1-line block ×3, first 2 shown]
	s_sub_i32 s24, s28, 32
	s_waitcnt lgkmcnt(7)
	v_fma_f32 v46, -v23, v46, v52
	v_mov_b32_e32 v67, s24
	s_add_i32 s24, s23, -12
	s_add_i32 s19, s19, s26
	v_mov_b32_e32 v52, s24
	ds_load_2addr_b32 v[67:68], v67 offset1:1
	ds_load_2addr_b32 v[69:70], v69 offset1:1
	v_fma_f32 v45, -v24, v45, v46
	s_sub_i32 s24, s23, 20
	ds_load_2addr_b32 v[51:52], v52 offset1:1
	s_waitcnt lgkmcnt(7)
	v_fma_f32 v40, -v21, v40, v71
	s_lshl_b32 s19, s19, 2
	s_add_i32 s18, s18, s26
	s_add_i32 s11, s11, s26
	s_lshl_b32 s18, s18, 2
	v_fma_f32 v39, -v23, v39, v40
	v_fma_f32 v40, -v26, v48, v45
	s_lshl_b32 s11, s11, 2
	s_waitcnt lgkmcnt(3)
	v_fma_f32 v42, -v16, v66, v35
	v_mul_f32_e32 v35, v53, v36
	v_fma_f32 v39, -v24, v56, v39
	v_fma_f32 v36, -v33, v41, v38
	;; [unrolled: 1-line block ×4, first 2 shown]
	v_mov_b32_e32 v41, s24
	v_fma_f32 v39, -v26, v55, v39
	s_sub_i32 s24, s23, 28
	v_fma_f32 v42, -v30, v50, v38
	v_mov_b32_e32 v50, s22
	s_waitcnt lgkmcnt(0)
	v_fma_f32 v38, -v19, v52, v40
	v_fma_f32 v48, -v27, v68, v39
	ds_load_2addr_b32 v[39:40], v41 offset1:1
	v_mov_b32_e32 v41, s24
	s_sub_i32 s24, s23, 52
	v_fma_f32 v36, -v35, v44, v36
	v_mov_b32_e32 v44, s24
	s_add_i32 s24, s10, 0xfffff9c0
	s_sub_i32 s23, s23, 44
	v_mov_b32_e32 v46, s24
	s_add_i32 s24, s22, -8
	ds_load_2addr_b32 v[44:45], v44 offset1:1
	ds_load_2addr_b32 v[46:47], v46 offset1:1
	ds_load_b32 v56, v50
	v_mov_b32_e32 v52, s24
	v_dual_mov_b32 v54, s25 :: v_dual_mov_b32 v65, s23
	v_fma_f32 v38, -v21, v51, v38
	ds_load_2addr_b32 v[50:51], v52 offset1:1
	ds_load_2addr_b32 v[52:53], v41 offset1:1
	;; [unrolled: 1-line block ×4, first 2 shown]
	v_fma_f32 v42, -v32, v49, v42
	s_add_i32 s23, s22, -16
	s_waitcnt lgkmcnt(7)
	v_fma_f32 v40, -v23, v40, v38
	s_sub_i32 s24, s22, 40
	v_mul_f32_e32 v36, v43, v36
	v_fma_f32 v43, -v30, v67, v48
	ds_load_b32 v76, v20 offset:2304
	ds_load_b32 v77, v22 offset:2304
	;; [unrolled: 1-line block ×7, first 2 shown]
	v_fma_f32 v39, -v24, v39, v40
	v_mov_b32_e32 v40, s23
	s_sub_i32 s23, s22, 24
	s_add_i32 s13, s13, s26
	s_add_i32 s12, s12, s26
	s_lshl_b32 s13, s13, 2
	s_waitcnt lgkmcnt(11)
	v_fma_f32 v37, -v16, v56, v37
	v_fma_f32 v56, -v33, v58, v42
	v_mov_b32_e32 v42, s23
	s_sub_i32 s23, s22, 32
	s_waitcnt lgkmcnt(9)
	v_fma_f32 v53, -v26, v53, v39
	v_mov_b32_e32 v48, s23
	s_sub_i32 s23, s22, 48
	s_sub_i32 s22, s22, 56
	v_mov_b32_e32 v67, s23
	ds_load_2addr_b32 v[39:40], v40 offset1:1
	v_fma_f32 v37, -v17, v51, v37
	v_fma_f32 v58, -v32, v70, v43
	v_mov_b32_e32 v70, s22
	s_add_i32 s22, s10, 0xfffff95c
	s_add_i32 s23, s21, -4
	s_delay_alu instid0(SALU_CYCLE_1)
	v_dual_mov_b32 v51, s24 :: v_dual_mov_b32 v74, s23
	s_sub_i32 s23, s21, 52
	v_mov_b32_e32 v72, s22
	s_add_i32 s22, s21, -12
	v_fma_f32 v37, -v19, v50, v37
	v_fma_f32 v52, -v27, v52, v53
	v_mov_b32_e32 v53, s22
	ds_load_2addr_b32 v[42:43], v42 offset1:1
	ds_load_2addr_b32 v[48:49], v48 offset1:1
	ds_load_2addr_b32 v[50:51], v51 offset1:1
	ds_load_2addr_b32 v[67:68], v67 offset1:1
	ds_load_2addr_b32 v[70:71], v70 offset1:1
	ds_load_2addr_b32 v[72:73], v72 offset1:1
	ds_load_2addr_b32 v[74:75], v74 offset1:1
	s_sub_i32 s22, s21, 20
	s_waitcnt lgkmcnt(16)
	v_fma_f32 v52, -v30, v55, v52
	s_lshl_b32 s12, s12, 2
	s_sub_i32 s4, s4, 24
	s_waitcnt lgkmcnt(7)
	v_fma_f32 v37, -v21, v40, v37
	v_fma_f32 v40, -v35, v57, v56
	;; [unrolled: 1-line block ×3, first 2 shown]
	s_delay_alu instid0(VALU_DEP_3) | instskip(SKIP_1) | instid1(VALU_DEP_3)
	v_fma_f32 v37, -v23, v39, v37
	v_fma_f32 v39, -v33, v69, v58
	;; [unrolled: 1-line block ×3, first 2 shown]
	s_delay_alu instid0(VALU_DEP_2)
	v_fma_f32 v56, -v35, v62, v39
	s_waitcnt lgkmcnt(6)
	v_fma_f32 v37, -v24, v43, v37
	v_fma_f32 v43, -v36, v60, v40
	ds_load_2addr_b32 v[39:40], v53 offset1:1
	v_fma_f32 v55, -v36, v61, v56
	v_fma_f32 v42, -v26, v42, v37
	v_mul_f32_e32 v37, v59, v43
	s_waitcnt lgkmcnt(6)
	s_delay_alu instid0(VALU_DEP_2)
	v_fma_f32 v49, -v27, v49, v42
	v_mov_b32_e32 v42, s22
	s_sub_i32 s22, s21, 28
	v_fma_f32 v55, -v37, v64, v55
	v_mov_b32_e32 v54, s22
	s_sub_i32 s22, s21, 36
	ds_load_2addr_b32 v[42:43], v42 offset1:1
	s_waitcnt lgkmcnt(2)
	v_fma_f32 v53, -v16, v75, v76
	v_mov_b32_e32 v56, s22
	v_fma_f32 v59, -v30, v48, v49
	s_add_i32 s22, s20, -8
	s_delay_alu instid0(VALU_DEP_3)
	v_fma_f32 v58, -v17, v74, v53
	ds_load_2addr_b32 v[48:49], v54 offset1:1
	ds_load_2addr_b32 v[52:53], v56 offset1:1
	v_mov_b32_e32 v56, s20
	v_fma_f32 v54, -v35, v65, v57
	v_fma_f32 v51, -v32, v51, v59
	s_waitcnt lgkmcnt(3)
	v_fma_f32 v40, -v19, v40, v58
	v_mov_b32_e32 v57, s23
	ds_load_b32 v56, v56
	v_fma_f32 v45, -v36, v45, v54
	v_fma_f32 v54, -v33, v50, v51
	;; [unrolled: 1-line block ×3, first 2 shown]
	v_mov_b32_e32 v40, s22
	s_add_i32 s22, s20, -16
	s_waitcnt lgkmcnt(3)
	s_delay_alu instid0(VALU_DEP_2)
	v_fma_f32 v43, -v23, v43, v39
	ds_load_2addr_b32 v[50:51], v40 offset1:1
	v_fma_f32 v40, -v37, v44, v45
	v_fma_f32 v44, -v35, v68, v54
	v_mul_f32_e32 v39, v63, v55
	v_fma_f32 v45, -v24, v42, v43
	v_mov_b32_e32 v42, s22
	s_sub_i32 s22, s20, 24
	v_fma_f32 v44, -v36, v67, v44
	v_mov_b32_e32 v54, s22
	v_fma_f32 v40, -v39, v47, v40
	ds_load_2addr_b32 v[42:43], v42 offset1:1
	s_waitcnt lgkmcnt(4)
	v_fma_f32 v47, -v26, v49, v45
	v_fma_f32 v49, -v37, v71, v44
	ds_load_2addr_b32 v[44:45], v54 offset1:1
	s_waitcnt lgkmcnt(3)
	v_fma_f32 v54, -v16, v56, v77
	v_mul_f32_e32 v40, v46, v40
	v_fma_f32 v47, -v27, v48, v47
	s_sub_i32 s22, s21, 44
	v_fma_f32 v63, -v39, v70, v49
	v_mov_b32_e32 v48, s22
	s_waitcnt lgkmcnt(2)
	v_fma_f32 v46, -v17, v51, v54
	v_fma_f32 v47, -v30, v53, v47
	s_add_i32 s22, s19, -4
	s_sub_i32 s21, s21, 60
	s_delay_alu instid0(VALU_DEP_2) | instskip(NEXT) | instid1(VALU_DEP_2)
	v_fma_f32 v49, -v19, v50, v46
	v_fma_f32 v64, -v32, v52, v47
	ds_load_2addr_b32 v[46:47], v48 offset1:1
	v_mov_b32_e32 v48, s22
	s_sub_i32 s22, s20, 32
	s_waitcnt lgkmcnt(2)
	v_fma_f32 v43, -v21, v43, v49
	v_mov_b32_e32 v50, s22
	s_add_i32 s22, s19, -12
	ds_load_2addr_b32 v[48:49], v48 offset1:1
	v_mov_b32_e32 v59, s21
	v_fma_f32 v51, -v23, v42, v43
	ds_load_2addr_b32 v[42:43], v50 offset1:1
	v_mov_b32_e32 v50, s22
	s_add_i32 s21, s10, 0xfffff8f8
	s_sub_i32 s22, s20, 56
	s_waitcnt lgkmcnt(3)
	v_fma_f32 v45, -v24, v45, v51
	v_mov_b32_e32 v61, s21
	s_sub_i32 s21, s20, 40
	v_mov_b32_e32 v53, s22
	v_mov_b32_e32 v51, s21
	v_fma_f32 v55, -v26, v44, v45
	ds_load_2addr_b32 v[44:45], v50 offset1:1
	s_sub_i32 s21, s20, 48
	s_waitcnt lgkmcnt(3)
	v_fma_f32 v47, -v33, v47, v64
	v_mov_b32_e32 v52, s21
	s_sub_i32 s21, s19, 20
	s_sub_i32 s22, s19, 44
	v_mov_b32_e32 v56, s21
	s_waitcnt lgkmcnt(2)
	v_fma_f32 v58, -v16, v49, v78
	ds_load_2addr_b32 v[49:50], v51 offset1:1
	ds_load_2addr_b32 v[51:52], v52 offset1:1
	;; [unrolled: 1-line block ×3, first 2 shown]
	s_sub_i32 s21, s19, 28
	s_waitcnt lgkmcnt(4)
	v_fma_f32 v43, -v27, v43, v55
	ds_load_2addr_b32 v[55:56], v56 offset1:1
	v_fma_f32 v48, -v17, v48, v58
	ds_load_2addr_b32 v[57:58], v57 offset1:1
	v_mov_b32_e32 v65, s21
	ds_load_2addr_b32 v[59:60], v59 offset1:1
	ds_load_2addr_b32 v[61:62], v61 offset1:1
	v_fma_f32 v64, -v30, v42, v43
	s_sub_i32 s21, s19, 36
	s_sub_i32 s20, s20, 64
	ds_load_2addr_b32 v[42:43], v65 offset1:1
	s_waitcnt lgkmcnt(8)
	v_fma_f32 v45, -v19, v45, v48
	v_dual_mov_b32 v48, s21 :: v_dual_mov_b32 v65, s22
	s_add_i32 s21, s18, -8
	s_delay_alu instid0(VALU_DEP_2)
	v_fma_f32 v66, -v21, v44, v45
	s_waitcnt lgkmcnt(7)
	v_fma_f32 v50, -v32, v50, v64
	v_fma_f32 v64, -v35, v46, v47
	ds_load_2addr_b32 v[44:45], v48 offset1:1
	ds_load_2addr_b32 v[46:47], v65 offset1:1
	s_waitcnt lgkmcnt(6)
	v_fma_f32 v48, -v23, v56, v66
	v_fma_f32 v49, -v33, v49, v50
	;; [unrolled: 1-line block ×3, first 2 shown]
	s_waitcnt lgkmcnt(5)
	v_fma_f32 v56, -v36, v58, v64
	v_fma_f32 v48, -v24, v55, v48
	;; [unrolled: 1-line block ×3, first 2 shown]
	v_mov_b32_e32 v52, s20
	v_mul_f32_e32 v82, v72, v50
	v_fma_f32 v55, -v37, v57, v56
	s_waitcnt lgkmcnt(2)
	v_fma_f32 v43, -v26, v43, v48
	v_fma_f32 v50, -v36, v51, v49
	ds_load_2addr_b32 v[48:49], v52 offset1:1
	s_add_i32 s20, s10, 0xfffff894
	v_fma_f32 v51, -v39, v60, v55
	v_fma_f32 v42, -v27, v42, v43
	;; [unrolled: 1-line block ×3, first 2 shown]
	v_mov_b32_e32 v50, s18
	s_waitcnt lgkmcnt(2)
	s_delay_alu instid0(VALU_DEP_3)
	v_fma_f32 v42, -v30, v45, v42
	v_mov_b32_e32 v45, s21
	ds_load_b32 v52, v50
	v_fma_f32 v50, -v40, v59, v51
	v_mov_b32_e32 v51, s20
	v_fma_f32 v53, -v39, v53, v43
	v_fma_f32 v54, -v32, v44, v42
	ds_load_2addr_b32 v[42:43], v45 offset1:1
	ds_load_2addr_b32 v[44:45], v51 offset1:1
	s_add_i32 s20, s18, -16
	s_sub_i32 s21, s18, 24
	v_fma_f32 v76, -v82, v62, v50
	s_waitcnt lgkmcnt(3)
	v_fma_f32 v77, -v40, v49, v53
	v_fma_f32 v47, -v33, v47, v54
	v_dual_mov_b32 v49, s20 :: v_dual_mov_b32 v50, s21
	v_mul_f32_e32 v83, v61, v76
	s_sub_i32 s20, s19, 52
	s_delay_alu instid0(VALU_DEP_3)
	v_fma_f32 v66, -v35, v46, v47
	ds_load_2addr_b32 v[46:47], v49 offset1:1
	ds_load_2addr_b32 v[49:50], v50 offset1:1
	v_mov_b32_e32 v51, s20
	s_sub_i32 s20, s19, 60
	s_waitcnt lgkmcnt(4)
	v_fma_f32 v53, -v16, v52, v79
	s_addk_i32 s19, 0xffbc
	v_mov_b32_e32 v59, s20
	ds_load_2addr_b32 v[51:52], v51 offset1:1
	v_mov_b32_e32 v62, s19
	s_waitcnt lgkmcnt(4)
	v_fma_f32 v43, -v17, v43, v53
	s_sub_i32 s19, s18, 64
	s_add_i32 s20, s10, 0xfffff830
	s_sub_i32 s21, s13, 36
	s_delay_alu instid0(VALU_DEP_1)
	v_fma_f32 v42, -v19, v42, v43
	v_mov_b32_e32 v43, s19
	s_add_i32 s19, s18, 0xffffffb8
	v_mov_b32_e32 v71, s21
	v_mov_b32_e32 v53, s19
	s_add_i32 s19, s10, 0xfffff7cc
	s_waitcnt lgkmcnt(2)
	v_fma_f32 v47, -v21, v47, v42
	v_mov_b32_e32 v55, s19
	s_add_i32 s19, s13, -12
	s_delay_alu instid0(VALU_DEP_2)
	v_fma_f32 v46, -v23, v46, v47
	v_mov_b32_e32 v47, s19
	s_sub_i32 s19, s18, 32
	s_waitcnt lgkmcnt(0)
	v_fma_f32 v52, -v36, v52, v66
	v_mov_b32_e32 v66, s19
	s_sub_i32 s19, s18, 40
	v_fma_f32 v50, -v24, v50, v46
	v_mov_b32_e32 v68, s19
	s_sub_i32 s19, s13, 20
	s_delay_alu instid0(SALU_CYCLE_1)
	v_mov_b32_e32 v69, s19
	s_sub_i32 s19, s18, 48
	s_sub_i32 s18, s18, 56
	v_fma_f32 v78, -v26, v49, v50
	v_mov_b32_e32 v74, s18
	s_add_i32 s18, s11, -8
	v_mov_b32_e32 v64, s20
	s_add_i32 s20, s13, -4
	v_mov_b32_e32 v73, s19
	v_mov_b32_e32 v57, s20
	ds_load_2addr_b32 v[42:43], v43 offset1:1
	ds_load_2addr_b32 v[53:54], v53 offset1:1
	;; [unrolled: 1-line block ×11, first 2 shown]
	s_sub_i32 s20, s13, 28
	s_add_i32 s19, s10, 0xfffff768
	v_mov_b32_e32 v70, s20
	s_sub_i32 s20, s11, 24
	s_waitcnt lgkmcnt(7)
	v_fma_f32 v58, -v16, v58, v80
	s_delay_alu instid0(VALU_DEP_1)
	v_fma_f32 v72, -v17, v57, v58
	s_waitcnt lgkmcnt(2)
	v_fma_f32 v67, -v27, v67, v78
	ds_load_2addr_b32 v[57:58], v70 offset1:1
	ds_load_2addr_b32 v[70:71], v71 offset1:1
	v_fma_f32 v47, -v19, v47, v72
	ds_load_2addr_b32 v[72:73], v73 offset1:1
	ds_load_2addr_b32 v[74:75], v74 offset1:1
	v_fma_f32 v46, -v21, v46, v47
	v_fma_f32 v47, -v82, v48, v77
	;; [unrolled: 1-line block ×4, first 2 shown]
	s_waitcnt lgkmcnt(4)
	v_fma_f32 v46, -v23, v69, v46
	v_fma_f32 v52, -v83, v45, v47
	v_mov_b32_e32 v45, s11
	v_fma_f32 v47, -v39, v60, v48
	v_fma_f32 v48, -v32, v50, v51
	;; [unrolled: 1-line block ×3, first 2 shown]
	ds_load_b32 v51, v45
	v_mov_b32_e32 v45, s18
	v_fma_f32 v48, -v33, v49, v48
	s_waitcnt lgkmcnt(4)
	v_fma_f32 v49, -v26, v58, v46
	v_fma_f32 v47, -v40, v59, v47
	s_add_i32 s18, s13, 0xffffffb4
	ds_load_2addr_b32 v[45:46], v45 offset1:1
	v_mov_b32_e32 v58, s19
	v_fma_f32 v57, -v27, v57, v49
	s_add_i32 s19, s11, -16
	v_mov_b32_e32 v50, s18
	v_fma_f32 v59, -v82, v63, v47
	v_mul_f32_e32 v63, v44, v52
	s_waitcnt lgkmcnt(4)
	v_fma_f32 v44, -v30, v71, v57
	v_mov_b32_e32 v57, s20
	s_waitcnt lgkmcnt(3)
	v_fma_f32 v60, -v35, v73, v48
	ds_load_2addr_b32 v[47:48], v50 offset1:1
	ds_load_2addr_b32 v[49:50], v58 offset1:1
	s_sub_i32 s18, s13, 44
	v_fma_f32 v86, -v32, v70, v44
	s_add_i32 s20, s12, -4
	s_waitcnt lgkmcnt(3)
	v_fma_f32 v41, -v16, v51, v41
	v_mov_b32_e32 v51, s19
	ds_load_2addr_b32 v[51:52], v51 offset1:1
	ds_load_2addr_b32 v[57:58], v57 offset1:1
	s_add_i32 s19, s11, 0xffffffb0
	s_waitcnt lgkmcnt(4)
	v_fma_f32 v41, -v17, v46, v41
	v_mov_b32_e32 v44, s19
	s_add_i32 s19, s10, 0xfffff704
	v_mov_b32_e32 v70, s18
	v_mov_b32_e32 v46, s19
	s_sub_i32 s18, s11, 32
	v_mov_b32_e32 v66, s20
	v_mov_b32_e32 v68, s18
	s_sub_i32 s18, s11, 40
	v_fma_f32 v84, -v83, v62, v59
	v_fma_f32 v85, -v36, v72, v60
	ds_load_2addr_b32 v[59:60], v44 offset1:1
	ds_load_2addr_b32 v[61:62], v46 offset1:1
	;; [unrolled: 1-line block ×3, first 2 shown]
	v_mov_b32_e32 v46, s18
	s_add_i32 s19, s12, -12
	v_fma_f32 v41, -v19, v45, v41
	ds_load_2addr_b32 v[44:45], v68 offset1:1
	ds_load_2addr_b32 v[68:69], v46 offset1:1
	v_mov_b32_e32 v46, s19
	ds_load_2addr_b32 v[70:71], v70 offset1:1
	s_waitcnt lgkmcnt(7)
	v_fma_f32 v41, -v21, v52, v41
	s_sub_i32 s18, s13, 52
	s_sub_i32 s19, s12, 20
	ds_load_2addr_b32 v[72:73], v46 offset1:1
	v_mov_b32_e32 v76, s18
	v_fma_f32 v41, -v23, v51, v41
	s_sub_i32 s18, s13, 60
	v_mov_b32_e32 v46, s19
	s_addk_i32 s13, 0xffbc
	v_mov_b32_e32 v78, s18
	s_waitcnt lgkmcnt(7)
	v_fma_f32 v41, -v24, v58, v41
	v_mov_b32_e32 v80, s13
	s_waitcnt lgkmcnt(4)
	v_fma_f32 v38, -v16, v67, v38
	ds_load_2addr_b32 v[51:52], v46 offset1:1
	ds_load_2addr_b32 v[76:77], v76 offset1:1
	;; [unrolled: 1-line block ×4, first 2 shown]
	s_sub_i32 s13, s12, 28
	v_fma_f32 v41, -v26, v57, v41
	v_mov_b32_e32 v46, s13
	v_fma_f32 v38, -v17, v66, v38
	s_sub_i32 s18, s12, 36
	s_sub_i32 s19, s12, 44
	s_waitcnt lgkmcnt(7)
	v_fma_f32 v41, -v27, v45, v41
	ds_load_2addr_b32 v[45:46], v46 offset1:1
	v_mov_b32_e32 v57, s18
	s_waitcnt lgkmcnt(5)
	v_fma_f32 v38, -v19, v73, v38
	v_mov_b32_e32 v66, s19
	ds_load_2addr_b32 v[57:58], v57 offset1:1
	ds_load_2addr_b32 v[66:67], v66 offset1:1
	v_fma_f32 v38, -v21, v72, v38
	s_sub_i32 s13, s11, 48
	v_fma_f32 v71, -v33, v71, v86
	v_fma_f32 v41, -v30, v44, v41
	v_mov_b32_e32 v44, s13
	s_waitcnt lgkmcnt(6)
	v_fma_f32 v38, -v23, v52, v38
	s_sub_i32 s13, s11, 56
	v_fma_f32 v71, -v35, v70, v71
	v_fma_f32 v41, -v32, v69, v41
	ds_load_2addr_b32 v[69:70], v44 offset1:1
	v_fma_f32 v38, -v24, v51, v38
	v_mov_b32_e32 v44, s13
	s_sub_i32 s18, s12, 52
	s_sub_i32 s13, s11, 64
	v_fma_f32 v52, -v37, v75, v85
	s_waitcnt lgkmcnt(3)
	v_fma_f32 v38, -v26, v46, v38
	s_addk_i32 s11, 0xffb8
	v_mov_b32_e32 v46, s18
	v_fma_f32 v41, -v33, v68, v41
	v_mov_b32_e32 v68, s13
	v_fma_f32 v38, -v27, v45, v38
	v_mov_b32_e32 v73, s11
	ds_load_2addr_b32 v[44:45], v44 offset1:1
	v_fma_f32 v75, -v39, v74, v52
	v_fma_f32 v77, -v36, v77, v71
	s_waitcnt lgkmcnt(3)
	v_fma_f32 v38, -v30, v58, v38
	ds_load_2addr_b32 v[51:52], v46 offset1:1
	ds_load_2addr_b32 v[71:72], v68 offset1:1
	;; [unrolled: 1-line block ×3, first 2 shown]
	s_sub_i32 s11, s12, 60
	v_fma_f32 v43, -v40, v43, v75
	v_mov_b32_e32 v46, s11
	v_fma_f32 v38, -v32, v57, v38
	s_waitcnt lgkmcnt(4)
	v_fma_f32 v41, -v35, v70, v41
	v_fma_f32 v68, -v37, v76, v77
	s_add_i32 s11, s12, 0xffffffbc
	ds_load_2addr_b32 v[57:58], v46 offset1:1
	v_fma_f32 v38, -v33, v67, v38
	v_fma_f32 v41, -v36, v69, v41
	s_add_i32 s13, s12, 0xffffffb4
	v_fma_f32 v68, -v39, v79, v68
	v_mov_b32_e32 v46, s11
	v_fma_f32 v38, -v35, v66, v38
	v_mov_b32_e32 v67, s13
	s_waitcnt lgkmcnt(4)
	v_fma_f32 v41, -v37, v45, v41
	v_fma_f32 v42, -v82, v42, v43
	;; [unrolled: 1-line block ×3, first 2 shown]
	s_waitcnt lgkmcnt(3)
	v_fma_f32 v38, -v36, v52, v38
	ds_load_2addr_b32 v[45:46], v46 offset1:1
	ds_load_2addr_b32 v[66:67], v67 offset1:1
	v_fma_f32 v41, -v39, v44, v41
	v_fma_f32 v44, -v63, v65, v84
	;; [unrolled: 1-line block ×5, first 2 shown]
	s_waitcnt lgkmcnt(4)
	v_fma_f32 v41, -v40, v72, v41
	v_mul_f32_e32 v51, v64, v44
	v_fma_f32 v42, -v63, v53, v42
	s_waitcnt lgkmcnt(2)
	v_fma_f32 v38, -v39, v58, v38
	v_fma_f32 v43, -v83, v80, v43
	s_add_i32 s11, s12, 0xffffffac
	v_fma_f32 v41, -v82, v71, v41
	v_mov_b32_e32 v44, s11
	v_fma_f32 v38, -v40, v57, v38
	v_fma_f32 v52, -v51, v56, v42
	;; [unrolled: 1-line block ×4, first 2 shown]
	ds_load_2addr_b32 v[41:42], v44 offset1:1
	s_waitcnt lgkmcnt(2)
	v_fma_f32 v38, -v82, v46, v38
	v_mul_f32_e32 v46, v55, v52
	v_fma_f32 v43, -v51, v47, v43
	s_addk_i32 s10, 0xf6a0
	v_fma_f32 v44, -v63, v73, v48
	v_fma_f32 v38, -v83, v45, v38
	v_mov_b32_e32 v45, s10
	v_fma_f32 v43, -v46, v50, v43
	v_add_lshl_u32 v48, s4, v0, 2
	v_fma_f32 v47, -v51, v60, v44
	s_waitcnt lgkmcnt(1)
	v_fma_f32 v38, -v63, v67, v38
	s_sub_i32 s4, s15, 25
	v_mul_f32_e32 v49, v49, v43
	ds_load_2addr_b32 v[43:44], v45 offset1:1
	v_fma_f32 v45, -v46, v59, v47
	v_fma_f32 v38, -v51, v66, v38
	ds_store_b32 v48, v16 offset:2304
	ds_store_b32 v1, v17 offset:2304
	;; [unrolled: 1-line block ×11, first 2 shown]
	v_fma_f32 v16, -v49, v62, v45
	s_waitcnt lgkmcnt(12)
	v_fma_f32 v38, -v46, v42, v38
	ds_store_b32 v11, v35 offset:2304
	ds_store_b32 v12, v36 offset:2304
	;; [unrolled: 1-line block ×8, first 2 shown]
	v_mul_f32_e32 v1, v61, v16
	v_fma_f32 v2, -v49, v41, v38
	s_waitcnt lgkmcnt(19)
	s_delay_alu instid0(VALU_DEP_1) | instskip(NEXT) | instid1(VALU_DEP_1)
	v_fma_f32 v2, -v1, v44, v2
	v_mul_f32_e32 v2, v43, v2
	ds_store_b32 v25, v51 offset:2304
	ds_store_b32 v28, v46 offset:2304
	;; [unrolled: 1-line block ×5, first 2 shown]
.LBB28_20:
	s_cmp_gt_i32 s4, -1
	s_cbranch_scc0 .LBB28_39
; %bb.21:
	s_cmp_lt_u32 s4, 19
	s_cbranch_scc1 .LBB28_26
; %bb.22:
	s_mul_i32 s10, s4, 24
	s_delay_alu instid0(SALU_CYCLE_1)
	s_sub_i32 s11, s10, 48
	s_add_i32 s12, s10, 0xffffffb8
	v_add_lshl_u32 v1, s11, v0, 2
	s_add_i32 s11, s10, 0xffffffa0
	v_add_lshl_u32 v2, s12, v0, 2
	;; [unrolled: 2-line block ×3, first 2 shown]
	s_add_i32 s11, s10, 0xffffff70
	s_sub_i32 s30, s10, 24
	v_add_lshl_u32 v4, s12, v0, 2
	s_add_i32 s12, s10, 0xffffff58
	v_add_lshl_u32 v12, s10, v0, 2
	v_add_lshl_u32 v5, s11, v0, 2
	s_add_i32 s11, s10, 0xffffff40
	v_add_lshl_u32 v13, s30, v0, 2
	;; [unrolled: 3-line block ×3, first 2 shown]
	s_add_i32 s11, s10, 0xffffff10
	v_add_lshl_u32 v11, s12, v0, 2
	s_add_i32 s34, s10, 0xfffffef8
	v_add_lshl_u32 v14, s11, v0, 2
	s_add_i32 s33, s10, 0xfffffee0
	ds_load_b32 v15, v12 offset:2304
	ds_load_b32 v31, v13 offset:2304
	;; [unrolled: 1-line block ×8, first 2 shown]
	v_add_lshl_u32 v1, s34, v0, 2
	s_add_i32 s31, s10, 0xfffffec8
	s_add_i32 s29, s10, 0xfffffeb0
	s_add_i32 s27, s10, 0xfffffe98
	s_add_i32 s23, s10, 0xfffffe80
	s_add_i32 s19, s10, 0xfffffe68
	s_add_i32 s11, s10, 0xfffffe50
	s_addk_i32 s10, 0xfe38
	v_add_lshl_u32 v2, s33, v0, 2
	v_add_lshl_u32 v3, s31, v0, 2
	;; [unrolled: 1-line block ×8, first 2 shown]
	ds_load_b32 v24, v10 offset:2304
	ds_load_b32 v27, v11 offset:2304
	;; [unrolled: 1-line block ×12, first 2 shown]
	s_cmp_le_i32 s26, s4
	s_cbranch_scc1 .LBB28_25
; %bb.23:
	v_lshlrev_b32_e32 v32, 2, v0
	s_mul_i32 s18, s15, 0x60
	s_mul_i32 s12, s4, 0x60
	s_lshl_b32 s13, s15, 2
	s_delay_alu instid0(SALU_CYCLE_1)
	s_add_i32 s12, s12, s13
	v_add3_u32 v32, s18, v32, 0x8a0
	s_addk_i32 s12, 0xf8dc
	s_mov_b32 s13, s26
.LBB28_24:                              ; =>This Inner Loop Header: Depth=1
	v_add_nc_u32_e64 v39, 0x400, s12
	v_mov_b32_e32 v51, s12
	v_add_nc_u32_e64 v41, 0x200, s12
	ds_load_b32 v53, v32
	v_add_nc_u32_e32 v32, 0xffffffa0, v32
	ds_load_2addr_b32 v[33:34], v39 offset0:176 offset1:200
	ds_load_2addr_b32 v[35:36], v39 offset0:128 offset1:152
	;; [unrolled: 1-line block ×9, first 2 shown]
	ds_load_2addr_b32 v[51:52], v51 offset1:24
	s_add_i32 s13, s13, -1
	s_add_i32 s12, s12, -4
	s_cmp_gt_i32 s13, s4
	s_waitcnt lgkmcnt(9)
	v_fma_f32 v15, -v53, v34, v15
	v_fma_f32 v31, -v53, v33, v31
	s_waitcnt lgkmcnt(8)
	v_fma_f32 v16, -v53, v36, v16
	v_fma_f32 v18, -v53, v35, v18
	;; [unrolled: 3-line block ×10, first 2 shown]
	s_cbranch_scc1 .LBB28_24
.LBB28_25:
	s_mul_i32 s13, s4, 0x64
	s_delay_alu instid0(SALU_CYCLE_1)
	v_dual_mov_b32 v32, s13 :: v_dual_add_nc_u32 v13, 0x900, v13
	s_add_i32 s18, s13, 0xffffff9c
	s_sub_i32 s12, s30, 24
	s_add_i32 s24, s13, 0xfffffed4
	s_add_i32 s20, s12, s4
	ds_load_b32 v36, v32
	v_mov_b32_e32 v32, s18
	s_lshl_b32 s18, s20, 2
	s_add_i32 s20, s30, 0xffffffb8
	v_mov_b32_e32 v34, s18
	s_sub_i32 s18, s30, 48
	s_add_i32 s22, s13, 0xffffff38
	s_add_i32 s21, s18, s4
	;; [unrolled: 1-line block ×3, first 2 shown]
	s_lshl_b32 s21, s21, 2
	s_lshl_b32 s25, s25, 2
	s_add_i32 s28, s13, 0xfffffe70
	s_add_i32 s34, s34, s4
	;; [unrolled: 1-line block ×3, first 2 shown]
	s_lshl_b32 s34, s34, 2
	s_lshl_b32 s33, s33, 2
	s_add_i32 s29, s29, s4
	s_add_i32 s31, s31, s4
	s_lshl_b32 s29, s29, 2
	s_lshl_b32 s31, s31, 2
	s_waitcnt lgkmcnt(0)
	v_mul_f32_e32 v15, v36, v15
	ds_load_2addr_b32 v[32:33], v32 offset1:1
	ds_load_b32 v38, v34
	v_dual_mov_b32 v34, s22 :: v_dual_mov_b32 v39, s25
	s_add_i32 s22, s21, -4
	s_delay_alu instid0(SALU_CYCLE_1)
	v_dual_mov_b32 v37, s22 :: v_dual_add_nc_u32 v12, 0x900, v12
	ds_load_2addr_b32 v[34:35], v34 offset1:1
	s_add_i32 s21, s30, 0xffffffa0
	s_add_i32 s22, s30, 0xffffff88
	;; [unrolled: 1-line block ×3, first 2 shown]
	ds_load_2addr_b32 v[36:37], v37 offset1:1
	s_add_i32 s27, s27, s4
	s_add_i32 s23, s23, s4
	s_lshl_b32 s27, s27, 2
	s_lshl_b32 s23, s23, 2
	s_add_i32 s19, s19, s4
	s_add_i32 s11, s11, s4
	s_lshl_b32 s19, s19, 2
	s_lshl_b32 s11, s11, 2
	s_waitcnt lgkmcnt(3)
	v_fma_f32 v31, -v15, v33, v31
	v_mov_b32_e32 v33, s24
	s_add_i32 s24, s25, -8
	s_waitcnt lgkmcnt(2)
	v_fma_f32 v38, -v15, v38, v16
	s_lshl_b32 s25, s35, 2
	v_mul_f32_e32 v16, v32, v31
	ds_load_2addr_b32 v[31:32], v33 offset1:1
	ds_load_b32 v40, v39
	v_mov_b32_e32 v33, s24
	s_add_i32 s24, s22, s4
	s_add_i32 s35, s25, -4
	s_waitcnt lgkmcnt(3)
	v_fma_f32 v35, -v16, v35, v38
	s_waitcnt lgkmcnt(2)
	v_fma_f32 v37, -v15, v37, v18
	v_dual_mov_b32 v41, s35 :: v_dual_mov_b32 v42, s28
	s_lshl_b32 s24, s24, 2
	ds_load_2addr_b32 v[38:39], v33 offset1:1
	v_fma_f32 v37, -v16, v36, v37
	s_add_i32 s28, s24, -4
	v_mul_f32_e32 v18, v34, v35
	s_add_i32 s25, s25, -12
	ds_load_2addr_b32 v[35:36], v42 offset1:1
	v_mov_b32_e32 v42, s25
	s_add_i32 s25, s13, 0xfffffe0c
	ds_load_2addr_b32 v[33:34], v41 offset1:1
	s_add_i32 s35, s13, 0xfffffda8
	s_waitcnt lgkmcnt(4)
	v_fma_f32 v32, -v18, v32, v37
	v_mov_b32_e32 v44, s25
	s_waitcnt lgkmcnt(3)
	v_fma_f32 v37, -v15, v40, v19
	s_add_i32 s25, s24, -12
	s_sub_i32 s24, s24, 20
	v_mul_f32_e32 v19, v31, v32
	ds_load_2addr_b32 v[31:32], v44 offset1:1
	v_mov_b32_e32 v41, s28
	v_mov_b32_e32 v45, s25
	ds_load_2addr_b32 v[42:43], v42 offset1:1
	s_waitcnt lgkmcnt(4)
	v_fma_f32 v37, -v16, v39, v37
	s_add_i32 s10, s10, s4
	ds_load_2addr_b32 v[40:41], v41 offset1:1
	ds_load_2addr_b32 v[44:45], v45 offset1:1
	s_lshl_b32 s10, s10, 2
	s_waitcnt lgkmcnt(4)
	v_fma_f32 v21, -v15, v34, v21
	v_fma_f32 v34, -v18, v38, v37
	s_delay_alu instid0(VALU_DEP_2) | instskip(NEXT) | instid1(VALU_DEP_2)
	v_fma_f32 v21, -v16, v33, v21
	v_fma_f32 v36, -v19, v36, v34
	v_mov_b32_e32 v37, s24
	s_add_i32 s24, s30, 0xffffff70
	s_delay_alu instid0(SALU_CYCLE_1) | instskip(NEXT) | instid1(SALU_CYCLE_1)
	s_add_i32 s25, s24, s4
	s_lshl_b32 s28, s25, 2
	ds_load_2addr_b32 v[33:34], v37 offset1:1
	s_waitcnt lgkmcnt(2)
	v_fma_f32 v37, -v15, v41, v20
	v_mul_f32_e32 v20, v35, v36
	v_mov_b32_e32 v36, s28
	s_add_i32 s25, s28, -8
	s_add_i32 s36, s28, -16
	v_fma_f32 v35, -v16, v40, v37
	s_sub_i32 s28, s28, 24
	ds_load_b32 v38, v36
	v_fma_f32 v21, -v18, v43, v21
	v_mov_b32_e32 v40, s35
	s_waitcnt lgkmcnt(2)
	v_fma_f32 v35, -v18, v45, v35
	s_delay_alu instid0(VALU_DEP_3) | instskip(NEXT) | instid1(VALU_DEP_2)
	v_fma_f32 v21, -v19, v42, v21
	v_fma_f32 v35, -v19, v44, v35
	s_delay_alu instid0(VALU_DEP_2)
	v_fma_f32 v21, -v20, v32, v21
	v_mov_b32_e32 v32, s25
	s_add_i32 s25, s30, 0xffffff58
	s_waitcnt lgkmcnt(1)
	v_fma_f32 v39, -v20, v34, v35
	v_dual_mov_b32 v34, s36 :: v_dual_mul_f32 v21, v31, v21
	ds_load_2addr_b32 v[31:32], v32 offset1:1
	s_add_i32 s36, s25, s4
	v_mov_b32_e32 v36, s28
	s_lshl_b32 s36, s36, 2
	s_waitcnt lgkmcnt(1)
	v_fma_f32 v30, -v15, v38, v30
	s_add_i32 s28, s36, -4
	s_add_i32 s35, s36, -12
	v_mov_b32_e32 v41, s28
	s_add_i32 s28, s30, 0xffffff40
	s_sub_i32 s37, s36, 20
	s_sub_i32 s36, s36, 28
	v_fma_f32 v44, -v21, v33, v39
	v_mov_b32_e32 v42, s36
	s_addk_i32 s30, 0xff28
	s_waitcnt lgkmcnt(0)
	v_fma_f32 v30, -v16, v32, v30
	v_mov_b32_e32 v32, s35
	s_add_i32 s35, s28, s4
	s_delay_alu instid0(SALU_CYCLE_1) | instskip(NEXT) | instid1(VALU_DEP_2)
	s_lshl_b32 s35, s35, 2
	v_fma_f32 v47, -v18, v31, v30
	s_add_i32 s36, s35, -8
	s_delay_alu instid0(SALU_CYCLE_1)
	v_mov_b32_e32 v43, s36
	ds_load_2addr_b32 v[34:35], v34 offset1:1
	ds_load_2addr_b32 v[36:37], v36 offset1:1
	ds_load_2addr_b32 v[38:39], v41 offset1:1
	ds_load_b32 v45, v40
	s_add_i32 s36, s35, -16
	v_mov_b32_e32 v41, s37
	s_add_i32 s37, s13, 0xfffffce0
	s_waitcnt lgkmcnt(3)
	v_fma_f32 v35, -v19, v35, v47
	s_waitcnt lgkmcnt(1)
	v_fma_f32 v39, -v15, v39, v24
	s_waitcnt lgkmcnt(0)
	v_mul_f32_e32 v24, v45, v44
	v_fma_f32 v44, -v20, v34, v35
	s_delay_alu instid0(VALU_DEP_3) | instskip(SKIP_2) | instid1(SALU_CYCLE_1)
	v_fma_f32 v38, -v16, v38, v39
	v_mov_b32_e32 v39, s36
	s_sub_i32 s36, s35, 24
	v_mov_b32_e32 v45, s36
	ds_load_2addr_b32 v[32:33], v32 offset1:1
	s_add_i32 s36, s13, 0xfffffd44
	s_delay_alu instid0(SALU_CYCLE_1)
	v_dual_mov_b32 v40, s35 :: v_dual_mov_b32 v47, s36
	s_add_i32 s36, s30, s4
	v_fma_f32 v37, -v21, v37, v44
	s_lshl_b32 s36, s36, 2
	ds_load_b32 v46, v40
	s_add_i32 s38, s36, -8
	s_sub_i32 s35, s35, 32
	s_sub_i32 s4, s4, 20
	s_waitcnt lgkmcnt(1)
	v_fma_f32 v33, -v18, v33, v38
	s_delay_alu instid0(VALU_DEP_1)
	v_fma_f32 v32, -v19, v32, v33
	v_mov_b32_e32 v33, s37
	ds_load_2addr_b32 v[30:31], v41 offset1:1
	ds_load_2addr_b32 v[40:41], v42 offset1:1
	;; [unrolled: 1-line block ×4, first 2 shown]
	s_waitcnt lgkmcnt(4)
	v_fma_f32 v27, -v15, v46, v27
	ds_load_b32 v44, v47
	s_add_i32 s37, s36, -16
	s_waitcnt lgkmcnt(4)
	v_fma_f32 v31, -v20, v31, v32
	v_mov_b32_e32 v32, s36
	s_waitcnt lgkmcnt(2)
	v_fma_f32 v27, -v16, v43, v27
	s_delay_alu instid0(VALU_DEP_3)
	v_fma_f32 v46, -v21, v30, v31
	ds_load_b32 v43, v32
	v_fma_f32 v27, -v18, v42, v27
	v_mov_b32_e32 v42, s38
	ds_load_2addr_b32 v[38:39], v45 offset1:1
	ds_load_b32 v47, v33
	ds_load_2addr_b32 v[30:31], v42 offset1:1
	s_waitcnt lgkmcnt(5)
	v_fma_f32 v27, -v19, v35, v27
	v_mov_b32_e32 v32, s37
	v_fma_f32 v45, -v24, v36, v37
	s_delay_alu instid0(VALU_DEP_3)
	v_fma_f32 v27, -v20, v34, v27
	v_mov_b32_e32 v34, s35
	s_sub_i32 s35, s36, 24
	ds_load_2addr_b32 v[32:33], v32 offset1:1
	ds_load_2addr_b32 v[34:35], v34 offset1:1
	v_mov_b32_e32 v36, s35
	s_add_i32 s35, s34, -4
	s_waitcnt lgkmcnt(5)
	v_fma_f32 v43, -v15, v43, v26
	v_mov_b32_e32 v42, s35
	v_mul_f32_e32 v26, v44, v45
	v_fma_f32 v44, -v24, v41, v46
	s_add_i32 s35, s34, -12
	ds_load_2addr_b32 v[36:37], v36 offset1:1
	ds_load_2addr_b32 v[41:42], v42 offset1:1
	s_waitcnt lgkmcnt(6)
	v_fma_f32 v27, -v21, v39, v27
	s_waitcnt lgkmcnt(4)
	v_fma_f32 v31, -v16, v31, v43
	v_fma_f32 v39, -v26, v40, v44
	v_mov_b32_e32 v40, s35
	s_sub_i32 s35, s36, 32
	s_add_i32 s36, s13, 0xfffffc18
	s_delay_alu instid0(SALU_CYCLE_1)
	v_mov_b32_e32 v43, s36
	v_fma_f32 v38, -v24, v38, v27
	v_fma_f32 v27, -v18, v30, v31
	ds_load_2addr_b32 v[30:31], v40 offset1:1
	v_mov_b32_e32 v40, s35
	s_add_i32 s35, s13, 0xfffffc7c
	s_waitcnt lgkmcnt(3)
	v_fma_f32 v35, -v26, v35, v38
	v_fma_f32 v33, -v19, v33, v27
	v_mul_f32_e32 v27, v47, v39
	ds_load_2addr_b32 v[38:39], v40 offset1:1
	ds_load_2addr_b32 v[43:44], v43 offset1:1
	s_sub_i32 s36, s34, 28
	v_fma_f32 v32, -v20, v32, v33
	s_waitcnt lgkmcnt(3)
	v_fma_f32 v29, -v15, v42, v29
	v_mov_b32_e32 v33, s35
	s_sub_i32 s35, s34, 20
	v_fma_f32 v47, -v27, v34, v35
	v_fma_f32 v32, -v21, v37, v32
	v_fma_f32 v29, -v16, v41, v29
	v_mov_b32_e32 v34, s35
	s_add_i32 s35, s33, -8
	s_sub_i32 s34, s34, 36
	v_fma_f32 v35, -v24, v36, v32
	s_waitcnt lgkmcnt(2)
	v_fma_f32 v29, -v18, v31, v29
	v_mov_b32_e32 v36, s33
	ds_load_2addr_b32 v[31:32], v34 offset1:1
	v_mov_b32_e32 v34, s35
	ds_load_b32 v37, v36
	ds_load_b32 v48, v33
	v_mov_b32_e32 v33, s36
	v_fma_f32 v41, -v19, v30, v29
	ds_load_2addr_b32 v[29:30], v34 offset1:1
	s_add_i32 s35, s13, 0xfffffbb4
	s_waitcnt lgkmcnt(5)
	v_fma_f32 v49, -v26, v39, v35
	v_mov_b32_e32 v35, s34
	s_add_i32 s34, s33, -16
	ds_load_2addr_b32 v[33:34], v33 offset1:1
	v_mov_b32_e32 v39, s35
	s_sub_i32 s35, s33, 24
	s_delay_alu instid0(SALU_CYCLE_1)
	v_dual_mov_b32 v42, s34 :: v_dual_mov_b32 v45, s35
	ds_load_2addr_b32 v[35:36], v35 offset1:1
	ds_load_2addr_b32 v[39:40], v39 offset1:1
	s_add_i32 s34, s31, -4
	s_sub_i32 s35, s33, 32
	s_waitcnt lgkmcnt(6)
	v_fma_f32 v32, -v20, v32, v41
	ds_load_2addr_b32 v[41:42], v42 offset1:1
	ds_load_2addr_b32 v[45:46], v45 offset1:1
	s_sub_i32 s33, s33, 40
	s_waitcnt lgkmcnt(7)
	v_fma_f32 v37, -v15, v37, v28
	s_waitcnt lgkmcnt(6)
	v_mul_f32_e32 v28, v48, v47
	v_fma_f32 v31, -v21, v31, v32
	v_fma_f32 v49, -v27, v38, v49
	s_waitcnt lgkmcnt(5)
	v_fma_f32 v30, -v16, v30, v37
	v_mov_b32_e32 v37, s33
	s_add_i32 s33, s31, -12
	s_waitcnt lgkmcnt(4)
	v_fma_f32 v32, -v24, v34, v31
	v_mov_b32_e32 v31, s34
	v_fma_f32 v29, -v18, v29, v30
	v_mov_b32_e32 v34, s35
	s_add_i32 s34, s13, 0xfffffb50
	ds_load_2addr_b32 v[30:31], v31 offset1:1
	v_mov_b32_e32 v47, s34
	s_waitcnt lgkmcnt(2)
	v_fma_f32 v29, -v19, v42, v29
	v_fma_f32 v42, -v26, v33, v32
	ds_load_2addr_b32 v[32:33], v34 offset1:1
	ds_load_2addr_b32 v[37:38], v37 offset1:1
	;; [unrolled: 1-line block ×3, first 2 shown]
	v_fma_f32 v34, -v28, v44, v49
	s_sub_i32 s34, s31, 36
	v_fma_f32 v29, -v20, v41, v29
	v_mov_b32_e32 v41, s33
	v_fma_f32 v36, -v27, v36, v42
	s_sub_i32 s33, s31, 20
	s_waitcnt lgkmcnt(4)
	v_fma_f32 v44, -v21, v46, v29
	ds_load_2addr_b32 v[41:42], v41 offset1:1
	v_dual_mul_f32 v29, v43, v34 :: v_dual_mov_b32 v34, s33
	v_fma_f32 v36, -v28, v35, v36
	s_sub_i32 s33, s31, 28
	v_fma_f32 v43, -v24, v45, v44
	v_mov_b32_e32 v44, s33
	s_waitcnt lgkmcnt(4)
	v_fma_f32 v25, -v15, v31, v25
	ds_load_2addr_b32 v[34:35], v34 offset1:1
	v_mov_b32_e32 v31, s29
	s_add_i32 s33, s29, -8
	v_mov_b32_e32 v45, s34
	v_fma_f32 v25, -v16, v30, v25
	v_mov_b32_e32 v46, s33
	ds_load_b32 v49, v31
	s_waitcnt lgkmcnt(5)
	v_fma_f32 v33, -v26, v33, v43
	ds_load_2addr_b32 v[30:31], v44 offset1:1
	ds_load_2addr_b32 v[43:44], v45 offset1:1
	;; [unrolled: 1-line block ×3, first 2 shown]
	s_sub_i32 s31, s31, 44
	v_fma_f32 v36, -v29, v40, v36
	s_add_i32 s33, s13, 0xfffffaec
	s_waitcnt lgkmcnt(5)
	v_fma_f32 v25, -v18, v42, v25
	v_mov_b32_e32 v42, s31
	s_add_i32 s31, s29, -16
	v_fma_f32 v51, -v27, v32, v33
	v_mul_f32_e32 v57, v39, v36
	v_fma_f32 v25, -v19, v41, v25
	s_delay_alu instid0(VALU_DEP_3) | instskip(SKIP_1) | instid1(VALU_DEP_2)
	v_fma_f32 v38, -v28, v38, v51
	s_waitcnt lgkmcnt(4)
	v_fma_f32 v25, -v20, v35, v25
	v_mov_b32_e32 v35, s31
	s_add_i32 s31, s27, -4
	s_delay_alu instid0(SALU_CYCLE_1) | instskip(NEXT) | instid1(VALU_DEP_3)
	v_mov_b32_e32 v36, s31
	v_fma_f32 v25, -v21, v34, v25
	s_sub_i32 s31, s29, 32
	s_waitcnt lgkmcnt(3)
	v_fma_f32 v23, -v15, v49, v23
	s_waitcnt lgkmcnt(2)
	v_fma_f32 v25, -v24, v31, v25
	v_mov_b32_e32 v31, s31
	s_sub_i32 s31, s29, 40
	s_waitcnt lgkmcnt(0)
	v_fma_f32 v23, -v16, v46, v23
	v_mov_b32_e32 v51, s31
	s_add_i32 s31, s13, 0xfffffa88
	s_delay_alu instid0(SALU_CYCLE_1)
	v_dual_mov_b32 v50, s33 :: v_dual_mov_b32 v55, s31
	s_sub_i32 s33, s29, 24
	s_sub_i32 s29, s29, 48
	v_fma_f32 v25, -v26, v30, v25
	v_mov_b32_e32 v53, s29
	ds_load_2addr_b32 v[32:33], v42 offset1:1
	ds_load_2addr_b32 v[40:41], v50 offset1:1
	;; [unrolled: 1-line block ×3, first 2 shown]
	v_fma_f32 v42, -v29, v37, v38
	v_fma_f32 v25, -v27, v44, v25
	;; [unrolled: 1-line block ×3, first 2 shown]
	s_sub_i32 s29, s27, 20
	s_sub_i32 s31, s27, 44
	v_fma_f32 v42, -v57, v48, v42
	v_fma_f32 v25, -v28, v43, v25
	v_mov_b32_e32 v38, s33
	v_mov_b32_e32 v30, s29
	s_sub_i32 s29, s27, 28
	v_mul_f32_e32 v58, v47, v42
	s_add_i32 s33, s27, -12
	s_delay_alu instid0(SALU_CYCLE_1) | instskip(SKIP_4) | instid1(VALU_DEP_2)
	v_mov_b32_e32 v45, s33
	s_waitcnt lgkmcnt(2)
	v_fma_f32 v25, -v29, v33, v25
	s_waitcnt lgkmcnt(0)
	v_fma_f32 v23, -v19, v35, v23
	v_fma_f32 v25, -v57, v32, v25
	s_delay_alu instid0(VALU_DEP_2) | instskip(NEXT) | instid1(VALU_DEP_2)
	v_fma_f32 v23, -v20, v34, v23
	v_fma_f32 v25, -v58, v41, v25
	v_mov_b32_e32 v34, s29
	s_add_i32 s29, s23, -8
	s_delay_alu instid0(SALU_CYCLE_1) | instskip(NEXT) | instid1(VALU_DEP_3)
	v_mov_b32_e32 v35, s29
	v_mul_f32_e32 v25, v40, v25
	ds_load_2addr_b32 v[36:37], v36 offset1:1
	ds_load_2addr_b32 v[38:39], v38 offset1:1
	;; [unrolled: 1-line block ×7, first 2 shown]
	s_sub_i32 s29, s27, 36
	s_sub_i32 s27, s27, 52
	s_delay_alu instid0(SALU_CYCLE_1)
	v_mov_b32_e32 v32, s27
	s_add_i32 s27, s19, -4
	s_waitcnt lgkmcnt(6)
	v_fma_f32 v22, -v15, v37, v22
	s_waitcnt lgkmcnt(5)
	v_fma_f32 v37, -v21, v39, v23
	v_mov_b32_e32 v39, s31
	s_sub_i32 s31, s23, 40
	v_fma_f32 v31, -v16, v36, v22
	ds_load_2addr_b32 v[22:23], v30 offset1:1
	v_mov_b32_e32 v36, s29
	s_add_i32 s29, s23, -16
	s_waitcnt lgkmcnt(5)
	v_fma_f32 v31, -v18, v46, v31
	v_mov_b32_e32 v48, s29
	s_sub_i32 s29, s23, 24
	v_fma_f32 v46, -v24, v38, v37
	s_delay_alu instid0(VALU_DEP_3) | instskip(SKIP_1) | instid1(VALU_DEP_1)
	v_fma_f32 v45, -v19, v45, v31
	s_waitcnt lgkmcnt(0)
	v_fma_f32 v23, -v20, v23, v45
	s_delay_alu instid0(VALU_DEP_3) | instskip(NEXT) | instid1(VALU_DEP_2)
	v_fma_f32 v45, -v26, v50, v46
	v_fma_f32 v22, -v21, v22, v23
	v_mov_b32_e32 v23, s29
	s_sub_i32 s29, s23, 32
	v_mov_b32_e32 v30, s23
	v_fma_f32 v33, -v27, v49, v45
	ds_load_b32 v44, v30
	ds_load_2addr_b32 v[30:31], v34 offset1:1
	ds_load_2addr_b32 v[34:35], v35 offset1:1
	;; [unrolled: 1-line block ×5, first 2 shown]
	v_fma_f32 v45, -v28, v52, v33
	s_waitcnt lgkmcnt(5)
	v_fma_f32 v17, -v15, v44, v17
	s_waitcnt lgkmcnt(4)
	v_fma_f32 v31, -v24, v31, v22
	ds_load_2addr_b32 v[22:23], v23 offset1:1
	v_mov_b32_e32 v44, s31
	s_sub_i32 s31, s10, 44
	s_waitcnt lgkmcnt(4)
	v_fma_f32 v17, -v16, v35, v17
	v_mov_b32_e32 v35, s29
	v_fma_f32 v46, -v26, v30, v31
	s_add_i32 s29, s19, -12
	s_delay_alu instid0(VALU_DEP_3)
	v_fma_f32 v17, -v18, v34, v17
	ds_load_2addr_b32 v[30:31], v35 offset1:1
	ds_load_2addr_b32 v[33:34], v44 offset1:1
	s_waitcnt lgkmcnt(5)
	v_fma_f32 v37, -v27, v37, v46
	v_fma_f32 v35, -v29, v51, v45
	s_waitcnt lgkmcnt(3)
	v_fma_f32 v17, -v19, v43, v17
	s_delay_alu instid0(VALU_DEP_2) | instskip(NEXT) | instid1(VALU_DEP_2)
	v_fma_f32 v35, -v57, v54, v35
	v_fma_f32 v17, -v20, v42, v17
	ds_load_2addr_b32 v[42:43], v32 offset1:1
	v_mov_b32_e32 v32, s27
	s_add_i32 s27, s13, 0xfffffa24
	s_waitcnt lgkmcnt(3)
	v_fma_f32 v17, -v21, v23, v17
	v_fma_f32 v23, -v28, v36, v37
	s_delay_alu instid0(VALU_DEP_2) | instskip(NEXT) | instid1(VALU_DEP_2)
	v_fma_f32 v17, -v24, v22, v17
	v_fma_f32 v36, -v29, v39, v23
	ds_load_2addr_b32 v[22:23], v32 offset1:1
	s_waitcnt lgkmcnt(3)
	v_fma_f32 v17, -v26, v31, v17
	v_mov_b32_e32 v31, s27
	s_sub_i32 s27, s23, 48
	s_sub_i32 s23, s23, 56
	s_delay_alu instid0(VALU_DEP_2)
	v_fma_f32 v17, -v27, v30, v17
	ds_load_2addr_b32 v[30:31], v31 offset1:1
	v_fma_f32 v32, -v58, v53, v35
	v_fma_f32 v35, -v57, v38, v36
	v_mov_b32_e32 v36, s23
	s_waitcnt lgkmcnt(3)
	v_fma_f32 v17, -v28, v34, v17
	v_mov_b32_e32 v34, s27
	v_fma_f32 v47, -v25, v56, v32
	v_mov_b32_e32 v32, s29
	s_waitcnt lgkmcnt(2)
	v_fma_f32 v48, -v58, v43, v35
	v_fma_f32 v17, -v29, v33, v17
	ds_load_2addr_b32 v[32:33], v32 offset1:1
	ds_load_2addr_b32 v[34:35], v34 offset1:1
	;; [unrolled: 1-line block ×3, first 2 shown]
	s_waitcnt lgkmcnt(4)
	v_fma_f32 v14, -v15, v23, v14
	s_sub_i32 s27, s19, 20
	v_mov_b32_e32 v38, s11
	s_add_i32 s23, s13, 0xfffff9c0
	s_sub_i32 s29, s19, 36
	v_fma_f32 v14, -v16, v22, v14
	v_mov_b32_e32 v22, s27
	ds_load_b32 v49, v38
	s_sub_i32 s27, s19, 28
	s_delay_alu instid0(SALU_CYCLE_1)
	v_dual_mov_b32 v40, s29 :: v_dual_mov_b32 v39, s27
	ds_load_2addr_b32 v[22:23], v22 offset1:1
	s_add_i32 s27, s11, -8
	v_mov_b32_e32 v45, s23
	v_mov_b32_e32 v43, s27
	ds_load_2addr_b32 v[38:39], v39 offset1:1
	ds_load_2addr_b32 v[40:41], v40 offset1:1
	;; [unrolled: 1-line block ×4, first 2 shown]
	s_waitcnt lgkmcnt(8)
	v_fma_f32 v14, -v18, v33, v14
	s_add_i32 s23, s11, -16
	s_sub_i32 s27, s11, 24
	v_mul_f32_e32 v59, v55, v47
	v_fma_f32 v33, -v25, v42, v48
	s_waitcnt lgkmcnt(7)
	v_fma_f32 v17, -v57, v35, v17
	v_fma_f32 v14, -v19, v32, v14
	v_dual_mov_b32 v32, s23 :: v_dual_mov_b32 v35, s27
	v_fma_f32 v42, -v59, v31, v33
	s_delay_alu instid0(VALU_DEP_4)
	v_fma_f32 v17, -v58, v34, v17
	s_waitcnt lgkmcnt(5)
	v_fma_f32 v11, -v15, v49, v11
	v_mov_b32_e32 v49, s31
	ds_load_2addr_b32 v[31:32], v32 offset1:1
	ds_load_2addr_b32 v[33:34], v35 offset1:1
	s_waitcnt lgkmcnt(6)
	v_fma_f32 v14, -v20, v23, v14
	s_sub_i32 s23, s11, 64
	s_add_i32 s27, s10, -4
	v_mul_f32_e32 v60, v30, v42
	s_waitcnt lgkmcnt(3)
	v_fma_f32 v11, -v16, v44, v11
	v_fma_f32 v14, -v21, v22, v14
	v_mov_b32_e32 v22, s23
	s_add_i32 s23, s13, 0xfffff8f8
	v_mov_b32_e32 v35, s27
	v_fma_f32 v11, -v18, v43, v11
	v_mov_b32_e32 v30, s23
	ds_load_2addr_b32 v[22:23], v22 offset1:1
	ds_load_2addr_b32 v[42:43], v30 offset1:1
	;; [unrolled: 1-line block ×3, first 2 shown]
	v_fma_f32 v14, -v24, v39, v14
	s_sub_i32 s23, s19, 44
	s_sub_i32 s27, s10, 20
	s_waitcnt lgkmcnt(4)
	v_fma_f32 v11, -v19, v32, v11
	v_mov_b32_e32 v30, s23
	v_fma_f32 v14, -v26, v38, v14
	s_add_i32 s23, s10, -12
	v_fma_f32 v17, -v25, v37, v17
	v_fma_f32 v11, -v20, v31, v11
	v_mov_b32_e32 v32, s23
	v_fma_f32 v14, -v27, v41, v14
	ds_load_2addr_b32 v[30:31], v30 offset1:1
	v_fma_f32 v17, -v59, v36, v17
	s_waitcnt lgkmcnt(4)
	v_fma_f32 v11, -v21, v34, v11
	ds_load_2addr_b32 v[34:35], v32 offset1:1
	s_sub_i32 s29, s10, 36
	s_sub_i32 s23, s19, 52
	;; [unrolled: 1-line block ×3, first 2 shown]
	v_fma_f32 v41, -v24, v33, v11
	v_mov_b32_e32 v11, s27
	s_sub_i32 s27, s11, 32
	v_mov_b32_e32 v39, s23
	v_mov_b32_e32 v33, s27
	s_sub_i32 s27, s11, 40
	s_add_i32 s23, s13, 0xfffff95c
	v_mov_b32_e32 v37, s27
	s_sub_i32 s27, s10, 28
	v_fma_f32 v14, -v28, v40, v14
	ds_load_2addr_b32 v[37:38], v37 offset1:1
	s_waitcnt lgkmcnt(3)
	v_fma_f32 v32, -v15, v48, v10
	ds_load_2addr_b32 v[10:11], v11 offset1:1
	s_waitcnt lgkmcnt(3)
	v_fma_f32 v14, -v29, v31, v14
	v_fma_f32 v44, -v16, v47, v32
	ds_load_2addr_b32 v[32:33], v33 offset1:1
	v_mov_b32_e32 v47, s27
	s_sub_i32 s27, s11, 48
	s_sub_i32 s11, s11, 56
	s_waitcnt lgkmcnt(3)
	v_fma_f32 v35, -v18, v35, v44
	v_mov_b32_e32 v44, s29
	ds_load_2addr_b32 v[47:48], v47 offset1:1
	v_mov_b32_e32 v53, s11
	v_fma_f32 v17, -v60, v46, v17
	v_fma_f32 v51, -v19, v34, v35
	v_mov_b32_e32 v52, s27
	ds_load_2addr_b32 v[34:35], v44 offset1:1
	ds_load_2addr_b32 v[49:50], v49 offset1:1
	v_fma_f32 v14, -v57, v30, v14
	v_mul_f32_e32 v17, v45, v17
	s_sub_i32 s11, s10, 52
	s_waitcnt lgkmcnt(4)
	v_fma_f32 v11, -v20, v11, v51
	ds_load_2addr_b32 v[51:52], v52 offset1:1
	ds_load_2addr_b32 v[53:54], v53 offset1:1
	;; [unrolled: 1-line block ×3, first 2 shown]
	v_mov_b32_e32 v39, s23
	s_waitcnt lgkmcnt(6)
	v_fma_f32 v33, -v26, v33, v41
	v_fma_f32 v10, -v21, v10, v11
	v_mov_b32_e32 v11, s19
	s_delay_alu instid0(VALU_DEP_3) | instskip(SKIP_1) | instid1(VALU_DEP_3)
	v_fma_f32 v40, -v27, v32, v33
	s_waitcnt lgkmcnt(5)
	v_fma_f32 v41, -v24, v48, v10
	ds_load_2addr_b32 v[10:11], v11 offset1:1
	ds_load_2addr_b32 v[32:33], v39 offset1:1
	v_mov_b32_e32 v39, s11
	s_sub_i32 s11, s10, 60
	v_fma_f32 v31, -v28, v38, v40
	v_fma_f32 v38, -v26, v47, v41
	s_addk_i32 s10, 0xffbc
	s_delay_alu instid0(VALU_DEP_2)
	v_fma_f32 v37, -v29, v37, v31
	s_waitcnt lgkmcnt(2)
	v_fma_f32 v14, -v58, v56, v14
	v_fma_f32 v35, -v27, v35, v38
	ds_load_2addr_b32 v[30:31], v39 offset1:1
	v_fma_f32 v36, -v57, v52, v37
	v_fma_f32 v14, -v25, v55, v14
	;; [unrolled: 1-line block ×3, first 2 shown]
	v_mov_b32_e32 v35, s11
	s_add_i32 s11, s13, 0xfffff894
	v_fma_f32 v36, -v58, v51, v36
	s_waitcnt lgkmcnt(2)
	v_fma_f32 v11, -v59, v11, v14
	v_fma_f32 v37, -v29, v50, v34
	ds_load_2addr_b32 v[34:35], v35 offset1:1
	v_mov_b32_e32 v39, s11
	v_fma_f32 v14, -v25, v54, v36
	v_fma_f32 v10, -v60, v10, v11
	;; [unrolled: 1-line block ×3, first 2 shown]
	s_delay_alu instid0(VALU_DEP_3) | instskip(SKIP_1) | instid1(VALU_DEP_3)
	v_fma_f32 v11, -v59, v53, v14
	s_waitcnt lgkmcnt(2)
	v_fma_f32 v10, -v17, v33, v10
	s_waitcnt lgkmcnt(1)
	v_fma_f32 v31, -v58, v31, v40
	v_fma_f32 v11, -v60, v23, v11
	s_delay_alu instid0(VALU_DEP_3) | instskip(SKIP_1) | instid1(VALU_DEP_4)
	v_mul_f32_e32 v10, v32, v10
	v_add_lshl_u32 v23, s12, v0, 2
	v_fma_f32 v14, -v25, v30, v31
	v_add_lshl_u32 v30, s18, v0, 2
	v_fma_f32 v11, -v17, v22, v11
	v_add_lshl_u32 v22, s20, v0, 2
	v_add_lshl_u32 v31, s21, v0, 2
	s_waitcnt lgkmcnt(0)
	v_fma_f32 v14, -v59, v35, v14
	v_add_lshl_u32 v32, s22, v0, 2
	v_fma_f32 v11, -v10, v43, v11
	v_mov_b32_e32 v38, s10
	s_delay_alu instid0(VALU_DEP_4) | instskip(NEXT) | instid1(VALU_DEP_3)
	v_fma_f32 v14, -v60, v34, v14
	v_mul_f32_e32 v11, v42, v11
	ds_load_2addr_b32 v[36:37], v38 offset1:1
	ds_load_2addr_b32 v[38:39], v39 offset1:1
	ds_store_b32 v12, v15
	ds_store_b32 v13, v16
	ds_store_b32 v23, v18 offset:2304
	ds_store_b32 v30, v19 offset:2304
	;; [unrolled: 1-line block ×5, first 2 shown]
	v_add_lshl_u32 v13, s24, v0, 2
	v_add_lshl_u32 v15, s28, v0, 2
	v_add_lshl_u32 v16, s30, v0, 2
	s_waitcnt lgkmcnt(8)
	v_fma_f32 v14, -v17, v37, v14
	s_delay_alu instid0(VALU_DEP_1)
	v_fma_f32 v12, -v10, v36, v14
	v_add_lshl_u32 v14, s25, v0, 2
	ds_store_b32 v13, v26 offset:2304
	ds_store_b32 v14, v27 offset:2304
	;; [unrolled: 1-line block ×4, first 2 shown]
	s_waitcnt lgkmcnt(11)
	v_fma_f32 v12, -v11, v39, v12
	ds_store_b32 v1, v57 offset:2304
	ds_store_b32 v2, v58 offset:2304
	;; [unrolled: 1-line block ×8, first 2 shown]
	v_mul_f32_e32 v12, v38, v12
	ds_store_b32 v8, v12 offset:2304
.LBB28_26:
	s_cmp_lt_i32 s4, 0
	s_cbranch_scc1 .LBB28_39
; %bb.27:
	s_bitcmp1_b32 s4, 0
	s_cselect_b32 s10, -1, 0
	s_delay_alu instid0(SALU_CYCLE_1)
	s_and_b32 vcc_lo, exec_lo, s10
	s_mov_b32 s10, s4
	s_cbranch_vccnz .LBB28_32
; %bb.28:
	s_mul_i32 s10, s4, 24
	s_cmp_le_i32 s26, s4
	v_add_lshl_u32 v2, s10, v0, 2
	ds_load_b32 v1, v2 offset:2304
	s_cbranch_scc1 .LBB28_31
; %bb.29:
	v_lshlrev_b32_e32 v3, 2, v0
	s_mul_i32 s12, s15, 0x60
	s_mul_i32 s10, s4, 0x60
	s_lshl_b32 s11, s15, 2
	s_delay_alu instid0(SALU_CYCLE_1)
	s_add_i32 s10, s10, s11
	v_add3_u32 v3, s12, v3, 0x8a0
	s_add_i32 s10, s10, -4
	s_mov_b32 s11, s26
.LBB28_30:                              ; =>This Inner Loop Header: Depth=1
	v_mov_b32_e32 v4, s10
	s_add_i32 s11, s11, -1
	s_add_i32 s10, s10, -4
	s_cmp_gt_i32 s11, s4
	ds_load_b32 v5, v3
	ds_load_b32 v4, v4
	v_add_nc_u32_e32 v3, 0xffffffa0, v3
	s_waitcnt lgkmcnt(0)
	v_fma_f32 v1, -v5, v4, v1
	s_cbranch_scc1 .LBB28_30
.LBB28_31:
	s_mul_i32 s10, s4, 0x64
	s_delay_alu instid0(SALU_CYCLE_1)
	v_dual_mov_b32 v3, s10 :: v_dual_add_nc_u32 v2, 0x900, v2
	s_add_i32 s10, s4, -1
	ds_load_b32 v3, v3
	s_waitcnt lgkmcnt(0)
	v_mul_f32_e32 v1, v3, v1
	ds_store_b32 v2, v1
.LBB28_32:
	s_cmp_eq_u32 s4, 0
	s_cbranch_scc1 .LBB28_39
; %bb.33:
	v_lshlrev_b32_e32 v1, 2, v0
	s_mul_i32 s12, s15, 0x60
	s_mul_i32 s4, s10, 0x60
	s_lshl_b32 s11, s15, 2
	s_delay_alu instid0(SALU_CYCLE_1)
	s_add_i32 s11, s4, s11
	v_add3_u32 v1, s12, v1, 0x8a0
	s_add_i32 s4, s11, -4
	s_addk_i32 s11, 0xff9c
	s_branch .LBB28_35
.LBB28_34:                              ;   in Loop: Header=BB28_35 Depth=1
	s_addk_i32 s12, 0xff9c
	v_add_nc_u32_e32 v2, 0x900, v4
	v_mov_b32_e32 v4, s12
	s_add_i32 s12, s10, -2
	s_addk_i32 s4, 0xff40
	s_addk_i32 s11, 0xff40
	s_cmp_lt_i32 s10, 2
	ds_load_b32 v4, v4
	s_mov_b32 s10, s12
	s_waitcnt lgkmcnt(0)
	v_mul_f32_e32 v3, v4, v3
	ds_store_b32 v2, v3
	s_cbranch_scc1 .LBB28_39
.LBB28_35:                              ; =>This Loop Header: Depth=1
                                        ;     Child Loop BB28_36 Depth 2
                                        ;     Child Loop BB28_38 Depth 2
	s_mul_i32 s13, s10, 24
	v_mov_b32_e32 v4, v1
	v_add_lshl_u32 v3, s13, v0, 2
	s_cmp_le_i32 s26, s10
	s_mov_b32 s12, s4
	s_mov_b32 s18, s26
	ds_load_b32 v2, v3 offset:2304
	s_cbranch_scc1 .LBB28_37
.LBB28_36:                              ;   Parent Loop BB28_35 Depth=1
                                        ; =>  This Inner Loop Header: Depth=2
	v_mov_b32_e32 v5, s12
	s_add_i32 s18, s18, -1
	s_add_i32 s12, s12, -4
	s_cmp_gt_i32 s18, s10
	ds_load_b32 v6, v4
	ds_load_b32 v5, v5
	v_add_nc_u32_e32 v4, 0xffffffa0, v4
	s_waitcnt lgkmcnt(0)
	v_fma_f32 v2, -v6, v5, v2
	s_cbranch_scc1 .LBB28_36
.LBB28_37:                              ;   in Loop: Header=BB28_35 Depth=1
	s_mul_i32 s12, s10, 0x64
	v_add_nc_u32_e32 v5, 0x900, v3
	v_mov_b32_e32 v3, s12
	s_sub_i32 s13, s13, 24
	s_cmp_lt_i32 s26, s10
	v_add_lshl_u32 v4, s13, v0, 2
	s_mov_b32 s13, s11
	ds_load_b32 v6, v3
	s_mov_b32 s18, s15
	ds_load_b32 v3, v4 offset:2304
	s_waitcnt lgkmcnt(1)
	v_mul_f32_e32 v6, v6, v2
	v_mov_b32_e32 v2, v1
	ds_store_b32 v5, v6
	s_cbranch_scc1 .LBB28_34
.LBB28_38:                              ;   Parent Loop BB28_35 Depth=1
                                        ; =>  This Inner Loop Header: Depth=2
	v_mov_b32_e32 v5, s13
	s_add_i32 s18, s18, -1
	s_add_i32 s13, s13, -4
	s_cmp_gt_i32 s18, s10
	ds_load_b32 v6, v2
	ds_load_b32 v5, v5
	v_add_nc_u32_e32 v2, 0xffffffa0, v2
	s_waitcnt lgkmcnt(0)
	v_fma_f32 v3, -v6, v5, v3
	s_cbranch_scc1 .LBB28_38
	s_branch .LBB28_34
.LBB28_39:
	s_mov_b32 s4, 0
.LBB28_40:
	s_delay_alu instid0(SALU_CYCLE_1)
	s_and_b32 vcc_lo, exec_lo, s4
	s_cbranch_vccz .LBB28_60
; %bb.41:
	s_cmp_gt_i32 s6, 23
	s_mov_b32 s4, 0
	s_cselect_b32 s12, -1, 0
	s_delay_alu instid0(SALU_CYCLE_1)
	s_and_b32 vcc_lo, exec_lo, s12
	s_cbranch_vccz .LBB28_43
; %bb.42:
	v_lshlrev_b32_e32 v5, 2, v0
	v_mov_b32_e32 v3, 0
	s_mov_b32 s4, 24
	s_delay_alu instid0(VALU_DEP_2)
	v_add_nc_u32_e32 v2, 0x800, v5
	ds_load_b128 v[6:9], v3
	ds_load_b128 v[10:13], v3 offset:16
	ds_load_2addr_b64 v[14:17], v3 offset0:25 offset1:26
	ds_load_2addr_b64 v[18:21], v3 offset0:27 offset1:28
	ds_load_2addr_b32 v[50:51], v2 offset0:64 offset1:88
	ds_load_2addr_b32 v[58:59], v3 offset0:25 offset1:26
	ds_load_2addr_b32 v[62:63], v3 offset0:27 offset1:28
	ds_load_2addr_b32 v[64:65], v3 offset0:29 offset1:30
	ds_load_2addr_b32 v[66:67], v3 offset0:31 offset1:32
	ds_load_b128 v[22:25], v3 offset:400
	ds_load_b128 v[26:29], v3 offset:416
	;; [unrolled: 1-line block ×3, first 2 shown]
	ds_load_2addr_b32 v[60:61], v2 offset0:112 offset1:136
	ds_load_2addr_b32 v[68:69], v3 offset0:75 offset1:76
	;; [unrolled: 1-line block ×5, first 2 shown]
	ds_load_2addr_b64 v[34:37], v3 offset0:75 offset1:76
	ds_load_2addr_b64 v[38:41], v3 offset0:77 offset1:78
	ds_load_2addr_b32 v[76:77], v3 offset0:177 offset1:178
	ds_load_2addr_b32 v[78:79], v3 offset0:179 offset1:180
	ds_load_b128 v[42:45], v3 offset:32
	ds_load_b128 v[46:49], v3 offset:48
	ds_load_2addr_b32 v[80:81], v2 offset0:160 offset1:184
	s_waitcnt lgkmcnt(19)
	v_mul_f32_e32 v4, v6, v50
	ds_load_2addr_b32 v[82:83], v3 offset0:127 offset1:128
	ds_load_2addr_b32 v[84:85], v3 offset0:129 offset1:130
	;; [unrolled: 1-line block ×4, first 2 shown]
	v_fma_f32 v6, -v4, v7, v51
	v_add_nc_u32_e32 v1, 0xc00, v5
	ds_load_2addr_b64 v[50:53], v3 offset0:29 offset1:30
	ds_load_2addr_b64 v[54:57], v3 offset0:31 offset1:32
	ds_load_2addr_b32 v[90:91], v2 offset0:208 offset1:232
	s_waitcnt lgkmcnt(18)
	v_fma_f32 v7, -v4, v8, v60
	v_fma_f32 v102, -v4, v9, v61
	v_mul_f32_e32 v6, v58, v6
	ds_load_2addr_b32 v[92:93], v3 offset0:33 offset1:34
	ds_load_2addr_b32 v[94:95], v3 offset0:35 offset1:36
	;; [unrolled: 1-line block ×4, first 2 shown]
	ds_load_2addr_b32 v[100:101], v1 offset1:24
	v_fma_f32 v7, -v6, v59, v7
	v_fma_f32 v62, -v6, v62, v102
	ds_load_2addr_b32 v[8:9], v3 offset0:125 offset1:126
	ds_load_b128 v[58:61], v3 offset:464
	ds_load_2addr_b32 v[102:103], v3 offset0:175 offset1:176
	ds_load_b64 v[104:105], v3 offset:664
	s_waitcnt lgkmcnt(16)
	v_fma_f32 v10, -v4, v10, v80
	v_mul_f32_e32 v7, v14, v7
	v_fma_f32 v14, -v4, v11, v81
	s_delay_alu instid0(VALU_DEP_3) | instskip(NEXT) | instid1(VALU_DEP_3)
	v_fma_f32 v63, -v6, v63, v10
	v_fma_f32 v15, -v7, v15, v62
	ds_load_2addr_b32 v[10:11], v1 offset0:48 offset1:72
	v_fma_f32 v14, -v6, v64, v14
	s_waitcnt lgkmcnt(10)
	v_fma_f32 v12, -v4, v12, v90
	v_fma_f32 v16, -v7, v16, v63
	v_mul_f32_e32 v106, v68, v15
	v_fma_f32 v13, -v4, v13, v91
	v_fma_f32 v14, -v7, v17, v14
	;; [unrolled: 1-line block ×3, first 2 shown]
	ds_load_2addr_b32 v[62:63], v1 offset0:96 offset1:120
	v_fma_f32 v15, -v106, v69, v16
	s_waitcnt lgkmcnt(6)
	v_fma_f32 v16, -v4, v42, v100
	v_fma_f32 v14, -v106, v70, v14
	;; [unrolled: 1-line block ×4, first 2 shown]
	v_mul_f32_e32 v100, v22, v15
	v_fma_f32 v15, -v4, v43, v101
	v_fma_f32 v16, -v6, v67, v16
	;; [unrolled: 1-line block ×3, first 2 shown]
	s_delay_alu instid0(VALU_DEP_4) | instskip(NEXT) | instid1(VALU_DEP_4)
	v_fma_f32 v14, -v100, v23, v14
	v_fma_f32 v15, -v6, v92, v15
	s_waitcnt lgkmcnt(1)
	v_fma_f32 v11, -v4, v45, v11
	s_delay_alu instid0(VALU_DEP_3) | instskip(SKIP_2) | instid1(VALU_DEP_4)
	v_mul_f32_e32 v101, v8, v14
	v_fma_f32 v8, -v4, v44, v10
	v_fma_f32 v12, -v100, v24, v12
	;; [unrolled: 1-line block ×3, first 2 shown]
	s_delay_alu instid0(VALU_DEP_3) | instskip(NEXT) | instid1(VALU_DEP_3)
	v_fma_f32 v8, -v6, v93, v8
	v_fma_f32 v9, -v101, v9, v12
	s_delay_alu instid0(VALU_DEP_2) | instskip(NEXT) | instid1(VALU_DEP_2)
	v_fma_f32 v8, -v7, v50, v8
	v_mul_f32_e32 v93, v34, v9
	s_delay_alu instid0(VALU_DEP_2) | instskip(NEXT) | instid1(VALU_DEP_1)
	v_fma_f32 v8, -v106, v75, v8
	v_fma_f32 v8, -v100, v28, v8
	s_delay_alu instid0(VALU_DEP_1) | instskip(NEXT) | instid1(VALU_DEP_1)
	v_fma_f32 v8, -v101, v85, v8
	v_fma_f32 v17, -v93, v38, v8
	v_mov_b32_e32 v38, 0x514
	v_fma_f32 v13, -v7, v19, v13
	v_fma_f32 v16, -v7, v20, v16
	;; [unrolled: 1-line block ×3, first 2 shown]
	ds_load_2addr_b32 v[19:20], v3 offset0:83 offset1:84
	ds_load_2addr_b32 v[21:22], v3 offset0:225 offset1:226
	v_fma_f32 v13, -v106, v72, v13
	v_fma_f32 v14, -v106, v73, v16
	;; [unrolled: 1-line block ×4, first 2 shown]
	ds_load_2addr_b32 v[42:43], v3 offset0:85 offset1:86
	ds_load_2addr_b32 v[65:66], v3 offset0:87 offset1:88
	;; [unrolled: 1-line block ×3, first 2 shown]
	v_fma_f32 v13, -v100, v25, v13
	v_fma_f32 v12, -v100, v26, v14
	;; [unrolled: 1-line block ×3, first 2 shown]
	ds_load_2addr_b32 v[50:51], v1 offset0:144 offset1:168
	ds_load_2addr_b32 v[69:70], v3 offset0:189 offset1:190
	v_fma_f32 v13, -v101, v82, v13
	v_fma_f32 v10, -v101, v83, v12
	v_fma_f32 v9, -v101, v84, v9
	ds_load_2addr_b32 v[44:45], v3 offset0:227 offset1:228
	v_fma_f32 v12, -v93, v35, v13
	v_fma_f32 v10, -v93, v36, v10
	v_fma_f32 v9, -v93, v37, v9
	s_delay_alu instid0(VALU_DEP_3) | instskip(SKIP_3) | instid1(VALU_DEP_3)
	v_dual_mov_b32 v37, 0x454 :: v_dual_mul_f32 v102, v102, v12
	s_waitcnt lgkmcnt(7)
	v_fma_f32 v12, -v106, v19, v11
	v_fma_f32 v19, -v4, v46, v62
	;; [unrolled: 1-line block ×4, first 2 shown]
	s_delay_alu instid0(VALU_DEP_4)
	v_fma_f32 v18, -v100, v29, v12
	ds_load_b128 v[12:15], v3 offset:432
	v_fma_f32 v26, -v6, v95, v19
	v_mul_f32_e32 v94, v30, v10
	ds_load_2addr_b64 v[8:11], v3 offset0:125 offset1:126
	v_fma_f32 v25, -v101, v86, v18
	v_fma_f32 v30, -v4, v47, v63
	;; [unrolled: 1-line block ×3, first 2 shown]
	s_waitcnt lgkmcnt(8)
	s_delay_alu instid0(VALU_DEP_1)
	v_mul_f32_e32 v95, v21, v23
	v_fma_f32 v24, -v102, v77, v17
	v_fma_f32 v23, -v93, v39, v25
	ds_load_b128 v[16:19], v3 offset:848
	v_fma_f32 v21, -v94, v32, v24
	v_fma_f32 v24, -v7, v52, v26
	;; [unrolled: 1-line block ×3, first 2 shown]
	s_delay_alu instid0(VALU_DEP_3) | instskip(NEXT) | instid1(VALU_DEP_3)
	v_fma_f32 v25, -v95, v22, v21
	v_fma_f32 v29, -v106, v20, v24
	ds_load_2addr_b64 v[20:23], v3 offset0:127 offset1:128
	s_waitcnt lgkmcnt(2)
	v_mul_f32_e32 v103, v8, v25
	ds_load_b128 v[24:27], v3 offset:448
	v_fma_f32 v8, -v100, v12, v29
	v_fma_f32 v12, -v6, v96, v30
	;; [unrolled: 1-line block ×3, first 2 shown]
	ds_load_b128 v[28:31], v3 offset:816
	v_mov_b32_e32 v33, 0x44c
	v_fma_f32 v8, -v101, v87, v8
	v_fma_f32 v12, -v7, v53, v12
	ds_load_2addr_b32 v[71:72], v3 offset0:229 offset1:230
	ds_load_2addr_b32 v[73:74], v3 offset0:231 offset1:232
	;; [unrolled: 1-line block ×3, first 2 shown]
	v_fma_f32 v32, -v95, v44, v32
	ds_load_2addr_b32 v[62:63], v33 offset1:1
	v_fma_f32 v8, -v93, v40, v8
	v_fma_f32 v12, -v106, v42, v12
	;; [unrolled: 1-line block ×3, first 2 shown]
	ds_load_2addr_b32 v[77:78], v1 offset0:192 offset1:216
	v_fma_f32 v40, -v103, v9, v32
	v_fma_f32 v36, -v102, v79, v8
	;; [unrolled: 1-line block ×4, first 2 shown]
	ds_load_2addr_b32 v[8:9], v3 offset0:181 offset1:182
	ds_load_b128 v[32:35], v3 offset:832
	v_fma_f32 v50, -v4, v49, v51
	v_fma_f32 v46, -v101, v88, v12
	;; [unrolled: 1-line block ×3, first 2 shown]
	s_waitcnt lgkmcnt(7)
	v_fma_f32 v28, -v94, v28, v36
	ds_load_2addr_b32 v[12:13], v37 offset1:1
	ds_load_2addr_b32 v[79:80], v38 offset1:1
	ds_load_2addr_b64 v[36:39], v3 offset0:79 offset1:80
	ds_load_b32 v96, v3 offset:2300
	v_fma_f32 v46, -v93, v41, v46
	v_fma_f32 v47, -v106, v43, v42
	;; [unrolled: 1-line block ×3, first 2 shown]
	ds_load_b128 v[42:45], v3 offset:1200
	s_waitcnt lgkmcnt(8)
	v_mul_f32_e32 v97, v62, v40
	ds_load_2addr_b32 v[40:41], v3 offset0:183 offset1:184
	ds_load_2addr_b32 v[81:82], v3 offset0:185 offset1:186
	;; [unrolled: 1-line block ×3, first 2 shown]
	v_fma_f32 v14, -v100, v14, v47
	v_fma_f32 v10, -v103, v10, v28
	;; [unrolled: 1-line block ×3, first 2 shown]
	ds_load_2addr_b32 v[85:86], v3 offset0:135 offset1:136
	ds_load_2addr_b64 v[50:53], v3 offset0:81 offset1:82
	v_fma_f32 v14, -v101, v89, v14
	s_waitcnt lgkmcnt(11)
	v_fma_f32 v8, -v102, v8, v46
	v_fma_f32 v28, -v7, v55, v28
	ds_load_b128 v[46:49], v3 offset:64
	v_fma_f32 v8, -v94, v29, v8
	s_waitcnt lgkmcnt(8)
	v_fma_f32 v14, -v93, v36, v14
	s_delay_alu instid0(VALU_DEP_2) | instskip(NEXT) | instid1(VALU_DEP_2)
	v_fma_f32 v8, -v95, v71, v8
	v_fma_f32 v9, -v102, v9, v14
	;; [unrolled: 1-line block ×3, first 2 shown]
	s_delay_alu instid0(VALU_DEP_3) | instskip(NEXT) | instid1(VALU_DEP_3)
	v_fma_f32 v28, -v103, v11, v8
	v_fma_f32 v29, -v94, v30, v9
	s_delay_alu instid0(VALU_DEP_3) | instskip(SKIP_1) | instid1(VALU_DEP_1)
	v_fma_f32 v14, -v100, v15, v14
	s_waitcnt lgkmcnt(2)
	v_fma_f32 v14, -v101, v85, v14
	v_add_nc_u32_e32 v85, 0xe00, v5
	v_add_nc_u32_e32 v5, 0x1000, v5
	s_delay_alu instid0(VALU_DEP_3) | instskip(NEXT) | instid1(VALU_DEP_1)
	v_fma_f32 v14, -v93, v37, v14
	v_fma_f32 v14, -v102, v40, v14
	v_mov_b32_e32 v40, 0x51c
	v_fma_f32 v10, -v97, v63, v10
	ds_load_b128 v[62:65], v3 offset:1216
	v_fma_f32 v12, -v97, v12, v28
	v_fma_f32 v28, -v95, v72, v29
	v_mul_f32_e32 v98, v42, v10
	ds_load_b128 v[8:11], v3 offset:80
	s_waitcnt lgkmcnt(2)
	v_fma_f32 v15, -v4, v46, v77
	ds_load_2addr_b32 v[54:55], v3 offset0:137 offset1:138
	ds_load_2addr_b32 v[87:88], v3 offset0:139 offset1:140
	;; [unrolled: 1-line block ×4, first 2 shown]
	v_fma_f32 v12, -v98, v43, v12
	v_fma_f32 v20, -v103, v20, v28
	v_fma_f32 v15, -v6, v99, v15
	ds_load_2addr_b32 v[42:43], v85 offset0:112 offset1:136
	v_mul_f32_e32 v99, v79, v12
	v_fma_f32 v12, -v97, v13, v20
	v_fma_f32 v15, -v7, v56, v15
	;; [unrolled: 1-line block ×4, first 2 shown]
	v_mov_b32_e32 v13, 0x45c
	ds_load_2addr_b32 v[71:72], v3 offset0:43 offset1:44
	ds_load_2addr_b32 v[77:78], v3 offset0:45 offset1:46
	ds_load_b32 v107, v3 offset:188
	ds_load_2addr_b32 v[46:47], v13 offset1:1
	v_fma_f32 v15, -v106, v66, v15
	v_fma_f32 v36, -v98, v44, v12
	;; [unrolled: 1-line block ×3, first 2 shown]
	v_mov_b32_e32 v44, 0x5dc
	s_delay_alu instid0(VALU_DEP_4)
	v_fma_f32 v24, -v100, v24, v15
	s_waitcnt lgkmcnt(5)
	v_fma_f32 v28, -v6, v91, v14
	ds_load_2addr_b64 v[12:15], v3 offset0:175 offset1:176
	v_fma_f32 v20, -v103, v21, v20
	v_fma_f32 v24, -v101, v86, v24
	;; [unrolled: 1-line block ×3, first 2 shown]
	ds_load_2addr_b64 v[28:31], v3 offset0:33 offset1:34
	ds_load_2addr_b32 v[56:57], v40 offset1:1
	v_fma_f32 v40, -v99, v80, v36
	v_fma_f32 v24, -v93, v38, v24
	;; [unrolled: 1-line block ×3, first 2 shown]
	v_mov_b32_e32 v38, 0x464
	s_waitcnt lgkmcnt(3)
	v_fma_f32 v20, -v97, v46, v20
	v_fma_f32 v21, -v102, v41, v24
	;; [unrolled: 1-line block ×3, first 2 shown]
	ds_load_2addr_b32 v[24:25], v44 offset1:1
	ds_load_2addr_b32 v[66:67], v38 offset1:1
	v_fma_f32 v38, -v4, v48, v42
	v_fma_f32 v20, -v98, v45, v20
	;; [unrolled: 1-line block ×4, first 2 shown]
	s_waitcnt lgkmcnt(4)
	v_mul_f32_e32 v86, v12, v40
	v_fma_f32 v36, -v6, v92, v38
	v_fma_f32 v21, -v95, v74, v21
	;; [unrolled: 1-line block ×3, first 2 shown]
	ds_load_b64 v[73:74], v3 offset:280
	s_waitcnt lgkmcnt(4)
	v_fma_f32 v28, -v7, v28, v36
	s_waitcnt lgkmcnt(3)
	v_fma_f32 v20, -v99, v56, v20
	v_fma_f32 v12, -v103, v22, v21
	;; [unrolled: 1-line block ×3, first 2 shown]
	ds_load_b128 v[36:39], v3 offset:1232
	v_fma_f32 v22, -v106, v68, v28
	v_fma_f32 v13, -v86, v13, v20
	;; [unrolled: 1-line block ×3, first 2 shown]
	ds_load_2addr_b32 v[47:48], v3 offset0:91 offset1:92
	v_fma_f32 v20, -v94, v33, v21
	v_fma_f32 v21, -v100, v26, v22
	s_waitcnt lgkmcnt(4)
	v_mul_f32_e32 v68, v24, v13
	v_fma_f32 v12, -v98, v62, v12
	ds_load_2addr_b32 v[32:33], v5 offset0:32 offset1:56
	v_fma_f32 v13, -v95, v75, v20
	v_fma_f32 v20, -v101, v55, v21
	v_mov_b32_e32 v21, 0x524
	v_fma_f32 v12, -v99, v57, v12
	v_fma_f32 v26, -v4, v49, v43
	;; [unrolled: 1-line block ×4, first 2 shown]
	ds_load_2addr_b32 v[54:55], v21 offset1:1
	ds_load_2addr_b64 v[20:23], v3 offset0:129 offset1:130
	v_fma_f32 v12, -v86, v14, v12
	v_fma_f32 v26, -v6, v71, v26
	s_waitcnt lgkmcnt(6)
	v_fma_f32 v13, -v97, v66, v13
	v_fma_f32 v14, -v102, v82, v24
	v_mov_b32_e32 v24, 0x5e4
	ds_load_b128 v[40:43], v3 offset:1600
	v_fma_f32 v13, -v98, v63, v13
	v_fma_f32 v14, -v94, v34, v14
	ds_load_2addr_b32 v[49:50], v24 offset1:1
	v_fma_f32 v24, -v7, v29, v26
	ds_load_2addr_b32 v[28:29], v3 offset0:93 offset1:94
	v_mov_b32_e32 v26, 0x6a4
	v_fma_f32 v14, -v95, v76, v14
	v_mov_b32_e32 v34, 0x46c
	s_waitcnt lgkmcnt(6)
	v_fma_f32 v24, -v106, v47, v24
	ds_load_2addr_b32 v[56:57], v26 offset1:1
	ds_load_2addr_b32 v[62:63], v34 offset1:1
	s_waitcnt lgkmcnt(5)
	v_fma_f32 v14, -v103, v20, v14
	v_fma_f32 v20, -v100, v27, v24
	;; [unrolled: 1-line block ×3, first 2 shown]
	ds_load_b64 v[75:76], v3 offset:1048
	ds_load_2addr_b64 v[44:47], v3 offset0:177 offset1:178
	v_fma_f32 v24, -v68, v25, v12
	v_fma_f32 v20, -v101, v87, v20
	;; [unrolled: 1-line block ×4, first 2 shown]
	ds_load_2addr_b32 v[66:67], v3 offset0:235 offset1:236
	ds_load_b128 v[12:15], v3 offset:1616
	s_waitcnt lgkmcnt(8)
	v_mul_f32_e32 v71, v40, v24
	v_fma_f32 v20, -v93, v51, v20
	v_fma_f32 v8, -v4, v8, v32
	;; [unrolled: 1-line block ×3, first 2 shown]
	s_waitcnt lgkmcnt(7)
	v_fma_f32 v25, -v68, v49, v25
	ds_load_2addr_b32 v[79:80], v5 offset0:80 offset1:104
	v_fma_f32 v20, -v102, v83, v20
	v_fma_f32 v8, -v6, v72, v8
	;; [unrolled: 1-line block ×7, first 2 shown]
	v_mov_b32_e32 v30, 0x52c
	s_waitcnt lgkmcnt(3)
	v_fma_f32 v34, -v86, v44, v24
	ds_load_2addr_b64 v[24:27], v3 offset0:225 offset1:226
	v_mul_f32_e32 v56, v56, v32
	v_fma_f32 v8, -v106, v48, v8
	s_waitcnt lgkmcnt(3)
	v_fma_f32 v20, -v95, v66, v20
	v_fma_f32 v44, -v68, v50, v34
	ds_load_b64 v[50:51], v3 offset:1816
	ds_load_2addr_b32 v[48:49], v30 offset1:1
	v_fma_f32 v8, -v100, v58, v8
	v_fma_f32 v20, -v103, v21, v20
	v_mov_b32_e32 v21, 0x5ec
	ds_load_b64 v[40:41], v3 offset:1432
	ds_load_2addr_b32 v[34:35], v3 offset0:237 offset1:238
	v_fma_f32 v8, -v101, v88, v8
	v_fma_f32 v32, -v97, v62, v20
	ds_load_2addr_b32 v[20:21], v21 offset1:1
	v_fma_f32 v30, -v71, v42, v44
	v_mov_b32_e32 v42, 0x76c
	v_fma_f32 v52, -v93, v52, v8
	v_fma_f32 v44, -v98, v65, v32
	s_waitcnt lgkmcnt(6)
	v_fma_f32 v10, -v4, v10, v79
	v_fma_f32 v30, -v56, v57, v30
	;; [unrolled: 1-line block ×3, first 2 shown]
	s_delay_alu instid0(VALU_DEP_3) | instskip(SKIP_1) | instid1(VALU_DEP_3)
	v_fma_f32 v10, -v6, v78, v10
	s_waitcnt lgkmcnt(5)
	v_mul_f32_e32 v24, v24, v30
	v_mov_b32_e32 v30, 0x6ac
	ds_load_2addr_b32 v[8:9], v30 offset1:1
	ds_load_2addr_b32 v[32:33], v42 offset1:1
	s_waitcnt lgkmcnt(5)
	v_fma_f32 v30, -v99, v48, v44
	v_fma_f32 v42, -v102, v84, v52
	;; [unrolled: 1-line block ×3, first 2 shown]
	ds_load_2addr_b32 v[54:55], v3 offset0:95 offset1:143
	v_fma_f32 v10, -v7, v73, v10
	v_fma_f32 v30, -v86, v45, v30
	;; [unrolled: 1-line block ×6, first 2 shown]
	s_waitcnt lgkmcnt(3)
	v_fma_f32 v20, -v68, v20, v30
	v_fma_f32 v16, -v95, v67, v16
	;; [unrolled: 1-line block ×4, first 2 shown]
	v_mov_b32_e32 v29, 0x474
	v_fma_f32 v20, -v71, v43, v20
	v_fma_f32 v16, -v103, v22, v16
	;; [unrolled: 1-line block ×3, first 2 shown]
	v_add_nc_u32_e64 v42, 0x400, 0
	s_waitcnt lgkmcnt(2)
	v_fma_f32 v8, -v56, v8, v20
	v_fma_f32 v16, -v97, v63, v16
	;; [unrolled: 1-line block ×4, first 2 shown]
	s_waitcnt lgkmcnt(0)
	v_fma_f32 v28, -v106, v54, v11
	ds_load_2addr_b32 v[10:11], v3 offset0:191 offset1:239
	v_fma_f32 v16, -v98, v36, v16
	v_fma_f32 v20, -v93, v53, v20
	;; [unrolled: 1-line block ×4, first 2 shown]
	ds_load_2addr_b32 v[28:29], v29 offset1:1
	v_fma_f32 v16, -v99, v49, v16
	v_fma_f32 v20, -v102, v69, v20
	;; [unrolled: 1-line block ×8, first 2 shown]
	v_mov_b32_e32 v20, 0x534
	v_fma_f32 v22, -v93, v105, v30
	ds_load_2addr_b32 v[30:31], v42 offset0:31 offset1:79
	v_fma_f32 v34, -v95, v34, v16
	v_fma_f32 v18, -v94, v18, v17
	ds_load_2addr_b32 v[16:17], v20 offset1:1
	s_waitcnt lgkmcnt(3)
	v_fma_f32 v10, -v102, v10, v22
	v_mov_b32_e32 v20, 0x5f4
	v_fma_f32 v34, -v103, v23, v34
	v_fma_f32 v35, -v95, v35, v18
	v_mov_b32_e32 v22, 0x6b4
	v_fma_f32 v10, -v94, v19, v10
	ds_load_2addr_b32 v[18:19], v20 offset1:1
	ds_load_2addr_b32 v[22:23], v22 offset1:1
	s_waitcnt lgkmcnt(4)
	v_fma_f32 v20, -v97, v28, v34
	v_fma_f32 v28, -v103, v75, v35
	;; [unrolled: 1-line block ×4, first 2 shown]
	v_mul_f32_e32 v25, v32, v8
	v_fma_f32 v20, -v98, v37, v20
	v_fma_f32 v21, -v97, v29, v28
	;; [unrolled: 1-line block ×4, first 2 shown]
	s_waitcnt lgkmcnt(2)
	v_fma_f32 v11, -v99, v16, v20
	v_fma_f32 v12, -v98, v38, v21
	;; [unrolled: 1-line block ×3, first 2 shown]
	ds_load_2addr_b32 v[20:21], v42 offset0:127 offset1:175
	v_fma_f32 v28, -v56, v9, v8
	v_fma_f32 v16, -v86, v47, v11
	;; [unrolled: 1-line block ×3, first 2 shown]
	v_mov_b32_e32 v17, 0x774
	v_fma_f32 v29, -v98, v39, v10
	ds_load_b128 v[8:11], v3 offset:2000
	s_waitcnt lgkmcnt(3)
	v_fma_f32 v18, -v68, v18, v16
	v_fma_f32 v12, -v86, v40, v12
	ds_load_2addr_b32 v[16:17], v17 offset1:1
	v_fma_f32 v29, -v99, v31, v29
	v_fma_f32 v26, -v24, v26, v28
	;; [unrolled: 1-line block ×3, first 2 shown]
	v_mov_b32_e32 v18, 0x834
	v_fma_f32 v19, -v68, v19, v12
	v_fma_f32 v28, -v86, v41, v29
	v_add_nc_u32_e64 v29, 0x600, 0
	s_waitcnt lgkmcnt(3)
	v_fma_f32 v22, -v56, v22, v13
	ds_load_2addr_b32 v[12:13], v18 offset1:1
	v_fma_f32 v14, -v71, v14, v19
	s_waitcnt lgkmcnt(3)
	v_fma_f32 v20, -v68, v20, v28
	ds_load_2addr_b32 v[18:19], v29 offset0:95 offset1:143
	v_fma_f32 v26, -v25, v33, v26
	v_fma_f32 v22, -v24, v27, v22
	;; [unrolled: 1-line block ×4, first 2 shown]
	ds_load_b64 v[14:15], v3 offset:2200
	s_waitcnt lgkmcnt(4)
	v_mul_f32_e32 v3, v8, v26
	ds_store_2addr_b32 v2, v4, v6 offset0:64 offset1:88
	ds_store_2addr_b32 v2, v7, v106 offset0:112 offset1:136
	;; [unrolled: 1-line block ×4, first 2 shown]
	s_waitcnt lgkmcnt(7)
	v_fma_f32 v8, -v25, v16, v22
	v_fma_f32 v16, -v24, v50, v23
	;; [unrolled: 1-line block ×3, first 2 shown]
	ds_store_2addr_b32 v1, v94, v95 offset1:24
	ds_store_2addr_b32 v1, v103, v97 offset0:48 offset1:72
	ds_store_2addr_b32 v1, v98, v99 offset0:96 offset1:120
	ds_store_2addr_b32 v1, v86, v68 offset0:144 offset1:168
	v_fma_f32 v8, -v3, v9, v8
	v_fma_f32 v9, -v25, v17, v16
	;; [unrolled: 1-line block ×3, first 2 shown]
	s_waitcnt lgkmcnt(10)
	s_delay_alu instid0(VALU_DEP_3) | instskip(NEXT) | instid1(VALU_DEP_3)
	v_mul_f32_e32 v8, v12, v8
	v_fma_f32 v9, -v3, v10, v9
	s_waitcnt lgkmcnt(9)
	v_fma_f32 v10, -v25, v18, v16
	ds_store_2addr_b32 v1, v71, v56 offset0:192 offset1:216
	ds_store_2addr_b32 v85, v24, v25 offset0:112 offset1:136
	;; [unrolled: 1-line block ×3, first 2 shown]
	v_fma_f32 v9, -v8, v13, v9
	v_fma_f32 v10, -v3, v11, v10
	s_waitcnt lgkmcnt(11)
	s_delay_alu instid0(VALU_DEP_2) | instskip(NEXT) | instid1(VALU_DEP_2)
	v_mul_f32_e32 v9, v14, v9
	v_fma_f32 v10, -v8, v19, v10
	s_delay_alu instid0(VALU_DEP_1) | instskip(NEXT) | instid1(VALU_DEP_1)
	v_fma_f32 v2, -v9, v15, v10
	v_mul_f32_e32 v2, v96, v2
	ds_store_2addr_b32 v5, v9, v2 offset0:80 offset1:104
.LBB28_43:
	s_cmp_lt_i32 s4, s15
	s_cbranch_scc0 .LBB28_60
; %bb.44:
	s_add_i32 s10, s4, 19
	s_delay_alu instid0(SALU_CYCLE_1)
	s_cmp_ge_u32 s10, s15
	s_cbranch_scc1 .LBB28_49
; %bb.45:
	s_mul_i32 s11, s4, 24
	s_and_not1_b32 vcc_lo, exec_lo, s12
	v_add_lshl_u32 v21, s11, v0, 2
	s_delay_alu instid0(VALU_DEP_1)
	v_add_nc_u32_e32 v1, 0x800, v21
	v_add_nc_u32_e32 v2, 0xc00, v21
	v_add_nc_u32_e32 v22, 0xe00, v21
	ds_load_2addr_b32 v[19:20], v1 offset0:64 offset1:88
	ds_load_2addr_b32 v[17:18], v1 offset0:112 offset1:136
	;; [unrolled: 1-line block ×4, first 2 shown]
	ds_load_2addr_b32 v[11:12], v2 offset1:24
	ds_load_2addr_b32 v[9:10], v2 offset0:48 offset1:72
	ds_load_2addr_b32 v[7:8], v2 offset0:96 offset1:120
	;; [unrolled: 1-line block ×5, first 2 shown]
	s_cbranch_vccnz .LBB28_48
; %bb.46:
	v_lshl_or_b32 v22, v0, 2, 0x900
	s_lshl_b32 s12, s4, 2
	s_mov_b32 s13, 0
.LBB28_47:                              ; =>This Inner Loop Header: Depth=1
	v_mov_b32_e32 v39, s12
	ds_load_b32 v43, v22
	v_add_nc_u32_e32 v22, 0x60, v22
	s_add_i32 s13, s13, 1
	s_addk_i32 s12, 0x60
	ds_load_b128 v[23:26], v39
	ds_load_b128 v[27:30], v39 offset:16
	ds_load_b128 v[31:34], v39 offset:32
	;; [unrolled: 1-line block ×4, first 2 shown]
	s_cmp_lt_u32 s13, s4
	s_waitcnt lgkmcnt(4)
	v_fma_f32 v19, -v43, v23, v19
	v_fma_f32 v20, -v43, v24, v20
	v_fma_f32 v17, -v43, v25, v17
	v_fma_f32 v18, -v43, v26, v18
	s_waitcnt lgkmcnt(3)
	v_fma_f32 v15, -v43, v27, v15
	v_fma_f32 v16, -v43, v28, v16
	v_fma_f32 v13, -v43, v29, v13
	v_fma_f32 v14, -v43, v30, v14
	;; [unrolled: 5-line block ×5, first 2 shown]
	s_cbranch_scc1 .LBB28_47
.LBB28_48:
	s_add_i32 s19, s11, 24
	s_add_i32 s21, s11, 0x48
	s_mul_i32 s13, s4, 0x64
	v_add_lshl_u32 v59, s19, v0, 2
	s_add_i32 s19, s4, s19
	v_add_lshl_u32 v73, s21, v0, 2
	s_add_i32 s21, s4, s21
	s_lshl_b32 s19, s19, 2
	s_delay_alu instid0(SALU_CYCLE_1) | instskip(SKIP_1) | instid1(SALU_CYCLE_1)
	v_dual_mov_b32 v70, s19 :: v_dual_add_nc_u32 v23, 0x900, v21
	s_lshl_b32 s21, s21, 2
	v_dual_mov_b32 v21, s13 :: v_dual_mov_b32 v22, s21
	s_add_i32 s20, s11, 48
	s_add_i32 s22, s11, 0x60
	;; [unrolled: 1-line block ×3, first 2 shown]
	ds_load_b128 v[24:27], v21
	ds_load_2addr_b32 v[43:44], v21 offset0:25 offset1:26
	v_add_lshl_u32 v72, s20, v0, 2
	v_add_lshl_u32 v74, s22, v0, 2
	s_add_i32 s20, s4, s22
	ds_load_b128 v[28:31], v21 offset:16
	ds_load_2addr_b64 v[32:35], v21 offset0:25 offset1:26
	ds_load_2addr_b32 v[45:46], v70 offset0:3 offset1:4
	s_lshl_b32 s22, s24, 2
	ds_load_b128 v[36:39], v21 offset:32
	ds_load_2addr_b32 v[47:48], v70 offset0:5 offset1:6
	s_add_i32 s23, s11, 0x78
	s_add_i32 s18, s11, 0x90
	;; [unrolled: 1-line block ×4, first 2 shown]
	s_lshl_b32 s19, s19, 2
	v_mov_b32_e32 v86, s22
	s_lshl_b32 s20, s20, 2
	v_add_lshl_u32 v75, s23, v0, 2
	s_add_i32 s22, s13, 0x44c
	s_add_i32 s25, s13, 0x5dc
	;; [unrolled: 1-line block ×4, first 2 shown]
	s_waitcnt lgkmcnt(6)
	v_mul_f32_e32 v19, v24, v19
	s_delay_alu instid0(VALU_DEP_1)
	v_fma_f32 v20, -v19, v25, v20
	v_fma_f32 v24, -v19, v26, v17
	;; [unrolled: 1-line block ×3, first 2 shown]
	s_waitcnt lgkmcnt(4)
	v_fma_f32 v15, -v19, v28, v15
	v_fma_f32 v13, -v19, v30, v13
	v_mul_f32_e32 v17, v43, v20
	ds_load_2addr_b32 v[49:50], v21 offset0:75 offset1:76
	ds_load_2addr_b32 v[51:52], v22 offset0:5 offset1:6
	ds_load_2addr_b64 v[40:43], v86 offset0:3 offset1:4
	ds_load_2addr_b32 v[53:54], v70 offset0:7 offset1:8
	ds_load_b64 v[60:61], v21 offset:1800
	v_fma_f32 v14, -v19, v31, v14
	s_waitcnt lgkmcnt(6)
	v_fma_f32 v11, -v19, v36, v11
	v_fma_f32 v20, -v17, v44, v24
	;; [unrolled: 1-line block ×3, first 2 shown]
	ds_load_b128 v[24:27], v21 offset:400
	v_fma_f32 v12, -v19, v37, v12
	v_fma_f32 v9, -v19, v38, v9
	v_mul_f32_e32 v87, v32, v20
	v_fma_f32 v20, -v19, v29, v16
	v_fma_f32 v10, -v19, v39, v10
	s_delay_alu instid0(VALU_DEP_3) | instskip(SKIP_1) | instid1(VALU_DEP_1)
	v_fma_f32 v18, -v87, v33, v18
	s_waitcnt lgkmcnt(5)
	v_mul_f32_e32 v18, v49, v18
	v_fma_f32 v28, -v17, v46, v15
	ds_load_2addr_b32 v[15:16], v21 offset0:125 offset1:126
	v_fma_f32 v20, -v17, v47, v20
	v_fma_f32 v13, -v17, v48, v13
	s_waitcnt lgkmcnt(3)
	v_fma_f32 v14, -v17, v53, v14
	v_fma_f32 v30, -v87, v34, v28
	ds_load_2addr_b32 v[28:29], v22 offset0:7 offset1:8
	ds_load_2addr_b64 v[44:47], v86 offset0:5 offset1:6
	ds_load_2addr_b32 v[62:63], v70 offset0:17 offset1:18
	ds_load_b32 v88, v70 offset:76
	ds_load_2addr_b32 v[32:33], v21 offset0:150 offset1:175
	v_fma_f32 v11, -v17, v54, v11
	v_fma_f32 v30, -v18, v50, v30
	s_waitcnt lgkmcnt(6)
	s_delay_alu instid0(VALU_DEP_1)
	v_dual_mul_f32 v89, v24, v30 :: v_dual_mov_b32 v24, s19
	v_fma_f32 v20, -v87, v35, v20
	v_fma_f32 v13, -v87, v40, v13
	s_lshl_b32 s19, s21, 2
	v_fma_f32 v14, -v87, v41, v14
	ds_load_2addr_b32 v[34:35], v24 offset0:7 offset1:8
	v_fma_f32 v20, -v18, v51, v20
	v_fma_f32 v13, -v18, v52, v13
	v_mov_b32_e32 v91, s19
	v_fma_f32 v11, -v87, v42, v11
	s_delay_alu instid0(VALU_DEP_4) | instskip(SKIP_1) | instid1(VALU_DEP_2)
	v_fma_f32 v20, -v89, v25, v20
	s_waitcnt lgkmcnt(5)
	v_fma_f32 v11, -v18, v29, v11
	s_delay_alu instid0(VALU_DEP_2)
	v_mul_f32_e32 v90, v15, v20
	v_mov_b32_e32 v20, s20
	v_fma_f32 v13, -v89, v26, v13
	ds_load_2addr_b32 v[40:41], v91 offset0:7 offset1:8
	v_fma_f32 v26, -v18, v28, v14
	s_add_i32 s20, s11, 0xc0
	v_fma_f32 v25, -v90, v16, v13
	ds_load_b128 v[13:16], v20 offset:32
	ds_load_2addr_b32 v[48:49], v70 offset0:9 offset1:10
	ds_load_2addr_b32 v[50:51], v24 offset0:9 offset1:10
	;; [unrolled: 1-line block ×6, first 2 shown]
	ds_load_b32 v94, v24 offset:76
	s_waitcnt lgkmcnt(10)
	v_mul_f32_e32 v92, v32, v25
	v_add_lshl_u32 v32, s18, v0, 2
	s_add_i32 s18, s11, 0xa8
	v_fma_f32 v25, -v89, v27, v26
	s_add_i32 s19, s4, s18
	s_delay_alu instid0(SALU_CYCLE_1) | instskip(NEXT) | instid1(SALU_CYCLE_1)
	s_lshl_b32 s19, s19, 2
	v_mov_b32_e32 v93, s19
	s_waitcnt lgkmcnt(9)
	v_fma_f32 v25, -v90, v34, v25
	s_add_i32 s19, s4, s11
	s_delay_alu instid0(SALU_CYCLE_1)
	s_lshl_b32 s19, s19, 2
	ds_load_b128 v[28:31], v93 offset:32
	s_waitcnt lgkmcnt(9)
	v_fma_f32 v34, -v92, v40, v25
	ds_load_b128 v[24:27], v20 offset:48
	ds_load_2addr_b32 v[36:37], v22 offset0:9 offset1:10
	ds_load_2addr_b32 v[52:53], v70 offset0:11 offset1:12
	;; [unrolled: 1-line block ×4, first 2 shown]
	s_waitcnt lgkmcnt(12)
	v_fma_f32 v12, -v17, v48, v12
	v_fma_f32 v11, -v89, v13, v11
	;; [unrolled: 1-line block ×3, first 2 shown]
	ds_store_b32 v23, v19
	ds_store_b32 v59, v17 offset:2304
	ds_store_b32 v72, v87 offset:2304
	;; [unrolled: 1-line block ×6, first 2 shown]
	v_mul_f32_e32 v95, v33, v34
	v_fma_f32 v12, -v87, v43, v12
	v_fma_f32 v11, -v90, v35, v11
	ds_load_2addr_b32 v[42:43], v91 offset0:9 offset1:10
	v_fma_f32 v9, -v87, v44, v9
	ds_load_2addr_b32 v[72:73], v22 offset0:11 offset1:12
	ds_load_2addr_b32 v[74:75], v22 offset0:13 offset1:14
	;; [unrolled: 1-line block ×3, first 2 shown]
	ds_load_b128 v[32:35], v21 offset:800
	v_fma_f32 v23, -v92, v41, v11
	ds_load_2addr_b32 v[78:79], v21 offset0:225 offset1:226
	s_waitcnt lgkmcnt(16)
	v_fma_f32 v12, -v18, v36, v12
	v_fma_f32 v9, -v18, v37, v9
	s_waitcnt lgkmcnt(15)
	v_fma_f32 v10, -v17, v52, v10
	s_delay_alu instid0(VALU_DEP_3)
	v_fma_f32 v36, -v89, v14, v12
	ds_load_b128 v[11:14], v20 offset:64
	v_fma_f32 v20, -v95, v28, v23
	v_mov_b32_e32 v28, s19
	v_fma_f32 v9, -v89, v15, v9
	v_fma_f32 v23, -v90, v50, v36
	ds_load_2addr_b32 v[80:81], v91 offset0:11 offset1:12
	ds_load_2addr_b32 v[82:83], v91 offset0:13 offset1:14
	;; [unrolled: 1-line block ×3, first 2 shown]
	ds_load_b128 v[36:39], v28 offset:48
	v_fma_f32 v10, -v87, v45, v10
	s_add_i32 s19, s4, s20
	v_fma_f32 v9, -v90, v51, v9
	s_waitcnt lgkmcnt(10)
	v_fma_f32 v23, -v92, v42, v23
	s_waitcnt lgkmcnt(6)
	v_mul_f32_e32 v96, v32, v20
	v_fma_f32 v10, -v18, v72, v10
	v_add_lshl_u32 v20, s18, v0, 2
	v_fma_f32 v9, -v92, v43, v9
	v_fma_f32 v15, -v95, v29, v23
	ds_load_2addr_b64 v[40:43], v21 offset0:125 offset1:126
	v_fma_f32 v10, -v89, v16, v10
	s_add_i32 s18, s11, 0xd8
	v_fma_f32 v9, -v95, v30, v9
	v_fma_f32 v15, -v96, v33, v15
	s_add_i32 s21, s4, s18
	v_fma_f32 v10, -v90, v55, v10
	s_lshl_b32 s21, s21, 2
	ds_load_b128 v[48:51], v28 offset:64
	s_waitcnt lgkmcnt(7)
	v_mul_f32_e32 v97, v78, v15
	s_waitcnt lgkmcnt(2)
	v_fma_f32 v7, -v19, v36, v7
	v_fma_f32 v9, -v96, v34, v9
	;; [unrolled: 1-line block ×3, first 2 shown]
	v_dual_mov_b32 v98, s21 :: v_dual_mov_b32 v45, s22
	s_delay_alu instid0(VALU_DEP_4) | instskip(NEXT) | instid1(VALU_DEP_4)
	v_fma_f32 v7, -v17, v53, v7
	v_fma_f32 v9, -v97, v79, v9
	s_lshl_b32 s21, s19, 2
	ds_load_b128 v[52:55], v21 offset:1200
	ds_load_2addr_b32 v[15:16], v98 offset0:11 offset1:12
	v_fma_f32 v7, -v87, v46, v7
	s_waitcnt lgkmcnt(3)
	v_mul_f32_e32 v80, v40, v9
	v_fma_f32 v9, -v95, v31, v10
	v_mov_b32_e32 v40, s21
	v_fma_f32 v5, -v19, v38, v5
	v_fma_f32 v7, -v18, v73, v7
	s_add_i32 s22, s11, 0x108
	v_fma_f32 v44, -v96, v35, v9
	v_fma_f32 v6, -v19, v39, v6
	v_fma_f32 v5, -v17, v58, v5
	v_fma_f32 v23, -v89, v24, v7
	v_fma_f32 v24, -v19, v37, v8
	ds_load_b128 v[7:10], v40 offset:48
	ds_load_b128 v[28:31], v93 offset:48
	s_add_i32 s23, s4, s22
	v_fma_f32 v46, -v90, v56, v23
	v_fma_f32 v56, -v17, v57, v24
	ds_load_2addr_b64 v[32:35], v86 offset0:7 offset1:8
	ds_load_2addr_b32 v[23:24], v98 offset0:13 offset1:14
	ds_load_2addr_b32 v[36:37], v98 offset0:15 offset1:16
	;; [unrolled: 1-line block ×3, first 2 shown]
	ds_load_2addr_b32 v[78:79], v45 offset1:1
	s_waitcnt lgkmcnt(7)
	v_fma_f32 v15, -v97, v15, v44
	v_fma_f32 v57, -v92, v81, v46
	v_fma_f32 v56, -v87, v47, v56
	s_lshl_b32 s23, s23, 2
	s_add_i32 s19, s11, 0xf0
	v_fma_f32 v15, -v80, v41, v15
	v_fma_f32 v6, -v17, v70, v6
	;; [unrolled: 1-line block ×3, first 2 shown]
	s_add_i32 s21, s4, s19
	v_fma_f32 v3, -v19, v48, v3
	s_lshl_b32 s21, s21, 2
	v_fma_f32 v4, -v19, v49, v4
	v_fma_f32 v25, -v89, v25, v38
	;; [unrolled: 1-line block ×3, first 2 shown]
	s_waitcnt lgkmcnt(5)
	v_fma_f32 v28, -v95, v28, v57
	s_waitcnt lgkmcnt(4)
	v_fma_f32 v5, -v87, v32, v5
	ds_load_b128 v[56:59], v40 offset:64
	v_fma_f32 v33, -v87, v33, v6
	v_fma_f32 v3, -v17, v71, v3
	;; [unrolled: 1-line block ×10, first 2 shown]
	v_mov_b32_e32 v26, s23
	s_add_i32 s23, s13, 0x514
	v_fma_f32 v25, -v80, v42, v7
	v_fma_f32 v7, -v92, v82, v16
	v_fma_f32 v5, -v90, v65, v5
	ds_load_b32 v64, v98 offset:76
	s_waitcnt lgkmcnt(2)
	v_mul_f32_e32 v74, v78, v15
	ds_load_2addr_b32 v[15:16], v26 offset0:13 offset1:14
	v_fma_f32 v7, -v95, v29, v7
	v_mov_b32_e32 v28, s23
	v_fma_f32 v32, -v92, v83, v5
	v_mov_b32_e32 v42, s21
	ds_load_b128 v[44:47], v93 offset:64
	ds_load_b64 v[40:41], v86 offset:72
	v_fma_f32 v38, -v96, v8, v7
	ds_load_2addr_b32 v[28:29], v28 offset1:1
	ds_load_2addr_b64 v[5:8], v42 offset0:7 offset1:8
	v_fma_f32 v30, -v95, v30, v32
	v_fma_f32 v32, -v18, v76, v33
	ds_store_b32 v20, v95 offset:2304
	v_fma_f32 v20, -v74, v79, v25
	v_fma_f32 v23, -v97, v23, v38
	;; [unrolled: 1-line block ×4, first 2 shown]
	s_add_i32 s21, s11, 0x138
	v_mul_f32_e32 v52, v52, v20
	v_fma_f32 v20, -v80, v43, v23
	v_fma_f32 v9, -v97, v24, v9
	;; [unrolled: 1-line block ×4, first 2 shown]
	s_add_i32 s23, s4, s21
	s_waitcnt lgkmcnt(5)
	v_fma_f32 v15, -v74, v15, v20
	ds_load_2addr_b32 v[32:33], v26 offset0:15 offset1:16
	ds_load_2addr_b32 v[38:39], v26 offset0:17 offset1:18
	ds_load_b32 v43, v26 offset:76
	v_fma_f32 v20, -v92, v84, v23
	s_lshl_b32 s23, s23, 2
	ds_load_2addr_b64 v[23:26], v21 offset0:175 offset1:176
	s_waitcnt lgkmcnt(5)
	v_fma_f32 v5, -v80, v5, v9
	v_fma_f32 v9, -v52, v53, v15
	;; [unrolled: 1-line block ×3, first 2 shown]
	v_mov_b32_e32 v31, s23
	v_fma_f32 v3, -v89, v11, v3
	v_fma_f32 v5, -v74, v16, v5
	v_mul_f32_e32 v48, v28, v9
	v_fma_f32 v10, -v96, v10, v15
	v_add_lshl_u32 v65, s20, v0, 2
	v_fma_f32 v3, -v90, v67, v3
	v_fma_f32 v5, -v52, v54, v5
	s_add_i32 s20, s11, 0x120
	v_fma_f32 v15, -v97, v36, v10
	ds_load_2addr_b32 v[9:10], v31 offset0:15 offset1:16
	v_fma_f32 v3, -v92, v85, v3
	v_fma_f32 v5, -v48, v29, v5
	ds_load_b128 v[27:30], v21 offset:1600
	v_fma_f32 v6, -v80, v6, v15
	ds_load_2addr_b32 v[15:16], v22 offset0:17 offset1:18
	v_fma_f32 v3, -v95, v44, v3
	s_waitcnt lgkmcnt(3)
	v_mul_f32_e32 v11, v23, v5
	s_add_i32 s23, s4, s20
	v_fma_f32 v6, -v74, v32, v6
	ds_load_2addr_b32 v[20:21], v31 offset0:17 offset1:18
	ds_load_b32 v36, v31 offset:76
	ds_load_b64 v[31:32], v42 offset:72
	v_fma_f32 v42, -v96, v56, v3
	v_fma_f32 v3, -v87, v35, v4
	ds_load_2addr_b32 v[34:35], v91 offset0:17 offset1:18
	ds_load_b32 v44, v22 offset:76
	v_fma_f32 v5, -v52, v55, v6
	s_lshl_b32 s23, s23, 2
	v_fma_f32 v2, -v19, v51, v2
	v_mov_b32_e32 v4, s23
	v_fma_f32 v1, -v87, v40, v1
	s_waitcnt lgkmcnt(7)
	v_fma_f32 v9, -v48, v9, v5
	v_mov_b32_e32 v5, s25
	v_fma_f32 v2, -v17, v88, v2
	s_add_i32 s25, s11, 0x168
	s_add_i32 s23, s4, s24
	s_waitcnt lgkmcnt(5)
	v_fma_f32 v15, -v18, v15, v3
	ds_load_2addr_b32 v[22:23], v5 offset1:1
	ds_load_b128 v[3:6], v4 offset:64
	v_fma_f32 v1, -v18, v16, v1
	v_fma_f32 v2, -v87, v41, v2
	;; [unrolled: 1-line block ×6, first 2 shown]
	s_add_i32 s26, s4, s25
	s_waitcnt lgkmcnt(2)
	v_fma_f32 v2, -v18, v44, v2
	v_fma_f32 v12, -v90, v68, v12
	;; [unrolled: 1-line block ×3, first 2 shown]
	ds_load_b32 v15, v91 offset:76
	v_fma_f32 v1, -v90, v69, v1
	v_fma_f32 v2, -v89, v14, v2
	;; [unrolled: 1-line block ×4, first 2 shown]
	s_lshl_b32 s26, s26, 2
	v_fma_f32 v1, -v92, v35, v1
	v_fma_f32 v2, -v90, v94, v2
	;; [unrolled: 1-line block ×3, first 2 shown]
	s_waitcnt lgkmcnt(1)
	v_fma_f32 v3, -v52, v3, v7
	v_mul_f32_e32 v9, v22, v9
	v_fma_f32 v1, -v95, v46, v1
	s_lshl_b32 s23, s23, 2
	v_fma_f32 v7, -v96, v57, v12
	v_fma_f32 v3, -v48, v10, v3
	v_mov_b32_e32 v10, s26
	v_fma_f32 v1, -v96, v58, v1
	v_mov_b32_e32 v12, s23
	v_fma_f32 v7, -v97, v72, v7
	v_fma_f32 v3, -v11, v25, v3
	s_waitcnt lgkmcnt(0)
	v_fma_f32 v2, -v92, v15, v2
	s_addk_i32 s13, 0x6a4
	v_fma_f32 v7, -v80, v8, v7
	v_fma_f32 v8, -v9, v23, v3
	s_delay_alu instid0(VALU_DEP_3) | instskip(NEXT) | instid1(VALU_DEP_3)
	v_fma_f32 v2, -v95, v47, v2
	v_fma_f32 v3, -v74, v38, v7
	;; [unrolled: 1-line block ×3, first 2 shown]
	s_delay_alu instid0(VALU_DEP_3)
	v_fma_f32 v13, -v96, v59, v2
	ds_load_2addr_b32 v[1:2], v10 offset0:17 offset1:18
	v_fma_f32 v14, -v52, v4, v3
	ds_load_b64 v[3:4], v12 offset:72
	v_fma_f32 v7, -v80, v31, v7
	v_fma_f32 v12, -v97, v64, v13
	v_dual_mul_f32 v13, v27, v8 :: v_dual_mov_b32 v8, s13
	v_fma_f32 v14, -v48, v20, v14
	s_delay_alu instid0(VALU_DEP_4) | instskip(NEXT) | instid1(VALU_DEP_4)
	v_fma_f32 v15, -v74, v39, v7
	v_fma_f32 v12, -v80, v32, v12
	s_add_i32 s13, s11, 0x198
	ds_load_2addr_b32 v[7:8], v8 offset1:1
	v_fma_f32 v14, -v11, v26, v14
	s_add_i32 s4, s4, s13
	v_fma_f32 v12, -v74, v43, v12
	s_lshl_b32 s4, s4, 2
	ds_load_b32 v10, v10 offset:76
	s_waitcnt lgkmcnt(3)
	v_fma_f32 v1, -v9, v1, v14
	v_fma_f32 v6, -v52, v6, v12
	v_mov_b32_e32 v12, s4
	s_mul_i32 s4, s10, 0x64
	v_add_lshl_u32 v14, s21, v0, 2
	v_fma_f32 v1, -v13, v28, v1
	v_fma_f32 v6, -v48, v36, v6
	ds_load_b32 v12, v12 offset:76
	s_mul_i32 s10, s10, 24
	s_waitcnt lgkmcnt(3)
	v_fma_f32 v4, -v11, v4, v6
	s_waitcnt lgkmcnt(2)
	v_mul_f32_e32 v1, v7, v1
	v_mov_b32_e32 v7, s4
	v_fma_f32 v5, -v52, v5, v15
	v_add_lshl_u32 v6, s22, v0, 2
	s_add_i32 s4, s11, 0x180
	v_add_lshl_u32 v15, s25, v0, 2
	ds_load_b32 v7, v7
	v_fma_f32 v5, -v48, v21, v5
	s_waitcnt lgkmcnt(2)
	v_fma_f32 v4, -v9, v10, v4
	v_add_lshl_u32 v10, s20, v0, 2
	s_addk_i32 s11, 0x1b0
	v_fma_f32 v3, -v11, v3, v5
	s_delay_alu instid0(VALU_DEP_3) | instskip(SKIP_1) | instid1(VALU_DEP_3)
	v_fma_f32 v4, -v13, v30, v4
	v_add_lshl_u32 v5, s18, v0, 2
	v_fma_f32 v2, -v9, v2, v3
	s_waitcnt lgkmcnt(1)
	s_delay_alu instid0(VALU_DEP_3) | instskip(SKIP_1) | instid1(VALU_DEP_3)
	v_fma_f32 v4, -v1, v12, v4
	v_add_lshl_u32 v3, s19, v0, 2
	v_fma_f32 v2, -v13, v29, v2
	s_delay_alu instid0(VALU_DEP_1)
	v_fma_f32 v2, -v1, v8, v2
	v_add_lshl_u32 v8, s24, v0, 2
	ds_store_b32 v65, v96 offset:2304
	ds_store_b32 v5, v97 offset:2304
	ds_store_b32 v3, v80 offset:2304
	ds_store_b32 v6, v74 offset:2304
	ds_store_b32 v10, v52 offset:2304
	ds_store_b32 v14, v48 offset:2304
	ds_store_b32 v8, v11 offset:2304
	ds_store_b32 v15, v9 offset:2304
	v_add_lshl_u32 v3, s4, v0, 2
	v_add_lshl_u32 v5, s13, v0, 2
	v_mul_f32_e32 v2, v60, v2
	v_add_lshl_u32 v6, s11, v0, 2
	s_mov_b32 s4, s12
	s_delay_alu instid0(VALU_DEP_2) | instskip(SKIP_1) | instid1(VALU_DEP_1)
	v_fma_f32 v4, -v2, v61, v4
	s_waitcnt lgkmcnt(8)
	v_mul_f32_e32 v4, v7, v4
	v_add_lshl_u32 v7, s10, v0, 2
	ds_store_b32 v3, v13 offset:2304
	ds_store_b32 v5, v1 offset:2304
	;; [unrolled: 1-line block ×4, first 2 shown]
.LBB28_49:
	s_cmp_ge_i32 s4, s15
	s_cbranch_scc1 .LBB28_60
; %bb.50:
	v_lshl_or_b32 v1, v0, 2, 0x900
	s_add_i32 s10, s4, -1
	s_lshl_b32 s11, s4, 2
	s_mov_b32 s12, 0
	s_mov_b32 s13, s4
	s_branch .LBB28_52
.LBB28_51:                              ;   in Loop: Header=BB28_52 Depth=1
	s_mul_i32 s18, s4, 0x64
	v_add_nc_u16 v5, s13, 1
	v_mov_b32_e32 v4, s18
	s_add_i32 s4, s4, 1
	s_add_i32 s12, s12, 1
	;; [unrolled: 1-line block ×3, first 2 shown]
	v_readfirstlane_b32 s13, v5
	ds_load_b32 v4, v4
	v_add_nc_u32_e32 v2, 0x900, v2
	s_cmp_ge_i32 s4, s15
	s_waitcnt lgkmcnt(0)
	v_mul_f32_e32 v3, v4, v3
	ds_store_b32 v2, v3
	s_cbranch_scc1 .LBB28_60
.LBB28_52:                              ; =>This Loop Header: Depth=1
                                        ;     Child Loop BB28_55 Depth 2
                                        ;     Child Loop BB28_59 Depth 2
	s_mul_i32 s18, s4, 24
	s_cmp_eq_u32 s4, 0
	v_add_lshl_u32 v2, s18, v0, 2
	ds_load_b32 v3, v2 offset:2304
	s_cbranch_scc1 .LBB28_51
; %bb.53:                               ;   in Loop: Header=BB28_52 Depth=1
	s_add_i32 s18, s10, s12
	s_delay_alu instid0(SALU_CYCLE_1)
	s_cmp_lt_u32 s18, 7
	s_cbranch_scc1 .LBB28_57
; %bb.54:                               ;   in Loop: Header=BB28_52 Depth=1
	v_mov_b32_e32 v4, v1
	s_and_b32 s18, s4, -8
	s_mov_b32 s19, 0
	s_mov_b32 s20, s11
	s_set_inst_prefetch_distance 0x1
	.p2align	6
.LBB28_55:                              ;   Parent Loop BB28_52 Depth=1
                                        ; =>  This Inner Loop Header: Depth=2
	v_mov_b32_e32 v17, s20
	s_add_i32 s19, s19, 8
	s_addk_i32 s20, 0x300
	s_cmp_lg_u32 s18, s19
	ds_load_2addr_b32 v[5:6], v4 offset1:24
	ds_load_2addr_b32 v[7:8], v17 offset1:24
	ds_load_2addr_b32 v[9:10], v4 offset0:48 offset1:72
	ds_load_2addr_b32 v[11:12], v17 offset0:48 offset1:72
	;; [unrolled: 1-line block ×4, first 2 shown]
	s_waitcnt lgkmcnt(4)
	v_fma_f32 v3, -v5, v7, v3
	s_delay_alu instid0(VALU_DEP_1)
	v_fma_f32 v3, -v6, v8, v3
	ds_load_2addr_b32 v[5:6], v4 offset0:144 offset1:168
	ds_load_2addr_b32 v[7:8], v17 offset0:144 offset1:168
	v_add_nc_u32_e32 v4, 0x300, v4
	s_waitcnt lgkmcnt(4)
	v_fma_f32 v3, -v9, v11, v3
	s_delay_alu instid0(VALU_DEP_1) | instskip(SKIP_1) | instid1(VALU_DEP_1)
	v_fma_f32 v3, -v10, v12, v3
	s_waitcnt lgkmcnt(2)
	v_fma_f32 v3, -v13, v15, v3
	s_delay_alu instid0(VALU_DEP_1) | instskip(SKIP_1) | instid1(VALU_DEP_1)
	v_fma_f32 v3, -v14, v16, v3
	s_waitcnt lgkmcnt(0)
	v_fma_f32 v3, -v5, v7, v3
	s_delay_alu instid0(VALU_DEP_1)
	v_fma_f32 v3, -v6, v8, v3
	s_cbranch_scc1 .LBB28_55
; %bb.56:                               ;   in Loop: Header=BB28_52 Depth=1
	s_set_inst_prefetch_distance 0x2
	s_and_b32 s19, s4, 7
	s_delay_alu instid0(SALU_CYCLE_1)
	s_cmp_eq_u32 s19, 0
	s_cbranch_scc0 .LBB28_58
	s_branch .LBB28_51
.LBB28_57:                              ;   in Loop: Header=BB28_52 Depth=1
	s_mov_b32 s18, 0
	s_and_b32 s19, s4, 7
	s_delay_alu instid0(SALU_CYCLE_1)
	s_cmp_eq_u32 s19, 0
	s_cbranch_scc1 .LBB28_51
.LBB28_58:                              ;   in Loop: Header=BB28_52 Depth=1
	s_and_b32 s19, s13, 7
	s_mulk_i32 s18, 0x60
.LBB28_59:                              ;   Parent Loop BB28_52 Depth=1
                                        ; =>  This Inner Loop Header: Depth=2
	s_delay_alu instid0(SALU_CYCLE_1) | instskip(NEXT) | instid1(SALU_CYCLE_1)
	s_add_i32 s20, s11, s18
	v_dual_mov_b32 v5, s20 :: v_dual_add_nc_u32 v4, s18, v1
	s_add_i32 s19, s19, -1
	s_addk_i32 s18, 0x60
	s_cmp_lg_u32 s19, 0
	ds_load_b32 v4, v4
	ds_load_b32 v5, v5
	s_waitcnt lgkmcnt(0)
	v_fma_f32 v3, -v4, v5, v3
	s_cbranch_scc1 .LBB28_59
	s_branch .LBB28_51
.LBB28_60:
	s_waitcnt vmcnt(0) lgkmcnt(0)
	s_waitcnt_vscnt null, 0x0
	; wave barrier
	s_waitcnt lgkmcnt(0)
	buffer_gl0_inv
	s_and_saveexec_b32 s4, s14
	s_cbranch_execz .LBB28_67
; %bb.61:
	s_cmp_lt_i32 s6, 8
	s_mov_b32 s4, 0
	s_cbranch_scc1 .LBB28_64
; %bb.62:
	v_mad_i64_i32 v[1:2], null, s16, v0, 0
	v_lshl_or_b32 v3, v0, 2, 0x900
	s_lshl_b32 s4, s15, 2
	s_delay_alu instid0(VALU_DEP_2) | instskip(NEXT) | instid1(VALU_DEP_1)
	v_lshlrev_b64 v[1:2], 2, v[1:2]
	v_add_co_u32 v1, vcc_lo, s5, v1
	s_delay_alu instid0(VALU_DEP_2)
	v_add_co_ci_u32_e32 v2, vcc_lo, s7, v2, vcc_lo
	s_and_b32 s5, s4, 0x60
	s_mov_b32 s4, 0
	s_mov_b64 s[6:7], 0
	.p2align	6
.LBB28_63:                              ; =>This Inner Loop Header: Depth=1
	ds_load_2addr_b32 v[4:5], v3 offset1:24
	ds_load_2addr_b32 v[6:7], v3 offset0:48 offset1:72
	ds_load_2addr_b32 v[8:9], v3 offset0:96 offset1:120
	;; [unrolled: 1-line block ×3, first 2 shown]
	v_add_co_u32 v12, vcc_lo, v1, s6
	v_add_co_ci_u32_e32 v13, vcc_lo, s7, v2, vcc_lo
	s_add_i32 s4, s4, 8
	v_add_nc_u32_e32 v3, 0x300, v3
	s_add_u32 s6, s6, 32
	s_addc_u32 s7, s7, 0
	s_cmp_lg_u32 s5, s6
	s_waitcnt lgkmcnt(2)
	global_store_b128 v[12:13], v[4:7], off
	s_waitcnt lgkmcnt(0)
	global_store_b128 v[12:13], v[8:11], off offset:16
	s_cbranch_scc1 .LBB28_63
.LBB28_64:
	s_and_b32 s6, s15, 7
	s_mov_b32 s5, 0
	s_cmp_eq_u32 s6, 0
	s_cbranch_scc1 .LBB28_67
; %bb.65:
	v_lshlrev_b32_e32 v2, 2, v0
	s_lshl_b64 s[8:9], s[8:9], 2
	s_lshl_b64 s[10:11], s[4:5], 2
	s_delay_alu instid0(SALU_CYCLE_1) | instskip(NEXT) | instid1(VALU_DEP_1)
	s_add_u32 s2, s2, s10
	v_add_co_u32 v3, s5, s8, v2
	s_delay_alu instid0(VALU_DEP_1) | instskip(SKIP_3) | instid1(VALU_DEP_1)
	v_add_co_ci_u32_e64 v4, null, s9, 0, s5
	s_addc_u32 s3, s3, s11
	s_add_u32 s0, s2, s0
	s_addc_u32 s1, s3, s1
	v_mul_lo_u32 v4, v4, s16
	v_mad_u64_u32 v[0:1], null, v3, s16, s[0:1]
	v_mul_lo_u32 v3, v3, s17
	s_mul_i32 s0, s4, 0x60
	s_delay_alu instid0(SALU_CYCLE_1) | instskip(NEXT) | instid1(VALU_DEP_2)
	v_add3_u32 v2, s0, v2, 0x900
	v_add3_u32 v1, v4, v1, v3
.LBB28_66:                              ; =>This Inner Loop Header: Depth=1
	ds_load_b32 v3, v2
	v_add_nc_u32_e32 v2, 0x60, v2
	s_add_i32 s6, s6, -1
	s_delay_alu instid0(SALU_CYCLE_1)
	s_cmp_lg_u32 s6, 0
	s_waitcnt lgkmcnt(0)
	global_store_b32 v[0:1], v3, off
	v_add_co_u32 v0, vcc_lo, v0, 4
	v_add_co_ci_u32_e32 v1, vcc_lo, 0, v1, vcc_lo
	s_cbranch_scc1 .LBB28_66
.LBB28_67:
	s_nop 0
	s_sendmsg sendmsg(MSG_DEALLOC_VGPRS)
	s_endpgm
	.section	.rodata,"a",@progbits
	.p2align	6, 0x0
	.amdhsa_kernel _ZL38rocblas_trsm_small_left_device_sharedBILi24ELi24ELb1EffPKPKfPKPfEv13rocblas_fill_18rocblas_operation_17rocblas_diagonal_iiT3_T4_lilT5_lili
		.amdhsa_group_segment_fixed_size 4608
		.amdhsa_private_segment_fixed_size 0
		.amdhsa_kernarg_size 352
		.amdhsa_user_sgpr_count 14
		.amdhsa_user_sgpr_dispatch_ptr 0
		.amdhsa_user_sgpr_queue_ptr 0
		.amdhsa_user_sgpr_kernarg_segment_ptr 1
		.amdhsa_user_sgpr_dispatch_id 0
		.amdhsa_user_sgpr_private_segment_size 0
		.amdhsa_wavefront_size32 1
		.amdhsa_uses_dynamic_stack 0
		.amdhsa_enable_private_segment 0
		.amdhsa_system_sgpr_workgroup_id_x 1
		.amdhsa_system_sgpr_workgroup_id_y 0
		.amdhsa_system_sgpr_workgroup_id_z 1
		.amdhsa_system_sgpr_workgroup_info 0
		.amdhsa_system_vgpr_workitem_id 0
		.amdhsa_next_free_vgpr 108
		.amdhsa_next_free_sgpr 39
		.amdhsa_reserve_vcc 1
		.amdhsa_float_round_mode_32 0
		.amdhsa_float_round_mode_16_64 0
		.amdhsa_float_denorm_mode_32 3
		.amdhsa_float_denorm_mode_16_64 3
		.amdhsa_dx10_clamp 1
		.amdhsa_ieee_mode 1
		.amdhsa_fp16_overflow 0
		.amdhsa_workgroup_processor_mode 1
		.amdhsa_memory_ordered 1
		.amdhsa_forward_progress 0
		.amdhsa_shared_vgpr_count 0
		.amdhsa_exception_fp_ieee_invalid_op 0
		.amdhsa_exception_fp_denorm_src 0
		.amdhsa_exception_fp_ieee_div_zero 0
		.amdhsa_exception_fp_ieee_overflow 0
		.amdhsa_exception_fp_ieee_underflow 0
		.amdhsa_exception_fp_ieee_inexact 0
		.amdhsa_exception_int_div_zero 0
	.end_amdhsa_kernel
	.section	.text._ZL38rocblas_trsm_small_left_device_sharedBILi24ELi24ELb1EffPKPKfPKPfEv13rocblas_fill_18rocblas_operation_17rocblas_diagonal_iiT3_T4_lilT5_lili,"axG",@progbits,_ZL38rocblas_trsm_small_left_device_sharedBILi24ELi24ELb1EffPKPKfPKPfEv13rocblas_fill_18rocblas_operation_17rocblas_diagonal_iiT3_T4_lilT5_lili,comdat
.Lfunc_end28:
	.size	_ZL38rocblas_trsm_small_left_device_sharedBILi24ELi24ELb1EffPKPKfPKPfEv13rocblas_fill_18rocblas_operation_17rocblas_diagonal_iiT3_T4_lilT5_lili, .Lfunc_end28-_ZL38rocblas_trsm_small_left_device_sharedBILi24ELi24ELb1EffPKPKfPKPfEv13rocblas_fill_18rocblas_operation_17rocblas_diagonal_iiT3_T4_lilT5_lili
                                        ; -- End function
	.section	.AMDGPU.csdata,"",@progbits
; Kernel info:
; codeLenInByte = 21844
; NumSgprs: 41
; NumVgprs: 108
; ScratchSize: 0
; MemoryBound: 0
; FloatMode: 240
; IeeeMode: 1
; LDSByteSize: 4608 bytes/workgroup (compile time only)
; SGPRBlocks: 5
; VGPRBlocks: 13
; NumSGPRsForWavesPerEU: 41
; NumVGPRsForWavesPerEU: 108
; Occupancy: 7
; WaveLimiterHint : 1
; COMPUTE_PGM_RSRC2:SCRATCH_EN: 0
; COMPUTE_PGM_RSRC2:USER_SGPR: 14
; COMPUTE_PGM_RSRC2:TRAP_HANDLER: 0
; COMPUTE_PGM_RSRC2:TGID_X_EN: 1
; COMPUTE_PGM_RSRC2:TGID_Y_EN: 0
; COMPUTE_PGM_RSRC2:TGID_Z_EN: 1
; COMPUTE_PGM_RSRC2:TIDIG_COMP_CNT: 0
	.section	.text._ZL30rocblas_trsm_small_left_deviceILi24ELi24ELb1EffPKPKfPKPfEv13rocblas_fill_18rocblas_operation_17rocblas_diagonal_iiT3_T4_lilT5_lili,"axG",@progbits,_ZL30rocblas_trsm_small_left_deviceILi24ELi24ELb1EffPKPKfPKPfEv13rocblas_fill_18rocblas_operation_17rocblas_diagonal_iiT3_T4_lilT5_lili,comdat
	.globl	_ZL30rocblas_trsm_small_left_deviceILi24ELi24ELb1EffPKPKfPKPfEv13rocblas_fill_18rocblas_operation_17rocblas_diagonal_iiT3_T4_lilT5_lili ; -- Begin function _ZL30rocblas_trsm_small_left_deviceILi24ELi24ELb1EffPKPKfPKPfEv13rocblas_fill_18rocblas_operation_17rocblas_diagonal_iiT3_T4_lilT5_lili
	.p2align	8
	.type	_ZL30rocblas_trsm_small_left_deviceILi24ELi24ELb1EffPKPKfPKPfEv13rocblas_fill_18rocblas_operation_17rocblas_diagonal_iiT3_T4_lilT5_lili,@function
_ZL30rocblas_trsm_small_left_deviceILi24ELi24ELb1EffPKPKfPKPfEv13rocblas_fill_18rocblas_operation_17rocblas_diagonal_iiT3_T4_lilT5_lili: ; @_ZL30rocblas_trsm_small_left_deviceILi24ELi24ELb1EffPKPKfPKPfEv13rocblas_fill_18rocblas_operation_17rocblas_diagonal_iiT3_T4_lilT5_lili
; %bb.0:
	s_clause 0x1
	s_load_b128 s[8:11], s[0:1], 0x38
	s_load_b128 s[4:7], s[0:1], 0x4
	s_mov_b32 s2, s15
	s_mov_b32 s3, 0
	s_mov_b32 s13, exec_lo
	s_lshl_b64 s[22:23], s[2:3], 3
	s_waitcnt lgkmcnt(0)
	s_add_u32 s8, s8, s22
	s_addc_u32 s9, s9, s23
	s_load_b32 s15, s[0:1], 0x14
	s_load_b64 s[8:9], s[8:9], 0x0
	s_min_i32 s2, s6, 24
	s_delay_alu instid0(SALU_CYCLE_1)
	s_add_i32 s12, s2, -1
	v_cmpx_gt_i32_e64 s2, v0
	s_cbranch_execz .LBB29_10
; %bb.1:
	s_clause 0x1
	s_load_b32 s20, s[0:1], 0x28
	s_load_b128 s[16:19], s[0:1], 0x18
	v_lshlrev_b32_e32 v3, 2, v0
	s_waitcnt lgkmcnt(0)
	s_ashr_i32 s21, s20, 31
	s_add_u32 s16, s16, s22
	s_addc_u32 s17, s17, s23
	s_cmp_lt_u32 s12, 3
	s_load_b64 s[16:17], s[16:17], 0x0
	s_cbranch_scc1 .LBB29_4
; %bb.2:
	s_lshl_b64 s[22:23], s[18:19], 2
	v_mov_b32_e32 v4, v3
	s_waitcnt lgkmcnt(0)
	s_add_u32 s3, s16, s22
	s_addc_u32 s22, s17, s23
	v_add_co_u32 v1, s3, s3, v3
	s_delay_alu instid0(VALU_DEP_1)
	v_add_co_ci_u32_e64 v2, null, s22, 0, s3
	s_and_b32 s3, s2, -4
	s_mul_hi_i32 s28, s20, 12
	s_mul_i32 s29, s20, 12
	s_lshl_b64 s[22:23], s[20:21], 4
	s_lshl_b64 s[24:25], s[20:21], 3
	;; [unrolled: 1-line block ×3, first 2 shown]
	s_mov_b32 s30, 0
	.p2align	6
.LBB29_3:                               ; =>This Inner Loop Header: Depth=1
	v_add_co_u32 v5, vcc_lo, v1, s26
	v_add_co_ci_u32_e32 v6, vcc_lo, s27, v2, vcc_lo
	v_add_co_u32 v7, vcc_lo, v1, s24
	v_add_co_ci_u32_e32 v8, vcc_lo, s25, v2, vcc_lo
	;; [unrolled: 2-line block ×3, first 2 shown]
	s_clause 0x3
	global_load_b32 v11, v[1:2], off
	global_load_b32 v5, v[5:6], off
	;; [unrolled: 1-line block ×4, first 2 shown]
	v_add_co_u32 v1, vcc_lo, v1, s22
	v_add_co_ci_u32_e32 v2, vcc_lo, s23, v2, vcc_lo
	s_add_i32 s30, s30, 4
	s_waitcnt vmcnt(2)
	ds_store_2addr_b32 v4, v11, v5 offset1:24
	s_waitcnt vmcnt(0)
	ds_store_2addr_b32 v4, v6, v7 offset0:48 offset1:72
	v_add_nc_u32_e32 v4, 0x180, v4
	s_cmp_eq_u32 s3, s30
	s_cbranch_scc0 .LBB29_3
.LBB29_4:
	s_and_b32 s22, s2, 3
	s_delay_alu instid0(SALU_CYCLE_1)
	s_cmp_eq_u32 s22, 0
	s_cbranch_scc1 .LBB29_7
; %bb.5:
	s_mul_i32 s23, s21, s3
	s_mul_hi_u32 s24, s20, s3
	s_lshl_b64 s[18:19], s[18:19], 2
	s_add_i32 s25, s24, s23
	s_mul_i32 s24, s20, s3
	s_mulk_i32 s3, 0x60
	s_lshl_b64 s[24:25], s[24:25], 2
	v_lshl_add_u32 v4, v0, 2, s3
	s_add_u32 s3, s24, s18
	s_addc_u32 s18, s25, s19
	s_waitcnt lgkmcnt(0)
	s_add_u32 s3, s16, s3
	s_addc_u32 s16, s17, s18
	v_add_co_u32 v1, s3, s3, v3
	s_delay_alu instid0(VALU_DEP_1)
	v_add_co_ci_u32_e64 v2, null, s16, 0, s3
	s_lshl_b64 s[16:17], s[20:21], 2
.LBB29_6:                               ; =>This Inner Loop Header: Depth=1
	global_load_b32 v3, v[1:2], off
	v_add_co_u32 v1, vcc_lo, v1, s16
	v_add_co_ci_u32_e32 v2, vcc_lo, s17, v2, vcc_lo
	s_add_i32 s22, s22, -1
	s_delay_alu instid0(SALU_CYCLE_1)
	s_cmp_lg_u32 s22, 0
	s_waitcnt vmcnt(0)
	ds_store_b32 v4, v3
	v_add_nc_u32_e32 v4, 0x60, v4
	s_cbranch_scc1 .LBB29_6
.LBB29_7:
	v_mul_u32_u24_e32 v1, 25, v0
	s_cmpk_lg_i32 s5, 0x84
	s_delay_alu instid0(VALU_DEP_1)
	v_dual_mov_b32 v2, 1.0 :: v_dual_lshlrev_b32 v1, 2, v1
	s_cbranch_scc0 .LBB29_9
; %bb.8:
	ds_load_b32 v2, v1
	s_waitcnt lgkmcnt(0)
	v_div_scale_f32 v3, null, v2, v2, 1.0
	s_delay_alu instid0(VALU_DEP_1) | instskip(SKIP_2) | instid1(VALU_DEP_1)
	v_rcp_f32_e32 v4, v3
	s_waitcnt_depctr 0xfff
	v_fma_f32 v5, -v3, v4, 1.0
	v_fmac_f32_e32 v4, v5, v4
	v_div_scale_f32 v5, vcc_lo, 1.0, v2, 1.0
	s_delay_alu instid0(VALU_DEP_1) | instskip(NEXT) | instid1(VALU_DEP_1)
	v_mul_f32_e32 v6, v5, v4
	v_fma_f32 v7, -v3, v6, v5
	s_delay_alu instid0(VALU_DEP_1) | instskip(NEXT) | instid1(VALU_DEP_1)
	v_fmac_f32_e32 v6, v7, v4
	v_fma_f32 v3, -v3, v6, v5
	s_delay_alu instid0(VALU_DEP_1) | instskip(NEXT) | instid1(VALU_DEP_1)
	v_div_fmas_f32 v3, v3, v4, v6
	v_div_fixup_f32 v2, v3, v2, 1.0
.LBB29_9:
	ds_store_b32 v1, v2
.LBB29_10:
	s_or_b32 exec_lo, exec_lo, s13
	s_load_b32 s3, s[0:1], 0x60
	s_mul_i32 s5, s14, 0xffffffe8
	s_waitcnt lgkmcnt(0)
	s_add_i32 s5, s5, s7
	; wave barrier
	buffer_gl0_inv
	s_add_i32 s3, s3, -1
	s_delay_alu instid0(SALU_CYCLE_1) | instskip(SKIP_1) | instid1(SALU_CYCLE_1)
	s_cmp_ge_u32 s14, s3
	s_cselect_b32 s3, s5, 24
	v_cmp_gt_i32_e32 vcc_lo, s3, v0
	s_mov_b32 s3, -1
	s_and_saveexec_b32 s5, vcc_lo
	s_cbranch_execz .LBB29_54
; %bb.11:
	s_load_b32 s0, s[0:1], 0x48
	v_mad_u64_u32 v[1:2], null, s14, 24, v[0:1]
	s_waitcnt lgkmcnt(0)
	s_delay_alu instid0(VALU_DEP_1) | instskip(SKIP_1) | instid1(SALU_CYCLE_1)
	v_mad_i64_i32 v[2:3], null, s0, v1, 0
	s_lshl_b64 s[0:1], s[10:11], 2
	s_add_u32 s5, s8, s0
	s_addc_u32 s7, s9, s1
	s_cmpk_eq_i32 s4, 0x6f
	s_delay_alu instid0(VALU_DEP_1) | instskip(NEXT) | instid1(VALU_DEP_1)
	v_lshlrev_b64 v[25:26], 2, v[2:3]
	v_add_co_u32 v23, vcc_lo, s5, v25
	s_delay_alu instid0(VALU_DEP_2)
	v_add_co_ci_u32_e32 v24, vcc_lo, s7, v26, vcc_lo
	s_cbranch_scc1 .LBB29_34
; %bb.12:
	s_cmp_gt_i32 s6, 23
	s_mov_b32 s4, s12
	s_cbranch_scc0 .LBB29_14
; %bb.13:
	s_ashr_i32 s13, s12, 31
	s_mov_b32 s3, 0
	s_lshl_b64 s[4:5], s[12:13], 2
	s_delay_alu instid0(SALU_CYCLE_1)
	v_add_co_u32 v27, vcc_lo, v23, s4
	v_add_co_ci_u32_e32 v28, vcc_lo, s5, v24, vcc_lo
	s_lshl_b64 s[4:5], s[2:3], 2
	s_mul_i32 s3, s2, 0x64
	v_add_co_u32 v4, vcc_lo, v23, s4
	global_load_b32 v29, v[27:28], off
	v_add_co_ci_u32_e32 v5, vcc_lo, s5, v24, vcc_lo
	s_clause 0x4
	global_load_b128 v[16:19], v[4:5], off offset:-32
	global_load_b128 v[12:15], v[4:5], off offset:-48
	;; [unrolled: 1-line block ×3, first 2 shown]
	global_load_b96 v[20:22], v[4:5], off offset:-16
	global_load_b128 v[0:3], v[4:5], off offset:-80
	s_mul_i32 s4, s2, 24
	s_mul_i32 s5, s12, 0x64
	s_add_i32 s4, s4, s12
	s_add_i32 s7, s5, 0xffffff9c
	s_lshl_b32 s4, s4, 2
	v_dual_mov_b32 v30, s5 :: v_dual_mov_b32 v31, s7
	s_add_i32 s10, s5, 0xffffff38
	s_add_i32 s11, s5, 0xfffffed4
	;; [unrolled: 1-line block ×9, first 2 shown]
	s_delay_alu instid0(SALU_CYCLE_1) | instskip(SKIP_2) | instid1(SALU_CYCLE_1)
	v_dual_mov_b32 v32, s10 :: v_dual_mov_b32 v33, s7
	s_add_i32 s10, s4, 0xfffffe7c
	s_add_i32 s22, s4, 0xfffffcf8
	v_dual_mov_b32 v78, s17 :: v_dual_mov_b32 v67, s22
	s_add_i32 s17, s4, 0xfffffd60
	s_delay_alu instid0(SALU_CYCLE_1) | instskip(SKIP_1) | instid1(SALU_CYCLE_1)
	v_dual_mov_b32 v40, s13 :: v_dual_mov_b32 v45, s17
	s_add_i32 s13, s4, 0xfffffe18
	v_dual_mov_b32 v36, s11 :: v_dual_mov_b32 v39, s13
	s_add_i32 s11, s4, 0xfffffe20
	s_add_i32 s24, s4, 0xfffffce8
	s_delay_alu instid0(SALU_CYCLE_1) | instskip(SKIP_1) | instid1(SALU_CYCLE_1)
	v_dual_mov_b32 v82, s18 :: v_dual_mov_b32 v69, s24
	s_add_i32 s18, s4, 0xfffffd5c
	v_dual_mov_b32 v46, s14 :: v_dual_mov_b32 v65, s18
	s_add_i32 s14, s4, 0xfffffdbc
	;; [unrolled: 6-line block ×3, first 2 shown]
	s_add_i32 s25, s4, 0xfffffca0
	s_add_i32 s33, s4, 0xfffffc30
	s_add_i32 s36, s4, 0xfffffbe0
	s_add_i32 s41, s4, 0xfffffb7c
	s_add_i32 s43, s4, 0xfffffb6c
	s_add_i32 s52, s4, 0xfffffabc
	s_add_i32 s58, s4, 0xfffff9f4
	v_dual_mov_b32 v34, s10 :: v_dual_mov_b32 v71, s33
	v_dual_mov_b32 v38, s11 :: v_dual_mov_b32 v53, s41
	;; [unrolled: 1-line block ×5, first 2 shown]
	v_mov_b32_e32 v52, s36
	global_load_b128 v[4:7], v[4:5], off offset:-96
	ds_load_b32 v61, v30
	ds_load_2addr_b32 v[30:31], v31 offset1:1
	ds_load_b32 v84, v33
	ds_load_2addr_b32 v[32:33], v32 offset1:1
	ds_load_2addr_b32 v[34:35], v34 offset1:1
	ds_load_2addr_b32 v[36:37], v36 offset1:1
	ds_load_b32 v63, v38
	ds_load_2addr_b32 v[38:39], v39 offset1:1
	ds_load_2addr_b32 v[40:41], v40 offset1:1
	;; [unrolled: 4-line block ×3, first 2 shown]
	ds_load_b32 v86, v49
	ds_load_b32 v87, v50
	;; [unrolled: 1-line block ×4, first 2 shown]
	s_add_i32 s29, s4, 0xfffffc84
	s_add_i32 s31, s4, 0xfffffc38
	v_mov_b32_e32 v76, s29
	s_add_i32 s42, s4, 0xfffffb74
	s_add_i32 s46, s4, 0xfffffb20
	;; [unrolled: 1-line block ×5, first 2 shown]
	s_delay_alu instid0(SALU_CYCLE_1) | instskip(SKIP_2) | instid1(SALU_CYCLE_1)
	v_dual_mov_b32 v62, s19 :: v_dual_mov_b32 v73, s26
	s_add_i32 s19, s4, 0xfffffd54
	s_add_i32 s28, s4, 0xfffffc8c
	v_dual_mov_b32 v58, s20 :: v_dual_mov_b32 v75, s28
	s_add_i32 s20, s4, 0xfffffd4c
	s_add_i32 s53, s4, 0xfffffab4
	;; [unrolled: 1-line block ×4, first 2 shown]
	v_dual_mov_b32 v66, s19 :: v_dual_mov_b32 v59, s53
	v_dual_mov_b32 v72, s20 :: v_dual_mov_b32 v77, s54
	s_add_i32 s34, s4, 0xfffffc28
	s_add_i32 s38, s4, 0xfffffbd4
	s_add_i32 s49, s4, 0xfffffb08
	s_add_i32 s47, s4, 0xfffffb18
	s_add_i32 s23, s4, 0xfffffcf0
	s_add_i32 s55, s4, 0xfffffa58
	s_add_i32 s56, s4, 0xfffffa50
	s_add_i32 s27, s4, 0xfffffc94
	s_add_i32 s59, s4, 0xfffff9ec
	s_add_i32 s35, s4, 0xfffffc20
	s_add_i32 s39, s4, 0xfffffbcc
	s_add_i32 s48, s4, 0xfffffb10
	v_dual_mov_b32 v68, s23 :: v_dual_mov_b32 v79, s55
	v_dual_mov_b32 v74, s27 :: v_dual_mov_b32 v83, s59
	s_add_i32 s37, s4, 0xfffffbdc
	s_add_i32 s60, s4, 0xfffff9a0
	s_add_i32 s40, s4, 0xfffffbc4
	s_add_i32 s61, s4, 0xfffff998
	s_add_i32 s50, s4, 0xfffffb00
	s_add_i32 s62, s4, 0xfffff990
	v_mov_b32_e32 v95, s50
	s_add_i32 s51, s4, 0xfffffaf8
	s_add_i32 s22, s4, 0xfffff9cc
	;; [unrolled: 1-line block ×8, first 2 shown]
	s_addk_i32 s5, 0xfc7c
	s_add_i32 s21, s4, 0xfffff9d4
	s_add_i32 s17, s4, 0xfffffa38
	;; [unrolled: 1-line block ×17, first 2 shown]
	s_waitcnt vmcnt(6)
	v_dual_mov_b32 v94, s49 :: v_dual_mul_f32 v29, s15, v29
	v_mov_b32_e32 v70, s31
	s_add_i32 s31, s4, 0xfffff924
	s_waitcnt lgkmcnt(16)
	s_delay_alu instid0(VALU_DEP_2) | instskip(SKIP_2) | instid1(VALU_DEP_2)
	v_dual_mul_f32 v29, v61, v29 :: v_dual_mov_b32 v54, s42
	v_mov_b32_e32 v56, s46
	s_waitcnt lgkmcnt(0)
	v_dual_mov_b32 v80, s56 :: v_dual_mul_f32 v89, v29, v89
	v_mul_f32_e32 v85, v29, v85
	v_mul_f32_e32 v87, v29, v87
	ds_load_b32 v90, v48
	ds_load_2addr_b32 v[48:49], v53 offset1:1
	ds_load_2addr_b32 v[50:51], v54 offset1:1
	;; [unrolled: 1-line block ×3, first 2 shown]
	ds_load_b32 v91, v56
	v_mov_b32_e32 v60, s57
	v_mul_f32_e32 v92, v29, v63
	v_mul_f32_e32 v31, v29, v31
	;; [unrolled: 1-line block ×5, first 2 shown]
	s_waitcnt vmcnt(5)
	v_fma_f32 v85, v17, s15, -v85
	v_fma_f32 v43, v18, s15, -v43
	;; [unrolled: 1-line block ×3, first 2 shown]
	s_waitcnt lgkmcnt(3)
	v_mul_f32_e32 v49, v29, v49
	ds_load_2addr_b32 v[54:55], v57 offset1:1
	ds_load_2addr_b32 v[56:57], v59 offset1:1
	;; [unrolled: 1-line block ×5, first 2 shown]
	ds_load_b32 v77, v77
	s_waitcnt vmcnt(4)
	v_fma_f32 v49, v12, s15, -v49
	s_waitcnt lgkmcnt(2)
	v_mul_f32_e32 v61, v29, v61
	s_waitcnt lgkmcnt(0)
	v_mul_f32_e32 v77, v29, v77
	s_waitcnt vmcnt(3)
	s_delay_alu instid0(VALU_DEP_1) | instskip(SKIP_2) | instid1(VALU_DEP_1)
	v_fma_f32 v77, v9, s15, -v77
	s_waitcnt vmcnt(2)
	v_fma_f32 v9, v22, s15, -v31
	v_dual_mul_f32 v55, v29, v55 :: v_dual_mul_f32 v22, v30, v9
	s_delay_alu instid0(VALU_DEP_1)
	v_fma_f32 v10, v10, s15, -v55
	v_fma_f32 v55, v8, s15, -v61
	v_dual_mul_f32 v8, v29, v35 :: v_dual_mov_b32 v61, s34
	v_fma_f32 v92, v19, s15, -v92
	ds_load_2addr_b32 v[16:17], v79 offset1:1
	ds_load_2addr_b32 v[18:19], v80 offset1:1
	v_fma_f32 v79, v15, s15, -v87
	v_fma_f32 v87, v13, s15, -v89
	;; [unrolled: 1-line block ×3, first 2 shown]
	v_mov_b32_e32 v89, s39
	v_fma_f32 v80, v14, s15, -v88
	ds_load_2addr_b32 v[12:13], v81 offset1:1
	ds_load_2addr_b32 v[14:15], v83 offset1:1
	v_mul_f32_e32 v81, v29, v91
	v_fma_f32 v91, -v22, v34, v8
	ds_load_2addr_b32 v[8:9], v67 offset1:1
	v_fma_f32 v96, -v22, v48, v49
	v_mov_b32_e32 v48, s60
	v_fma_f32 v81, v11, s15, -v81
	v_mul_f32_e32 v11, v29, v84
	v_fma_f32 v98, -v22, v54, v10
	v_mov_b32_e32 v20, s47
	v_fma_f32 v93, -v22, v42, v43
	v_mov_b32_e32 v83, s35
	v_fma_f32 v11, v21, s15, -v11
	v_mov_b32_e32 v67, s48
	v_fma_f32 v99, -v22, v60, v55
	v_mov_b32_e32 v84, s37
	v_mov_b32_e32 v88, s38
	v_fma_f32 v21, -v22, v33, v11
	ds_load_2addr_b32 v[10:11], v70 offset1:1
	v_mov_b32_e32 v70, s62
	s_waitcnt lgkmcnt(5)
	v_fma_f32 v17, -v22, v17, v77
	s_add_i32 s38, s4, 0xfffff8d8
	v_mul_f32_e32 v21, v32, v21
	ds_load_2addr_b32 v[30:31], v68 offset1:1
	ds_load_2addr_b32 v[32:33], v69 offset1:1
	;; [unrolled: 1-line block ×4, first 2 shown]
	ds_load_b32 v100, v48
	v_fma_f32 v20, -v22, v39, v92
	s_waitcnt lgkmcnt(6)
	v_fma_f32 v9, -v22, v9, v86
	v_fma_f32 v64, -v21, v37, v91
	v_mov_b32_e32 v97, s61
	ds_load_b32 v39, v65
	ds_load_2addr_b32 v[48:49], v66 offset1:1
	v_fma_f32 v86, -v21, v38, v20
	v_fma_f32 v91, -v21, v8, v9
	v_mul_f32_e32 v20, v36, v64
	ds_load_2addr_b32 v[8:9], v71 offset1:1
	ds_load_2addr_b32 v[37:38], v61 offset1:1
	;; [unrolled: 1-line block ×7, first 2 shown]
	s_add_i32 s37, s4, 0xfffff8e0
	s_add_i32 s39, s4, 0xfffff8d0
	;; [unrolled: 1-line block ×3, first 2 shown]
	s_waitcnt lgkmcnt(14)
	v_fma_f32 v11, -v22, v11, v80
	ds_load_2addr_b32 v[70:71], v70 offset1:1
	ds_load_b32 v80, v73
	s_add_i32 s34, s4, 0xfffff914
	v_dual_mov_b32 v97, s31 :: v_dual_mov_b32 v94, s26
	v_fma_f32 v36, -v21, v10, v11
	s_waitcnt lgkmcnt(11)
	v_mul_f32_e32 v73, v29, v100
	v_fma_f32 v35, -v22, v35, v81
	ds_load_2addr_b32 v[10:11], v74 offset1:1
	ds_load_b32 v81, v84
	v_mov_b32_e32 v74, s40
	v_fma_f32 v92, -v21, v16, v17
	s_waitcnt vmcnt(1)
	v_fma_f32 v3, v3, s15, -v73
	v_fma_f32 v84, -v21, v34, v35
	ds_load_2addr_b32 v[34:35], v88 offset1:1
	ds_load_2addr_b32 v[16:17], v72 offset1:1
	v_fma_f32 v45, -v21, v45, v93
	s_waitcnt lgkmcnt(9)
	v_fma_f32 v3, -v22, v61, v3
	v_fma_f32 v39, -v22, v39, v85
	;; [unrolled: 1-line block ×3, first 2 shown]
	v_mov_b32_e32 v93, s14
	v_fma_f32 v85, -v20, v44, v45
	v_fma_f32 v3, -v21, v60, v3
	ds_load_2addr_b32 v[60:61], v75 offset1:1
	ds_load_2addr_b32 v[72:73], v76 offset1:1
	s_waitcnt lgkmcnt(6)
	v_fma_f32 v76, -v22, v80, v79
	ds_load_2addr_b32 v[44:45], v89 offset1:1
	ds_load_2addr_b32 v[74:75], v74 offset1:1
	s_add_i32 s14, s4, 0xfffffa48
	v_mov_b32_e32 v80, s51
	v_fma_f32 v39, -v21, v49, v39
	s_waitcnt lgkmcnt(6)
	v_fma_f32 v87, -v22, v81, v87
	v_fma_f32 v11, -v21, v11, v76
	;; [unrolled: 1-line block ×3, first 2 shown]
	v_mov_b32_e32 v92, s22
	v_fma_f32 v39, -v20, v48, v39
	v_mov_b32_e32 v89, s13
	v_fma_f32 v88, -v20, v10, v11
	s_waitcnt lgkmcnt(5)
	v_fma_f32 v10, -v21, v35, v87
	v_fma_f32 v11, -v21, v51, v96
	v_mov_b32_e32 v35, s7
	s_add_i32 s7, s4, 0xfffffaac
	v_mov_b32_e32 v83, s45
	v_fma_f32 v34, -v20, v34, v10
	v_fma_f32 v10, -v21, v57, v98
	;; [unrolled: 1-line block ×4, first 2 shown]
	v_mov_b32_e32 v87, s5
	s_add_i32 s5, s4, 0xfffffbbc
	v_fma_f32 v56, -v20, v56, v10
	v_fma_f32 v10, -v21, v13, v99
	v_mul_f32_e32 v11, v40, v11
	v_dual_mov_b32 v77, s44 :: v_dual_mov_b32 v40, s5
	v_fma_f32 v13, -v20, v31, v91
	s_delay_alu instid0(VALU_DEP_4)
	v_fma_f32 v31, -v20, v12, v10
	v_mov_b32_e32 v12, s7
	v_fma_f32 v10, -v20, v65, v84
	v_fma_f32 v36, -v11, v8, v9
	;; [unrolled: 1-line block ×3, first 2 shown]
	ds_load_2addr_b32 v[48:49], v77 offset1:1
	ds_load_2addr_b32 v[76:77], v83 offset1:1
	;; [unrolled: 1-line block ×5, first 2 shown]
	v_mov_b32_e32 v57, s11
	v_fma_f32 v47, -v11, v64, v10
	v_mul_f32_e32 v10, v46, v8
	ds_load_2addr_b32 v[8:9], v12 offset1:1
	s_waitcnt lgkmcnt(10)
	v_fma_f32 v12, -v11, v17, v39
	v_mov_b32_e32 v64, s14
	s_waitcnt lgkmcnt(9)
	v_fma_f32 v17, -v11, v61, v88
	v_dual_mov_b32 v51, s10 :: v_dual_mov_b32 v84, s16
	v_fma_f32 v61, -v10, v16, v12
	s_waitcnt lgkmcnt(7)
	v_fma_f32 v12, -v11, v45, v34
	ds_load_b32 v34, v35
	s_add_i32 s10, s4, 0xfffffaa4
	s_add_i32 s11, s4, 0xfffffa9c
	s_add_i32 s13, s4, 0xfffffa94
	v_fma_f32 v30, -v11, v30, v13
	v_mov_b32_e32 v13, s10
	v_fma_f32 v45, -v11, v53, v50
	v_mov_b32_e32 v41, s11
	v_mov_b32_e32 v65, s13
	v_fma_f32 v39, -v11, v18, v19
	v_fma_f32 v35, -v10, v60, v17
	v_mov_b32_e32 v60, s23
	v_fma_f32 v44, -v10, v44, v12
	s_waitcnt lgkmcnt(1)
	v_fma_f32 v9, -v11, v9, v56
	v_mov_b32_e32 v56, s24
	ds_load_2addr_b32 v[12:13], v13 offset1:1
	ds_load_2addr_b32 v[16:17], v41 offset1:1
	;; [unrolled: 1-line block ×3, first 2 shown]
	v_fma_f32 v41, -v10, v52, v45
	ds_load_b32 v45, v51
	v_fma_f32 v15, -v11, v15, v31
	v_fma_f32 v50, -v10, v8, v9
	;; [unrolled: 1-line block ×3, first 2 shown]
	s_waitcnt lgkmcnt(4)
	v_mul_f32_e32 v9, v34, v61
	ds_load_b32 v53, v57
	v_fma_f32 v95, -v10, v14, v15
	ds_load_2addr_b32 v[14:15], v64 offset1:1
	v_fma_f32 v30, -v10, v38, v36
	v_fma_f32 v8, -v9, v32, v8
	v_mov_b32_e32 v46, s17
	ds_load_b32 v57, v87
	v_dual_mov_b32 v51, s27 :: v_dual_mov_b32 v98, s33
	v_dual_mov_b32 v85, s18 :: v_dual_mov_b32 v52, s28
	;; [unrolled: 1-line block ×3, first 2 shown]
	v_mov_b32_e32 v64, s29
	v_mov_b32_e32 v88, s21
	s_waitcnt lgkmcnt(3)
	v_mul_f32_e32 v8, v45, v8
	v_fma_f32 v38, -v9, v37, v30
	ds_load_2addr_b32 v[30:31], v40 offset1:1
	v_fma_f32 v40, -v9, v73, v35
	v_fma_f32 v45, -v10, v67, v47
	ds_load_2addr_b32 v[32:33], v84 offset1:1
	ds_load_2addr_b32 v[34:35], v46 offset1:1
	;; [unrolled: 1-line block ×3, first 2 shown]
	v_fma_f32 v46, -v9, v49, v41
	s_waitcnt lgkmcnt(5)
	v_fma_f32 v15, -v10, v15, v39
	v_fma_f32 v39, -v8, v72, v40
	;; [unrolled: 1-line block ×7, first 2 shown]
	v_mul_f32_e32 v15, v53, v39
	v_fma_f32 v47, -v8, v74, v40
	v_mov_b32_e32 v74, s38
	ds_load_2addr_b32 v[38:39], v51 offset1:1
	ds_load_2addr_b32 v[40:41], v89 offset1:1
	;; [unrolled: 1-line block ×3, first 2 shown]
	v_fma_f32 v66, -v8, v69, v61
	v_fma_f32 v14, -v15, v54, v14
	;; [unrolled: 1-line block ×3, first 2 shown]
	v_mov_b32_e32 v85, s37
	s_waitcnt lgkmcnt(6)
	v_fma_f32 v31, -v15, v31, v47
	ds_load_2addr_b32 v[46:47], v86 offset1:1
	ds_load_2addr_b32 v[48:49], v91 offset1:1
	;; [unrolled: 1-line block ×4, first 2 shown]
	v_mul_f32_e32 v14, v57, v14
	v_fma_f32 v12, -v8, v12, v13
	v_fma_f32 v13, -v15, v77, v54
	;; [unrolled: 1-line block ×3, first 2 shown]
	v_dual_mov_b32 v65, s25 :: v_dual_mov_b32 v96, s30
	v_fma_f32 v69, -v14, v30, v31
	s_delay_alu instid0(VALU_DEP_4)
	v_fma_f32 v76, -v14, v76, v13
	s_waitcnt lgkmcnt(9)
	v_fma_f32 v33, -v8, v33, v75
	v_fma_f32 v12, -v15, v17, v12
	v_fma_f32 v17, -v14, v81, v77
	v_mul_f32_e32 v13, v90, v69
	ds_load_2addr_b32 v[30:31], v60 offset1:1
	ds_load_2addr_b32 v[54:55], v56 offset1:1
	;; [unrolled: 1-line block ×4, first 2 shown]
	s_waitcnt lgkmcnt(8)
	v_mul_f32_e32 v45, v29, v45
	ds_load_2addr_b32 v[64:65], v64 offset1:1
	v_fma_f32 v32, -v15, v32, v33
	v_fma_f32 v16, -v14, v16, v12
	v_fma_f32 v17, -v13, v80, v17
	v_fma_f32 v45, v2, s15, -v45
	v_fma_f32 v2, -v20, v71, v3
	s_waitcnt lgkmcnt(8)
	v_fma_f32 v3, -v9, v47, v95
	v_fma_f32 v47, -v13, v79, v76
	v_dual_mov_b32 v67, s35 :: v_dual_mov_b32 v72, s36
	v_fma_f32 v32, -v14, v35, v32
	s_delay_alu instid0(VALU_DEP_4) | instskip(NEXT) | instid1(VALU_DEP_4)
	v_fma_f32 v3, -v8, v46, v3
	v_mul_f32_e32 v12, v78, v47
	v_fma_f32 v16, -v13, v19, v16
	ds_load_2addr_b32 v[66:67], v67 offset1:1
	ds_load_2addr_b32 v[68:69], v72 offset1:1
	;; [unrolled: 1-line block ×3, first 2 shown]
	ds_load_b32 v85, v85
	v_fma_f32 v33, -v11, v70, v2
	s_waitcnt lgkmcnt(11)
	v_fma_f32 v3, -v15, v49, v3
	v_fma_f32 v17, -v12, v83, v17
	;; [unrolled: 1-line block ×4, first 2 shown]
	s_add_i32 s5, s4, 0xfffff8c8
	v_fma_f32 v35, -v14, v48, v3
	ds_load_2addr_b32 v[2:3], v96 offset1:1
	v_mul_f32_e32 v19, v82, v17
	v_fma_f32 v17, -v22, v44, v45
	s_waitcnt lgkmcnt(9)
	v_fma_f32 v18, -v10, v31, v33
	v_fma_f32 v31, -v13, v51, v35
	;; [unrolled: 1-line block ×4, first 2 shown]
	s_waitcnt lgkmcnt(5)
	v_fma_f32 v17, -v21, v65, v17
	v_fma_f32 v37, -v9, v30, v18
	;; [unrolled: 1-line block ×4, first 2 shown]
	s_add_i32 s7, s4, 0xfffff8c0
	s_delay_alu instid0(SALU_CYCLE_1)
	v_dual_mul_f32 v18, v62, v16 :: v_dual_mov_b32 v47, s7
	v_mov_b32_e32 v84, s34
	ds_load_2addr_b32 v[30:31], v97 offset1:1
	ds_load_2addr_b32 v[32:33], v98 offset1:1
	;; [unrolled: 1-line block ×3, first 2 shown]
	v_fma_f32 v16, -v20, v64, v17
	v_fma_f32 v17, -v19, v53, v44
	;; [unrolled: 1-line block ×4, first 2 shown]
	ds_load_2addr_b32 v[36:37], v74 offset1:1
	s_waitcnt lgkmcnt(4)
	v_fma_f32 v3, -v11, v3, v16
	v_fma_f32 v16, -v18, v52, v17
	v_dual_mul_f32 v17, v58, v44 :: v_dual_mul_f32 v46, v29, v85
	v_mov_b32_e32 v44, s39
	v_fma_f32 v48, -v15, v54, v45
	v_fma_f32 v45, -v10, v2, v3
	s_delay_alu instid0(VALU_DEP_4)
	v_fma_f32 v16, -v17, v43, v16
	v_fma_f32 v1, v1, s15, -v46
	ds_load_2addr_b32 v[2:3], v44 offset1:1
	v_mov_b32_e32 v44, s5
	v_fma_f32 v50, -v14, v57, v48
	s_waitcnt lgkmcnt(4)
	v_fma_f32 v31, -v9, v31, v45
	ds_load_2addr_b32 v[44:45], v44 offset1:1
	ds_load_2addr_b32 v[46:47], v47 offset1:1
	s_add_i32 s5, s4, 0xfffff87c
	v_fma_f32 v51, -v8, v30, v31
	v_mov_b32_e32 v49, s5
	s_waitcnt lgkmcnt(3)
	v_fma_f32 v1, -v22, v37, v1
	s_add_i32 s5, s3, 0xfffff894
	v_mul_f32_e32 v16, v42, v16
	v_fma_f32 v33, -v15, v33, v51
	v_mov_b32_e32 v37, s5
	v_fma_f32 v1, -v21, v36, v1
	v_fma_f32 v36, -v13, v56, v50
	s_add_i32 s5, s4, 0xfffff874
	v_fma_f32 v32, -v14, v32, v33
	ds_load_2addr_b32 v[30:31], v37 offset1:1
	s_waitcnt lgkmcnt(3)
	v_fma_f32 v1, -v20, v3, v1
	v_fma_f32 v3, -v12, v61, v36
	v_mov_b32_e32 v36, s5
	ds_load_2addr_b32 v[48:49], v49 offset1:1
	v_fma_f32 v35, -v13, v35, v32
	v_fma_f32 v33, -v11, v2, v1
	s_add_i32 s5, s4, 0xfffff86c
	ds_load_2addr_b32 v[1:2], v36 offset1:1
	v_mov_b32_e32 v37, s5
	v_fma_f32 v34, -v12, v34, v35
	s_waitcnt lgkmcnt(4)
	v_fma_f32 v36, -v10, v45, v33
	s_add_i32 s7, s4, 0xfffff8a0
	v_fma_f32 v3, -v19, v60, v3
	v_mov_b32_e32 v45, s7
	s_add_i32 s7, s4, 0xfffff83c
	v_fma_f32 v35, -v9, v44, v36
	ds_load_2addr_b32 v[32:33], v37 offset1:1
	v_fma_f32 v3, -v18, v39, v3
	s_add_i32 s5, s4, 0xfffff8b8
	v_fma_f32 v34, -v19, v67, v34
	s_waitcnt lgkmcnt(4)
	v_fma_f32 v35, -v8, v47, v35
	s_add_i32 s10, s4, 0xfffff79c
	v_fma_f32 v3, -v17, v38, v3
	s_add_i32 s11, s4, 0xfffff794
	v_fma_f32 v59, -v18, v66, v34
	v_fma_f32 v51, -v15, v46, v35
	v_mov_b32_e32 v35, s7
	s_add_i32 s7, s4, 0xfffff820
	s_waitcnt lgkmcnt(2)
	v_dual_mul_f32 v37, v29, v49 :: v_dual_mov_b32 v42, s7
	v_fma_f32 v39, -v16, v41, v3
	v_mov_b32_e32 v3, s5
	s_add_i32 s5, s4, 0xfffff8b0
	s_delay_alu instid0(VALU_DEP_3)
	v_fma_f32 v0, v0, s15, -v37
	v_mov_b32_e32 v41, s5
	s_add_i32 s5, s4, 0xfffff8a8
	s_add_i32 s7, s4, 0xfffff85c
	v_mov_b32_e32 v43, s5
	v_fma_f32 v0, -v22, v48, v0
	s_add_i32 s5, s4, 0xfffff864
	v_mov_b32_e32 v49, s7
	s_add_i32 s7, s4, 0xfffff800
	s_waitcnt lgkmcnt(1)
	v_fma_f32 v0, -v21, v2, v0
	v_mov_b32_e32 v58, s7
	s_add_i32 s7, s3, 0xfffff7cc
	s_delay_alu instid0(VALU_DEP_2) | instskip(SKIP_1) | instid1(VALU_DEP_1)
	v_fma_f32 v0, -v20, v1, v0
	s_waitcnt lgkmcnt(0)
	v_fma_f32 v47, -v11, v33, v0
	v_mov_b32_e32 v0, s5
	s_add_i32 s5, s4, 0xfffff844
	s_delay_alu instid0(SALU_CYCLE_1) | instskip(SKIP_4) | instid1(SALU_CYCLE_1)
	v_mov_b32_e32 v33, s5
	s_add_i32 s5, s3, 0xfffff830
	v_fma_f32 v32, -v10, v32, v47
	v_mov_b32_e32 v37, s5
	s_add_i32 s5, s4, 0xfffff818
	v_mov_b32_e32 v47, s5
	s_add_i32 s5, s4, 0xfffff854
	s_delay_alu instid0(SALU_CYCLE_1) | instskip(SKIP_4) | instid1(SALU_CYCLE_1)
	v_mov_b32_e32 v52, s5
	s_add_i32 s5, s4, 0xfffff84c
	ds_load_2addr_b32 v[2:3], v3 offset1:1
	v_mov_b32_e32 v53, s5
	s_add_i32 s5, s4, 0xfffff810
	v_mov_b32_e32 v56, s5
	ds_load_2addr_b32 v[0:1], v0 offset1:1
	ds_load_2addr_b32 v[33:34], v33 offset1:1
	;; [unrolled: 1-line block ×4, first 2 shown]
	ds_load_b32 v55, v42
	ds_load_2addr_b32 v[41:42], v41 offset1:1
	ds_load_2addr_b32 v[43:44], v43 offset1:1
	;; [unrolled: 1-line block ×5, first 2 shown]
	s_add_i32 s5, s4, 0xfffff808
	s_delay_alu instid0(SALU_CYCLE_1)
	v_mov_b32_e32 v57, s5
	s_add_i32 s5, s4, 0xfffff7bc
	s_waitcnt lgkmcnt(9)
	v_fma_f32 v1, -v9, v1, v32
	v_fma_f32 v3, -v14, v3, v51
	ds_load_2addr_b32 v[51:52], v52 offset1:1
	ds_load_2addr_b32 v[53:54], v53 offset1:1
	s_waitcnt lgkmcnt(7)
	v_mul_f32_e32 v32, v29, v55
	ds_load_2addr_b32 v[55:56], v56 offset1:1
	v_fma_f32 v2, -v13, v2, v3
	v_fma_f32 v3, -v8, v0, v1
	s_waitcnt vmcnt(0)
	v_fma_f32 v7, v7, s15, -v32
	ds_load_2addr_b32 v[0:1], v57 offset1:1
	ds_load_2addr_b32 v[57:58], v58 offset1:1
	v_fma_f32 v32, -v17, v69, v59
	s_waitcnt lgkmcnt(9)
	v_fma_f32 v2, -v12, v42, v2
	s_waitcnt lgkmcnt(5)
	v_fma_f32 v42, -v15, v50, v3
	v_fma_f32 v7, -v22, v48, v7
	v_mul_f32_e32 v3, v40, v39
	v_mov_b32_e32 v39, s5
	v_fma_f32 v2, -v19, v41, v2
	v_fma_f32 v41, -v14, v49, v42
	;; [unrolled: 1-line block ×4, first 2 shown]
	ds_load_2addr_b32 v[39:40], v39 offset1:1
	v_fma_f32 v2, -v18, v44, v2
	s_waitcnt lgkmcnt(5)
	v_fma_f32 v44, -v13, v52, v41
	s_add_i32 s5, s4, 0xfffff7d8
	s_waitcnt lgkmcnt(3)
	v_fma_f32 v7, -v20, v56, v7
	v_mov_b32_e32 v42, s5
	v_fma_f32 v2, -v17, v43, v2
	s_add_i32 s5, s4, 0xfffff7b4
	v_fma_f32 v32, -v3, v73, v32
	v_fma_f32 v7, -v11, v55, v7
	;; [unrolled: 1-line block ×3, first 2 shown]
	v_dual_mov_b32 v44, s5 :: v_dual_mov_b32 v47, s7
	s_add_i32 s7, s4, 0xfffff7f8
	s_waitcnt lgkmcnt(2)
	v_fma_f32 v1, -v10, v1, v7
	v_fma_f32 v7, -v16, v46, v2
	v_mul_f32_e32 v2, v72, v32
	ds_load_2addr_b32 v[41:42], v42 offset1:1
	ds_load_2addr_b32 v[47:48], v47 offset1:1
	v_fma_f32 v43, -v19, v54, v43
	v_fma_f32 v46, -v9, v0, v1
	;; [unrolled: 1-line block ×3, first 2 shown]
	v_mov_b32_e32 v45, s7
	s_add_i32 s7, s4, 0xfffff7e0
	ds_load_2addr_b32 v[0:1], v44 offset1:1
	v_mov_b32_e32 v55, s7
	s_add_i32 s7, s4, 0xfffff78c
	s_waitcnt lgkmcnt(3)
	v_mul_f32_e32 v7, v29, v40
	s_add_i32 s5, s4, 0xfffff7ac
	v_fma_f32 v59, -v18, v53, v43
	v_mov_b32_e32 v40, s5
	s_add_i32 s5, s4, 0xfffff7f0
	v_fma_f32 v43, -v8, v58, v46
	v_fma_f32 v44, v6, s15, -v7
	v_mov_b32_e32 v46, s5
	ds_load_2addr_b32 v[6:7], v40 offset1:1
	s_add_i32 s5, s4, 0xfffff7a4
	v_fma_f32 v57, -v15, v57, v43
	v_fma_f32 v49, -v22, v39, v44
	ds_load_2addr_b32 v[39:40], v45 offset1:1
	ds_load_2addr_b32 v[43:44], v46 offset1:1
	v_mov_b32_e32 v45, s5
	s_add_i32 s5, s4, 0xfffff7e8
	v_mov_b32_e32 v51, s11
	v_fma_f32 v31, -v2, v31, v32
	s_waitcnt lgkmcnt(3)
	v_fma_f32 v1, -v21, v1, v49
	v_mov_b32_e32 v49, s10
	ds_load_2addr_b32 v[45:46], v45 offset1:1
	ds_load_2addr_b32 v[49:50], v49 offset1:1
	;; [unrolled: 1-line block ×3, first 2 shown]
	v_fma_f32 v0, -v20, v0, v1
	v_mov_b32_e32 v1, s5
	s_add_i32 s5, s4, 0xfffff760
	ds_load_2addr_b32 v[53:54], v1 offset1:1
	ds_load_2addr_b32 v[55:56], v55 offset1:1
	s_waitcnt lgkmcnt(7)
	v_fma_f32 v0, -v11, v7, v0
	s_waitcnt lgkmcnt(6)
	v_fma_f32 v1, -v14, v40, v57
	v_mov_b32_e32 v7, s5
	s_add_i32 s5, s4, 0xfffff758
	s_add_i32 s10, s4, 0xfffff740
	v_fma_f32 v0, -v10, v6, v0
	v_fma_f32 v6, -v17, v34, v59
	;; [unrolled: 1-line block ×3, first 2 shown]
	ds_load_b32 v32, v7
	v_mov_b32_e32 v40, s7
	s_waitcnt lgkmcnt(5)
	v_fma_f32 v0, -v9, v46, v0
	v_fma_f32 v6, -v16, v33, v6
	;; [unrolled: 1-line block ×3, first 2 shown]
	v_mov_b32_e32 v33, s5
	v_mul_f32_e32 v1, v30, v31
	s_add_i32 s5, s4, 0xfffff750
	v_fma_f32 v30, -v3, v36, v6
	v_fma_f32 v31, -v19, v43, v7
	ds_load_2addr_b32 v[6:7], v33 offset1:1
	v_fma_f32 v0, -v8, v45, v0
	s_add_i32 s7, s4, 0xfffff6ec
	v_fma_f32 v33, -v2, v35, v30
	v_mov_b32_e32 v30, s5
	s_waitcnt lgkmcnt(3)
	v_fma_f32 v34, -v18, v54, v31
	s_add_i32 s5, s3, 0xfffff768
	v_fma_f32 v0, -v15, v50, v0
	v_mov_b32_e32 v35, s5
	ds_load_2addr_b32 v[30:31], v30 offset1:1
	s_waitcnt lgkmcnt(2)
	v_mul_f32_e32 v36, v29, v32
	s_add_i32 s5, s4, 0xfffff6fc
	v_fma_f32 v0, -v14, v49, v0
	v_fma_f32 v38, -v1, v38, v33
	ds_load_2addr_b32 v[32:33], v35 offset1:1
	v_fma_f32 v5, v5, s15, -v36
	v_fma_f32 v34, -v17, v53, v34
	v_fma_f32 v39, -v13, v52, v0
	v_dual_mul_f32 v0, v37, v38 :: v_dual_mov_b32 v43, s7
	s_waitcnt lgkmcnt(2)
	v_fma_f32 v5, -v22, v7, v5
	v_mov_b32_e32 v7, s5
	s_add_i32 s5, s4, 0xfffff748
	v_fma_f32 v52, -v16, v56, v34
	v_mov_b32_e32 v36, s5
	s_add_i32 s5, s4, 0xfffff784
	ds_load_2addr_b32 v[34:35], v7 offset1:1
	v_fma_f32 v7, -v21, v6, v5
	v_mov_b32_e32 v49, s5
	s_add_i32 s5, s4, 0xfffff6f4
	ds_load_2addr_b32 v[5:6], v36 offset1:1
	v_fma_f32 v51, -v12, v51, v39
	s_waitcnt lgkmcnt(3)
	v_fma_f32 v7, -v20, v31, v7
	v_mov_b32_e32 v31, s5
	s_add_i32 s5, s4, 0xfffff738
	s_add_i32 s7, s4, 0xfffff774
	v_mov_b32_e32 v44, s5
	v_fma_f32 v7, -v11, v30, v7
	ds_load_2addr_b32 v[38:39], v31 offset1:1
	v_mov_b32_e32 v36, s10
	s_add_i32 s10, s4, 0xfffff730
	ds_load_2addr_b32 v[30:31], v43 offset1:1
	v_mov_b32_e32 v45, s10
	s_add_i32 s10, s4, 0xfffff6e4
	ds_load_2addr_b32 v[36:37], v36 offset1:1
	ds_load_2addr_b32 v[43:44], v44 offset1:1
	;; [unrolled: 1-line block ×3, first 2 shown]
	s_waitcnt lgkmcnt(6)
	v_mul_f32_e32 v35, v29, v35
	s_add_i32 s5, s4, 0xfffff77c
	s_waitcnt lgkmcnt(5)
	v_fma_f32 v50, -v10, v6, v7
	ds_load_2addr_b32 v[6:7], v40 offset1:1
	v_fma_f32 v4, v4, s15, -v35
	v_mov_b32_e32 v40, s5
	s_add_i32 s5, s4, 0xfffff6dc
	v_fma_f32 v5, -v9, v5, v50
	v_mov_b32_e32 v50, s7
	v_fma_f32 v4, -v22, v34, v4
	v_mov_b32_e32 v34, s10
	s_add_i32 s7, s4, 0xfffff6d4
	s_add_i32 s10, s4, 0xfffff6cc
	s_waitcnt lgkmcnt(5)
	v_fma_f32 v53, -v21, v39, v4
	s_waitcnt lgkmcnt(3)
	v_fma_f32 v37, -v8, v37, v5
	ds_load_2addr_b32 v[4:5], v34 offset1:1
	ds_load_2addr_b32 v[34:35], v49 offset1:1
	;; [unrolled: 1-line block ×4, first 2 shown]
	v_fma_f32 v36, -v15, v36, v37
	v_fma_f32 v37, -v20, v38, v53
	v_mov_b32_e32 v38, s5
	s_waitcnt lgkmcnt(4)
	v_fma_f32 v7, -v19, v7, v51
	v_mov_b32_e32 v51, s10
	v_fma_f32 v44, -v14, v44, v36
	v_fma_f32 v31, -v11, v31, v37
	ds_load_2addr_b32 v[36:37], v38 offset1:1
	v_mov_b32_e32 v38, s7
	s_add_i32 s5, s4, 0xfffff728
	v_fma_f32 v54, -v13, v43, v44
	v_fma_f32 v53, -v10, v30, v31
	v_mov_b32_e32 v56, s5
	ds_load_2addr_b32 v[30:31], v38 offset1:1
	ds_load_2addr_b32 v[43:44], v51 offset1:1
	v_fma_f32 v7, -v18, v6, v7
	v_fma_f32 v46, -v12, v46, v54
	s_waitcnt lgkmcnt(6)
	v_fma_f32 v38, -v9, v5, v53
	ds_load_2addr_b32 v[5:6], v56 offset1:1
	s_add_i32 s5, s4, 0xfffff720
	v_fma_f32 v51, -v3, v55, v52
	s_waitcnt lgkmcnt(6)
	v_fma_f32 v7, -v17, v35, v7
	v_fma_f32 v4, -v8, v4, v38
	v_mov_b32_e32 v35, s5
	s_add_i32 s10, s4, 0xfffff6c4
	s_add_i32 s5, s4, 0xfffff718
	;; [unrolled: 1-line block ×3, first 2 shown]
	v_fma_f32 v53, -v19, v45, v46
	s_waitcnt lgkmcnt(3)
	v_fma_f32 v4, -v15, v37, v4
	v_mov_b32_e32 v37, s10
	v_mov_b32_e32 v45, s5
	v_fma_f32 v42, -v2, v42, v51
	v_mov_b32_e32 v51, s7
	v_fma_f32 v4, -v14, v36, v4
	ds_load_2addr_b32 v[35:36], v35 offset1:1
	ds_load_2addr_b32 v[37:38], v37 offset1:1
	;; [unrolled: 1-line block ×4, first 2 shown]
	s_add_i32 s5, s4, 0xfffff6bc
	v_fma_f32 v7, -v16, v34, v7
	s_waitcnt lgkmcnt(6)
	v_fma_f32 v4, -v13, v31, v4
	s_waitcnt lgkmcnt(4)
	v_fma_f32 v6, -v18, v6, v53
	v_fma_f32 v7, -v3, v40, v7
	s_delay_alu instid0(VALU_DEP_3) | instskip(SKIP_1) | instid1(VALU_DEP_4)
	v_fma_f32 v4, -v12, v30, v4
	v_mov_b32_e32 v30, s5
	v_fma_f32 v6, -v17, v5, v6
	s_add_i32 s5, s4, 0xfffff6b4
	s_addk_i32 s4, 0xf6ac
	v_fma_f32 v31, -v19, v44, v4
	ds_load_2addr_b32 v[4:5], v30 offset1:1
	v_mov_b32_e32 v30, s5
	v_mov_b32_e32 v34, s4
	v_fma_f32 v42, -v1, v41, v42
	v_fma_f32 v43, -v18, v43, v31
	s_waitcnt lgkmcnt(4)
	v_fma_f32 v6, -v16, v36, v6
	ds_load_2addr_b32 v[30:31], v30 offset1:1
	ds_load_2addr_b32 v[40:41], v34 offset1:1
	s_add_i32 s4, s3, 0xfffff704
	v_fma_f32 v7, -v2, v39, v7
	s_waitcnt lgkmcnt(5)
	v_fma_f32 v34, -v17, v38, v43
	v_fma_f32 v6, -v3, v35, v6
	v_mov_b32_e32 v35, s4
	s_addk_i32 s3, 0xf6a0
	v_fma_f32 v38, -v1, v50, v7
	v_fma_f32 v36, -v16, v37, v34
	;; [unrolled: 1-line block ×3, first 2 shown]
	s_waitcnt lgkmcnt(4)
	v_fma_f32 v6, -v2, v46, v6
	ds_load_2addr_b32 v[34:35], v35 offset1:1
	s_waitcnt lgkmcnt(3)
	v_fma_f32 v5, -v3, v5, v36
	v_mul_f32_e32 v7, v47, v37
	v_fma_f32 v36, -v0, v49, v38
	v_fma_f32 v6, -v1, v45, v6
	s_delay_alu instid0(VALU_DEP_4) | instskip(SKIP_1) | instid1(VALU_DEP_4)
	v_fma_f32 v4, -v2, v4, v5
	v_mov_b32_e32 v5, s3
	v_fma_f32 v33, -v7, v33, v36
	s_delay_alu instid0(VALU_DEP_4)
	v_fma_f32 v38, -v0, v52, v6
	s_ashr_i32 s3, s2, 31
	s_waitcnt lgkmcnt(2)
	v_fma_f32 v4, -v1, v31, v4
	ds_load_2addr_b32 v[36:37], v5 offset1:1
	v_mul_f32_e32 v6, v32, v33
	v_fma_f32 v5, -v7, v51, v38
	s_lshl_b64 s[4:5], s[2:3], 2
	v_fma_f32 v4, -v0, v30, v4
	v_add_co_u32 v30, vcc_lo, v23, s4
	s_waitcnt lgkmcnt(1)
	v_fma_f32 v5, -v6, v35, v5
	v_add_co_ci_u32_e32 v31, vcc_lo, s5, v24, vcc_lo
	v_fma_f32 v4, -v7, v41, v4
	s_sub_i32 s4, s2, 25
	s_delay_alu instid0(VALU_DEP_3)
	v_mul_f32_e32 v5, v34, v5
	s_clause 0x4
	global_store_b32 v[27:28], v29, off
	global_store_b96 v[30:31], v[20:22], off offset:-16
	global_store_b128 v[30:31], v[8:11], off offset:-32
	global_store_b128 v[30:31], v[12:15], off offset:-48
	;; [unrolled: 1-line block ×3, first 2 shown]
	v_fma_f32 v4, -v6, v40, v4
	s_waitcnt lgkmcnt(0)
	s_delay_alu instid0(VALU_DEP_1) | instskip(NEXT) | instid1(VALU_DEP_1)
	v_fma_f32 v4, -v5, v37, v4
	v_mul_f32_e32 v4, v36, v4
	s_clause 0x1
	global_store_b128 v[30:31], v[0:3], off offset:-80
	global_store_b128 v[30:31], v[4:7], off offset:-96
.LBB29_14:
	s_cmp_gt_i32 s4, -1
	s_cbranch_scc0 .LBB29_33
; %bb.15:
	s_cmp_lt_u32 s4, 19
	s_cbranch_scc1 .LBB29_20
; %bb.16:
	s_mov_b32 s5, 0
	s_delay_alu instid0(SALU_CYCLE_1)
	s_lshl_b64 s[10:11], s[4:5], 2
	s_cmp_le_i32 s12, s4
	v_add_co_u32 v11, vcc_lo, v23, s10
	v_add_co_ci_u32_e32 v12, vcc_lo, s11, v24, vcc_lo
	s_clause 0x4
	global_load_b128 v[0:3], v[11:12], off offset:-12
	global_load_b128 v[4:7], v[11:12], off offset:-28
	;; [unrolled: 1-line block ×5, first 2 shown]
	s_waitcnt vmcnt(4)
	v_dual_mul_f32 v16, s15, v3 :: v_dual_mul_f32 v27, s15, v2
	v_dual_mul_f32 v10, s15, v1 :: v_dual_mul_f32 v9, s15, v0
	s_waitcnt vmcnt(3)
	v_dual_mul_f32 v8, s15, v7 :: v_dual_mul_f32 v3, s15, v6
	s_waitcnt vmcnt(2)
	v_dual_mul_f32 v2, s15, v5 :: v_dual_mul_f32 v21, s15, v20
	v_dual_mul_f32 v22, s15, v4 :: v_dual_mul_f32 v7, s15, v18
	s_waitcnt vmcnt(1)
	v_dual_mul_f32 v20, s15, v19 :: v_dual_mul_f32 v19, s15, v30
	;; [unrolled: 3-line block ×3, first 2 shown]
	v_dual_mul_f32 v18, s15, v28 :: v_dual_mul_f32 v15, s15, v34
	v_dual_mul_f32 v14, s15, v33 :: v_dual_mul_f32 v13, s15, v32
	s_cbranch_scc1 .LBB29_19
; %bb.17:
	s_mul_i32 s3, s4, 0x60
	s_lshl_b32 s5, s2, 2
	s_ashr_i32 s13, s12, 31
	s_add_i32 s3, s3, s5
	s_lshl_b64 s[10:11], s[12:13], 2
	s_addk_i32 s3, 0xf8dc
	s_add_u32 s5, s8, s10
	s_addc_u32 s7, s9, s11
	s_add_u32 s5, s5, s0
	s_addc_u32 s7, s7, s1
	v_add_co_u32 v0, vcc_lo, s5, v25
	v_add_co_ci_u32_e32 v1, vcc_lo, s7, v26, vcc_lo
	s_mov_b32 s5, s12
.LBB29_18:                              ; =>This Inner Loop Header: Depth=1
	global_load_b32 v48, v[0:1], off
	v_add_nc_u32_e64 v34, 0x400, s3
	v_mov_b32_e32 v46, s3
	v_add_nc_u32_e64 v36, 0x200, s3
	v_add_co_u32 v0, vcc_lo, v0, -4
	ds_load_2addr_b32 v[28:29], v34 offset0:176 offset1:200
	ds_load_2addr_b32 v[30:31], v34 offset0:128 offset1:152
	;; [unrolled: 1-line block ×9, first 2 shown]
	ds_load_2addr_b32 v[46:47], v46 offset1:24
	v_add_co_ci_u32_e32 v1, vcc_lo, -1, v1, vcc_lo
	s_add_i32 s5, s5, -1
	s_add_i32 s3, s3, -4
	s_cmp_gt_i32 s5, s4
	s_waitcnt vmcnt(0) lgkmcnt(9)
	v_fma_f32 v16, -v48, v29, v16
	v_fma_f32 v27, -v48, v28, v27
	s_waitcnt lgkmcnt(8)
	v_fma_f32 v10, -v48, v31, v10
	v_fma_f32 v9, -v48, v30, v9
	s_waitcnt lgkmcnt(7)
	;; [unrolled: 3-line block ×9, first 2 shown]
	v_fma_f32 v14, -v48, v47, v14
	v_fma_f32 v13, -v48, v46, v13
	s_cbranch_scc1 .LBB29_18
.LBB29_19:
	s_mul_i32 s3, s4, 0x64
	s_delay_alu instid0(SALU_CYCLE_1) | instskip(NEXT) | instid1(SALU_CYCLE_1)
	s_add_i32 s5, s3, 0xffffff9c
	v_dual_mov_b32 v0, s3 :: v_dual_mov_b32 v1, s5
	s_add_i32 s7, s3, 0xffffff40
	s_add_i32 s5, s3, 0xfffffedc
	s_delay_alu instid0(SALU_CYCLE_1)
	v_dual_mov_b32 v28, s7 :: v_dual_mov_b32 v29, s5
	ds_load_b32 v32, v0
	s_add_i32 s10, s3, 0xffffff38
	s_add_i32 s13, s3, 0xfffffe80
	ds_load_b32 v40, v28
	ds_load_2addr_b32 v[0:1], v1 offset1:1
	v_dual_mov_b32 v30, s10 :: v_dual_mov_b32 v33, s13
	ds_load_2addr_b32 v[28:29], v29 offset1:1
	ds_load_2addr_b32 v[30:31], v30 offset1:1
	s_add_i32 s11, s3, 0xfffffed4
	s_add_i32 s7, s3, 0xfffffe78
	;; [unrolled: 1-line block ×4, first 2 shown]
	v_dual_mov_b32 v34, s11 :: v_dual_mov_b32 v35, s7
	ds_load_b32 v41, v33
	v_mov_b32_e32 v38, s5
	s_add_i32 s5, s3, 0xfffffe14
	s_add_i32 s10, s3, 0xfffffdc0
	s_waitcnt lgkmcnt(5)
	v_mul_f32_e32 v16, v32, v16
	v_mov_b32_e32 v36, s14
	s_add_i32 s7, s3, 0xfffffe0c
	s_add_i32 s11, s3, 0xfffff95c
	s_waitcnt lgkmcnt(3)
	v_fma_f32 v1, -v16, v1, v27
	v_fma_f32 v27, -v16, v40, v10
	s_waitcnt lgkmcnt(2)
	v_fma_f32 v9, -v16, v29, v9
	s_delay_alu instid0(VALU_DEP_3)
	v_dual_mov_b32 v29, s10 :: v_dual_mul_f32 v10, v0, v1
	v_mov_b32_e32 v0, s5
	s_add_i32 s5, s3, 0xfffffdbc
	s_add_i32 s10, s3, 0xfffffd58
	v_mov_b32_e32 v40, s7
	s_waitcnt lgkmcnt(1)
	v_fma_f32 v27, -v10, v31, v27
	v_mov_b32_e32 v31, s5
	ds_load_2addr_b32 v[32:33], v34 offset1:1
	ds_load_2addr_b32 v[34:35], v35 offset1:1
	ds_load_2addr_b32 v[36:37], v36 offset1:1
	ds_load_2addr_b32 v[38:39], v38 offset1:1
	ds_load_2addr_b32 v[0:1], v0 offset1:1
	ds_load_b32 v29, v29
	s_waitcnt lgkmcnt(6)
	v_fma_f32 v8, -v16, v41, v8
	v_fma_f32 v41, -v10, v28, v9
	v_mul_f32_e32 v9, v30, v27
	s_add_i32 s5, s3, 0xfffffd60
	ds_load_b32 v31, v31
	s_add_i32 s7, s3, 0xfffffdac
	s_waitcnt lgkmcnt(6)
	v_fma_f32 v30, -v9, v33, v41
	s_waitcnt lgkmcnt(5)
	v_fma_f32 v8, -v10, v35, v8
	;; [unrolled: 2-line block ×4, first 2 shown]
	v_fma_f32 v33, -v9, v34, v8
	v_mul_f32_e32 v8, v32, v30
	v_fma_f32 v3, -v10, v38, v3
	v_mov_b32_e32 v34, s5
	s_add_i32 s5, s3, 0xfffffdb4
	v_mov_b32_e32 v30, s7
	s_add_i32 s7, s3, 0xfffffd50
	v_fma_f32 v1, -v9, v1, v3
	v_fma_f32 v3, -v8, v37, v33
	v_mov_b32_e32 v33, s10
	ds_load_2addr_b32 v[27:28], v40 offset1:1
	ds_load_b32 v32, v34
	v_fma_f32 v0, -v8, v0, v1
	v_mul_f32_e32 v3, v36, v3
	v_mov_b32_e32 v1, s5
	s_add_i32 s5, s3, 0xfffffd00
	s_add_i32 s10, s3, 0xfffffcfc
	s_waitcnt lgkmcnt(1)
	v_fma_f32 v34, -v3, v28, v0
	ds_load_2addr_b32 v[0:1], v1 offset1:1
	ds_load_2addr_b32 v[28:29], v30 offset1:1
	v_fma_f32 v35, -v10, v31, v2
	ds_load_2addr_b32 v[30:31], v33 offset1:1
	v_dual_mul_f32 v2, v27, v34 :: v_dual_mov_b32 v27, s5
	v_mov_b32_e32 v33, s7
	s_waitcnt lgkmcnt(3)
	v_fma_f32 v22, -v16, v32, v22
	v_mov_b32_e32 v32, s10
	s_add_i32 s5, s3, 0xfffffda8
	ds_load_b32 v27, v27
	s_add_i32 s10, s3, 0xfffffd48
	v_mov_b32_e32 v39, s5
	s_add_i32 s5, s3, 0xfffffcec
	s_add_i32 s7, s3, 0xfffffcf4
	ds_load_b32 v38, v32
	v_mov_b32_e32 v36, s7
	ds_load_2addr_b32 v[32:33], v33 offset1:1
	s_add_i32 s7, s3, 0xfffffc80
	s_waitcnt lgkmcnt(5)
	v_fma_f32 v1, -v9, v1, v35
	s_waitcnt lgkmcnt(3)
	v_fma_f32 v22, -v10, v31, v22
	v_mov_b32_e32 v31, s5
	s_delay_alu instid0(VALU_DEP_3) | instskip(SKIP_1) | instid1(VALU_DEP_1)
	v_fma_f32 v0, -v8, v0, v1
	s_add_i32 s5, s3, 0xfffffce4
	v_fma_f32 v0, -v3, v29, v0
	s_waitcnt lgkmcnt(2)
	v_fma_f32 v27, -v16, v27, v21
	s_delay_alu instid0(VALU_DEP_2)
	v_fma_f32 v0, -v2, v28, v0
	v_mov_b32_e32 v34, s10
	ds_load_2addr_b32 v[34:35], v34 offset1:1
	ds_load_2addr_b32 v[36:37], v36 offset1:1
	ds_load_b32 v1, v39
	v_fma_f32 v39, -v9, v30, v22
	ds_load_2addr_b32 v[21:22], v31 offset1:1
	v_mov_b32_e32 v30, s5
	s_waitcnt lgkmcnt(5)
	v_fma_f32 v27, -v10, v38, v27
	s_add_i32 s5, s3, 0xfffffd44
	s_waitcnt lgkmcnt(4)
	v_fma_f32 v33, -v8, v33, v39
	s_add_i32 s10, s3, 0xfffffbdc
	ds_load_2addr_b32 v[29:30], v30 offset1:1
	v_mov_b32_e32 v31, s5
	s_add_i32 s5, s3, 0xfffffca0
	v_fma_f32 v28, -v3, v32, v33
	v_mov_b32_e32 v38, s5
	s_add_i32 s5, s3, 0xfffffc98
	ds_load_b32 v31, v31
	s_waitcnt lgkmcnt(4)
	v_fma_f32 v27, -v9, v37, v27
	s_waitcnt lgkmcnt(3)
	v_mul_f32_e32 v1, v1, v0
	v_fma_f32 v0, -v2, v35, v28
	v_mov_b32_e32 v37, s10
	s_add_i32 s10, s3, 0xfffffbbc
	v_fma_f32 v27, -v8, v36, v27
	s_delay_alu instid0(VALU_DEP_3) | instskip(SKIP_1) | instid1(VALU_DEP_2)
	v_fma_f32 v0, -v1, v34, v0
	s_waitcnt lgkmcnt(2)
	v_fma_f32 v22, -v3, v22, v27
	v_mov_b32_e32 v27, s5
	s_add_i32 s5, s3, 0xfffffce0
	s_delay_alu instid0(VALU_DEP_2)
	v_fma_f32 v28, -v2, v21, v22
	ds_load_2addr_b32 v[21:22], v27 offset1:1
	s_waitcnt lgkmcnt(1)
	v_mul_f32_e32 v0, v31, v0
	v_fma_f32 v36, -v1, v30, v28
	v_mov_b32_e32 v30, s5
	s_add_i32 s5, s3, 0xfffffc90
	s_delay_alu instid0(SALU_CYCLE_1)
	v_mov_b32_e32 v27, s5
	s_add_i32 s5, s3, 0xfffffc88
	ds_load_b32 v42, v30
	v_mov_b32_e32 v31, s5
	ds_load_b32 v32, v38
	ds_load_2addr_b32 v[27:28], v27 offset1:1
	s_add_i32 s5, s3, 0xfffffc40
	s_delay_alu instid0(SALU_CYCLE_1)
	v_mov_b32_e32 v34, s5
	s_add_i32 s5, s3, 0xfffffc3c
	s_waitcnt lgkmcnt(1)
	v_fma_f32 v20, -v16, v32, v20
	v_mov_b32_e32 v32, s7
	s_add_i32 s7, s3, 0xfffffc18
	ds_load_2addr_b32 v[30:31], v31 offset1:1
	ds_load_2addr_b32 v[32:33], v32 offset1:1
	v_fma_f32 v20, -v10, v22, v20
	ds_load_b32 v22, v34
	v_mov_b32_e32 v35, s7
	v_fma_f32 v29, -v0, v29, v36
	v_mov_b32_e32 v34, s5
	v_fma_f32 v38, -v9, v21, v20
	ds_load_b32 v40, v34
	ds_load_b32 v43, v35
	ds_load_2addr_b32 v[20:21], v37 offset1:1
	s_waitcnt lgkmcnt(6)
	v_fma_f32 v28, -v8, v28, v38
	s_add_i32 s5, s3, 0xfffffc34
	s_add_i32 s7, s3, 0xfffffbc4
	v_mov_b32_e32 v39, s5
	s_add_i32 s5, s3, 0xfffffbd4
	v_fma_f32 v37, -v3, v27, v28
	v_mov_b32_e32 v36, s5
	s_add_i32 s5, s3, 0xfffffc2c
	ds_load_2addr_b32 v[34:35], v39 offset1:1
	v_mov_b32_e32 v38, s5
	s_waitcnt lgkmcnt(6)
	v_fma_f32 v31, -v2, v31, v37
	s_add_i32 s5, s3, 0xfffffc24
	s_waitcnt lgkmcnt(4)
	v_fma_f32 v7, -v16, v22, v7
	v_mov_b32_e32 v39, s5
	s_add_i32 s5, s3, 0xfffffbcc
	s_delay_alu instid0(SALU_CYCLE_1)
	v_mov_b32_e32 v22, s5
	s_add_i32 s5, s3, 0xfffffc7c
	s_waitcnt lgkmcnt(3)
	v_fma_f32 v44, -v10, v40, v7
	s_waitcnt lgkmcnt(1)
	v_fma_f32 v6, -v16, v21, v6
	v_fma_f32 v21, -v1, v30, v31
	v_mul_f32_e32 v7, v42, v29
	s_delay_alu instid0(VALU_DEP_3) | instskip(NEXT) | instid1(VALU_DEP_3)
	v_fma_f32 v6, -v10, v20, v6
	v_fma_f32 v42, -v0, v33, v21
	v_mov_b32_e32 v33, s5
	ds_load_2addr_b32 v[27:28], v36 offset1:1
	ds_load_2addr_b32 v[36:37], v38 offset1:1
	;; [unrolled: 1-line block ×4, first 2 shown]
	s_waitcnt lgkmcnt(4)
	v_fma_f32 v22, -v9, v35, v44
	s_add_i32 s5, s3, 0xfffffc1c
	v_fma_f32 v32, -v7, v32, v42
	v_mov_b32_e32 v35, s5
	s_add_i32 s5, s3, 0xfffffb70
	v_fma_f32 v22, -v8, v34, v22
	s_waitcnt lgkmcnt(2)
	s_delay_alu instid0(VALU_DEP_1)
	v_fma_f32 v22, -v3, v37, v22
	v_mov_b32_e32 v37, s5
	s_add_i32 s5, s3, 0xfffffb68
	v_mov_b32_e32 v20, s7
	s_add_i32 s7, s3, 0xfffffbb4
	v_fma_f32 v6, -v9, v28, v6
	v_mov_b32_e32 v28, s10
	s_add_i32 s10, s3, 0xfffffb80
	v_mov_b32_e32 v30, s7
	v_mov_b32_e32 v34, s10
	s_add_i32 s7, s3, 0xfffffb78
	ds_load_2addr_b32 v[20:21], v20 offset1:1
	ds_load_2addr_b32 v[28:29], v28 offset1:1
	;; [unrolled: 1-line block ×3, first 2 shown]
	ds_load_b32 v44, v34
	v_mov_b32_e32 v34, s7
	v_fma_f32 v6, -v8, v27, v6
	ds_load_b32 v27, v33
	ds_load_2addr_b32 v[33:34], v34 offset1:1
	v_fma_f32 v22, -v2, v36, v22
	s_waitcnt lgkmcnt(6)
	v_fma_f32 v6, -v3, v41, v6
	ds_load_2addr_b32 v[35:36], v35 offset1:1
	s_add_i32 s7, s3, 0xfffffb60
	s_add_i32 s10, s3, 0xfffff974
	v_fma_f32 v22, -v1, v39, v22
	v_fma_f32 v6, -v2, v40, v6
	ds_load_2addr_b32 v[39:40], v37 offset1:1
	v_mov_b32_e32 v37, s5
	s_add_i32 s5, s3, 0xfffffb1c
	v_mov_b32_e32 v41, s7
	v_fma_f32 v42, -v0, v38, v22
	s_add_i32 s7, s3, 0xfffffb50
	v_mov_b32_e32 v51, s10
	s_waitcnt lgkmcnt(4)
	v_fma_f32 v5, -v16, v44, v5
	v_fma_f32 v44, -v1, v21, v6
	ds_load_2addr_b32 v[21:22], v37 offset1:1
	ds_load_2addr_b32 v[37:38], v41 offset1:1
	s_waitcnt lgkmcnt(5)
	v_mul_f32_e32 v6, v27, v32
	s_waitcnt lgkmcnt(4)
	v_fma_f32 v5, -v10, v34, v5
	v_mov_b32_e32 v34, s5
	v_fma_f32 v20, -v0, v20, v44
	s_add_i32 s5, s3, 0xfffffb58
	s_waitcnt lgkmcnt(3)
	v_fma_f32 v27, -v7, v36, v42
	v_fma_f32 v5, -v9, v33, v5
	ds_load_2addr_b32 v[32:33], v34 offset1:1
	v_fma_f32 v20, -v7, v29, v20
	v_dual_mov_b32 v29, s5 :: v_dual_mov_b32 v36, s7
	s_waitcnt lgkmcnt(3)
	v_fma_f32 v5, -v8, v40, v5
	s_add_i32 s7, s3, 0xfffffac0
	v_fma_f32 v27, -v6, v35, v27
	s_add_i32 s5, s3, 0xfffffb14
	s_delay_alu instid0(VALU_DEP_2) | instskip(SKIP_4) | instid1(SALU_CYCLE_1)
	v_fma_f32 v41, -v3, v39, v5
	ds_load_2addr_b32 v[34:35], v29 offset1:1
	ds_load_2addr_b32 v[39:40], v36 offset1:1
	v_mov_b32_e32 v36, s7
	s_add_i32 s7, s3, 0xfffffaf4
	v_dual_mul_f32 v5, v43, v27 :: v_dual_mov_b32 v46, s7
	s_add_i32 s7, s3, 0xfffffaa0
	v_mov_b32_e32 v42, s5
	v_fma_f32 v29, -v6, v28, v20
	s_add_i32 s5, s3, 0xfffffb0c
	s_waitcnt lgkmcnt(4)
	v_fma_f32 v22, -v2, v22, v41
	v_mov_b32_e32 v20, s5
	ds_load_2addr_b32 v[27:28], v42 offset1:1
	s_add_i32 s5, s3, 0xfffffaec
	s_waitcnt lgkmcnt(3)
	v_fma_f32 v19, -v16, v33, v19
	v_mov_b32_e32 v33, s5
	s_add_i32 s5, s3, 0xfffffab8
	v_fma_f32 v31, -v5, v31, v29
	v_mov_b32_e32 v41, s5
	v_fma_f32 v43, -v10, v32, v19
	ds_load_2addr_b32 v[32:33], v33 offset1:1
	ds_load_b32 v36, v36
	ds_load_2addr_b32 v[19:20], v20 offset1:1
	s_add_i32 s5, s3, 0xfffffb04
	v_fma_f32 v44, -v1, v21, v22
	ds_load_2addr_b32 v[41:42], v41 offset1:1
	v_mov_b32_e32 v29, s5
	s_add_i32 s5, s3, 0xfffffab0
	v_fma_f32 v38, -v0, v38, v44
	ds_load_2addr_b32 v[21:22], v29 offset1:1
	s_waitcnt lgkmcnt(5)
	v_fma_f32 v43, -v9, v28, v43
	v_mov_b32_e32 v28, s5
	s_add_i32 s5, s3, 0xfffffafc
	s_delay_alu instid0(SALU_CYCLE_1) | instskip(NEXT) | instid1(VALU_DEP_3)
	v_mov_b32_e32 v45, s5
	v_fma_f32 v27, -v8, v27, v43
	ds_load_2addr_b32 v[28:29], v28 offset1:1
	s_waitcnt lgkmcnt(4)
	v_fma_f32 v4, -v16, v36, v4
	s_add_i32 s5, s3, 0xfffffaa8
	ds_load_2addr_b32 v[43:44], v45 offset1:1
	ds_load_2addr_b32 v[45:46], v46 offset1:1
	s_waitcnt lgkmcnt(5)
	v_fma_f32 v20, -v3, v20, v27
	v_fma_f32 v27, -v7, v37, v38
	s_waitcnt lgkmcnt(4)
	v_fma_f32 v37, -v10, v42, v4
	v_mov_b32_e32 v36, s5
	s_add_i32 s5, s3, 0xfffffa5c
	v_mul_f32_e32 v4, v30, v31
	v_fma_f32 v31, -v6, v35, v27
	v_fma_f32 v27, -v9, v41, v37
	v_mov_b32_e32 v30, s5
	v_fma_f32 v38, -v2, v19, v20
	ds_load_2addr_b32 v[19:20], v36 offset1:1
	v_mov_b32_e32 v35, s7
	s_add_i32 s5, s3, 0xfffffa98
	s_add_i32 s7, s3, 0xfffffa90
	v_mov_b32_e32 v37, s5
	s_add_i32 s5, s3, 0xfffffa54
	s_waitcnt lgkmcnt(3)
	v_fma_f32 v27, -v8, v29, v27
	ds_load_2addr_b32 v[29:30], v30 offset1:1
	ds_load_2addr_b32 v[35:36], v35 offset1:1
	v_fma_f32 v22, -v1, v22, v38
	v_mov_b32_e32 v42, s5
	v_mov_b32_e32 v38, s7
	v_fma_f32 v41, -v3, v28, v27
	s_add_i32 s5, s3, 0xfffffa4c
	v_fma_f32 v47, -v0, v21, v22
	ds_load_2addr_b32 v[21:22], v37 offset1:1
	ds_load_2addr_b32 v[27:28], v38 offset1:1
	;; [unrolled: 1-line block ×3, first 2 shown]
	s_add_i32 s7, s3, 0xfffffa88
	v_fma_f32 v34, -v5, v34, v31
	v_mov_b32_e32 v31, s7
	s_waitcnt lgkmcnt(5)
	v_fma_f32 v20, -v2, v20, v41
	v_mov_b32_e32 v41, s5
	s_add_i32 s5, s3, 0xfffffa24
	s_add_i32 s7, s3, 0xfffffa00
	v_fma_f32 v44, -v7, v44, v47
	v_fma_f32 v19, -v1, v19, v20
	ds_load_2addr_b32 v[41:42], v41 offset1:1
	s_waitcnt lgkmcnt(5)
	v_fma_f32 v18, -v16, v30, v18
	ds_load_2addr_b32 v[30:31], v31 offset1:1
	v_fma_f32 v20, -v4, v40, v34
	s_waitcnt lgkmcnt(5)
	v_fma_f32 v19, -v0, v36, v19
	v_mov_b32_e32 v36, s7
	v_fma_f32 v18, -v10, v29, v18
	v_mov_b32_e32 v29, s5
	s_add_i32 s5, s3, 0xfffff9f8
	v_fma_f32 v34, -v6, v43, v44
	ds_load_2addr_b32 v[43:44], v29 offset1:1
	ds_load_b32 v29, v36
	s_waitcnt lgkmcnt(4)
	v_fma_f32 v18, -v9, v38, v18
	v_mov_b32_e32 v38, s5
	s_add_i32 s5, s3, 0xfffffa44
	v_fma_f32 v34, -v5, v46, v34
	v_fma_f32 v35, -v7, v35, v19
	;; [unrolled: 1-line block ×3, first 2 shown]
	ds_load_2addr_b32 v[18:19], v38 offset1:1
	v_dual_mov_b32 v37, s5 :: v_dual_mul_f32 v20, v39, v20
	v_fma_f32 v38, -v4, v45, v34
	v_fma_f32 v22, -v6, v22, v35
	s_add_i32 s5, s3, 0xfffff9f0
	ds_load_2addr_b32 v[34:35], v37 offset1:1
	s_waitcnt lgkmcnt(5)
	v_fma_f32 v36, -v3, v42, v36
	v_fma_f32 v42, -v20, v33, v38
	v_mov_b32_e32 v33, s5
	s_add_i32 s5, s3, 0xfffffa3c
	v_fma_f32 v45, -v5, v21, v22
	v_fma_f32 v46, -v2, v41, v36
	v_mov_b32_e32 v36, s5
	ds_load_2addr_b32 v[21:22], v33 offset1:1
	s_waitcnt lgkmcnt(3)
	v_fma_f32 v17, -v16, v29, v17
	s_add_i32 s5, s3, 0xfffffa34
	s_add_i32 s7, s3, 0xfffffa2c
	ds_load_2addr_b32 v[36:37], v36 offset1:1
	v_mov_b32_e32 v29, s5
	s_add_i32 s5, s3, 0xfffff9e8
	s_waitcnt lgkmcnt(3)
	v_fma_f32 v17, -v10, v19, v17
	v_mov_b32_e32 v19, s5
	v_mov_b32_e32 v33, s7
	ds_load_2addr_b32 v[38:39], v29 offset1:1
	ds_load_2addr_b32 v[40:41], v33 offset1:1
	s_waitcnt lgkmcnt(4)
	v_fma_f32 v33, -v1, v35, v46
	v_fma_f32 v35, -v4, v28, v45
	ds_load_2addr_b32 v[28:29], v19 offset1:1
	s_add_i32 s5, s3, 0xfffff9e0
	v_fma_f32 v17, -v9, v18, v17
	v_mov_b32_e32 v18, s5
	s_add_i32 s5, s3, 0xfffff99c
	s_add_i32 s7, s3, 0xfffff9c0
	s_waitcnt lgkmcnt(4)
	v_fma_f32 v22, -v8, v22, v17
	ds_load_2addr_b32 v[17:18], v18 offset1:1
	v_fma_f32 v19, -v0, v34, v33
	v_mov_b32_e32 v33, s5
	s_add_i32 s5, s3, 0xfffff9d8
	s_delay_alu instid0(SALU_CYCLE_1)
	v_mov_b32_e32 v45, s5
	s_waitcnt lgkmcnt(4)
	v_fma_f32 v37, -v7, v37, v19
	v_fma_f32 v19, -v3, v21, v22
	ds_load_2addr_b32 v[33:34], v33 offset1:1
	s_add_i32 s5, s3, 0xfffff9d0
	s_delay_alu instid0(SALU_CYCLE_1)
	v_mov_b32_e32 v46, s5
	s_add_i32 s5, s3, 0xfffff994
	s_waitcnt lgkmcnt(2)
	v_fma_f32 v29, -v2, v29, v19
	v_mov_b32_e32 v47, s5
	s_add_i32 s5, s3, 0xfffff9c8
	v_mul_f32_e32 v19, v32, v42
	v_fma_f32 v32, -v20, v27, v35
	v_fma_f32 v27, -v6, v36, v37
	v_mov_b32_e32 v37, s7
	ds_load_2addr_b32 v[21:22], v45 offset1:1
	ds_load_2addr_b32 v[45:46], v46 offset1:1
	v_fma_f32 v28, -v1, v28, v29
	v_mov_b32_e32 v29, s5
	ds_load_2addr_b32 v[35:36], v47 offset1:1
	v_fma_f32 v39, -v5, v39, v27
	s_add_i32 s5, s3, 0xfffff98c
	s_waitcnt lgkmcnt(4)
	v_fma_f32 v18, -v0, v18, v28
	ds_load_2addr_b32 v[27:28], v29 offset1:1
	ds_load_2addr_b32 v[47:48], v37 offset1:1
	v_fma_f32 v29, -v19, v31, v32
	s_waitcnt lgkmcnt(5)
	v_fma_f32 v15, -v16, v34, v15
	v_fma_f32 v31, -v4, v38, v39
	;; [unrolled: 1-line block ×3, first 2 shown]
	s_add_i32 s7, s3, 0xfffff96c
	v_dual_mul_f32 v18, v30, v29 :: v_dual_mov_b32 v29, s5
	v_fma_f32 v15, -v10, v33, v15
	s_add_i32 s5, s3, 0xfffff984
	v_fma_f32 v61, -v20, v41, v31
	v_mov_b32_e32 v31, s7
	ds_load_2addr_b32 v[29:30], v29 offset1:1
	s_waitcnt lgkmcnt(5)
	v_fma_f32 v17, -v6, v22, v17
	v_mov_b32_e32 v22, s5
	s_add_i32 s7, s3, 0xfffff964
	s_waitcnt lgkmcnt(3)
	v_fma_f32 v15, -v9, v36, v15
	v_dual_mov_b32 v33, s7 :: v_dual_mov_b32 v36, s11
	s_add_i32 s7, s3, 0xfffff940
	s_add_i32 s11, s3, 0xfffff938
	s_delay_alu instid0(SALU_CYCLE_1)
	v_dual_mov_b32 v38, s7 :: v_dual_mov_b32 v39, s11
	ds_load_2addr_b32 v[31:32], v31 offset1:1
	ds_load_2addr_b32 v[33:34], v33 offset1:1
	;; [unrolled: 1-line block ×3, first 2 shown]
	ds_load_b32 v55, v38
	s_add_i32 s5, s3, 0xfffff97c
	v_fma_f32 v15, -v8, v35, v15
	v_mov_b32_e32 v49, s5
	ds_load_2addr_b32 v[38:39], v39 offset1:1
	ds_load_2addr_b32 v[41:42], v22 offset1:1
	;; [unrolled: 1-line block ×4, first 2 shown]
	s_add_i32 s5, s3, 0xfffff930
	s_add_i32 s7, s3, 0xfffff920
	s_waitcnt lgkmcnt(8)
	v_fma_f32 v22, -v3, v30, v15
	v_mov_b32_e32 v15, s5
	s_add_i32 s5, s3, 0xfffff928
	s_delay_alu instid0(SALU_CYCLE_1)
	v_dual_mov_b32 v35, s7 :: v_dual_mov_b32 v30, s5
	s_add_i32 s5, s3, 0xfffff8f8
	ds_load_2addr_b32 v[53:54], v15 offset1:1
	s_add_i32 s7, s3, 0xfffff8dc
	v_mov_b32_e32 v57, s5
	v_mov_b32_e32 v59, s7
	s_add_i32 s5, s3, 0xfffff8d4
	s_waitcnt lgkmcnt(5)
	v_fma_f32 v62, -v16, v55, v14
	ds_load_2addr_b32 v[14:15], v30 offset1:1
	ds_load_2addr_b32 v[55:56], v35 offset1:1
	;; [unrolled: 1-line block ×4, first 2 shown]
	v_fma_f32 v22, -v2, v29, v22
	v_fma_f32 v17, -v5, v21, v17
	v_mov_b32_e32 v21, s5
	s_waitcnt lgkmcnt(8)
	v_fma_f32 v30, -v10, v39, v62
	s_add_i32 s5, s3, 0xfffff8cc
	s_waitcnt lgkmcnt(7)
	v_fma_f32 v35, -v1, v42, v22
	v_fma_f32 v17, -v4, v46, v17
	ds_load_2addr_b32 v[21:22], v21 offset1:1
	v_fma_f32 v29, -v9, v38, v30
	v_fma_f32 v30, -v19, v40, v61
	v_mov_b32_e32 v38, s5
	v_fma_f32 v35, -v0, v41, v35
	v_fma_f32 v17, -v20, v45, v17
	s_waitcnt lgkmcnt(5)
	v_fma_f32 v29, -v8, v54, v29
	v_fma_f32 v42, -v18, v44, v30
	s_add_i32 s5, s3, 0xfffff8c4
	v_fma_f32 v35, -v7, v50, v35
	v_fma_f32 v46, -v19, v28, v17
	;; [unrolled: 1-line block ×3, first 2 shown]
	ds_load_2addr_b32 v[29:30], v38 offset1:1
	s_waitcnt lgkmcnt(2)
	v_fma_f32 v13, -v16, v60, v13
	v_mov_b32_e32 v28, s5
	v_fma_f32 v17, -v6, v49, v35
	v_fma_f32 v15, -v2, v15, v39
	s_add_i32 s5, s3, 0xfffff918
	v_fma_f32 v13, -v10, v59, v13
	v_fma_f32 v27, -v18, v27, v46
	;; [unrolled: 1-line block ×4, first 2 shown]
	v_mul_f32_e32 v17, v43, v42
	s_waitcnt lgkmcnt(1)
	v_fma_f32 v22, -v9, v22, v13
	ds_load_2addr_b32 v[13:14], v28 offset1:1
	v_mov_b32_e32 v28, s5
	s_add_i32 s5, s3, 0xfffff8bc
	s_add_i32 s7, s3, 0xfffff910
	v_fma_f32 v40, -v8, v21, v22
	v_mov_b32_e32 v41, s5
	v_fma_f32 v27, -v17, v48, v27
	v_mov_b32_e32 v35, s7
	ds_load_2addr_b32 v[21:22], v28 offset1:1
	ds_load_2addr_b32 v[38:39], v35 offset1:1
	s_waitcnt lgkmcnt(3)
	v_fma_f32 v28, -v3, v30, v40
	ds_load_2addr_b32 v[40:41], v41 offset1:1
	s_add_i32 s5, s3, 0xfffff8b4
	s_add_i32 s7, s3, 0xfffff8ac
	v_mov_b32_e32 v30, s5
	v_fma_f32 v49, -v2, v29, v28
	v_mov_b32_e32 v35, s7
	v_fma_f32 v15, -v0, v56, v15
	ds_load_2addr_b32 v[28:29], v30 offset1:1
	ds_load_2addr_b32 v[44:45], v35 offset1:1
	s_waitcnt lgkmcnt(5)
	v_fma_f32 v14, -v1, v14, v49
	s_add_i32 s5, s3, 0xfffff908
	s_add_i32 s7, s3, 0xfffff900
	v_fma_f32 v15, -v7, v55, v15
	v_mov_b32_e32 v30, s5
	v_fma_f32 v53, -v0, v13, v14
	v_mov_b32_e32 v35, s7
	ds_load_2addr_b32 v[13:14], v30 offset1:1
	ds_load_2addr_b32 v[49:50], v35 offset1:1
	s_waitcnt lgkmcnt(6)
	v_fma_f32 v15, -v6, v22, v15
	s_waitcnt lgkmcnt(4)
	v_fma_f32 v22, -v7, v41, v53
	s_add_i32 s5, s3, 0xfffff8a4
	v_fma_f32 v30, -v4, v51, v52
	v_fma_f32 v15, -v5, v21, v15
	s_delay_alu instid0(VALU_DEP_3) | instskip(SKIP_1) | instid1(VALU_DEP_4)
	v_fma_f32 v21, -v6, v40, v22
	v_mov_b32_e32 v22, s5
	v_fma_f32 v30, -v20, v32, v30
	s_add_i32 s5, s3, 0xfffff89c
	v_fma_f32 v15, -v4, v39, v15
	s_waitcnt lgkmcnt(3)
	v_fma_f32 v29, -v5, v29, v21
	ds_load_2addr_b32 v[21:22], v22 offset1:1
	v_fma_f32 v30, -v19, v31, v30
	s_addk_i32 s3, 0xf894
	v_fma_f32 v15, -v20, v38, v15
	v_fma_f32 v28, -v4, v28, v29
	v_mov_b32_e32 v29, s5
	v_fma_f32 v31, -v18, v34, v30
	v_mul_f32_e32 v30, v47, v27
	s_waitcnt lgkmcnt(2)
	v_fma_f32 v27, -v19, v14, v15
	v_fma_f32 v28, -v20, v45, v28
	ds_load_2addr_b32 v[14:15], v29 offset1:1
	v_fma_f32 v29, -v17, v33, v31
	s_ashr_i32 s5, s4, 31
	v_fma_f32 v13, -v18, v13, v27
	v_mov_b32_e32 v27, s3
	v_fma_f32 v28, -v19, v44, v28
	v_fma_f32 v29, -v30, v37, v29
	s_lshl_b64 s[10:11], s[4:5], 2
	s_waitcnt lgkmcnt(2)
	v_fma_f32 v13, -v17, v50, v13
	ds_load_2addr_b32 v[31:32], v27 offset1:1
	s_waitcnt lgkmcnt(2)
	v_fma_f32 v22, -v18, v22, v28
	v_mul_f32_e32 v29, v36, v29
	s_sub_i32 s4, s4, 20
	v_fma_f32 v13, -v30, v49, v13
	s_delay_alu instid0(VALU_DEP_3) | instskip(NEXT) | instid1(VALU_DEP_2)
	v_fma_f32 v21, -v17, v21, v22
	v_fma_f32 v13, -v29, v58, v13
	s_waitcnt lgkmcnt(1)
	s_delay_alu instid0(VALU_DEP_2) | instskip(NEXT) | instid1(VALU_DEP_2)
	v_fma_f32 v15, -v30, v15, v21
	v_mul_f32_e32 v28, v57, v13
	v_add_co_u32 v13, vcc_lo, v23, s10
	s_delay_alu instid0(VALU_DEP_3)
	v_fma_f32 v15, -v29, v14, v15
	v_add_co_ci_u32_e32 v14, vcc_lo, s11, v24, vcc_lo
	s_clause 0x1
	global_store_b96 v[13:14], v[8:10], off offset:-12
	global_store_b128 v[13:14], v[0:3], off offset:-28
	s_waitcnt lgkmcnt(0)
	v_fma_f32 v15, -v28, v32, v15
	s_clause 0x1
	global_store_b128 v[13:14], v[4:7], off offset:-44
	global_store_b128 v[13:14], v[17:20], off offset:-60
	v_mul_f32_e32 v27, v31, v15
	s_clause 0x1
	global_store_b32 v[11:12], v16, off
	global_store_b128 v[13:14], v[27:30], off offset:-76
.LBB29_20:
	s_cmp_lt_i32 s4, 0
	s_cbranch_scc1 .LBB29_33
; %bb.21:
	s_bitcmp1_b32 s4, 0
	s_mov_b32 s10, s4
	s_cselect_b32 s3, -1, 0
	s_delay_alu instid0(SALU_CYCLE_1)
	s_and_b32 vcc_lo, exec_lo, s3
	s_cbranch_vccnz .LBB29_26
; %bb.22:
	s_mov_b32 s5, 0
	s_delay_alu instid0(SALU_CYCLE_1)
	s_lshl_b64 s[10:11], s[4:5], 2
	s_cmp_le_i32 s12, s4
	v_add_co_u32 v0, vcc_lo, v23, s10
	v_add_co_ci_u32_e32 v1, vcc_lo, s11, v24, vcc_lo
	global_load_b32 v2, v[0:1], off
	s_waitcnt vmcnt(0)
	v_mul_f32_e32 v4, s15, v2
	s_cbranch_scc1 .LBB29_25
; %bb.23:
	s_mul_i32 s3, s4, 0x60
	s_lshl_b32 s5, s2, 2
	s_ashr_i32 s13, s12, 31
	s_add_i32 s3, s3, s5
	s_lshl_b64 s[10:11], s[12:13], 2
	s_add_i32 s3, s3, -4
	s_add_u32 s5, s8, s10
	s_addc_u32 s7, s9, s11
	s_add_u32 s5, s5, s0
	s_addc_u32 s7, s7, s1
	v_add_co_u32 v2, vcc_lo, s5, v25
	v_add_co_ci_u32_e32 v3, vcc_lo, s7, v26, vcc_lo
	s_mov_b32 s5, s12
.LBB29_24:                              ; =>This Inner Loop Header: Depth=1
	global_load_b32 v5, v[2:3], off
	v_mov_b32_e32 v6, s3
	v_add_co_u32 v2, vcc_lo, v2, -4
	v_add_co_ci_u32_e32 v3, vcc_lo, -1, v3, vcc_lo
	ds_load_b32 v6, v6
	s_add_i32 s5, s5, -1
	s_add_i32 s3, s3, -4
	s_cmp_gt_i32 s5, s4
	s_waitcnt vmcnt(0) lgkmcnt(0)
	v_fma_f32 v4, -v5, v6, v4
	s_cbranch_scc1 .LBB29_24
.LBB29_25:
	s_mul_i32 s3, s4, 0x64
	s_add_i32 s10, s4, -1
	v_mov_b32_e32 v2, s3
	ds_load_b32 v2, v2
	s_waitcnt lgkmcnt(0)
	v_mul_f32_e32 v2, v2, v4
	global_store_b32 v[0:1], v2, off
.LBB29_26:
	s_cmp_eq_u32 s4, 0
	s_mov_b32 s11, 0
	s_cbranch_scc1 .LBB29_33
; %bb.27:
	s_mul_i32 s3, s10, 0x60
	s_lshl_b32 s4, s2, 2
	s_ashr_i32 s13, s12, 31
	s_add_i32 s7, s3, s4
	s_lshl_b64 s[4:5], s[12:13], 2
	s_add_i32 s3, s7, -4
	s_add_u32 s4, s8, s4
	s_addc_u32 s5, s9, s5
	s_add_u32 s4, s4, s0
	s_addc_u32 s5, s5, s1
	v_add_co_u32 v0, vcc_lo, s4, v25
	v_add_co_ci_u32_e32 v1, vcc_lo, s5, v26, vcc_lo
	s_add_i32 s4, s7, 0xffffff9c
	s_branch .LBB29_29
.LBB29_28:                              ;   in Loop: Header=BB29_29 Depth=1
	s_addk_i32 s5, 0xff9c
	s_addk_i32 s3, 0xff40
	v_mov_b32_e32 v4, s5
	s_add_i32 s5, s10, -2
	s_addk_i32 s4, 0xff40
	s_cmp_lt_i32 s10, 2
	s_mov_b32 s10, s5
	ds_load_b32 v4, v4
	s_waitcnt lgkmcnt(0)
	v_mul_f32_e32 v4, v4, v6
	global_store_b32 v[2:3], v4, off offset:-4
	s_cbranch_scc1 .LBB29_33
.LBB29_29:                              ; =>This Loop Header: Depth=1
                                        ;     Child Loop BB29_30 Depth 2
                                        ;     Child Loop BB29_32 Depth 2
	s_lshl_b64 s[16:17], s[10:11], 2
	s_cmp_le_i32 s12, s10
	v_add_co_u32 v2, vcc_lo, v23, s16
	v_add_co_ci_u32_e32 v3, vcc_lo, s17, v24, vcc_lo
	s_mov_b32 s5, s3
	s_mov_b32 s7, s12
	global_load_b32 v2, v[2:3], off
	s_waitcnt vmcnt(0)
	v_dual_mul_f32 v4, s15, v2 :: v_dual_mov_b32 v3, v1
	v_mov_b32_e32 v2, v0
	s_cbranch_scc1 .LBB29_31
.LBB29_30:                              ;   Parent Loop BB29_29 Depth=1
                                        ; =>  This Inner Loop Header: Depth=2
	global_load_b32 v5, v[2:3], off
	v_mov_b32_e32 v6, s5
	v_add_co_u32 v2, vcc_lo, v2, -4
	v_add_co_ci_u32_e32 v3, vcc_lo, -1, v3, vcc_lo
	ds_load_b32 v6, v6
	s_add_i32 s7, s7, -1
	s_add_i32 s5, s5, -4
	s_cmp_gt_i32 s7, s10
	s_waitcnt vmcnt(0) lgkmcnt(0)
	v_fma_f32 v4, -v5, v6, v4
	s_cbranch_scc1 .LBB29_30
.LBB29_31:                              ;   in Loop: Header=BB29_29 Depth=1
	s_add_i32 s16, s10, -1
	s_mov_b32 s17, s11
	s_mul_i32 s5, s10, 0x64
	s_lshl_b64 s[16:17], s[16:17], 2
	s_mov_b32 s7, s4
	v_add_co_u32 v2, vcc_lo, v23, s16
	v_add_co_ci_u32_e32 v3, vcc_lo, s17, v24, vcc_lo
	s_ashr_i32 s17, s10, 31
	s_mov_b32 s16, s10
	s_mov_b32 s13, s2
	global_load_b32 v5, v[2:3], off
	v_mov_b32_e32 v2, s5
	s_lshl_b64 s[16:17], s[16:17], 2
	s_cmp_lt_i32 s12, s10
	ds_load_b32 v6, v2
	v_add_co_u32 v2, vcc_lo, v23, s16
	v_add_co_ci_u32_e32 v3, vcc_lo, s17, v24, vcc_lo
	s_waitcnt lgkmcnt(0)
	v_mul_f32_e32 v7, v6, v4
	global_store_b32 v[2:3], v7, off
	s_waitcnt vmcnt(0)
	v_dual_mul_f32 v6, s15, v5 :: v_dual_mov_b32 v5, v1
	v_mov_b32_e32 v4, v0
	s_cbranch_scc1 .LBB29_28
.LBB29_32:                              ;   Parent Loop BB29_29 Depth=1
                                        ; =>  This Inner Loop Header: Depth=2
	global_load_b32 v7, v[4:5], off
	v_mov_b32_e32 v8, s7
	v_add_co_u32 v4, vcc_lo, v4, -4
	v_add_co_ci_u32_e32 v5, vcc_lo, -1, v5, vcc_lo
	ds_load_b32 v8, v8
	s_add_i32 s13, s13, -1
	s_add_i32 s7, s7, -4
	s_cmp_gt_i32 s13, s10
	s_waitcnt vmcnt(0) lgkmcnt(0)
	v_fma_f32 v6, -v7, v8, v6
	s_cbranch_scc1 .LBB29_32
	s_branch .LBB29_28
.LBB29_33:
	s_mov_b32 s3, 0
.LBB29_34:
	s_delay_alu instid0(SALU_CYCLE_1)
	s_and_b32 vcc_lo, exec_lo, s3
	s_cbranch_vccz .LBB29_54
; %bb.35:
	s_cmp_gt_i32 s6, 23
	s_mov_b32 s4, 0
	s_cselect_b32 s3, -1, 0
	s_delay_alu instid0(SALU_CYCLE_1)
	s_and_b32 vcc_lo, exec_lo, s3
	s_cbranch_vccz .LBB29_37
; %bb.36:
	s_clause 0x5
	global_load_b128 v[29:32], v[23:24], off
	global_load_b128 v[16:19], v[23:24], off offset:16
	global_load_b128 v[12:15], v[23:24], off offset:32
	;; [unrolled: 1-line block ×5, first 2 shown]
	v_dual_mov_b32 v20, 0 :: v_dual_mov_b32 v67, 0x454
	v_mov_b32_e32 v22, 0x44c
	v_add_nc_u32_e64 v87, 0x400, 0
	v_add_nc_u32_e64 v88, 0x600, 0
	ds_load_b128 v[33:36], v20
	ds_load_b128 v[37:40], v20 offset:16
	ds_load_b128 v[41:44], v20 offset:32
	ds_load_2addr_b64 v[45:48], v20 offset0:25 offset1:26
	ds_load_2addr_b64 v[49:52], v20 offset0:27 offset1:28
	ds_load_b128 v[53:56], v20 offset:48
	s_mov_b32 s4, 24
	s_waitcnt vmcnt(5)
	v_dual_mul_f32 v29, s15, v29 :: v_dual_mov_b32 v68, 0x514
	s_waitcnt lgkmcnt(5)
	s_delay_alu instid0(VALU_DEP_1)
	v_mul_f32_e32 v29, v33, v29
	v_mov_b32_e32 v21, 0x45c
	v_mov_b32_e32 v28, 0x5dc
	;; [unrolled: 1-line block ×4, first 2 shown]
	v_mul_f32_e32 v33, v29, v34
	v_mul_f32_e32 v57, v29, v35
	;; [unrolled: 1-line block ×3, first 2 shown]
	ds_load_2addr_b32 v[34:35], v20 offset0:25 offset1:26
	ds_load_2addr_b32 v[61:62], v20 offset0:27 offset1:28
	;; [unrolled: 1-line block ×4, first 2 shown]
	v_mov_b32_e32 v73, 0x524
	v_fma_f32 v69, v30, s15, -v33
	v_fma_f32 v70, v31, s15, -v57
	;; [unrolled: 1-line block ×3, first 2 shown]
	ds_load_b128 v[30:33], v20 offset:64
	ds_load_b128 v[57:60], v20 offset:80
	v_mov_b32_e32 v74, 0x5e4
	v_mov_b32_e32 v75, 0x6a4
	;; [unrolled: 1-line block ×12, first 2 shown]
	s_waitcnt lgkmcnt(10)
	v_mul_f32_e32 v36, v29, v37
	v_mul_f32_e32 v37, v29, v38
	;; [unrolled: 1-line block ×4, first 2 shown]
	s_waitcnt lgkmcnt(9)
	v_mul_f32_e32 v40, v29, v41
	v_mul_f32_e32 v41, v29, v42
	s_waitcnt lgkmcnt(1)
	v_mul_f32_e32 v31, v29, v31
	v_mul_f32_e32 v42, v29, v43
	;; [unrolled: 1-line block ×8, first 2 shown]
	s_waitcnt vmcnt(4)
	v_fma_f32 v56, v16, s15, -v36
	v_fma_f32 v89, v17, s15, -v37
	;; [unrolled: 1-line block ×4, first 2 shown]
	s_waitcnt vmcnt(3)
	v_fma_f32 v92, v12, s15, -v40
	v_fma_f32 v93, v13, s15, -v41
	;; [unrolled: 1-line block ×4, first 2 shown]
	ds_load_b128 v[12:15], v20 offset:400
	ds_load_b128 v[16:19], v20 offset:416
	s_waitcnt vmcnt(2)
	v_fma_f32 v44, v8, s15, -v44
	v_fma_f32 v96, v9, s15, -v53
	;; [unrolled: 1-line block ×4, first 2 shown]
	ds_load_b128 v[8:11], v20 offset:800
	s_waitcnt lgkmcnt(3)
	v_mul_f32_e32 v41, v29, v58
	v_mul_f32_e32 v42, v29, v59
	s_waitcnt vmcnt(1)
	v_fma_f32 v58, v5, s15, -v31
	v_fma_f32 v59, v6, s15, -v32
	ds_load_2addr_b32 v[31:32], v20 offset0:33 offset1:34
	v_dual_mov_b32 v83, 0x5f4 :: v_dual_mul_f32 v30, v29, v30
	v_mul_f32_e32 v40, v29, v57
	v_mul_f32_e32 v33, v29, v33
	s_waitcnt vmcnt(0)
	v_fma_f32 v99, v2, s15, -v42
	v_fma_f32 v57, v4, s15, -v30
	v_mul_f32_e32 v30, v34, v69
	v_fma_f32 v69, v0, s15, -v40
	v_fma_f32 v98, v1, s15, -v41
	s_delay_alu instid0(VALU_DEP_3)
	v_fma_f32 v35, -v30, v35, v70
	v_fma_f32 v61, -v30, v61, v71
	;; [unrolled: 1-line block ×7, first 2 shown]
	s_waitcnt lgkmcnt(0)
	v_fma_f32 v70, -v30, v31, v93
	v_mul_f32_e32 v31, v45, v35
	v_fma_f32 v71, -v30, v32, v94
	s_delay_alu instid0(VALU_DEP_2)
	v_fma_f32 v61, -v31, v46, v61
	v_mul_f32_e32 v43, v29, v60
	v_fma_f32 v60, v7, s15, -v33
	ds_load_2addr_b32 v[33:34], v20 offset0:35 offset1:36
	ds_load_2addr_b32 v[36:37], v20 offset0:37 offset1:38
	;; [unrolled: 1-line block ×3, first 2 shown]
	v_fma_f32 v63, -v31, v48, v63
	v_fma_f32 v64, -v31, v49, v64
	v_fma_f32 v100, v3, s15, -v43
	ds_load_2addr_b32 v[40:41], v20 offset0:41 offset1:42
	ds_load_2addr_b32 v[42:43], v20 offset0:43 offset1:44
	ds_load_2addr_b64 v[0:3], v20 offset0:29 offset1:30
	ds_load_2addr_b64 v[4:7], v20 offset0:31 offset1:32
	ds_load_2addr_b32 v[53:54], v20 offset0:45 offset1:46
	ds_load_b32 v91, v20 offset:188
	v_fma_f32 v65, -v31, v50, v65
	v_fma_f32 v66, -v31, v51, v66
	;; [unrolled: 1-line block ×3, first 2 shown]
	s_waitcnt lgkmcnt(8)
	v_fma_f32 v89, -v30, v33, v95
	v_fma_f32 v90, -v30, v34, v44
	s_waitcnt lgkmcnt(6)
	v_fma_f32 v93, -v30, v38, v55
	v_fma_f32 v94, -v30, v39, v57
	;; [unrolled: 1-line block ×3, first 2 shown]
	s_waitcnt lgkmcnt(5)
	v_fma_f32 v95, -v30, v40, v58
	v_fma_f32 v59, -v30, v41, v59
	ds_load_2addr_b32 v[40:41], v20 offset0:75 offset1:76
	ds_load_2addr_b32 v[44:45], v20 offset0:77 offset1:78
	;; [unrolled: 1-line block ×4, first 2 shown]
	s_waitcnt lgkmcnt(8)
	v_fma_f32 v60, -v30, v42, v60
	v_fma_f32 v69, -v30, v43, v69
	ds_load_2addr_b64 v[32:35], v20 offset0:33 offset1:34
	ds_load_b64 v[42:43], v20 offset:280
	v_fma_f32 v36, -v30, v36, v96
	s_waitcnt lgkmcnt(8)
	v_fma_f32 v92, -v31, v4, v92
	s_waitcnt lgkmcnt(7)
	v_fma_f32 v4, -v30, v53, v98
	v_fma_f32 v96, -v31, v47, v62
	;; [unrolled: 1-line block ×6, first 2 shown]
	ds_load_2addr_b64 v[0:3], v20 offset0:75 offset1:76
	ds_load_2addr_b64 v[36:39], v20 offset0:77 offset1:78
	v_fma_f32 v93, -v31, v5, v93
	ds_load_2addr_b32 v[48:49], v20 offset0:177 offset1:178
	ds_load_2addr_b32 v[50:51], v20 offset0:179 offset1:180
	v_fma_f32 v5, -v30, v54, v99
	ds_load_2addr_b32 v[46:47], v20 offset0:83 offset1:84
	ds_load_2addr_b32 v[52:53], v20 offset0:87 offset1:88
	v_fma_f32 v94, -v31, v6, v94
	v_fma_f32 v95, -v31, v7, v95
	s_waitcnt lgkmcnt(7)
	v_fma_f32 v98, -v31, v32, v59
	v_fma_f32 v99, -v31, v33, v60
	ds_load_2addr_b32 v[59:60], v20 offset0:89 offset1:90
	v_fma_f32 v69, -v31, v34, v69
	v_fma_f32 v35, -v31, v35, v4
	ds_load_2addr_b32 v[33:34], v20 offset0:85 offset1:86
	v_fma_f32 v4, -v30, v91, v100
	v_mul_f32_e32 v32, v40, v61
	ds_load_2addr_b32 v[61:62], v20 offset0:91 offset1:92
	s_waitcnt lgkmcnt(9)
	v_fma_f32 v91, -v31, v42, v5
	v_fma_f32 v100, -v31, v43, v4
	;; [unrolled: 1-line block ×5, first 2 shown]
	ds_load_b128 v[4:7], v20 offset:432
	ds_load_b128 v[40:43], v20 offset:448
	ds_load_2addr_b32 v[54:55], v20 offset0:93 offset1:94
	v_fma_f32 v45, -v32, v45, v64
	v_mul_f32_e32 v12, v12, v96
	v_fma_f32 v56, -v32, v56, v66
	v_fma_f32 v57, -v32, v57, v70
	;; [unrolled: 1-line block ×3, first 2 shown]
	s_waitcnt lgkmcnt(7)
	v_fma_f32 v64, -v32, v46, v89
	v_fma_f32 v65, -v32, v47, v90
	s_waitcnt lgkmcnt(6)
	v_fma_f32 v52, -v32, v52, v93
	s_waitcnt lgkmcnt(4)
	v_fma_f32 v66, -v32, v33, v97
	v_fma_f32 v70, -v32, v34, v92
	;; [unrolled: 1-line block ×5, first 2 shown]
	ds_load_2addr_b32 v[33:34], v20 offset0:95 offset1:143
	s_waitcnt lgkmcnt(4)
	v_fma_f32 v61, -v32, v61, v99
	v_fma_f32 v62, -v32, v62, v69
	;; [unrolled: 1-line block ×4, first 2 shown]
	ds_load_2addr_b32 v[13:14], v20 offset0:125 offset1:126
	ds_load_b128 v[44:47], v20 offset:464
	v_fma_f32 v90, -v12, v15, v63
	v_fma_f32 v92, -v12, v16, v56
	;; [unrolled: 1-line block ×3, first 2 shown]
	s_waitcnt lgkmcnt(5)
	v_fma_f32 v64, -v12, v4, v65
	v_fma_f32 v65, -v12, v5, v66
	;; [unrolled: 1-line block ×4, first 2 shown]
	ds_load_2addr_b32 v[4:5], v20 offset0:127 offset1:128
	ds_load_2addr_b32 v[6:7], v20 offset0:129 offset1:130
	;; [unrolled: 1-line block ×4, first 2 shown]
	s_waitcnt lgkmcnt(7)
	v_fma_f32 v35, -v32, v54, v35
	v_fma_f32 v56, -v32, v55, v91
	v_fma_f32 v71, -v12, v40, v71
	v_fma_f32 v91, -v12, v41, v59
	v_fma_f32 v93, -v12, v42, v60
	v_fma_f32 v94, -v12, v43, v61
	ds_load_2addr_b32 v[40:41], v20 offset0:135 offset1:136
	ds_load_2addr_b32 v[42:43], v20 offset0:137 offset1:138
	;; [unrolled: 1-line block ×3, first 2 shown]
	v_fma_f32 v17, -v12, v17, v57
	v_fma_f32 v18, -v12, v18, v58
	s_waitcnt lgkmcnt(9)
	v_fma_f32 v33, -v32, v33, v100
	s_waitcnt lgkmcnt(8)
	v_mul_f32_e32 v13, v13, v69
	s_waitcnt lgkmcnt(7)
	v_fma_f32 v44, -v12, v44, v62
	v_fma_f32 v35, -v12, v45, v35
	;; [unrolled: 1-line block ×4, first 2 shown]
	ds_load_2addr_b32 v[56:57], v22 offset1:1
	ds_load_2addr_b32 v[58:59], v67 offset1:1
	;; [unrolled: 1-line block ×3, first 2 shown]
	ds_load_2addr_b32 v[62:63], v20 offset0:141 offset1:142
	v_fma_f32 v14, -v13, v14, v89
	s_waitcnt lgkmcnt(10)
	v_fma_f32 v22, -v13, v4, v90
	v_fma_f32 v67, -v13, v5, v92
	s_waitcnt lgkmcnt(9)
	v_fma_f32 v68, -v13, v6, v17
	;; [unrolled: 3-line block ×3, first 2 shown]
	v_fma_f32 v64, -v13, v16, v64
	ds_load_2addr_b64 v[4:7], v20 offset0:125 offset1:126
	ds_load_2addr_b64 v[16:19], v20 offset0:127 offset1:128
	s_waitcnt lgkmcnt(9)
	v_fma_f32 v65, -v13, v52, v65
	v_fma_f32 v89, -v13, v53, v66
	s_waitcnt lgkmcnt(8)
	v_fma_f32 v70, -v13, v40, v70
	v_fma_f32 v71, -v13, v41, v71
	;; [unrolled: 3-line block ×3, first 2 shown]
	s_waitcnt lgkmcnt(6)
	v_fma_f32 v92, -v13, v54, v94
	ds_load_2addr_b64 v[40:43], v20 offset0:79 offset1:80
	v_fma_f32 v93, -v13, v55, v44
	ds_load_2addr_b64 v[44:47], v20 offset0:81 offset1:82
	ds_load_2addr_b32 v[52:53], v20 offset0:175 offset1:176
	ds_load_b64 v[54:55], v20 offset:664
	v_mul_f32_e32 v14, v0, v14
	s_delay_alu instid0(VALU_DEP_1)
	v_fma_f32 v1, -v14, v1, v22
	v_fma_f32 v22, -v14, v2, v67
	;; [unrolled: 1-line block ×6, first 2 shown]
	s_waitcnt lgkmcnt(3)
	v_fma_f32 v98, -v14, v41, v70
	v_fma_f32 v99, -v14, v42, v71
	s_waitcnt lgkmcnt(1)
	v_mul_f32_e32 v15, v52, v1
	v_fma_f32 v45, -v14, v45, v92
	v_fma_f32 v90, -v14, v43, v90
	;; [unrolled: 1-line block ×7, first 2 shown]
	s_delay_alu instid0(VALU_DEP_3)
	v_mul_f32_e32 v8, v8, v22
	v_fma_f32 v0, -v13, v62, v35
	v_fma_f32 v94, -v13, v63, v95
	;; [unrolled: 1-line block ×3, first 2 shown]
	ds_load_2addr_b32 v[62:63], v20 offset0:181 offset1:182
	ds_load_2addr_b32 v[64:65], v20 offset0:183 offset1:184
	;; [unrolled: 1-line block ×4, first 2 shown]
	v_fma_f32 v39, -v13, v34, v33
	v_fma_f32 v92, -v14, v47, v0
	ds_load_b128 v[0:3], v20 offset:816
	ds_load_b128 v[33:36], v20 offset:832
	ds_load_2addr_b32 v[70:71], v20 offset0:189 offset1:190
	s_waitcnt lgkmcnt(7)
	v_fma_f32 v52, -v14, v54, v94
	v_fma_f32 v53, -v15, v48, v95
	;; [unrolled: 1-line block ×5, first 2 shown]
	ds_load_b128 v[37:40], v20 offset:1200
	ds_load_b128 v[41:44], v20 offset:1216
	v_fma_f32 v9, -v8, v9, v53
	s_waitcnt lgkmcnt(8)
	v_fma_f32 v62, -v15, v62, v97
	v_fma_f32 v63, -v15, v63, v89
	s_waitcnt lgkmcnt(6)
	v_fma_f32 v66, -v15, v66, v90
	s_waitcnt lgkmcnt(5)
	v_fma_f32 v68, -v15, v68, v45
	v_fma_f32 v90, -v15, v69, v46
	ds_load_2addr_b32 v[49:50], v20 offset0:225 offset1:226
	ds_load_b128 v[45:48], v20 offset:848
	s_waitcnt lgkmcnt(4)
	v_fma_f32 v71, -v15, v71, v52
	ds_load_2addr_b32 v[51:52], v20 offset0:191 offset1:239
	v_fma_f32 v64, -v15, v64, v98
	v_fma_f32 v89, -v15, v65, v99
	;; [unrolled: 1-line block ×10, first 2 shown]
	ds_load_2addr_b32 v[10:11], v20 offset0:227 offset1:228
	ds_load_2addr_b32 v[53:54], v20 offset0:229 offset1:230
	;; [unrolled: 1-line block ×4, first 2 shown]
	v_fma_f32 v89, -v8, v33, v89
	v_fma_f32 v97, -v8, v34, v66
	v_fma_f32 v98, -v8, v35, v67
	v_fma_f32 v99, -v8, v36, v68
	ds_load_2addr_b32 v[21:22], v21 offset1:1
	ds_load_2addr_b32 v[66:67], v27 offset1:1
	;; [unrolled: 1-line block ×4, first 2 shown]
	s_waitcnt lgkmcnt(10)
	v_mul_f32_e32 v9, v49, v9
	ds_load_2addr_b32 v[33:34], v20 offset0:235 offset1:236
	s_waitcnt lgkmcnt(9)
	v_fma_f32 v0, -v15, v51, v55
	v_fma_f32 v51, -v8, v45, v90
	;; [unrolled: 1-line block ×6, first 2 shown]
	ds_load_2addr_b64 v[0:3], v20 offset0:129 offset1:130
	s_waitcnt lgkmcnt(9)
	v_fma_f32 v91, -v9, v10, v92
	v_mul_f32_e32 v10, v4, v47
	v_fma_f32 v11, -v9, v11, v93
	s_waitcnt lgkmcnt(8)
	v_fma_f32 v92, -v9, v53, v94
	v_fma_f32 v93, -v9, v54, v95
	ds_load_2addr_b32 v[49:50], v73 offset1:1
	ds_load_2addr_b32 v[53:54], v74 offset1:1
	;; [unrolled: 1-line block ×4, first 2 shown]
	ds_load_2addr_b32 v[35:36], v20 offset0:237 offset1:238
	s_waitcnt lgkmcnt(12)
	v_fma_f32 v76, -v9, v62, v96
	v_fma_f32 v89, -v9, v63, v89
	s_waitcnt lgkmcnt(11)
	v_fma_f32 v94, -v9, v64, v97
	v_fma_f32 v95, -v9, v65, v98
	ds_load_2addr_b32 v[62:63], v77 offset1:1
	ds_load_2addr_b32 v[64:65], v78 offset1:1
	;; [unrolled: 1-line block ×4, first 2 shown]
	ds_load_b64 v[47:48], v20 offset:1048
	s_waitcnt lgkmcnt(11)
	v_fma_f32 v34, -v9, v34, v51
	v_fma_f32 v51, -v10, v5, v91
	;; [unrolled: 1-line block ×10, first 2 shown]
	ds_load_2addr_b64 v[4:7], v20 offset0:175 offset1:176
	ds_load_b128 v[16:19], v20 offset:1232
	s_waitcnt lgkmcnt(12)
	v_fma_f32 v94, -v10, v0, v95
	v_fma_f32 v95, -v10, v1, v33
	s_waitcnt lgkmcnt(7)
	v_fma_f32 v11, -v9, v35, v55
	v_fma_f32 v55, -v9, v36, v90
	ds_load_b32 v90, v20 offset:2300
	v_fma_f32 v96, -v10, v2, v34
	v_fma_f32 v97, -v10, v3, v11
	v_mul_f32_e32 v11, v56, v51
	s_waitcnt lgkmcnt(3)
	v_fma_f32 v98, -v10, v47, v55
	v_fma_f32 v99, -v10, v48, v52
	ds_load_b128 v[0:3], v20 offset:1600
	ds_load_b128 v[33:36], v20 offset:1616
	v_fma_f32 v47, -v11, v57, v77
	v_fma_f32 v48, -v11, v58, v80
	;; [unrolled: 1-line block ×4, first 2 shown]
	ds_load_2addr_b32 v[51:52], v81 offset1:1
	ds_load_2addr_b32 v[55:56], v82 offset1:1
	;; [unrolled: 1-line block ×4, first 2 shown]
	v_mul_f32_e32 v37, v37, v47
	v_fma_f32 v81, -v11, v22, v89
	v_fma_f32 v82, -v11, v68, v93
	ds_load_2addr_b32 v[21:22], v85 offset1:1
	ds_load_2addr_b32 v[57:58], v86 offset1:1
	v_fma_f32 v83, -v11, v69, v94
	v_fma_f32 v38, -v37, v38, v48
	v_fma_f32 v84, -v11, v45, v95
	v_fma_f32 v85, -v11, v46, v96
	ds_load_2addr_b32 v[68:69], v87 offset0:31 offset1:79
	v_mul_f32_e32 v38, v60, v38
	v_fma_f32 v39, -v37, v39, v59
	v_fma_f32 v40, -v37, v40, v80
	;; [unrolled: 1-line block ×3, first 2 shown]
	ds_load_2addr_b64 v[45:48], v20 offset0:177 offset1:178
	ds_load_b64 v[59:60], v20 offset:1432
	v_fma_f32 v89, -v37, v42, v82
	v_fma_f32 v39, -v38, v61, v39
	;; [unrolled: 1-line block ×6, first 2 shown]
	s_waitcnt lgkmcnt(13)
	v_mul_f32_e32 v39, v4, v39
	v_fma_f32 v4, -v38, v67, v86
	s_waitcnt lgkmcnt(8)
	v_fma_f32 v51, -v11, v51, v97
	v_fma_f32 v52, -v11, v52, v98
	ds_load_2addr_b64 v[41:44], v20 offset0:225 offset1:226
	ds_load_b64 v[80:81], v20 offset:1816
	v_fma_f32 v5, -v39, v5, v40
	ds_load_2addr_b32 v[82:83], v87 offset0:127 offset1:175
	s_waitcnt lgkmcnt(5)
	v_fma_f32 v68, -v11, v68, v99
	ds_load_2addr_b32 v[66:67], v88 offset0:95 offset1:143
	v_mul_f32_e32 v40, v27, v5
	v_fma_f32 v4, -v39, v6, v4
	v_fma_f32 v5, -v37, v16, v85
	;; [unrolled: 1-line block ×8, first 2 shown]
	s_waitcnt lgkmcnt(5)
	v_fma_f32 v16, -v39, v45, v16
	v_fma_f32 v7, -v40, v53, v7
	v_mul_f32_e32 v0, v0, v4
	v_fma_f32 v4, -v38, v63, v5
	v_fma_f32 v5, -v39, v46, v18
	;; [unrolled: 1-line block ×9, first 2 shown]
	v_mul_f32_e32 v1, v70, v1
	v_fma_f32 v2, -v0, v2, v16
	v_fma_f32 v6, -v39, v48, v6
	;; [unrolled: 1-line block ×4, first 2 shown]
	s_waitcnt lgkmcnt(4)
	v_fma_f32 v16, -v39, v59, v7
	v_fma_f32 v2, -v1, v71, v2
	;; [unrolled: 1-line block ×5, first 2 shown]
	ds_load_b128 v[4:7], v20 offset:2000
	s_waitcnt lgkmcnt(4)
	v_mul_f32_e32 v2, v41, v2
	v_fma_f32 v19, -v38, v69, v19
	v_fma_f32 v16, -v40, v77, v16
	;; [unrolled: 1-line block ×8, first 2 shown]
	s_delay_alu instid0(VALU_DEP_4)
	v_mul_f32_e32 v3, v74, v3
	v_fma_f32 v18, -v2, v43, v18
	s_waitcnt lgkmcnt(2)
	v_fma_f32 v19, -v40, v82, v19
	v_fma_f32 v27, -v1, v79, v16
	;; [unrolled: 1-line block ×3, first 2 shown]
	ds_load_b64 v[16:17], v20 offset:2200
	v_fma_f32 v18, -v3, v75, v18
	v_fma_f32 v19, -v0, v36, v19
	;; [unrolled: 1-line block ×4, first 2 shown]
	s_clause 0x1
	global_store_b128 v[23:24], v[29:32], off
	global_store_b128 v[23:24], v[12:15], off offset:16
	s_waitcnt lgkmcnt(1)
	v_mul_f32_e32 v4, v4, v18
	v_fma_f32 v18, -v1, v83, v19
	v_fma_f32 v19, -v3, v22, v20
	s_clause 0x1
	global_store_b128 v[23:24], v[8:11], off offset:32
	global_store_b128 v[23:24], v[37:40], off offset:48
	v_fma_f32 v5, -v4, v5, v21
	v_fma_f32 v18, -v2, v81, v18
	s_delay_alu instid0(VALU_DEP_2) | instskip(SKIP_1) | instid1(VALU_DEP_3)
	v_mul_f32_e32 v5, v57, v5
	v_fma_f32 v6, -v4, v6, v19
	v_fma_f32 v18, -v3, v66, v18
	s_delay_alu instid0(VALU_DEP_2) | instskip(NEXT) | instid1(VALU_DEP_2)
	v_fma_f32 v6, -v5, v58, v6
	v_fma_f32 v7, -v4, v7, v18
	s_waitcnt lgkmcnt(0)
	s_delay_alu instid0(VALU_DEP_2) | instskip(NEXT) | instid1(VALU_DEP_2)
	v_mul_f32_e32 v6, v16, v6
	v_fma_f32 v7, -v5, v67, v7
	s_delay_alu instid0(VALU_DEP_1) | instskip(NEXT) | instid1(VALU_DEP_1)
	v_fma_f32 v7, -v6, v17, v7
	v_mul_f32_e32 v7, v90, v7
	s_clause 0x1
	global_store_b128 v[23:24], v[0:3], off offset:64
	global_store_b128 v[23:24], v[4:7], off offset:80
.LBB29_37:
	s_cmp_lt_i32 s4, s2
	s_cbranch_scc0 .LBB29_54
; %bb.38:
	s_add_i32 s5, s4, 19
	s_delay_alu instid0(SALU_CYCLE_1)
	s_cmp_ge_u32 s5, s2
	s_cbranch_scc1 .LBB29_43
; %bb.39:
	s_lshl_b32 s6, s4, 2
	s_delay_alu instid0(SALU_CYCLE_1)
	v_add_co_u32 v4, vcc_lo, v23, s6
	v_add_co_ci_u32_e32 v5, vcc_lo, 0, v24, vcc_lo
	s_and_not1_b32 vcc_lo, exec_lo, s3
	s_mov_b32 s3, 0
	s_clause 0x4
	global_load_b128 v[0:3], v[4:5], off
	global_load_b128 v[6:9], v[4:5], off offset:16
	global_load_b128 v[10:13], v[4:5], off offset:32
	;; [unrolled: 1-line block ×4, first 2 shown]
	s_waitcnt vmcnt(4)
	v_dual_mul_f32 v28, s15, v0 :: v_dual_mul_f32 v27, s15, v1
	v_mul_f32_e32 v22, s15, v2
	s_waitcnt vmcnt(3)
	v_dual_mul_f32 v20, s15, v3 :: v_dual_mul_f32 v21, s15, v6
	v_dual_mul_f32 v2, s15, v7 :: v_dual_mul_f32 v19, s15, v9
	s_waitcnt vmcnt(2)
	v_dual_mul_f32 v3, s15, v8 :: v_dual_mul_f32 v18, s15, v10
	v_dual_mul_f32 v17, s15, v11 :: v_dual_mul_f32 v16, s15, v12
	;; [unrolled: 3-line block ×4, first 2 shown]
	v_mul_f32_e32 v6, s15, v36
	s_cbranch_vccnz .LBB29_42
; %bb.40:
	v_dual_mov_b32 v0, v23 :: v_dual_mov_b32 v1, v24
.LBB29_41:                              ; =>This Inner Loop Header: Depth=1
	global_load_b32 v15, v[0:1], off
	v_mov_b32_e32 v45, s6
	v_add_co_u32 v0, vcc_lo, v0, 4
	v_add_co_ci_u32_e32 v1, vcc_lo, 0, v1, vcc_lo
	ds_load_b128 v[29:32], v45
	ds_load_b128 v[33:36], v45 offset:16
	ds_load_b128 v[37:40], v45 offset:32
	;; [unrolled: 1-line block ×4, first 2 shown]
	s_add_i32 s3, s3, 1
	s_addk_i32 s6, 0x60
	s_cmp_lt_u32 s3, s4
	s_waitcnt vmcnt(0) lgkmcnt(4)
	v_fma_f32 v28, -v15, v29, v28
	v_fma_f32 v27, -v15, v30, v27
	v_fma_f32 v22, -v15, v31, v22
	v_fma_f32 v20, -v15, v32, v20
	s_waitcnt lgkmcnt(3)
	v_fma_f32 v21, -v15, v33, v21
	v_fma_f32 v2, -v15, v34, v2
	v_fma_f32 v3, -v15, v35, v3
	v_fma_f32 v19, -v15, v36, v19
	s_waitcnt lgkmcnt(2)
	;; [unrolled: 5-line block ×4, first 2 shown]
	v_fma_f32 v9, -v15, v45, v9
	v_fma_f32 v8, -v15, v46, v8
	;; [unrolled: 1-line block ×4, first 2 shown]
	s_cbranch_scc1 .LBB29_41
.LBB29_42:
	s_mul_i32 s3, s4, 0x64
	s_or_b32 s6, s4, 7
	v_mov_b32_e32 v15, s3
	s_mulk_i32 s6, 0x64
	s_add_i32 s4, s4, 20
	ds_load_b128 v[29:32], v15
	s_waitcnt lgkmcnt(0)
	v_mul_f32_e32 v0, v29, v28
	ds_load_b128 v[33:36], v15 offset:16
	ds_load_2addr_b32 v[64:65], v15 offset0:25 offset1:26
	ds_load_2addr_b64 v[37:40], v15 offset0:25 offset1:26
	ds_load_2addr_b32 v[69:70], v15 offset0:91 offset1:125
	ds_load_2addr_b32 v[71:72], v15 offset0:150 offset1:163
	ds_load_b128 v[41:44], v15 offset:32
	ds_load_b128 v[45:48], v15 offset:400
	ds_load_b128 v[49:52], v15 offset:416
	ds_load_b128 v[53:56], v15 offset:704
	ds_load_2addr_b32 v[73:74], v15 offset0:200 offset1:211
	ds_load_2addr_b32 v[66:67], v15 offset0:27 offset1:28
	;; [unrolled: 1-line block ×5, first 2 shown]
	v_fma_f32 v1, -v0, v30, v27
	v_fma_f32 v22, -v0, v31, v22
	ds_load_2addr_b32 v[81:82], v15 offset0:75 offset1:76
	ds_load_2addr_b32 v[83:84], v15 offset0:77 offset1:78
	;; [unrolled: 1-line block ×5, first 2 shown]
	ds_load_b128 v[27:30], v15 offset:64
	v_fma_f32 v20, -v0, v32, v20
	s_waitcnt lgkmcnt(19)
	v_fma_f32 v21, -v0, v33, v21
	s_waitcnt lgkmcnt(18)
	v_mul_f32_e32 v1, v64, v1
	v_fma_f32 v91, -v0, v34, v2
	v_fma_f32 v3, -v0, v35, v3
	ds_load_2addr_b64 v[57:60], v15 offset0:27 offset1:28
	ds_load_2addr_b64 v[61:64], v15 offset0:29 offset1:30
	ds_load_b32 v94, v15 offset:172
	v_fma_f32 v22, -v1, v65, v22
	v_mov_b32_e32 v93, s6
	s_waitcnt lgkmcnt(12)
	v_fma_f32 v20, -v1, v66, v20
	v_fma_f32 v21, -v1, v67, v21
	s_waitcnt lgkmcnt(11)
	v_fma_f32 v76, -v1, v76, v3
	v_mul_f32_e32 v2, v37, v22
	v_fma_f32 v22, -v1, v75, v91
	s_add_i32 s6, s3, 0x4b4
	v_fma_f32 v75, -v0, v36, v19
	ds_load_2addr_b64 v[31:34], v15 offset0:63 offset1:64
	ds_load_2addr_b64 v[65:68], v15 offset0:65 offset1:66
	v_fma_f32 v35, -v2, v38, v20
	v_fma_f32 v39, -v2, v39, v21
	;; [unrolled: 1-line block ×5, first 2 shown]
	s_waitcnt lgkmcnt(10)
	v_mul_f32_e32 v3, v81, v35
	ds_load_b32 v95, v15 offset:900
	ds_load_2addr_b64 v[19:22], v15 offset0:113 offset1:114
	ds_load_2addr_b32 v[91:92], v15 offset0:35 offset1:36
	s_waitcnt lgkmcnt(7)
	v_fma_f32 v42, -v2, v57, v76
	ds_load_b128 v[35:38], v15 offset:48
	v_fma_f32 v43, -v0, v43, v16
	v_fma_f32 v39, -v3, v82, v39
	;; [unrolled: 1-line block ×4, first 2 shown]
	ds_load_b32 v81, v93
	v_fma_f32 v14, -v0, v44, v14
	v_mul_f32_e32 v39, v45, v39
	v_fma_f32 v9, -v0, v27, v9
	v_fma_f32 v8, -v0, v28, v8
	v_fma_f32 v7, -v0, v29, v7
	v_fma_f32 v6, -v0, v30, v6
	v_fma_f32 v40, -v39, v46, v40
	v_fma_f32 v42, -v39, v47, v42
	s_delay_alu instid0(VALU_DEP_2)
	v_mul_f32_e32 v40, v70, v40
	v_fma_f32 v41, -v1, v77, v75
	v_fma_f32 v18, -v1, v78, v18
	;; [unrolled: 1-line block ×3, first 2 shown]
	ds_load_2addr_b32 v[16:17], v15 offset0:151 offset1:152
	v_fma_f32 v43, -v1, v80, v43
	v_fma_f32 v41, -v2, v58, v41
	;; [unrolled: 1-line block ×4, first 2 shown]
	s_waitcnt lgkmcnt(7)
	v_fma_f32 v31, -v40, v31, v42
	ds_load_2addr_b32 v[45:46], v15 offset0:153 offset1:154
	v_fma_f32 v41, -v3, v85, v41
	v_fma_f32 v18, -v3, v86, v18
	;; [unrolled: 1-line block ×4, first 2 shown]
	ds_load_2addr_b32 v[58:59], v15 offset0:155 offset1:156
	ds_load_2addr_b32 v[60:61], v15 offset0:157 offset1:158
	v_fma_f32 v41, -v39, v48, v41
	v_fma_f32 v18, -v39, v49, v18
	s_waitcnt lgkmcnt(6)
	v_fma_f32 v14, -v1, v91, v14
	s_waitcnt lgkmcnt(5)
	v_fma_f32 v13, -v0, v35, v13
	v_fma_f32 v12, -v0, v36, v12
	;; [unrolled: 1-line block ×3, first 2 shown]
	v_mul_f32_e32 v41, v71, v31
	v_fma_f32 v31, -v3, v88, v42
	v_fma_f32 v42, -v39, v50, v43
	;; [unrolled: 1-line block ×3, first 2 shown]
	ds_load_2addr_b32 v[70:71], v15 offset0:83 offset1:84
	s_waitcnt lgkmcnt(4)
	v_fma_f32 v16, -v41, v16, v32
	v_fma_f32 v43, -v39, v51, v31
	;; [unrolled: 1-line block ×3, first 2 shown]
	ds_load_b128 v[31:34], v15 offset:720
	v_fma_f32 v14, -v2, v62, v14
	v_mul_f32_e32 v42, v81, v16
	v_fma_f32 v17, -v41, v17, v18
	v_fma_f32 v16, -v40, v65, v43
	s_waitcnt lgkmcnt(4)
	v_fma_f32 v18, -v41, v45, v47
	ds_load_2addr_b32 v[75:76], v15 offset0:37 offset1:38
	ds_load_2addr_b32 v[77:78], v15 offset0:39 offset1:40
	;; [unrolled: 1-line block ×3, first 2 shown]
	v_fma_f32 v13, -v1, v92, v13
	v_fma_f32 v17, -v42, v53, v17
	;; [unrolled: 1-line block ×4, first 2 shown]
	ds_load_b128 v[43:46], v15 offset:736
	ds_load_2addr_b32 v[81:82], v15 offset0:85 offset1:86
	ds_load_2addr_b32 v[83:84], v15 offset0:87 offset1:88
	;; [unrolled: 1-line block ×3, first 2 shown]
	v_mul_f32_e32 v16, v73, v17
	v_fma_f32 v17, -v42, v55, v47
	ds_load_b128 v[47:50], v15 offset:432
	s_waitcnt lgkmcnt(9)
	v_fma_f32 v14, -v3, v70, v14
	v_add_nc_u32_e64 v36, 0x200, s3
	v_fma_f32 v18, -v16, v89, v18
	v_fma_f32 v35, -v16, v90, v17
	;; [unrolled: 1-line block ×4, first 2 shown]
	ds_load_2addr_b64 v[51:54], v15 offset0:31 offset1:32
	v_mul_f32_e32 v17, v95, v18
	s_waitcnt lgkmcnt(8)
	v_fma_f32 v12, -v1, v75, v12
	v_fma_f32 v11, -v0, v37, v11
	;; [unrolled: 1-line block ×3, first 2 shown]
	ds_load_2addr_b32 v[62:63], v36 offset0:122 offset1:131
	v_fma_f32 v35, -v17, v19, v35
	ds_load_2addr_b32 v[18:19], v15 offset0:203 offset1:204
	v_fma_f32 v12, -v2, v64, v12
	v_fma_f32 v36, -v3, v71, v13
	;; [unrolled: 1-line block ×4, first 2 shown]
	ds_load_b64 v[64:65], v15 offset:264
	s_waitcnt lgkmcnt(7)
	v_fma_f32 v37, -v3, v81, v12
	ds_load_b128 v[11:14], v15 offset:448
	s_waitcnt lgkmcnt(5)
	v_fma_f32 v36, -v39, v47, v36
	v_fma_f32 v10, -v0, v38, v10
	v_add_nc_u32_e64 v73, 0x400, s3
	v_fma_f32 v37, -v39, v48, v37
	v_fma_f32 v9, -v1, v78, v9
	s_waitcnt lgkmcnt(4)
	v_fma_f32 v47, -v2, v51, v57
	v_fma_f32 v51, -v42, v56, v55
	ds_load_2addr_b64 v[55:58], v15 offset0:67 offset1:68
	v_fma_f32 v36, -v40, v67, v36
	v_fma_f32 v37, -v40, v68, v37
	;; [unrolled: 1-line block ×3, first 2 shown]
	ds_load_2addr_b32 v[47:48], v15 offset0:205 offset1:206
	ds_load_2addr_b32 v[66:67], v15 offset0:207 offset1:208
	ds_load_2addr_b32 v[70:71], v15 offset0:209 offset1:210
	s_waitcnt lgkmcnt(6)
	v_fma_f32 v51, -v16, v18, v51
	v_mul_f32_e32 v18, v62, v35
	v_fma_f32 v35, -v41, v60, v37
	v_fma_f32 v10, -v1, v77, v10
	ds_load_b64 v[75:76], v15 offset:552
	v_fma_f32 v62, -v17, v20, v51
	v_fma_f32 v20, -v41, v59, v36
	ds_load_2addr_b32 v[59:60], v15 offset0:251 offset1:252
	v_fma_f32 v36, -v39, v49, v68
	v_fma_f32 v10, -v2, v52, v10
	ds_load_2addr_b32 v[51:52], v73 offset0:19 offset1:44
	v_fma_f32 v20, -v42, v31, v20
	v_fma_f32 v31, -v42, v32, v35
	ds_load_b64 v[81:82], v15 offset:936
	v_fma_f32 v9, -v2, v53, v9
	s_waitcnt lgkmcnt(7)
	v_fma_f32 v32, -v40, v55, v36
	v_fma_f32 v49, -v16, v19, v20
	ds_load_2addr_b32 v[19:20], v15 offset0:253 offset1:254
	ds_load_2addr_b64 v[35:38], v15 offset0:115 offset1:116
	s_waitcnt lgkmcnt(8)
	v_fma_f32 v31, -v16, v47, v31
	v_fma_f32 v32, -v41, v61, v32
	;; [unrolled: 1-line block ×7, first 2 shown]
	ds_load_2addr_b32 v[21:22], v15 offset0:159 offset1:160
	s_waitcnt lgkmcnt(5)
	v_fma_f32 v33, -v18, v59, v62
	v_fma_f32 v8, -v2, v54, v8
	;; [unrolled: 1-line block ×4, first 2 shown]
	v_mov_b32_e32 v48, s6
	v_fma_f32 v10, -v3, v83, v10
	s_add_i32 s6, s3, 0x3fc
	v_fma_f32 v8, -v3, v85, v8
	v_fma_f32 v6, -v1, v94, v6
	ds_load_2addr_b32 v[48:49], v48 offset1:1
	v_fma_f32 v10, -v39, v50, v10
	s_waitcnt lgkmcnt(2)
	v_fma_f32 v32, -v17, v35, v32
	v_fma_f32 v35, -v18, v19, v31
	v_mul_f32_e32 v19, v51, v33
	v_fma_f32 v47, -v18, v60, v47
	ds_load_b128 v[59:62], v15 offset:1104
	v_fma_f32 v10, -v40, v56, v10
	ds_load_2addr_b32 v[55:56], v15 offset0:161 offset1:162
	v_fma_f32 v20, -v18, v20, v32
	v_fma_f32 v7, -v3, v86, v7
	;; [unrolled: 1-line block ×3, first 2 shown]
	s_waitcnt lgkmcnt(3)
	v_fma_f32 v10, -v41, v21, v10
	s_delay_alu instid0(VALU_DEP_2) | instskip(NEXT) | instid1(VALU_DEP_2)
	v_fma_f32 v6, -v3, v69, v6
	v_fma_f32 v10, -v42, v34, v10
	ds_load_b128 v[31:34], v15 offset:1120
	v_fma_f32 v10, -v16, v66, v10
	s_waitcnt lgkmcnt(2)
	v_fma_f32 v21, -v19, v59, v47
	v_fma_f32 v20, -v19, v61, v20
	s_delay_alu instid0(VALU_DEP_3) | instskip(NEXT) | instid1(VALU_DEP_3)
	v_fma_f32 v10, -v17, v36, v10
	v_mul_f32_e32 v47, v52, v21
	v_fma_f32 v21, -v19, v60, v35
	ds_load_2addr_b32 v[35:36], v73 offset0:51 offset1:69
	v_fma_f32 v60, -v3, v84, v9
	v_fma_f32 v59, -v47, v49, v20
	v_mov_b32_e32 v20, s6
	v_fma_f32 v48, -v47, v48, v21
	ds_load_2addr_b64 v[49:52], v15 offset0:163 offset1:164
	s_add_i32 s6, s3, 0x4bc
	v_fma_f32 v11, -v39, v11, v60
	ds_load_2addr_b32 v[20:21], v20 offset1:1
	v_mov_b32_e32 v27, s6
	s_add_i32 s6, s3, 0x57c
	v_fma_f32 v8, -v39, v12, v8
	v_fma_f32 v7, -v39, v13, v7
	;; [unrolled: 1-line block ×3, first 2 shown]
	s_delay_alu instid0(VALU_DEP_3) | instskip(NEXT) | instid1(VALU_DEP_3)
	v_fma_f32 v8, -v40, v58, v8
	v_fma_f32 v7, -v40, v75, v7
	s_delay_alu instid0(VALU_DEP_3)
	v_fma_f32 v6, -v40, v76, v6
	s_waitcnt lgkmcnt(2)
	v_mul_f32_e32 v48, v36, v48
	v_fma_f32 v8, -v41, v55, v8
	v_fma_f32 v7, -v41, v56, v7
	;; [unrolled: 1-line block ×3, first 2 shown]
	s_waitcnt lgkmcnt(1)
	v_fma_f32 v36, -v48, v49, v59
	v_mov_b32_e32 v59, s6
	s_add_i32 s6, s3, 0x404
	s_waitcnt lgkmcnt(0)
	v_fma_f32 v10, -v18, v20, v10
	v_fma_f32 v8, -v42, v44, v8
	;; [unrolled: 1-line block ×3, first 2 shown]
	s_delay_alu instid0(VALU_DEP_3)
	v_fma_f32 v20, -v19, v62, v10
	ds_load_2addr_b32 v[9:10], v73 offset0:94 offset1:99
	ds_load_2addr_b32 v[27:28], v27 offset1:1
	ds_load_b64 v[53:54], v15 offset:1320
	ds_load_2addr_b32 v[59:60], v59 offset1:1
	ds_load_2addr_b32 v[61:62], v73 offset0:119 offset1:144
	v_fma_f32 v8, -v16, v70, v8
	s_delay_alu instid0(VALU_DEP_1)
	v_fma_f32 v8, -v17, v38, v8
	s_waitcnt lgkmcnt(4)
	v_mul_f32_e32 v49, v9, v36
	v_fma_f32 v9, -v40, v57, v11
	s_waitcnt lgkmcnt(3)
	v_fma_f32 v11, -v47, v27, v20
	v_fma_f32 v27, -v16, v71, v7
	s_delay_alu instid0(VALU_DEP_3) | instskip(NEXT) | instid1(VALU_DEP_3)
	v_fma_f32 v9, -v41, v22, v9
	v_fma_f32 v11, -v48, v50, v11
	s_delay_alu instid0(VALU_DEP_3) | instskip(NEXT) | instid1(VALU_DEP_3)
	v_fma_f32 v27, -v17, v81, v27
	v_fma_f32 v9, -v42, v43, v9
	s_waitcnt lgkmcnt(1)
	s_delay_alu instid0(VALU_DEP_3) | instskip(NEXT) | instid1(VALU_DEP_2)
	v_fma_f32 v11, -v49, v59, v11
	v_fma_f32 v9, -v16, v67, v9
	s_waitcnt lgkmcnt(0)
	s_delay_alu instid0(VALU_DEP_2) | instskip(SKIP_1) | instid1(VALU_DEP_2)
	v_dual_mul_f32 v50, v61, v11 :: v_dual_mov_b32 v11, s6
	s_add_i32 s6, s3, 0x4c4
	v_fma_f32 v9, -v17, v37, v9
	v_mov_b32_e32 v13, s6
	ds_load_2addr_b32 v[11:12], v11 offset1:1
	s_add_i32 s6, s3, 0x584
	s_addk_i32 s3, 0x644
	v_fma_f32 v9, -v18, v21, v9
	ds_load_2addr_b32 v[13:14], v13 offset1:1
	v_dual_mov_b32 v20, s6 :: v_dual_mov_b32 v29, s3
	s_mul_i32 s3, s5, 0x64
	v_fma_f32 v9, -v19, v31, v9
	s_delay_alu instid0(VALU_DEP_1) | instskip(SKIP_1) | instid1(VALU_DEP_2)
	v_fma_f32 v22, -v47, v28, v9
	v_fma_f32 v28, -v42, v46, v6
	v_fma_f32 v22, -v48, v51, v22
	s_delay_alu instid0(VALU_DEP_2)
	v_fma_f32 v28, -v16, v74, v28
	s_waitcnt lgkmcnt(1)
	v_fma_f32 v11, -v18, v11, v8
	ds_load_b128 v[6:9], v15 offset:1504
	ds_load_2addr_b32 v[20:21], v20 offset1:1
	v_fma_f32 v27, -v18, v12, v27
	v_fma_f32 v22, -v49, v60, v22
	;; [unrolled: 1-line block ×4, first 2 shown]
	s_delay_alu instid0(VALU_DEP_2) | instskip(SKIP_1) | instid1(VALU_DEP_2)
	v_fma_f32 v30, -v18, v63, v28
	s_waitcnt lgkmcnt(2)
	v_fma_f32 v13, -v47, v13, v11
	ds_load_2addr_b32 v[11:12], v29 offset1:1
	v_fma_f32 v29, -v19, v33, v27
	ds_load_2addr_b32 v[27:28], v73 offset0:147 offset1:169
	v_fma_f32 v31, -v48, v52, v13
	v_fma_f32 v29, -v47, v14, v29
	ds_load_b64 v[13:14], v15 offset:1704
	v_fma_f32 v15, -v19, v34, v30
	s_waitcnt lgkmcnt(4)
	v_fma_f32 v6, -v50, v6, v22
	v_fma_f32 v22, -v48, v53, v29
	s_delay_alu instid0(VALU_DEP_3) | instskip(NEXT) | instid1(VALU_DEP_3)
	v_fma_f32 v15, -v47, v35, v15
	v_mul_f32_e32 v6, v62, v6
	s_waitcnt lgkmcnt(3)
	v_fma_f32 v20, -v49, v20, v31
	v_fma_f32 v22, -v49, v21, v22
	;; [unrolled: 1-line block ×3, first 2 shown]
	s_delay_alu instid0(VALU_DEP_3)
	v_fma_f32 v7, -v50, v7, v20
	ds_load_2addr_b32 v[20:21], v73 offset0:194 offset1:195
	v_fma_f32 v8, -v50, v8, v22
	v_fma_f32 v10, -v49, v10, v15
	s_waitcnt lgkmcnt(3)
	v_fma_f32 v7, -v6, v11, v7
	v_mov_b32_e32 v11, s3
	v_fma_f32 v8, -v6, v12, v8
	v_fma_f32 v9, -v50, v9, v10
	s_waitcnt lgkmcnt(2)
	v_mul_f32_e32 v7, v28, v7
	ds_load_b32 v10, v11
	v_fma_f32 v9, -v6, v27, v9
	s_waitcnt lgkmcnt(2)
	v_fma_f32 v8, -v7, v13, v8
	s_delay_alu instid0(VALU_DEP_2) | instskip(SKIP_1) | instid1(VALU_DEP_2)
	v_fma_f32 v9, -v7, v14, v9
	s_waitcnt lgkmcnt(1)
	v_mul_f32_e32 v8, v20, v8
	s_delay_alu instid0(VALU_DEP_1) | instskip(SKIP_1) | instid1(VALU_DEP_1)
	v_fma_f32 v9, -v8, v21, v9
	s_waitcnt lgkmcnt(0)
	v_mul_f32_e32 v9, v10, v9
	s_clause 0x4
	global_store_b128 v[4:5], v[0:3], off
	global_store_b128 v[4:5], v[39:42], off offset:16
	global_store_b128 v[4:5], v[16:19], off offset:32
	;; [unrolled: 1-line block ×4, first 2 shown]
.LBB29_43:
	s_cmp_ge_i32 s4, s2
	s_cbranch_scc1 .LBB29_54
; %bb.44:
	s_add_i32 s3, s4, -1
	s_lshl_b32 s6, s4, 2
	s_add_u32 s0, s8, s0
	s_addc_u32 s1, s9, s1
	v_add_co_u32 v6, vcc_lo, s0, v25
	v_add_co_ci_u32_e32 v7, vcc_lo, s1, v26, vcc_lo
	s_mov_b32 s1, 0
	s_delay_alu instid0(VALU_DEP_2) | instskip(NEXT) | instid1(VALU_DEP_2)
	v_add_co_u32 v0, vcc_lo, v6, 28
	v_add_co_ci_u32_e32 v1, vcc_lo, 0, v7, vcc_lo
	s_mov_b32 s8, s4
	s_mov_b32 s7, 0
	s_branch .LBB29_46
.LBB29_45:                              ;   in Loop: Header=BB29_46 Depth=1
	s_mul_i32 s0, s4, 0x64
	v_add_nc_u16 v5, s8, 1
	v_mov_b32_e32 v4, s0
	s_add_i32 s4, s4, 1
	s_add_i32 s7, s7, 1
	;; [unrolled: 1-line block ×3, first 2 shown]
	v_readfirstlane_b32 s8, v5
	ds_load_b32 v4, v4
	s_cmp_ge_i32 s4, s2
	s_waitcnt lgkmcnt(0)
	v_mul_f32_e32 v4, v4, v8
	global_store_b32 v[2:3], v4, off
	s_cbranch_scc1 .LBB29_54
.LBB29_46:                              ; =>This Loop Header: Depth=1
                                        ;     Child Loop BB29_49 Depth 2
                                        ;     Child Loop BB29_53 Depth 2
	s_ashr_i32 s5, s4, 31
	s_delay_alu instid0(SALU_CYCLE_1)
	s_lshl_b64 s[10:11], s[4:5], 2
	s_cmp_eq_u32 s4, 0
	v_add_co_u32 v2, vcc_lo, v23, s10
	v_add_co_ci_u32_e32 v3, vcc_lo, s11, v24, vcc_lo
	global_load_b32 v4, v[2:3], off
	s_waitcnt vmcnt(0)
	v_mul_f32_e32 v8, s15, v4
	s_cbranch_scc1 .LBB29_45
; %bb.47:                               ;   in Loop: Header=BB29_46 Depth=1
	s_add_i32 s0, s3, s7
	s_delay_alu instid0(SALU_CYCLE_1)
	s_cmp_lt_u32 s0, 7
	s_cbranch_scc1 .LBB29_51
; %bb.48:                               ;   in Loop: Header=BB29_46 Depth=1
	v_dual_mov_b32 v5, v1 :: v_dual_mov_b32 v4, v0
	s_and_b32 s0, s4, -8
	s_mov_b32 s5, 0
	s_mov_b32 s9, s6
	s_set_inst_prefetch_distance 0x1
	.p2align	6
.LBB29_49:                              ;   Parent Loop BB29_46 Depth=1
                                        ; =>  This Inner Loop Header: Depth=2
	s_clause 0x1
	global_load_b128 v[9:12], v[4:5], off offset:-28
	global_load_b128 v[13:16], v[4:5], off offset:-12
	v_mov_b32_e32 v25, s9
	v_add_co_u32 v4, vcc_lo, v4, 32
	v_add_co_ci_u32_e32 v5, vcc_lo, 0, v5, vcc_lo
	ds_load_2addr_b32 v[17:18], v25 offset1:24
	ds_load_2addr_b32 v[19:20], v25 offset0:48 offset1:72
	ds_load_2addr_b32 v[21:22], v25 offset0:96 offset1:120
	s_add_i32 s5, s5, 8
	s_addk_i32 s9, 0x300
	s_cmp_lg_u32 s0, s5
	s_waitcnt vmcnt(1) lgkmcnt(2)
	v_fma_f32 v8, -v9, v17, v8
	s_delay_alu instid0(VALU_DEP_1) | instskip(SKIP_3) | instid1(VALU_DEP_1)
	v_fma_f32 v10, -v10, v18, v8
	ds_load_2addr_b32 v[8:9], v25 offset0:144 offset1:168
	s_waitcnt lgkmcnt(2)
	v_fma_f32 v10, -v11, v19, v10
	v_fma_f32 v10, -v12, v20, v10
	s_waitcnt vmcnt(0) lgkmcnt(1)
	s_delay_alu instid0(VALU_DEP_1) | instskip(NEXT) | instid1(VALU_DEP_1)
	v_fma_f32 v10, -v13, v21, v10
	v_fma_f32 v10, -v14, v22, v10
	s_waitcnt lgkmcnt(0)
	s_delay_alu instid0(VALU_DEP_1) | instskip(NEXT) | instid1(VALU_DEP_1)
	v_fma_f32 v8, -v15, v8, v10
	v_fma_f32 v8, -v16, v9, v8
	s_cbranch_scc1 .LBB29_49
; %bb.50:                               ;   in Loop: Header=BB29_46 Depth=1
	s_set_inst_prefetch_distance 0x2
	s_and_b32 s5, s4, 7
	s_delay_alu instid0(SALU_CYCLE_1)
	s_cmp_eq_u32 s5, 0
	s_cbranch_scc0 .LBB29_52
	s_branch .LBB29_45
.LBB29_51:                              ;   in Loop: Header=BB29_46 Depth=1
	s_mov_b32 s0, 0
	s_and_b32 s5, s4, 7
	s_delay_alu instid0(SALU_CYCLE_1)
	s_cmp_eq_u32 s5, 0
	s_cbranch_scc1 .LBB29_45
.LBB29_52:                              ;   in Loop: Header=BB29_46 Depth=1
	s_lshl_b64 s[10:11], s[0:1], 2
	s_and_b32 s5, s8, 7
	v_add_co_u32 v4, vcc_lo, v6, s10
	v_add_co_ci_u32_e32 v5, vcc_lo, s11, v7, vcc_lo
	s_mulk_i32 s0, 0x60
.LBB29_53:                              ;   Parent Loop BB29_46 Depth=1
                                        ; =>  This Inner Loop Header: Depth=2
	global_load_b32 v9, v[4:5], off
	s_add_i32 s9, s6, s0
	v_add_co_u32 v4, vcc_lo, v4, 4
	v_mov_b32_e32 v10, s9
	v_add_co_ci_u32_e32 v5, vcc_lo, 0, v5, vcc_lo
	s_add_i32 s5, s5, -1
	s_addk_i32 s0, 0x60
	ds_load_b32 v10, v10
	s_cmp_lg_u32 s5, 0
	s_waitcnt vmcnt(0) lgkmcnt(0)
	v_fma_f32 v8, -v9, v10, v8
	s_cbranch_scc1 .LBB29_53
	s_branch .LBB29_45
.LBB29_54:
	s_nop 0
	s_sendmsg sendmsg(MSG_DEALLOC_VGPRS)
	s_endpgm
	.section	.rodata,"a",@progbits
	.p2align	6, 0x0
	.amdhsa_kernel _ZL30rocblas_trsm_small_left_deviceILi24ELi24ELb1EffPKPKfPKPfEv13rocblas_fill_18rocblas_operation_17rocblas_diagonal_iiT3_T4_lilT5_lili
		.amdhsa_group_segment_fixed_size 2304
		.amdhsa_private_segment_fixed_size 0
		.amdhsa_kernarg_size 352
		.amdhsa_user_sgpr_count 14
		.amdhsa_user_sgpr_dispatch_ptr 0
		.amdhsa_user_sgpr_queue_ptr 0
		.amdhsa_user_sgpr_kernarg_segment_ptr 1
		.amdhsa_user_sgpr_dispatch_id 0
		.amdhsa_user_sgpr_private_segment_size 0
		.amdhsa_wavefront_size32 1
		.amdhsa_uses_dynamic_stack 0
		.amdhsa_enable_private_segment 0
		.amdhsa_system_sgpr_workgroup_id_x 1
		.amdhsa_system_sgpr_workgroup_id_y 0
		.amdhsa_system_sgpr_workgroup_id_z 1
		.amdhsa_system_sgpr_workgroup_info 0
		.amdhsa_system_vgpr_workitem_id 0
		.amdhsa_next_free_vgpr 101
		.amdhsa_next_free_sgpr 63
		.amdhsa_reserve_vcc 1
		.amdhsa_float_round_mode_32 0
		.amdhsa_float_round_mode_16_64 0
		.amdhsa_float_denorm_mode_32 3
		.amdhsa_float_denorm_mode_16_64 3
		.amdhsa_dx10_clamp 1
		.amdhsa_ieee_mode 1
		.amdhsa_fp16_overflow 0
		.amdhsa_workgroup_processor_mode 1
		.amdhsa_memory_ordered 1
		.amdhsa_forward_progress 0
		.amdhsa_shared_vgpr_count 0
		.amdhsa_exception_fp_ieee_invalid_op 0
		.amdhsa_exception_fp_denorm_src 0
		.amdhsa_exception_fp_ieee_div_zero 0
		.amdhsa_exception_fp_ieee_overflow 0
		.amdhsa_exception_fp_ieee_underflow 0
		.amdhsa_exception_fp_ieee_inexact 0
		.amdhsa_exception_int_div_zero 0
	.end_amdhsa_kernel
	.section	.text._ZL30rocblas_trsm_small_left_deviceILi24ELi24ELb1EffPKPKfPKPfEv13rocblas_fill_18rocblas_operation_17rocblas_diagonal_iiT3_T4_lilT5_lili,"axG",@progbits,_ZL30rocblas_trsm_small_left_deviceILi24ELi24ELb1EffPKPKfPKPfEv13rocblas_fill_18rocblas_operation_17rocblas_diagonal_iiT3_T4_lilT5_lili,comdat
.Lfunc_end29:
	.size	_ZL30rocblas_trsm_small_left_deviceILi24ELi24ELb1EffPKPKfPKPfEv13rocblas_fill_18rocblas_operation_17rocblas_diagonal_iiT3_T4_lilT5_lili, .Lfunc_end29-_ZL30rocblas_trsm_small_left_deviceILi24ELi24ELb1EffPKPKfPKPfEv13rocblas_fill_18rocblas_operation_17rocblas_diagonal_iiT3_T4_lilT5_lili
                                        ; -- End function
	.section	.AMDGPU.csdata,"",@progbits
; Kernel info:
; codeLenInByte = 20304
; NumSgprs: 65
; NumVgprs: 101
; ScratchSize: 0
; MemoryBound: 0
; FloatMode: 240
; IeeeMode: 1
; LDSByteSize: 2304 bytes/workgroup (compile time only)
; SGPRBlocks: 8
; VGPRBlocks: 12
; NumSGPRsForWavesPerEU: 65
; NumVGPRsForWavesPerEU: 101
; Occupancy: 12
; WaveLimiterHint : 1
; COMPUTE_PGM_RSRC2:SCRATCH_EN: 0
; COMPUTE_PGM_RSRC2:USER_SGPR: 14
; COMPUTE_PGM_RSRC2:TRAP_HANDLER: 0
; COMPUTE_PGM_RSRC2:TGID_X_EN: 1
; COMPUTE_PGM_RSRC2:TGID_Y_EN: 0
; COMPUTE_PGM_RSRC2:TGID_Z_EN: 1
; COMPUTE_PGM_RSRC2:TIDIG_COMP_CNT: 0
	.section	.text._ZL31rocblas_trsm_small_right_deviceIffPKPKfPKPfLi24EEv13rocblas_fill_18rocblas_operation_17rocblas_diagonal_iiT0_T1_lilT2_lili,"axG",@progbits,_ZL31rocblas_trsm_small_right_deviceIffPKPKfPKPfLi24EEv13rocblas_fill_18rocblas_operation_17rocblas_diagonal_iiT0_T1_lilT2_lili,comdat
	.globl	_ZL31rocblas_trsm_small_right_deviceIffPKPKfPKPfLi24EEv13rocblas_fill_18rocblas_operation_17rocblas_diagonal_iiT0_T1_lilT2_lili ; -- Begin function _ZL31rocblas_trsm_small_right_deviceIffPKPKfPKPfLi24EEv13rocblas_fill_18rocblas_operation_17rocblas_diagonal_iiT0_T1_lilT2_lili
	.p2align	8
	.type	_ZL31rocblas_trsm_small_right_deviceIffPKPKfPKPfLi24EEv13rocblas_fill_18rocblas_operation_17rocblas_diagonal_iiT0_T1_lilT2_lili,@function
_ZL31rocblas_trsm_small_right_deviceIffPKPKfPKPfLi24EEv13rocblas_fill_18rocblas_operation_17rocblas_diagonal_iiT0_T1_lilT2_lili: ; @_ZL31rocblas_trsm_small_right_deviceIffPKPKfPKPfLi24EEv13rocblas_fill_18rocblas_operation_17rocblas_diagonal_iiT0_T1_lilT2_lili
; %bb.0:
	s_clause 0x1
	s_load_b128 s[8:11], s[0:1], 0x38
	s_load_b64 s[12:13], s[0:1], 0x10
	s_mov_b32 s20, s15
	s_mov_b32 s21, 0
	s_mov_b32 s15, exec_lo
	s_lshl_b64 s[22:23], s[20:21], 3
	s_waitcnt lgkmcnt(0)
	s_add_u32 s2, s8, s22
	s_addc_u32 s3, s9, s23
	s_load_b128 s[4:7], s[0:1], 0x0
	s_load_b64 s[2:3], s[2:3], 0x0
	s_min_i32 s20, s12, 24
	s_delay_alu instid0(SALU_CYCLE_1)
	s_add_i32 s28, s20, -1
	v_cmpx_gt_i32_e64 s20, v0
	s_cbranch_execz .LBB30_9
; %bb.1:
	s_clause 0x1
	s_load_b32 s8, s[0:1], 0x28
	s_load_b128 s[16:19], s[0:1], 0x18
	s_waitcnt lgkmcnt(0)
	s_ashr_i32 s9, s8, 31
	s_add_u32 s16, s16, s22
	s_addc_u32 s17, s17, s23
	s_cmp_lt_u32 s28, 3
	s_load_b64 s[16:17], s[16:17], 0x0
	s_cbranch_scc1 .LBB30_4
; %bb.2:
	v_lshlrev_b32_e32 v3, 2, v0
	s_lshl_b64 s[22:23], s[18:19], 2
	s_mul_hi_i32 s29, s8, 12
	s_waitcnt lgkmcnt(0)
	s_add_u32 s21, s16, s22
	s_addc_u32 s22, s17, s23
	v_add_co_u32 v1, s21, s21, v3
	s_delay_alu instid0(VALU_DEP_1)
	v_add_co_ci_u32_e64 v2, null, s22, 0, s21
	s_and_b32 s21, s20, -4
	s_mul_i32 s30, s8, 12
	s_lshl_b64 s[22:23], s[8:9], 4
	s_lshl_b64 s[24:25], s[8:9], 3
	;; [unrolled: 1-line block ×3, first 2 shown]
	s_mov_b32 s31, 0
	.p2align	6
.LBB30_3:                               ; =>This Inner Loop Header: Depth=1
	v_add_co_u32 v4, vcc_lo, v1, s26
	v_add_co_ci_u32_e32 v5, vcc_lo, s27, v2, vcc_lo
	v_add_co_u32 v6, vcc_lo, v1, s24
	v_add_co_ci_u32_e32 v7, vcc_lo, s25, v2, vcc_lo
	;; [unrolled: 2-line block ×3, first 2 shown]
	s_clause 0x3
	global_load_b32 v10, v[1:2], off
	global_load_b32 v4, v[4:5], off
	;; [unrolled: 1-line block ×4, first 2 shown]
	v_add_co_u32 v1, vcc_lo, v1, s22
	v_add_co_ci_u32_e32 v2, vcc_lo, s23, v2, vcc_lo
	s_add_i32 s31, s31, 4
	s_waitcnt vmcnt(2)
	ds_store_2addr_b32 v3, v10, v4 offset1:24
	s_waitcnt vmcnt(0)
	ds_store_2addr_b32 v3, v5, v6 offset0:48 offset1:72
	v_add_nc_u32_e32 v3, 0x180, v3
	s_cmp_eq_u32 s21, s31
	s_cbranch_scc0 .LBB30_3
.LBB30_4:
	s_and_b32 s22, s20, 3
	s_delay_alu instid0(SALU_CYCLE_1)
	s_cmp_eq_u32 s22, 0
	s_cbranch_scc1 .LBB30_7
; %bb.5:
	s_mul_i32 s23, s9, s21
	s_mul_hi_u32 s24, s8, s21
	s_lshl_b64 s[18:19], s[18:19], 2
	s_add_i32 s25, s24, s23
	s_mul_i32 s24, s8, s21
	v_lshlrev_b32_e32 v1, 2, v0
	s_lshl_b64 s[24:25], s[24:25], 2
	s_mulk_i32 s21, 0x60
	s_add_u32 s18, s24, s18
	s_addc_u32 s19, s25, s19
	s_waitcnt lgkmcnt(0)
	s_add_u32 s16, s16, s18
	s_addc_u32 s17, s17, s19
	v_add_co_u32 v1, s16, s16, v1
	v_lshl_add_u32 v3, v0, 2, s21
	v_add_co_ci_u32_e64 v2, null, s17, 0, s16
	s_lshl_b64 s[8:9], s[8:9], 2
.LBB30_6:                               ; =>This Inner Loop Header: Depth=1
	global_load_b32 v4, v[1:2], off
	v_add_co_u32 v1, vcc_lo, v1, s8
	v_add_co_ci_u32_e32 v2, vcc_lo, s9, v2, vcc_lo
	s_add_i32 s22, s22, -1
	s_delay_alu instid0(SALU_CYCLE_1)
	s_cmp_lg_u32 s22, 0
	s_waitcnt vmcnt(0)
	ds_store_b32 v3, v4
	v_add_nc_u32_e32 v3, 0x60, v3
	s_cbranch_scc1 .LBB30_6
.LBB30_7:
	s_cmpk_eq_i32 s6, 0x84
	s_cbranch_scc0 .LBB30_9
; %bb.8:
	v_mul_u32_u24_e32 v1, 25, v0
	s_delay_alu instid0(VALU_DEP_1)
	v_dual_mov_b32 v2, 1.0 :: v_dual_lshlrev_b32 v1, 2, v1
	ds_store_b32 v1, v2
.LBB30_9:
	s_or_b32 exec_lo, exec_lo, s15
	s_waitcnt lgkmcnt(0)
	s_clause 0x1
	s_load_b32 s6, s[0:1], 0x60
	s_load_b32 s0, s[0:1], 0x48
	s_lshl_b64 s[8:9], s[10:11], 2
	s_mul_i32 s11, s14, 0xffffffe8
	s_add_u32 s1, s2, s8
	s_addc_u32 s10, s3, s9
	s_add_i32 s11, s11, s7
	s_mul_i32 s16, s14, 0x60
	s_mul_hi_i32 s17, s14, 0x60
	s_mov_b32 s23, 0
	s_waitcnt lgkmcnt(0)
	s_add_i32 s6, s6, -1
	s_delay_alu instid0(SALU_CYCLE_1)
	s_cmp_ge_u32 s14, s6
	s_cselect_b32 s6, s11, 24
	s_add_u32 s18, s1, s16
	s_addc_u32 s19, s10, s17
	v_cmp_gt_i32_e32 vcc_lo, s6, v0
	s_cmp_gt_i32 s12, 0
	s_cselect_b32 s1, -1, 0
	s_delay_alu instid0(SALU_CYCLE_1) | instskip(NEXT) | instid1(SALU_CYCLE_1)
	s_and_b32 s21, vcc_lo, s1
	s_and_saveexec_b32 s22, s21
	s_cbranch_execz .LBB30_16
; %bb.10:
	s_ashr_i32 s1, s0, 31
	s_cmp_lt_u32 s12, 4
	s_cbranch_scc1 .LBB30_13
; %bb.11:
	v_lshlrev_b32_e32 v1, 2, v0
	v_lshl_or_b32 v3, v0, 2, 0x900
	s_and_b32 s23, s12, 0x7ffffffc
	s_mul_hi_i32 s24, s0, 12
	s_mul_i32 s25, s0, 12
	v_add_co_u32 v1, s6, s18, v1
	s_delay_alu instid0(VALU_DEP_1)
	v_add_co_ci_u32_e64 v2, null, s19, 0, s6
	s_lshl_b64 s[6:7], s[0:1], 4
	s_lshl_b64 s[10:11], s[0:1], 3
	;; [unrolled: 1-line block ×3, first 2 shown]
	s_mov_b32 s26, 0
	s_set_inst_prefetch_distance 0x1
	.p2align	6
.LBB30_12:                              ; =>This Inner Loop Header: Depth=1
	v_add_co_u32 v4, vcc_lo, v1, s14
	v_add_co_ci_u32_e32 v5, vcc_lo, s15, v2, vcc_lo
	v_add_co_u32 v6, vcc_lo, v1, s10
	v_add_co_ci_u32_e32 v7, vcc_lo, s11, v2, vcc_lo
	;; [unrolled: 2-line block ×3, first 2 shown]
	s_clause 0x3
	global_load_b32 v10, v[1:2], off
	global_load_b32 v4, v[4:5], off
	global_load_b32 v5, v[6:7], off
	global_load_b32 v6, v[8:9], off
	v_add_co_u32 v1, vcc_lo, v1, s6
	v_add_co_ci_u32_e32 v2, vcc_lo, s7, v2, vcc_lo
	s_add_i32 s26, s26, 4
	s_delay_alu instid0(SALU_CYCLE_1)
	s_cmp_lg_u32 s23, s26
	s_waitcnt vmcnt(2)
	v_dual_mul_f32 v7, s13, v10 :: v_dual_mul_f32 v4, s13, v4
	s_waitcnt vmcnt(0)
	v_dual_mul_f32 v5, s13, v5 :: v_dual_mul_f32 v6, s13, v6
	ds_store_2addr_b32 v3, v7, v4 offset1:24
	ds_store_2addr_b32 v3, v5, v6 offset0:48 offset1:72
	v_add_nc_u32_e32 v3, 0x180, v3
	s_cbranch_scc1 .LBB30_12
.LBB30_13:
	s_set_inst_prefetch_distance 0x2
	s_and_b32 s10, s12, 3
	s_delay_alu instid0(SALU_CYCLE_1)
	s_cmp_eq_u32 s10, 0
	s_cbranch_scc1 .LBB30_16
; %bb.14:
	s_mul_hi_i32 s7, s0, s23
	s_mul_i32 s6, s0, s23
	v_lshlrev_b32_e32 v1, 2, v0
	s_lshl_b64 s[6:7], s[6:7], 2
	s_mul_i32 s11, s23, 0x60
	s_add_u32 s6, s6, s16
	s_addc_u32 s7, s7, s17
	s_add_u32 s6, s6, s8
	s_addc_u32 s7, s7, s9
	s_add_u32 s6, s2, s6
	v_add3_u32 v3, s11, v1, 0x900
	s_addc_u32 s7, s3, s7
	v_add_co_u32 v1, s6, s6, v1
	s_delay_alu instid0(VALU_DEP_1)
	v_add_co_ci_u32_e64 v2, null, s7, 0, s6
	s_lshl_b64 s[6:7], s[0:1], 2
.LBB30_15:                              ; =>This Inner Loop Header: Depth=1
	global_load_b32 v4, v[1:2], off
	v_add_co_u32 v1, vcc_lo, v1, s6
	v_add_co_ci_u32_e32 v2, vcc_lo, s7, v2, vcc_lo
	s_add_i32 s10, s10, -1
	s_delay_alu instid0(SALU_CYCLE_1)
	s_cmp_lg_u32 s10, 0
	s_waitcnt vmcnt(0)
	v_mul_f32_e32 v4, s13, v4
	ds_store_b32 v3, v4
	v_add_nc_u32_e32 v3, 0x60, v3
	s_cbranch_scc1 .LBB30_15
.LBB30_16:
	s_or_b32 exec_lo, exec_lo, s22
	s_cmpk_eq_i32 s5, 0x6f
	s_waitcnt lgkmcnt(0)
	s_cselect_b32 s1, -1, 0
	s_cmpk_eq_i32 s4, 0x79
	; wave barrier
	buffer_gl0_inv
	s_cselect_b32 s6, -1, 0
	s_cmpk_lg_i32 s4, 0x79
	s_cselect_b32 s5, -1, 0
	s_and_b32 s6, s6, s1
	s_delay_alu instid0(SALU_CYCLE_1)
	s_and_not1_b32 vcc_lo, exec_lo, s6
	s_mov_b32 s6, -1
	s_cbranch_vccz .LBB30_80
; %bb.17:
	s_cmpk_lg_i32 s4, 0x7a
	s_cselect_b32 s4, -1, 0
	s_xor_b32 s1, s1, -1
	s_delay_alu instid0(SALU_CYCLE_1)
	s_or_b32 s4, s4, s1
	s_cmp_gt_i32 s12, 3
	s_cselect_b32 s1, -1, 0
	s_and_b32 vcc_lo, exec_lo, s4
	s_mov_b32 s4, -1
	s_cbranch_vccz .LBB30_59
; %bb.18:
	s_and_not1_b32 vcc_lo, exec_lo, s5
	s_cbranch_vccnz .LBB30_38
; %bb.19:
	s_and_not1_b32 vcc_lo, exec_lo, s1
	s_mov_b32 s6, 0
	s_cbranch_vccnz .LBB30_26
; %bb.20:
	v_lshl_or_b32 v3, v0, 2, 0x900
	s_mov_b32 s4, 0
	s_mov_b32 s5, 0
.LBB30_21:                              ; =>This Loop Header: Depth=1
                                        ;     Child Loop BB30_23 Depth 2
	s_delay_alu instid0(SALU_CYCLE_1) | instskip(NEXT) | instid1(SALU_CYCLE_1)
	s_mul_i32 s7, s5, 24
	s_add_i32 s6, s7, 48
	v_add_lshl_u32 v4, s7, v0, 2
	v_add_lshl_u32 v6, s6, v0, 2
	s_add_i32 s6, s7, 24
	s_cmp_eq_u32 s5, 0
	v_add_lshl_u32 v5, s6, v0, 2
	s_delay_alu instid0(VALU_DEP_2)
	v_add_nc_u32_e32 v1, 0x800, v6
	ds_load_b32 v8, v4 offset:2304
	ds_load_b32 v7, v5 offset:2304
	ds_load_2addr_b32 v[1:2], v1 offset0:64 offset1:88
	s_cbranch_scc1 .LBB30_24
; %bb.22:                               ;   in Loop: Header=BB30_21 Depth=1
	v_mov_b32_e32 v9, v3
	s_mov_b32 s7, 0
	s_mov_b32 s10, s4
.LBB30_23:                              ;   Parent Loop BB30_21 Depth=1
                                        ; =>  This Inner Loop Header: Depth=2
	s_delay_alu instid0(SALU_CYCLE_1)
	v_mov_b32_e32 v22, s10
	s_add_i32 s7, s7, 4
	s_addk_i32 s10, 0x180
	s_cmp_ge_u32 s7, s5
	ds_load_2addr_b32 v[26:27], v9 offset1:24
	ds_load_b128 v[10:13], v22
	ds_load_b128 v[14:17], v22 offset:96
	ds_load_2addr_b32 v[28:29], v9 offset0:48 offset1:72
	ds_load_b128 v[18:21], v22 offset:192
	ds_load_b128 v[22:25], v22 offset:288
	v_add_nc_u32_e32 v9, 0x180, v9
	s_waitcnt lgkmcnt(4)
	v_fma_f32 v8, -v26, v10, v8
	v_fma_f32 v7, -v26, v11, v7
	v_fma_f32 v1, -v26, v12, v1
	v_fma_f32 v2, -v26, v13, v2
	s_waitcnt lgkmcnt(3)
	v_fma_f32 v8, -v27, v14, v8
	v_fma_f32 v7, -v27, v15, v7
	v_fma_f32 v1, -v27, v16, v1
	v_fma_f32 v2, -v27, v17, v2
	;; [unrolled: 5-line block ×4, first 2 shown]
	s_cbranch_scc0 .LBB30_23
.LBB30_24:                              ;   in Loop: Header=BB30_21 Depth=1
	s_mul_i32 s7, s5, 0x64
	s_delay_alu instid0(SALU_CYCLE_1)
	v_dual_mov_b32 v15, s7 :: v_dual_add_nc_u32 v4, 0x900, v4
	s_add_i32 s6, s6, s5
	s_add_i32 s4, s4, 16
	s_lshl_b32 s6, s6, 2
	ds_load_b128 v[9:12], v15
	ds_load_2addr_b32 v[13:14], v15 offset0:25 offset1:26
	s_waitcnt lgkmcnt(1)
	v_div_scale_f32 v16, null, v9, v9, v8
	v_div_scale_f32 v19, vcc_lo, v8, v9, v8
	s_delay_alu instid0(VALU_DEP_2) | instskip(SKIP_2) | instid1(VALU_DEP_1)
	v_rcp_f32_e32 v17, v16
	s_waitcnt_depctr 0xfff
	v_fma_f32 v18, -v16, v17, 1.0
	v_dual_fmac_f32 v17, v18, v17 :: v_dual_add_nc_u32 v6, 0x900, v6
	s_delay_alu instid0(VALU_DEP_1) | instskip(NEXT) | instid1(VALU_DEP_1)
	v_mul_f32_e32 v18, v19, v17
	v_fma_f32 v20, -v16, v18, v19
	s_delay_alu instid0(VALU_DEP_1) | instskip(NEXT) | instid1(VALU_DEP_1)
	v_fmac_f32_e32 v18, v20, v17
	v_fma_f32 v16, -v16, v18, v19
	s_delay_alu instid0(VALU_DEP_1) | instskip(NEXT) | instid1(VALU_DEP_1)
	v_div_fmas_f32 v16, v16, v17, v18
	v_div_fixup_f32 v9, v16, v9, v8
	s_delay_alu instid0(VALU_DEP_1)
	v_fma_f32 v10, -v9, v10, v7
	v_fma_f32 v1, -v9, v11, v1
	;; [unrolled: 1-line block ×3, first 2 shown]
	ds_load_b32 v11, v15 offset:300
	s_waitcnt lgkmcnt(1)
	v_div_scale_f32 v16, null, v13, v13, v10
	v_div_scale_f32 v18, vcc_lo, v10, v13, v10
	s_delay_alu instid0(VALU_DEP_2) | instskip(SKIP_2) | instid1(VALU_DEP_1)
	v_rcp_f32_e32 v17, v16
	s_waitcnt_depctr 0xfff
	v_fma_f32 v7, -v16, v17, 1.0
	v_fmac_f32_e32 v17, v7, v17
	s_delay_alu instid0(VALU_DEP_1) | instskip(NEXT) | instid1(VALU_DEP_1)
	v_mul_f32_e32 v19, v18, v17
	v_fma_f32 v7, -v16, v19, v18
	s_delay_alu instid0(VALU_DEP_1) | instskip(SKIP_2) | instid1(VALU_DEP_1)
	v_fmac_f32_e32 v19, v7, v17
	ds_load_b64 v[7:8], v15 offset:200
	v_fma_f32 v16, -v16, v19, v18
	v_div_fmas_f32 v16, v16, v17, v19
	s_delay_alu instid0(VALU_DEP_1) | instskip(NEXT) | instid1(VALU_DEP_1)
	v_div_fixup_f32 v10, v16, v13, v10
	v_fma_f32 v1, -v10, v14, v1
	s_waitcnt lgkmcnt(0)
	s_delay_alu instid0(VALU_DEP_1) | instskip(SKIP_1) | instid1(VALU_DEP_2)
	v_div_scale_f32 v13, null, v7, v7, v1
	v_div_scale_f32 v16, vcc_lo, v1, v7, v1
	v_rcp_f32_e32 v14, v13
	s_waitcnt_depctr 0xfff
	v_fma_f32 v15, -v13, v14, 1.0
	s_delay_alu instid0(VALU_DEP_1) | instskip(SKIP_3) | instid1(SALU_CYCLE_1)
	v_dual_fmac_f32 v14, v15, v14 :: v_dual_add_nc_u32 v5, 0x900, v5
	v_mov_b32_e32 v15, s6
	s_add_i32 s6, s5, 4
	s_add_i32 s5, s5, 7
	s_cmp_ge_i32 s5, s20
	v_mul_f32_e32 v17, v16, v14
	ds_load_b32 v15, v15 offset:12
	v_fma_f32 v18, -v13, v17, v16
	s_delay_alu instid0(VALU_DEP_1) | instskip(NEXT) | instid1(VALU_DEP_1)
	v_fmac_f32_e32 v17, v18, v14
	v_fma_f32 v13, -v13, v17, v16
	s_delay_alu instid0(VALU_DEP_1) | instskip(SKIP_2) | instid1(VALU_DEP_2)
	v_div_fmas_f32 v12, v13, v14, v17
	s_waitcnt lgkmcnt(0)
	v_fma_f32 v2, -v10, v15, v2
	v_div_fixup_f32 v1, v12, v7, v1
	s_delay_alu instid0(VALU_DEP_1) | instskip(NEXT) | instid1(VALU_DEP_1)
	v_fma_f32 v2, -v1, v8, v2
	v_div_scale_f32 v7, null, v11, v11, v2
	v_div_scale_f32 v13, vcc_lo, v2, v11, v2
	s_delay_alu instid0(VALU_DEP_2) | instskip(SKIP_2) | instid1(VALU_DEP_1)
	v_rcp_f32_e32 v8, v7
	s_waitcnt_depctr 0xfff
	v_fma_f32 v12, -v7, v8, 1.0
	v_fmac_f32_e32 v8, v12, v8
	s_delay_alu instid0(VALU_DEP_1) | instskip(NEXT) | instid1(VALU_DEP_1)
	v_mul_f32_e32 v12, v13, v8
	v_fma_f32 v14, -v7, v12, v13
	s_delay_alu instid0(VALU_DEP_1) | instskip(NEXT) | instid1(VALU_DEP_1)
	v_fmac_f32_e32 v12, v14, v8
	v_fma_f32 v7, -v7, v12, v13
	s_delay_alu instid0(VALU_DEP_1) | instskip(NEXT) | instid1(VALU_DEP_1)
	v_div_fmas_f32 v7, v7, v8, v12
	v_div_fixup_f32 v2, v7, v11, v2
	ds_store_b32 v4, v9
	ds_store_b32 v5, v10
	ds_store_2addr_b32 v6, v1, v2 offset1:24
	s_cbranch_scc1 .LBB30_26
; %bb.25:                               ;   in Loop: Header=BB30_21 Depth=1
	s_mov_b32 s5, s6
	s_branch .LBB30_21
.LBB30_26:
	s_cmp_ge_i32 s6, s20
	s_cbranch_scc1 .LBB30_37
; %bb.27:
	v_lshl_or_b32 v1, v0, 2, 0x900
	s_add_i32 s4, s6, -1
	s_lshl_b32 s5, s6, 2
	s_mov_b32 s7, 0
	s_mov_b32 s10, s6
	s_branch .LBB30_29
.LBB30_28:                              ;   in Loop: Header=BB30_29 Depth=1
	s_mul_i32 s11, s6, 0x64
	s_delay_alu instid0(SALU_CYCLE_1)
	v_dual_mov_b32 v4, s11 :: v_dual_add_nc_u32 v3, 0x900, v3
	s_add_i32 s6, s6, 1
	s_add_i32 s7, s7, 1
	;; [unrolled: 1-line block ×3, first 2 shown]
	s_cmp_ge_i32 s6, s20
	ds_load_b32 v4, v4
	s_waitcnt lgkmcnt(0)
	v_div_scale_f32 v5, null, v4, v4, v2
	v_div_scale_f32 v8, vcc_lo, v2, v4, v2
	s_delay_alu instid0(VALU_DEP_2) | instskip(SKIP_2) | instid1(VALU_DEP_1)
	v_rcp_f32_e32 v6, v5
	s_waitcnt_depctr 0xfff
	v_fma_f32 v7, -v5, v6, 1.0
	v_fmac_f32_e32 v6, v7, v6
	s_delay_alu instid0(VALU_DEP_1) | instskip(NEXT) | instid1(VALU_DEP_1)
	v_mul_f32_e32 v7, v8, v6
	v_fma_f32 v9, -v5, v7, v8
	s_delay_alu instid0(VALU_DEP_1) | instskip(NEXT) | instid1(VALU_DEP_1)
	v_fmac_f32_e32 v7, v9, v6
	v_fma_f32 v5, -v5, v7, v8
	s_delay_alu instid0(VALU_DEP_1) | instskip(SKIP_1) | instid1(VALU_DEP_2)
	v_div_fmas_f32 v5, v5, v6, v7
	v_add_nc_u16 v6, s10, 1
	v_div_fixup_f32 v2, v5, v4, v2
	s_delay_alu instid0(VALU_DEP_2)
	v_readfirstlane_b32 s10, v6
	ds_store_b32 v3, v2
	s_cbranch_scc1 .LBB30_37
.LBB30_29:                              ; =>This Loop Header: Depth=1
                                        ;     Child Loop BB30_32 Depth 2
                                        ;     Child Loop BB30_36 Depth 2
	s_mul_i32 s11, s6, 24
	s_cmp_eq_u32 s6, 0
	v_add_lshl_u32 v3, s11, v0, 2
	ds_load_b32 v2, v3 offset:2304
	s_cbranch_scc1 .LBB30_28
; %bb.30:                               ;   in Loop: Header=BB30_29 Depth=1
	s_add_i32 s11, s4, s7
	s_delay_alu instid0(SALU_CYCLE_1)
	s_cmp_lt_u32 s11, 7
	s_cbranch_scc1 .LBB30_34
; %bb.31:                               ;   in Loop: Header=BB30_29 Depth=1
	v_mov_b32_e32 v4, v1
	s_and_b32 s11, s6, -8
	s_mov_b32 s13, 0
	s_mov_b32 s14, s5
	s_set_inst_prefetch_distance 0x1
	.p2align	6
.LBB30_32:                              ;   Parent Loop BB30_29 Depth=1
                                        ; =>  This Inner Loop Header: Depth=2
	v_mov_b32_e32 v17, s14
	s_add_i32 s13, s13, 8
	s_addk_i32 s14, 0x300
	s_cmp_eq_u32 s11, s13
	ds_load_2addr_b32 v[5:6], v4 offset1:24
	ds_load_2addr_b32 v[7:8], v17 offset1:24
	ds_load_2addr_b32 v[9:10], v4 offset0:48 offset1:72
	ds_load_2addr_b32 v[11:12], v17 offset0:48 offset1:72
	;; [unrolled: 1-line block ×4, first 2 shown]
	s_waitcnt lgkmcnt(4)
	v_fma_f32 v2, -v5, v7, v2
	s_delay_alu instid0(VALU_DEP_1)
	v_fma_f32 v2, -v6, v8, v2
	ds_load_2addr_b32 v[5:6], v4 offset0:144 offset1:168
	ds_load_2addr_b32 v[7:8], v17 offset0:144 offset1:168
	v_add_nc_u32_e32 v4, 0x300, v4
	s_waitcnt lgkmcnt(4)
	v_fma_f32 v2, -v9, v11, v2
	s_delay_alu instid0(VALU_DEP_1) | instskip(SKIP_1) | instid1(VALU_DEP_1)
	v_fma_f32 v2, -v10, v12, v2
	s_waitcnt lgkmcnt(2)
	v_fma_f32 v2, -v13, v15, v2
	s_delay_alu instid0(VALU_DEP_1) | instskip(SKIP_1) | instid1(VALU_DEP_1)
	v_fma_f32 v2, -v14, v16, v2
	s_waitcnt lgkmcnt(0)
	v_fma_f32 v2, -v5, v7, v2
	s_delay_alu instid0(VALU_DEP_1)
	v_fma_f32 v2, -v6, v8, v2
	s_cbranch_scc0 .LBB30_32
; %bb.33:                               ;   in Loop: Header=BB30_29 Depth=1
	s_set_inst_prefetch_distance 0x2
	s_and_b32 s13, s6, 7
	s_delay_alu instid0(SALU_CYCLE_1)
	s_cmp_eq_u32 s13, 0
	s_cbranch_scc0 .LBB30_35
	s_branch .LBB30_28
.LBB30_34:                              ;   in Loop: Header=BB30_29 Depth=1
	s_mov_b32 s11, 0
	s_and_b32 s13, s6, 7
	s_delay_alu instid0(SALU_CYCLE_1)
	s_cmp_eq_u32 s13, 0
	s_cbranch_scc1 .LBB30_28
.LBB30_35:                              ;   in Loop: Header=BB30_29 Depth=1
	s_and_b32 s13, s10, 7
	s_mulk_i32 s11, 0x60
.LBB30_36:                              ;   Parent Loop BB30_29 Depth=1
                                        ; =>  This Inner Loop Header: Depth=2
	s_delay_alu instid0(SALU_CYCLE_1) | instskip(NEXT) | instid1(SALU_CYCLE_1)
	s_add_i32 s14, s5, s11
	v_dual_mov_b32 v5, s14 :: v_dual_add_nc_u32 v4, s11, v1
	s_add_i32 s13, s13, -1
	s_addk_i32 s11, 0x60
	s_cmp_lg_u32 s13, 0
	ds_load_b32 v4, v4
	ds_load_b32 v5, v5
	s_waitcnt lgkmcnt(0)
	v_fma_f32 v2, -v4, v5, v2
	s_cbranch_scc1 .LBB30_36
	s_branch .LBB30_28
.LBB30_37:
	s_mov_b32 s4, 0
.LBB30_38:
	s_delay_alu instid0(SALU_CYCLE_1)
	s_and_b32 vcc_lo, exec_lo, s4
	s_cbranch_vccz .LBB30_58
; %bb.39:
	s_and_not1_b32 vcc_lo, exec_lo, s1
	s_mov_b32 s6, s28
	s_cbranch_vccnz .LBB30_45
; %bb.40:
	v_lshlrev_b32_e32 v1, 2, v0
	s_mul_i32 s4, s20, 0x60
	s_mov_b32 s5, s28
	s_delay_alu instid0(VALU_DEP_1) | instskip(SKIP_1) | instid1(SALU_CYCLE_1)
	v_add3_u32 v3, s4, v1, 0x780
	s_mul_i32 s4, s20, 0x64
	s_addk_i32 s4, 0xfe70
.LBB30_41:                              ; =>This Loop Header: Depth=1
                                        ;     Child Loop BB30_42 Depth 2
	s_mul_i32 s7, s5, 24
	s_mov_b32 s11, s4
	s_sub_i32 s6, s7, 48
	s_sub_i32 s10, s7, 24
	v_add_lshl_u32 v9, s6, v0, 2
	v_add_lshl_u32 v6, s7, v0, 2
	;; [unrolled: 1-line block ×3, first 2 shown]
	s_cmp_le_i32 s28, s5
	s_mov_b32 s13, s28
	v_dual_mov_b32 v8, v3 :: v_dual_add_nc_u32 v1, 0x800, v9
	ds_load_b32 v5, v6 offset:2304
	ds_load_b32 v4, v7 offset:2304
	ds_load_2addr_b32 v[1:2], v1 offset0:40 offset1:64
	s_cbranch_scc1 .LBB30_43
.LBB30_42:                              ;   Parent Loop BB30_41 Depth=1
                                        ; =>  This Inner Loop Header: Depth=2
	v_mov_b32_e32 v28, s11
	s_add_i32 s13, s13, -4
	s_addk_i32 s11, 0xfe80
	s_cmp_le_i32 s13, s5
	ds_load_2addr_b32 v[10:11], v8 offset0:48 offset1:72
	ds_load_2addr_b32 v[12:13], v28 offset0:74 offset1:75
	;; [unrolled: 1-line block ×5, first 2 shown]
	ds_load_2addr_b32 v[20:21], v8 offset1:24
	ds_load_2addr_b32 v[22:23], v28 offset0:26 offset1:27
	ds_load_2addr_b32 v[24:25], v28 offset0:24 offset1:25
	;; [unrolled: 1-line block ×3, first 2 shown]
	ds_load_2addr_b32 v[28:29], v28 offset1:1
	v_add_nc_u32_e32 v8, 0xfffffe80, v8
	s_waitcnt lgkmcnt(8)
	v_fma_f32 v5, -v11, v13, v5
	v_fma_f32 v4, -v11, v12, v4
	s_waitcnt lgkmcnt(7)
	v_fma_f32 v2, -v11, v15, v2
	v_fma_f32 v1, -v11, v14, v1
	;; [unrolled: 3-line block ×8, first 2 shown]
	s_cbranch_scc0 .LBB30_42
.LBB30_43:                              ;   in Loop: Header=BB30_41 Depth=1
	s_add_i32 s11, s5, s7
	s_add_i32 s13, s5, -3
	s_lshl_b32 s11, s11, 2
	s_add_i32 s10, s10, s13
	s_add_i32 s11, s11, -4
	s_delay_alu instid0(SALU_CYCLE_1)
	v_dual_mov_b32 v10, s11 :: v_dual_add_nc_u32 v7, 0x900, v7
	s_mul_i32 s11, s5, 0x64
	s_lshl_b32 s10, s10, 2
	s_add_i32 s7, s7, s13
	s_add_i32 s14, s11, 0xffffff9c
	ds_load_2addr_b32 v[10:11], v10 offset1:1
	s_lshl_b32 s7, s7, 2
	s_delay_alu instid0(SALU_CYCLE_1)
	v_dual_mov_b32 v13, s7 :: v_dual_add_nc_u32 v6, 0x900, v6
	s_add_i32 s6, s6, s13
	s_add_i32 s4, s4, -16
	s_lshl_b32 s6, s6, 2
	v_mov_b32_e32 v12, s14
	s_waitcnt lgkmcnt(0)
	v_div_scale_f32 v17, null, v11, v11, v5
	v_div_scale_f32 v20, vcc_lo, v5, v11, v5
	s_delay_alu instid0(VALU_DEP_2) | instskip(SKIP_2) | instid1(VALU_DEP_1)
	v_rcp_f32_e32 v18, v17
	s_waitcnt_depctr 0xfff
	v_fma_f32 v19, -v17, v18, 1.0
	v_fmac_f32_e32 v18, v19, v18
	v_add_nc_u32_e32 v8, 0x900, v9
	v_add_nc_u32_e32 v9, 0x8a0, v9
	s_delay_alu instid0(VALU_DEP_3) | instskip(NEXT) | instid1(VALU_DEP_1)
	v_mul_f32_e32 v19, v20, v18
	v_fma_f32 v21, -v17, v19, v20
	s_delay_alu instid0(VALU_DEP_1) | instskip(SKIP_4) | instid1(VALU_DEP_1)
	v_dual_mov_b32 v14, s10 :: v_dual_fmac_f32 v19, v21, v18
	ds_load_b32 v16, v12
	ds_load_2addr_b32 v[12:13], v13 offset1:1
	ds_load_2addr_b32 v[14:15], v14 offset1:1
	v_fma_f32 v17, -v17, v19, v20
	v_div_fmas_f32 v17, v17, v18, v19
	s_delay_alu instid0(VALU_DEP_1) | instskip(NEXT) | instid1(VALU_DEP_1)
	v_div_fixup_f32 v11, v17, v11, v5
	v_fma_f32 v10, -v11, v10, v4
	s_waitcnt lgkmcnt(1)
	v_fma_f32 v2, -v11, v13, v2
	v_fma_f32 v1, -v11, v12, v1
	s_delay_alu instid0(VALU_DEP_3) | instskip(SKIP_1) | instid1(VALU_DEP_2)
	v_div_scale_f32 v4, null, v16, v16, v10
	v_div_scale_f32 v18, vcc_lo, v10, v16, v10
	v_rcp_f32_e32 v17, v4
	s_waitcnt_depctr 0xfff
	v_fma_f32 v5, -v4, v17, 1.0
	s_delay_alu instid0(VALU_DEP_1) | instskip(NEXT) | instid1(VALU_DEP_1)
	v_fmac_f32_e32 v17, v5, v17
	v_mul_f32_e32 v19, v18, v17
	s_delay_alu instid0(VALU_DEP_1) | instskip(NEXT) | instid1(VALU_DEP_1)
	v_fma_f32 v5, -v4, v19, v18
	v_fmac_f32_e32 v19, v5, v17
	v_mov_b32_e32 v5, s6
	s_add_i32 s6, s11, 0xfffffed4
	s_delay_alu instid0(SALU_CYCLE_1) | instskip(NEXT) | instid1(VALU_DEP_3)
	v_mov_b32_e32 v13, s6
	v_fma_f32 v18, -v4, v19, v18
	ds_load_2addr_b32 v[4:5], v5 offset1:1
	s_add_i32 s6, s5, -4
	s_cmp_lt_i32 s5, 7
	ds_load_b32 v13, v13
	v_div_fmas_f32 v17, v18, v17, v19
	s_delay_alu instid0(VALU_DEP_1) | instskip(SKIP_1) | instid1(VALU_DEP_1)
	v_div_fixup_f32 v10, v17, v16, v10
	s_waitcnt lgkmcnt(2)
	v_fma_f32 v2, -v10, v15, v2
	v_fma_f32 v1, -v10, v14, v1
	s_waitcnt lgkmcnt(1)
	s_delay_alu instid0(VALU_DEP_2) | instskip(SKIP_1) | instid1(VALU_DEP_2)
	v_div_scale_f32 v15, null, v5, v5, v2
	v_div_scale_f32 v18, vcc_lo, v2, v5, v2
	v_rcp_f32_e32 v16, v15
	s_waitcnt_depctr 0xfff
	v_fma_f32 v17, -v15, v16, 1.0
	s_delay_alu instid0(VALU_DEP_1) | instskip(NEXT) | instid1(VALU_DEP_1)
	v_fmac_f32_e32 v16, v17, v16
	v_mul_f32_e32 v17, v18, v16
	s_delay_alu instid0(VALU_DEP_1) | instskip(NEXT) | instid1(VALU_DEP_1)
	v_fma_f32 v19, -v15, v17, v18
	v_fmac_f32_e32 v17, v19, v16
	s_delay_alu instid0(VALU_DEP_1) | instskip(NEXT) | instid1(VALU_DEP_1)
	v_fma_f32 v15, -v15, v17, v18
	v_div_fmas_f32 v12, v15, v16, v17
	s_delay_alu instid0(VALU_DEP_1) | instskip(NEXT) | instid1(VALU_DEP_1)
	v_div_fixup_f32 v2, v12, v5, v2
	v_fma_f32 v1, -v2, v4, v1
	s_waitcnt lgkmcnt(0)
	s_delay_alu instid0(VALU_DEP_1) | instskip(SKIP_1) | instid1(VALU_DEP_2)
	v_div_scale_f32 v4, null, v13, v13, v1
	v_div_scale_f32 v14, vcc_lo, v1, v13, v1
	v_rcp_f32_e32 v5, v4
	s_waitcnt_depctr 0xfff
	v_fma_f32 v12, -v4, v5, 1.0
	s_delay_alu instid0(VALU_DEP_1) | instskip(NEXT) | instid1(VALU_DEP_1)
	v_fmac_f32_e32 v5, v12, v5
	v_mul_f32_e32 v12, v14, v5
	s_delay_alu instid0(VALU_DEP_1) | instskip(NEXT) | instid1(VALU_DEP_1)
	v_fma_f32 v15, -v4, v12, v14
	v_fmac_f32_e32 v12, v15, v5
	s_delay_alu instid0(VALU_DEP_1) | instskip(NEXT) | instid1(VALU_DEP_1)
	v_fma_f32 v4, -v4, v12, v14
	v_div_fmas_f32 v4, v4, v5, v12
	s_delay_alu instid0(VALU_DEP_1)
	v_div_fixup_f32 v1, v4, v13, v1
	ds_store_b32 v6, v11
	ds_store_b32 v7, v10
	;; [unrolled: 1-line block ×4, first 2 shown]
	s_cbranch_scc1 .LBB30_45
; %bb.44:                               ;   in Loop: Header=BB30_41 Depth=1
	s_mov_b32 s5, s6
	s_branch .LBB30_41
.LBB30_45:
	s_cmp_lt_i32 s6, 0
	s_cbranch_scc1 .LBB30_58
; %bb.46:
	s_bitcmp1_b32 s6, 0
	s_cselect_b32 s4, -1, 0
	s_delay_alu instid0(SALU_CYCLE_1)
	s_and_b32 vcc_lo, exec_lo, s4
	s_mov_b32 s4, s6
	s_cbranch_vccnz .LBB30_51
; %bb.47:
	s_mul_i32 s4, s6, 24
	s_cmp_le_i32 s28, s6
	v_add_lshl_u32 v2, s4, v0, 2
	ds_load_b32 v1, v2 offset:2304
	s_cbranch_scc1 .LBB30_50
; %bb.48:
	v_lshlrev_b32_e32 v3, 2, v0
	s_mul_i32 s4, s20, 0x60
	s_lshl_b32 s5, s6, 2
	s_delay_alu instid0(SALU_CYCLE_1) | instskip(NEXT) | instid1(VALU_DEP_1)
	s_add_i32 s5, s4, s5
	v_add3_u32 v3, s4, v3, 0x8a0
	s_add_i32 s4, s5, 0xffffffa0
	s_mov_b32 s5, s28
.LBB30_49:                              ; =>This Inner Loop Header: Depth=1
	v_mov_b32_e32 v4, s4
	s_add_i32 s5, s5, -1
	s_addk_i32 s4, 0xffa0
	s_cmp_gt_i32 s5, s6
	ds_load_b32 v5, v3
	ds_load_b32 v4, v4
	v_add_nc_u32_e32 v3, 0xffffffa0, v3
	s_waitcnt lgkmcnt(0)
	v_fma_f32 v1, -v5, v4, v1
	s_cbranch_scc1 .LBB30_49
.LBB30_50:
	s_mul_i32 s4, s6, 0x64
	s_delay_alu instid0(SALU_CYCLE_1) | instskip(SKIP_4) | instid1(VALU_DEP_1)
	v_dual_mov_b32 v3, s4 :: v_dual_add_nc_u32 v2, 0x900, v2
	s_add_i32 s4, s6, -1
	ds_load_b32 v3, v3
	s_waitcnt lgkmcnt(0)
	v_div_scale_f32 v4, null, v3, v3, v1
	v_rcp_f32_e32 v5, v4
	s_waitcnt_depctr 0xfff
	v_fma_f32 v6, -v4, v5, 1.0
	s_delay_alu instid0(VALU_DEP_1) | instskip(SKIP_1) | instid1(VALU_DEP_1)
	v_fmac_f32_e32 v5, v6, v5
	v_div_scale_f32 v6, vcc_lo, v1, v3, v1
	v_mul_f32_e32 v7, v6, v5
	s_delay_alu instid0(VALU_DEP_1) | instskip(NEXT) | instid1(VALU_DEP_1)
	v_fma_f32 v8, -v4, v7, v6
	v_fmac_f32_e32 v7, v8, v5
	s_delay_alu instid0(VALU_DEP_1) | instskip(NEXT) | instid1(VALU_DEP_1)
	v_fma_f32 v4, -v4, v7, v6
	v_div_fmas_f32 v4, v4, v5, v7
	s_delay_alu instid0(VALU_DEP_1)
	v_div_fixup_f32 v1, v4, v3, v1
	ds_store_b32 v2, v1
.LBB30_51:
	s_cmp_eq_u32 s6, 0
	s_cbranch_scc1 .LBB30_58
; %bb.52:
	v_lshlrev_b32_e32 v1, 2, v0
	s_mul_i32 s5, s20, 0x60
	s_lshl_b32 s6, s4, 2
	s_delay_alu instid0(SALU_CYCLE_1) | instskip(NEXT) | instid1(VALU_DEP_1)
	s_add_i32 s6, s5, s6
	v_add3_u32 v1, s5, v1, 0x8a0
	s_add_i32 s5, s6, 0xffffffa0
	s_addk_i32 s6, 0xff9c
	s_branch .LBB30_54
.LBB30_53:                              ;   in Loop: Header=BB30_54 Depth=1
	s_addk_i32 s7, 0xff9c
	s_add_i32 s5, s5, -8
	v_mov_b32_e32 v3, s7
	s_add_i32 s7, s4, -2
	s_add_i32 s6, s6, -8
	s_cmp_lt_i32 s4, 2
	s_mov_b32 s4, s7
	ds_load_b32 v3, v3
	s_waitcnt lgkmcnt(0)
	v_div_scale_f32 v5, null, v3, v3, v4
	v_div_scale_f32 v8, vcc_lo, v4, v3, v4
	s_delay_alu instid0(VALU_DEP_2) | instskip(SKIP_2) | instid1(VALU_DEP_1)
	v_rcp_f32_e32 v6, v5
	s_waitcnt_depctr 0xfff
	v_fma_f32 v7, -v5, v6, 1.0
	v_fmac_f32_e32 v6, v7, v6
	s_delay_alu instid0(VALU_DEP_1) | instskip(NEXT) | instid1(VALU_DEP_1)
	v_mul_f32_e32 v7, v8, v6
	v_fma_f32 v9, -v5, v7, v8
	s_delay_alu instid0(VALU_DEP_1) | instskip(NEXT) | instid1(VALU_DEP_1)
	v_fmac_f32_e32 v7, v9, v6
	v_fma_f32 v5, -v5, v7, v8
	s_delay_alu instid0(VALU_DEP_1) | instskip(NEXT) | instid1(VALU_DEP_1)
	v_div_fmas_f32 v5, v5, v6, v7
	v_div_fixup_f32 v3, v5, v3, v4
	ds_store_b32 v2, v3
	s_cbranch_scc1 .LBB30_58
.LBB30_54:                              ; =>This Loop Header: Depth=1
                                        ;     Child Loop BB30_55 Depth 2
                                        ;     Child Loop BB30_57 Depth 2
	s_mul_i32 s7, s4, 24
	v_mov_b32_e32 v4, v1
	v_add_lshl_u32 v2, s7, v0, 2
	s_cmp_le_i32 s28, s4
	s_mov_b32 s7, s5
	s_mov_b32 s10, s28
	ds_load_b32 v3, v2 offset:2304
	s_cbranch_scc1 .LBB30_56
.LBB30_55:                              ;   Parent Loop BB30_54 Depth=1
                                        ; =>  This Inner Loop Header: Depth=2
	v_mov_b32_e32 v5, s7
	s_add_i32 s10, s10, -1
	s_addk_i32 s7, 0xffa0
	s_cmp_le_i32 s10, s4
	ds_load_b32 v6, v4
	ds_load_b32 v5, v5
	v_add_nc_u32_e32 v4, 0xffffffa0, v4
	s_waitcnt lgkmcnt(0)
	v_fma_f32 v3, -v6, v5, v3
	s_cbranch_scc0 .LBB30_55
.LBB30_56:                              ;   in Loop: Header=BB30_54 Depth=1
	s_mul_i32 s7, s4, 0x64
	s_delay_alu instid0(SALU_CYCLE_1)
	v_dual_mov_b32 v2, s7 :: v_dual_add_nc_u32 v5, 0x900, v2
	s_cmp_lt_i32 s28, s4
	s_mov_b32 s10, s6
	s_mov_b32 s11, s20
	ds_load_b32 v6, v2
	v_add_nc_u32_e32 v2, 0xffffffa0, v5
	s_waitcnt lgkmcnt(0)
	v_div_scale_f32 v7, null, v6, v6, v3
	s_delay_alu instid0(VALU_DEP_1) | instskip(SKIP_2) | instid1(VALU_DEP_1)
	v_rcp_f32_e32 v8, v7
	s_waitcnt_depctr 0xfff
	v_fma_f32 v9, -v7, v8, 1.0
	v_fmac_f32_e32 v8, v9, v8
	v_div_scale_f32 v9, vcc_lo, v3, v6, v3
	s_delay_alu instid0(VALU_DEP_1) | instskip(NEXT) | instid1(VALU_DEP_1)
	v_mul_f32_e32 v10, v9, v8
	v_fma_f32 v11, -v7, v10, v9
	s_delay_alu instid0(VALU_DEP_1) | instskip(NEXT) | instid1(VALU_DEP_1)
	v_fmac_f32_e32 v10, v11, v8
	v_fma_f32 v7, -v7, v10, v9
	s_delay_alu instid0(VALU_DEP_1) | instskip(NEXT) | instid1(VALU_DEP_1)
	v_div_fmas_f32 v7, v7, v8, v10
	v_div_fixup_f32 v6, v7, v6, v3
	v_mov_b32_e32 v3, v1
	ds_load_b32 v4, v2
	ds_store_b32 v5, v6
	s_cbranch_scc1 .LBB30_53
.LBB30_57:                              ;   Parent Loop BB30_54 Depth=1
                                        ; =>  This Inner Loop Header: Depth=2
	v_mov_b32_e32 v5, s10
	s_add_i32 s11, s11, -1
	s_addk_i32 s10, 0xffa0
	s_cmp_gt_i32 s11, s4
	ds_load_b32 v6, v3
	ds_load_b32 v5, v5
	v_add_nc_u32_e32 v3, 0xffffffa0, v3
	s_waitcnt lgkmcnt(0)
	v_fma_f32 v4, -v6, v5, v4
	s_cbranch_scc1 .LBB30_57
	s_branch .LBB30_53
.LBB30_58:
	s_mov_b32 s4, 0
.LBB30_59:
	s_delay_alu instid0(SALU_CYCLE_1)
	s_and_not1_b32 vcc_lo, exec_lo, s4
	s_cbranch_vccnz .LBB30_79
; %bb.60:
	s_and_not1_b32 vcc_lo, exec_lo, s1
	s_mov_b32 s5, s28
	s_cbranch_vccnz .LBB30_66
; %bb.61:
	v_lshlrev_b32_e32 v1, 2, v0
	s_mul_i32 s1, s20, 0x60
	s_mul_i32 s4, s20, 0x64
	s_delay_alu instid0(VALU_DEP_1)
	v_add3_u32 v1, s1, v1, 0x780
	s_add_i32 s1, s4, 0xfffffe70
	s_mov_b32 s4, s28
.LBB30_62:                              ; =>This Loop Header: Depth=1
                                        ;     Child Loop BB30_63 Depth 2
	s_delay_alu instid0(SALU_CYCLE_1) | instskip(NEXT) | instid1(VALU_DEP_1)
	s_mul_i32 s5, s4, 24
	v_mov_b32_e32 v10, v1
	s_sub_i32 s7, s5, 24
	v_add_lshl_u32 v6, s5, v0, 2
	s_sub_i32 s6, s5, 48
	v_add_lshl_u32 v7, s7, v0, 2
	s_addk_i32 s5, 0xffb8
	v_add_lshl_u32 v8, s6, v0, 2
	v_add_lshl_u32 v9, s5, v0, 2
	ds_load_b32 v5, v6 offset:2304
	ds_load_b32 v4, v7 offset:2304
	;; [unrolled: 1-line block ×4, first 2 shown]
	s_cmp_le_i32 s28, s4
	s_mov_b32 s7, s1
	s_mov_b32 s10, s28
	s_cbranch_scc1 .LBB30_64
.LBB30_63:                              ;   Parent Loop BB30_62 Depth=1
                                        ; =>  This Inner Loop Header: Depth=2
	v_mov_b32_e32 v29, s7
	s_add_i32 s10, s10, -4
	s_add_i32 s7, s7, -16
	s_cmp_le_i32 s10, s4
	ds_load_2addr_b32 v[11:12], v10 offset0:48 offset1:72
	ds_load_2addr_b32 v[13:14], v29 offset0:74 offset1:75
	;; [unrolled: 1-line block ×5, first 2 shown]
	ds_load_2addr_b32 v[21:22], v10 offset1:24
	ds_load_2addr_b32 v[23:24], v29 offset0:72 offset1:73
	ds_load_2addr_b32 v[25:26], v29 offset0:48 offset1:49
	;; [unrolled: 1-line block ×3, first 2 shown]
	ds_load_2addr_b32 v[29:30], v29 offset1:1
	v_add_nc_u32_e32 v10, 0xfffffe80, v10
	s_waitcnt lgkmcnt(8)
	v_fma_f32 v5, -v12, v14, v5
	s_waitcnt lgkmcnt(7)
	v_fma_f32 v4, -v12, v16, v4
	;; [unrolled: 2-line block ×4, first 2 shown]
	v_fma_f32 v5, -v11, v13, v5
	v_fma_f32 v4, -v11, v15, v4
	;; [unrolled: 1-line block ×3, first 2 shown]
	s_delay_alu instid0(VALU_DEP_4)
	v_fma_f32 v2, -v11, v19, v2
	s_waitcnt lgkmcnt(3)
	v_fma_f32 v5, -v22, v24, v5
	s_waitcnt lgkmcnt(2)
	;; [unrolled: 2-line block ×4, first 2 shown]
	v_fma_f32 v2, -v22, v30, v2
	v_fma_f32 v5, -v21, v23, v5
	;; [unrolled: 1-line block ×4, first 2 shown]
	s_delay_alu instid0(VALU_DEP_4)
	v_fma_f32 v2, -v21, v29, v2
	s_cbranch_scc0 .LBB30_63
.LBB30_64:                              ;   in Loop: Header=BB30_62 Depth=1
	s_mul_i32 s7, s4, 0x64
	s_delay_alu instid0(SALU_CYCLE_1)
	v_dual_mov_b32 v10, s7 :: v_dual_add_nc_u32 v7, 0x900, v7
	s_add_i32 s6, s6, s4
	s_add_i32 s10, s7, 0xffffff9c
	s_lshl_b32 s6, s6, 2
	v_add_nc_u32_e32 v9, 0x900, v9
	ds_load_b32 v14, v10
	v_mov_b32_e32 v10, s10
	s_add_i32 s11, s7, 0xffffff38
	v_mov_b32_e32 v12, s6
	v_dual_mov_b32 v13, s11 :: v_dual_add_nc_u32 v6, 0x900, v6
	ds_load_2addr_b32 v[10:11], v10 offset1:1
	ds_load_b32 v15, v12
	ds_load_2addr_b32 v[12:13], v13 offset1:1
	s_add_i32 s5, s4, s5
	s_addk_i32 s1, 0xfe80
	s_lshl_b32 s5, s5, 2
	s_delay_alu instid0(SALU_CYCLE_1) | instskip(SKIP_3) | instid1(VALU_DEP_2)
	s_add_i32 s5, s5, -4
	s_waitcnt lgkmcnt(3)
	v_div_scale_f32 v16, null, v14, v14, v5
	v_div_scale_f32 v19, vcc_lo, v5, v14, v5
	v_rcp_f32_e32 v17, v16
	s_waitcnt_depctr 0xfff
	v_fma_f32 v18, -v16, v17, 1.0
	s_delay_alu instid0(VALU_DEP_1) | instskip(NEXT) | instid1(VALU_DEP_1)
	v_dual_fmac_f32 v17, v18, v17 :: v_dual_add_nc_u32 v8, 0x900, v8
	v_mul_f32_e32 v18, v19, v17
	s_delay_alu instid0(VALU_DEP_1) | instskip(NEXT) | instid1(VALU_DEP_1)
	v_fma_f32 v20, -v16, v18, v19
	v_fmac_f32_e32 v18, v20, v17
	s_delay_alu instid0(VALU_DEP_1) | instskip(NEXT) | instid1(VALU_DEP_1)
	v_fma_f32 v16, -v16, v18, v19
	v_div_fmas_f32 v16, v16, v17, v18
	s_delay_alu instid0(VALU_DEP_1) | instskip(SKIP_1) | instid1(VALU_DEP_1)
	v_div_fixup_f32 v5, v16, v14, v5
	s_waitcnt lgkmcnt(2)
	v_fma_f32 v4, -v5, v11, v4
	s_waitcnt lgkmcnt(1)
	v_fma_f32 v3, -v5, v15, v3
	s_delay_alu instid0(VALU_DEP_2) | instskip(SKIP_1) | instid1(VALU_DEP_2)
	v_div_scale_f32 v11, null, v10, v10, v4
	v_div_scale_f32 v17, vcc_lo, v4, v10, v4
	v_rcp_f32_e32 v14, v11
	s_waitcnt_depctr 0xfff
	v_fma_f32 v16, -v11, v14, 1.0
	s_delay_alu instid0(VALU_DEP_1) | instskip(NEXT) | instid1(VALU_DEP_1)
	v_fmac_f32_e32 v14, v16, v14
	v_mul_f32_e32 v16, v17, v14
	s_delay_alu instid0(VALU_DEP_1) | instskip(NEXT) | instid1(VALU_DEP_1)
	v_fma_f32 v18, -v11, v16, v17
	v_fmac_f32_e32 v16, v18, v14
	s_delay_alu instid0(VALU_DEP_1) | instskip(NEXT) | instid1(VALU_DEP_1)
	v_fma_f32 v11, -v11, v16, v17
	v_div_fmas_f32 v11, v11, v14, v16
	s_delay_alu instid0(VALU_DEP_1) | instskip(SKIP_2) | instid1(SALU_CYCLE_1)
	v_div_fixup_f32 v14, v11, v10, v4
	v_mov_b32_e32 v4, s5
	s_add_i32 s5, s7, 0xfffffed4
	v_mov_b32_e32 v10, s5
	s_waitcnt lgkmcnt(0)
	v_fma_f32 v13, -v14, v13, v3
	s_add_i32 s5, s4, -4
	s_cmp_lt_i32 s4, 7
	ds_load_2addr_b32 v[10:11], v10 offset1:1
	v_div_scale_f32 v15, null, v12, v12, v13
	v_div_scale_f32 v17, vcc_lo, v13, v12, v13
	s_delay_alu instid0(VALU_DEP_2) | instskip(SKIP_2) | instid1(VALU_DEP_1)
	v_rcp_f32_e32 v16, v15
	s_waitcnt_depctr 0xfff
	v_fma_f32 v3, -v15, v16, 1.0
	v_fmac_f32_e32 v16, v3, v16
	ds_load_2addr_b32 v[3:4], v4 offset1:1
	v_mul_f32_e32 v18, v17, v16
	s_delay_alu instid0(VALU_DEP_1) | instskip(NEXT) | instid1(VALU_DEP_1)
	v_fma_f32 v19, -v15, v18, v17
	v_fmac_f32_e32 v18, v19, v16
	s_delay_alu instid0(VALU_DEP_1) | instskip(SKIP_2) | instid1(VALU_DEP_2)
	v_fma_f32 v15, -v15, v18, v17
	s_waitcnt lgkmcnt(0)
	v_fma_f32 v2, -v5, v4, v2
	v_div_fmas_f32 v4, v15, v16, v18
	s_delay_alu instid0(VALU_DEP_2) | instskip(NEXT) | instid1(VALU_DEP_2)
	v_fma_f32 v2, -v14, v3, v2
	v_div_fixup_f32 v3, v4, v12, v13
	s_delay_alu instid0(VALU_DEP_1) | instskip(NEXT) | instid1(VALU_DEP_1)
	v_fma_f32 v2, -v3, v11, v2
	v_div_scale_f32 v4, null, v10, v10, v2
	v_div_scale_f32 v13, vcc_lo, v2, v10, v2
	s_delay_alu instid0(VALU_DEP_2) | instskip(SKIP_2) | instid1(VALU_DEP_1)
	v_rcp_f32_e32 v11, v4
	s_waitcnt_depctr 0xfff
	v_fma_f32 v12, -v4, v11, 1.0
	v_fmac_f32_e32 v11, v12, v11
	s_delay_alu instid0(VALU_DEP_1) | instskip(NEXT) | instid1(VALU_DEP_1)
	v_mul_f32_e32 v12, v13, v11
	v_fma_f32 v15, -v4, v12, v13
	s_delay_alu instid0(VALU_DEP_1) | instskip(NEXT) | instid1(VALU_DEP_1)
	v_fmac_f32_e32 v12, v15, v11
	v_fma_f32 v4, -v4, v12, v13
	s_delay_alu instid0(VALU_DEP_1) | instskip(NEXT) | instid1(VALU_DEP_1)
	v_div_fmas_f32 v4, v4, v11, v12
	v_div_fixup_f32 v2, v4, v10, v2
	ds_store_b32 v6, v5
	ds_store_b32 v7, v14
	;; [unrolled: 1-line block ×4, first 2 shown]
	s_cbranch_scc1 .LBB30_66
; %bb.65:                               ;   in Loop: Header=BB30_62 Depth=1
	s_mov_b32 s4, s5
	s_branch .LBB30_62
.LBB30_66:
	s_cmp_lt_i32 s5, 0
	s_cbranch_scc1 .LBB30_79
; %bb.67:
	s_bitcmp1_b32 s5, 0
	s_cselect_b32 s1, -1, 0
	s_delay_alu instid0(SALU_CYCLE_1)
	s_and_b32 vcc_lo, exec_lo, s1
	s_mov_b32 s1, s5
	s_cbranch_vccnz .LBB30_72
; %bb.68:
	s_mul_i32 s1, s5, 24
	s_cmp_le_i32 s28, s5
	v_add_lshl_u32 v2, s1, v0, 2
	ds_load_b32 v1, v2 offset:2304
	s_cbranch_scc1 .LBB30_71
; %bb.69:
	v_lshlrev_b32_e32 v3, 2, v0
	s_mul_i32 s6, s20, 0x60
	s_mul_i32 s1, s5, 0x60
	s_lshl_b32 s4, s20, 2
	s_delay_alu instid0(SALU_CYCLE_1)
	s_add_i32 s1, s1, s4
	v_add3_u32 v3, s6, v3, 0x8a0
	s_add_i32 s1, s1, -4
	s_mov_b32 s4, s28
.LBB30_70:                              ; =>This Inner Loop Header: Depth=1
	v_mov_b32_e32 v4, s1
	s_add_i32 s4, s4, -1
	s_add_i32 s1, s1, -4
	s_cmp_gt_i32 s4, s5
	ds_load_b32 v5, v3
	ds_load_b32 v4, v4
	v_add_nc_u32_e32 v3, 0xffffffa0, v3
	s_waitcnt lgkmcnt(0)
	v_fma_f32 v1, -v5, v4, v1
	s_cbranch_scc1 .LBB30_70
.LBB30_71:
	s_mul_i32 s1, s5, 0x64
	s_delay_alu instid0(SALU_CYCLE_1) | instskip(SKIP_4) | instid1(VALU_DEP_1)
	v_dual_mov_b32 v3, s1 :: v_dual_add_nc_u32 v2, 0x900, v2
	s_add_i32 s1, s5, -1
	ds_load_b32 v3, v3
	s_waitcnt lgkmcnt(0)
	v_div_scale_f32 v4, null, v3, v3, v1
	v_rcp_f32_e32 v5, v4
	s_waitcnt_depctr 0xfff
	v_fma_f32 v6, -v4, v5, 1.0
	s_delay_alu instid0(VALU_DEP_1) | instskip(SKIP_1) | instid1(VALU_DEP_1)
	v_fmac_f32_e32 v5, v6, v5
	v_div_scale_f32 v6, vcc_lo, v1, v3, v1
	v_mul_f32_e32 v7, v6, v5
	s_delay_alu instid0(VALU_DEP_1) | instskip(NEXT) | instid1(VALU_DEP_1)
	v_fma_f32 v8, -v4, v7, v6
	v_fmac_f32_e32 v7, v8, v5
	s_delay_alu instid0(VALU_DEP_1) | instskip(NEXT) | instid1(VALU_DEP_1)
	v_fma_f32 v4, -v4, v7, v6
	v_div_fmas_f32 v4, v4, v5, v7
	s_delay_alu instid0(VALU_DEP_1)
	v_div_fixup_f32 v1, v4, v3, v1
	ds_store_b32 v2, v1
.LBB30_72:
	s_cmp_eq_u32 s5, 0
	s_cbranch_scc1 .LBB30_79
; %bb.73:
	v_lshlrev_b32_e32 v1, 2, v0
	s_mul_i32 s6, s20, 0x60
	s_mul_i32 s4, s1, 0x60
	s_lshl_b32 s5, s20, 2
	s_delay_alu instid0(SALU_CYCLE_1)
	s_add_i32 s5, s4, s5
	v_add3_u32 v1, s6, v1, 0x8a0
	s_add_i32 s4, s5, -4
	s_addk_i32 s5, 0xff9c
	s_branch .LBB30_75
.LBB30_74:                              ;   in Loop: Header=BB30_75 Depth=1
	s_addk_i32 s6, 0xff9c
	v_add_nc_u32_e32 v2, 0x900, v4
	v_mov_b32_e32 v4, s6
	s_add_i32 s6, s1, -2
	s_addk_i32 s4, 0xff40
	s_addk_i32 s5, 0xff40
	s_cmp_lt_i32 s1, 2
	ds_load_b32 v4, v4
	s_mov_b32 s1, s6
	s_waitcnt lgkmcnt(0)
	v_div_scale_f32 v5, null, v4, v4, v3
	v_div_scale_f32 v8, vcc_lo, v3, v4, v3
	s_delay_alu instid0(VALU_DEP_2) | instskip(SKIP_2) | instid1(VALU_DEP_1)
	v_rcp_f32_e32 v6, v5
	s_waitcnt_depctr 0xfff
	v_fma_f32 v7, -v5, v6, 1.0
	v_fmac_f32_e32 v6, v7, v6
	s_delay_alu instid0(VALU_DEP_1) | instskip(NEXT) | instid1(VALU_DEP_1)
	v_mul_f32_e32 v7, v8, v6
	v_fma_f32 v9, -v5, v7, v8
	s_delay_alu instid0(VALU_DEP_1) | instskip(NEXT) | instid1(VALU_DEP_1)
	v_fmac_f32_e32 v7, v9, v6
	v_fma_f32 v5, -v5, v7, v8
	s_delay_alu instid0(VALU_DEP_1) | instskip(NEXT) | instid1(VALU_DEP_1)
	v_div_fmas_f32 v5, v5, v6, v7
	v_div_fixup_f32 v3, v5, v4, v3
	ds_store_b32 v2, v3
	s_cbranch_scc1 .LBB30_79
.LBB30_75:                              ; =>This Loop Header: Depth=1
                                        ;     Child Loop BB30_76 Depth 2
                                        ;     Child Loop BB30_78 Depth 2
	s_mul_i32 s7, s1, 24
	v_mov_b32_e32 v4, v1
	v_add_lshl_u32 v3, s7, v0, 2
	s_cmp_le_i32 s28, s1
	s_mov_b32 s6, s4
	s_mov_b32 s10, s28
	ds_load_b32 v2, v3 offset:2304
	s_cbranch_scc1 .LBB30_77
.LBB30_76:                              ;   Parent Loop BB30_75 Depth=1
                                        ; =>  This Inner Loop Header: Depth=2
	v_mov_b32_e32 v5, s6
	s_add_i32 s10, s10, -1
	s_add_i32 s6, s6, -4
	s_cmp_le_i32 s10, s1
	ds_load_b32 v6, v4
	ds_load_b32 v5, v5
	v_add_nc_u32_e32 v4, 0xffffffa0, v4
	s_waitcnt lgkmcnt(0)
	v_fma_f32 v2, -v6, v5, v2
	s_cbranch_scc0 .LBB30_76
.LBB30_77:                              ;   in Loop: Header=BB30_75 Depth=1
	s_mul_i32 s6, s1, 0x64
	v_add_nc_u32_e32 v5, 0x900, v3
	v_mov_b32_e32 v3, s6
	s_sub_i32 s7, s7, 24
	s_cmp_lt_i32 s28, s1
	v_add_lshl_u32 v4, s7, v0, 2
	s_mov_b32 s7, s5
	ds_load_b32 v6, v3
	s_mov_b32 s10, s20
	ds_load_b32 v3, v4 offset:2304
	s_waitcnt lgkmcnt(1)
	v_div_scale_f32 v7, null, v6, v6, v2
	s_delay_alu instid0(VALU_DEP_1) | instskip(SKIP_2) | instid1(VALU_DEP_1)
	v_rcp_f32_e32 v8, v7
	s_waitcnt_depctr 0xfff
	v_fma_f32 v9, -v7, v8, 1.0
	v_fmac_f32_e32 v8, v9, v8
	v_div_scale_f32 v9, vcc_lo, v2, v6, v2
	s_delay_alu instid0(VALU_DEP_1) | instskip(NEXT) | instid1(VALU_DEP_1)
	v_mul_f32_e32 v10, v9, v8
	v_fma_f32 v11, -v7, v10, v9
	s_delay_alu instid0(VALU_DEP_1) | instskip(NEXT) | instid1(VALU_DEP_1)
	v_fmac_f32_e32 v10, v11, v8
	v_fma_f32 v7, -v7, v10, v9
	s_delay_alu instid0(VALU_DEP_1) | instskip(NEXT) | instid1(VALU_DEP_1)
	v_div_fmas_f32 v7, v7, v8, v10
	v_div_fixup_f32 v6, v7, v6, v2
	v_mov_b32_e32 v2, v1
	ds_store_b32 v5, v6
	s_cbranch_scc1 .LBB30_74
.LBB30_78:                              ;   Parent Loop BB30_75 Depth=1
                                        ; =>  This Inner Loop Header: Depth=2
	v_mov_b32_e32 v5, s7
	s_add_i32 s10, s10, -1
	s_add_i32 s7, s7, -4
	s_cmp_gt_i32 s10, s1
	ds_load_b32 v6, v2
	ds_load_b32 v5, v5
	v_add_nc_u32_e32 v2, 0xffffffa0, v2
	s_waitcnt lgkmcnt(0)
	v_fma_f32 v3, -v6, v5, v3
	s_cbranch_scc1 .LBB30_78
	s_branch .LBB30_74
.LBB30_79:
	s_mov_b32 s6, 0
.LBB30_80:
	s_delay_alu instid0(SALU_CYCLE_1)
	s_and_not1_b32 vcc_lo, exec_lo, s6
	s_cbranch_vccnz .LBB30_99
; %bb.81:
	s_cmp_lt_i32 s12, 4
	s_mov_b32 s5, 0
	s_cbranch_scc1 .LBB30_88
; %bb.82:
	v_lshl_or_b32 v1, v0, 2, 0x900
	s_mov_b32 s1, 0
	s_mov_b32 s4, 0
.LBB30_83:                              ; =>This Loop Header: Depth=1
                                        ;     Child Loop BB30_85 Depth 2
	s_delay_alu instid0(SALU_CYCLE_1) | instskip(NEXT) | instid1(SALU_CYCLE_1)
	s_mul_i32 s5, s4, 24
	s_add_i32 s7, s5, 24
	v_add_lshl_u32 v6, s5, v0, 2
	s_add_i32 s6, s5, 48
	v_add_lshl_u32 v7, s7, v0, 2
	s_addk_i32 s5, 0x48
	v_add_lshl_u32 v8, s6, v0, 2
	v_add_lshl_u32 v9, s5, v0, 2
	ds_load_b32 v5, v6 offset:2304
	ds_load_b32 v4, v7 offset:2304
	;; [unrolled: 1-line block ×4, first 2 shown]
	s_cmp_eq_u32 s4, 0
	s_cbranch_scc1 .LBB30_86
; %bb.84:                               ;   in Loop: Header=BB30_83 Depth=1
	v_mov_b32_e32 v10, v1
	s_mov_b32 s10, 0
	s_mov_b32 s11, s1
.LBB30_85:                              ;   Parent Loop BB30_83 Depth=1
                                        ; =>  This Inner Loop Header: Depth=2
	s_delay_alu instid0(SALU_CYCLE_1)
	v_mov_b32_e32 v23, s11
	s_add_i32 s10, s10, 4
	s_add_i32 s11, s11, 16
	s_cmp_ge_u32 s10, s4
	ds_load_2addr_b32 v[27:28], v10 offset1:24
	ds_load_b128 v[11:14], v23
	ds_load_b128 v[15:18], v23 offset:96
	ds_load_b128 v[19:22], v23 offset:192
	;; [unrolled: 1-line block ×3, first 2 shown]
	ds_load_2addr_b32 v[29:30], v10 offset0:48 offset1:72
	v_add_nc_u32_e32 v10, 0x180, v10
	s_waitcnt lgkmcnt(4)
	v_fma_f32 v5, -v27, v11, v5
	s_waitcnt lgkmcnt(3)
	v_fma_f32 v4, -v27, v15, v4
	;; [unrolled: 2-line block ×4, first 2 shown]
	v_fma_f32 v5, -v28, v12, v5
	v_fma_f32 v4, -v28, v16, v4
	;; [unrolled: 1-line block ×3, first 2 shown]
	s_delay_alu instid0(VALU_DEP_4)
	v_fma_f32 v2, -v28, v24, v2
	s_waitcnt lgkmcnt(0)
	v_fma_f32 v5, -v29, v13, v5
	v_fma_f32 v4, -v29, v17, v4
	;; [unrolled: 1-line block ×4, first 2 shown]
	s_delay_alu instid0(VALU_DEP_4) | instskip(NEXT) | instid1(VALU_DEP_4)
	v_fma_f32 v5, -v30, v14, v5
	v_fma_f32 v4, -v30, v18, v4
	s_delay_alu instid0(VALU_DEP_4) | instskip(NEXT) | instid1(VALU_DEP_4)
	v_fma_f32 v3, -v30, v22, v3
	v_fma_f32 v2, -v30, v26, v2
	s_cbranch_scc0 .LBB30_85
.LBB30_86:                              ;   in Loop: Header=BB30_83 Depth=1
	s_mul_i32 s10, s4, 0x64
	s_delay_alu instid0(SALU_CYCLE_1)
	v_dual_mov_b32 v10, s10 :: v_dual_add_nc_u32 v7, 0x900, v7
	s_add_i32 s7, s7, s4
	s_add_i32 s6, s6, s4
	s_lshl_b32 s7, s7, 2
	s_lshl_b32 s6, s6, 2
	ds_load_b32 v15, v10
	s_add_i32 s5, s5, s4
	v_dual_mov_b32 v10, s7 :: v_dual_add_nc_u32 v9, 0x900, v9
	s_lshl_b32 s5, s5, 2
	v_mov_b32_e32 v12, s6
	ds_load_b64 v[10:11], v10
	ds_load_b96 v[12:14], v12
	s_addk_i32 s1, 0x180
	s_waitcnt lgkmcnt(2)
	v_div_scale_f32 v16, null, v15, v15, v5
	v_div_scale_f32 v19, vcc_lo, v5, v15, v5
	s_delay_alu instid0(VALU_DEP_2) | instskip(SKIP_2) | instid1(VALU_DEP_1)
	v_rcp_f32_e32 v17, v16
	s_waitcnt_depctr 0xfff
	v_fma_f32 v18, -v16, v17, 1.0
	v_dual_fmac_f32 v17, v18, v17 :: v_dual_add_nc_u32 v6, 0x900, v6
	s_delay_alu instid0(VALU_DEP_1) | instskip(NEXT) | instid1(VALU_DEP_1)
	v_mul_f32_e32 v18, v19, v17
	v_fma_f32 v20, -v16, v18, v19
	s_delay_alu instid0(VALU_DEP_1) | instskip(NEXT) | instid1(VALU_DEP_1)
	v_fmac_f32_e32 v18, v20, v17
	v_fma_f32 v16, -v16, v18, v19
	s_delay_alu instid0(VALU_DEP_1) | instskip(NEXT) | instid1(VALU_DEP_1)
	v_div_fmas_f32 v16, v16, v17, v18
	v_div_fixup_f32 v5, v16, v15, v5
	s_waitcnt lgkmcnt(1)
	s_delay_alu instid0(VALU_DEP_1) | instskip(SKIP_2) | instid1(VALU_DEP_2)
	v_fma_f32 v4, -v5, v10, v4
	s_waitcnt lgkmcnt(0)
	v_fma_f32 v3, -v5, v12, v3
	v_div_scale_f32 v10, null, v11, v11, v4
	v_div_scale_f32 v17, vcc_lo, v4, v11, v4
	s_delay_alu instid0(VALU_DEP_2) | instskip(SKIP_2) | instid1(VALU_DEP_1)
	v_rcp_f32_e32 v15, v10
	s_waitcnt_depctr 0xfff
	v_fma_f32 v16, -v10, v15, 1.0
	v_dual_fmac_f32 v15, v16, v15 :: v_dual_add_nc_u32 v8, 0x900, v8
	s_delay_alu instid0(VALU_DEP_1) | instskip(NEXT) | instid1(VALU_DEP_1)
	v_mul_f32_e32 v16, v17, v15
	v_fma_f32 v18, -v10, v16, v17
	s_delay_alu instid0(VALU_DEP_1) | instskip(NEXT) | instid1(VALU_DEP_1)
	v_fmac_f32_e32 v16, v18, v15
	v_fma_f32 v10, -v10, v16, v17
	s_delay_alu instid0(VALU_DEP_1) | instskip(NEXT) | instid1(VALU_DEP_1)
	v_div_fmas_f32 v10, v10, v15, v16
	v_div_fixup_f32 v4, v10, v11, v4
	v_mov_b32_e32 v11, s5
	s_add_i32 s5, s4, 4
	s_add_i32 s4, s4, 7
	s_delay_alu instid0(SALU_CYCLE_1) | instskip(SKIP_1) | instid1(VALU_DEP_1)
	s_cmp_ge_i32 s4, s20
	v_fma_f32 v3, -v4, v13, v3
	v_div_scale_f32 v15, null, v14, v14, v3
	v_div_scale_f32 v17, vcc_lo, v3, v14, v3
	s_delay_alu instid0(VALU_DEP_2) | instskip(SKIP_2) | instid1(VALU_DEP_1)
	v_rcp_f32_e32 v16, v15
	s_waitcnt_depctr 0xfff
	v_fma_f32 v10, -v15, v16, 1.0
	v_fmac_f32_e32 v16, v10, v16
	ds_load_b128 v[10:13], v11
	v_mul_f32_e32 v18, v17, v16
	s_delay_alu instid0(VALU_DEP_1) | instskip(NEXT) | instid1(VALU_DEP_1)
	v_fma_f32 v19, -v15, v18, v17
	v_fmac_f32_e32 v18, v19, v16
	s_delay_alu instid0(VALU_DEP_1) | instskip(SKIP_2) | instid1(VALU_DEP_2)
	v_fma_f32 v15, -v15, v18, v17
	s_waitcnt lgkmcnt(0)
	v_fma_f32 v2, -v5, v10, v2
	v_div_fmas_f32 v10, v15, v16, v18
	s_delay_alu instid0(VALU_DEP_2) | instskip(NEXT) | instid1(VALU_DEP_2)
	v_fma_f32 v2, -v4, v11, v2
	v_div_fixup_f32 v3, v10, v14, v3
	s_delay_alu instid0(VALU_DEP_1) | instskip(NEXT) | instid1(VALU_DEP_1)
	v_fma_f32 v2, -v3, v12, v2
	v_div_scale_f32 v10, null, v13, v13, v2
	v_div_scale_f32 v14, vcc_lo, v2, v13, v2
	s_delay_alu instid0(VALU_DEP_2) | instskip(SKIP_2) | instid1(VALU_DEP_1)
	v_rcp_f32_e32 v11, v10
	s_waitcnt_depctr 0xfff
	v_fma_f32 v12, -v10, v11, 1.0
	v_fmac_f32_e32 v11, v12, v11
	s_delay_alu instid0(VALU_DEP_1) | instskip(NEXT) | instid1(VALU_DEP_1)
	v_mul_f32_e32 v12, v14, v11
	v_fma_f32 v15, -v10, v12, v14
	s_delay_alu instid0(VALU_DEP_1) | instskip(NEXT) | instid1(VALU_DEP_1)
	v_fmac_f32_e32 v12, v15, v11
	v_fma_f32 v10, -v10, v12, v14
	s_delay_alu instid0(VALU_DEP_1) | instskip(NEXT) | instid1(VALU_DEP_1)
	v_div_fmas_f32 v10, v10, v11, v12
	v_div_fixup_f32 v2, v10, v13, v2
	ds_store_b32 v6, v5
	ds_store_b32 v7, v4
	;; [unrolled: 1-line block ×4, first 2 shown]
	s_cbranch_scc1 .LBB30_88
; %bb.87:                               ;   in Loop: Header=BB30_83 Depth=1
	s_mov_b32 s4, s5
	s_branch .LBB30_83
.LBB30_88:
	s_cmp_ge_i32 s5, s20
	s_cbranch_scc1 .LBB30_99
; %bb.89:
	v_lshl_or_b32 v1, v0, 2, 0x900
	s_add_i32 s1, s5, -1
	s_mul_i32 s4, s5, 0x60
	s_mov_b32 s6, 0
	s_mov_b32 s7, s5
	s_branch .LBB30_91
.LBB30_90:                              ;   in Loop: Header=BB30_91 Depth=1
	s_mul_i32 s10, s5, 0x64
	s_delay_alu instid0(SALU_CYCLE_1)
	v_dual_mov_b32 v3, s10 :: v_dual_add_nc_u32 v2, 0x900, v5
	s_add_i32 s5, s5, 1
	s_add_i32 s6, s6, 1
	s_addk_i32 s4, 0x60
	s_cmp_ge_i32 s5, s20
	ds_load_b32 v3, v3
	s_waitcnt lgkmcnt(0)
	v_div_scale_f32 v5, null, v3, v3, v4
	v_div_scale_f32 v8, vcc_lo, v4, v3, v4
	s_delay_alu instid0(VALU_DEP_2) | instskip(SKIP_2) | instid1(VALU_DEP_1)
	v_rcp_f32_e32 v6, v5
	s_waitcnt_depctr 0xfff
	v_fma_f32 v7, -v5, v6, 1.0
	v_fmac_f32_e32 v6, v7, v6
	s_delay_alu instid0(VALU_DEP_1) | instskip(NEXT) | instid1(VALU_DEP_1)
	v_mul_f32_e32 v7, v8, v6
	v_fma_f32 v9, -v5, v7, v8
	s_delay_alu instid0(VALU_DEP_1) | instskip(NEXT) | instid1(VALU_DEP_1)
	v_fmac_f32_e32 v7, v9, v6
	v_fma_f32 v5, -v5, v7, v8
	s_delay_alu instid0(VALU_DEP_1) | instskip(SKIP_1) | instid1(VALU_DEP_2)
	v_div_fmas_f32 v5, v5, v6, v7
	v_add_nc_u16 v6, s7, 1
	v_div_fixup_f32 v3, v5, v3, v4
	s_delay_alu instid0(VALU_DEP_2)
	v_readfirstlane_b32 s7, v6
	ds_store_b32 v2, v3
	s_cbranch_scc1 .LBB30_99
.LBB30_91:                              ; =>This Loop Header: Depth=1
                                        ;     Child Loop BB30_94 Depth 2
                                        ;     Child Loop BB30_98 Depth 2
	s_mul_i32 s10, s5, 24
	s_cmp_eq_u32 s5, 0
	v_add_lshl_u32 v5, s10, v0, 2
	ds_load_b32 v4, v5 offset:2304
	s_cbranch_scc1 .LBB30_90
; %bb.92:                               ;   in Loop: Header=BB30_91 Depth=1
	s_add_i32 s10, s1, s6
	s_delay_alu instid0(SALU_CYCLE_1)
	s_cmp_lt_u32 s10, 7
	s_cbranch_scc1 .LBB30_96
; %bb.93:                               ;   in Loop: Header=BB30_91 Depth=1
	v_mov_b32_e32 v2, v1
	s_and_b32 s10, s5, -8
	s_mov_b32 s11, 0
	s_mov_b32 s13, s4
	s_set_inst_prefetch_distance 0x1
	.p2align	6
.LBB30_94:                              ;   Parent Loop BB30_91 Depth=1
                                        ; =>  This Inner Loop Header: Depth=2
	v_mov_b32_e32 v3, s13
	s_add_i32 s11, s11, 8
	s_add_i32 s13, s13, 32
	s_cmp_eq_u32 s10, s11
	ds_load_2addr_b32 v[14:15], v2 offset1:24
	ds_load_b128 v[6:9], v3
	ds_load_2addr_b32 v[16:17], v2 offset0:48 offset1:72
	ds_load_2addr_b32 v[18:19], v2 offset0:96 offset1:120
	ds_load_b128 v[10:13], v3 offset:16
	s_waitcnt lgkmcnt(3)
	v_fma_f32 v3, -v14, v6, v4
	s_delay_alu instid0(VALU_DEP_1) | instskip(SKIP_4) | instid1(VALU_DEP_1)
	v_fma_f32 v6, -v15, v7, v3
	ds_load_2addr_b32 v[3:4], v2 offset0:144 offset1:168
	v_add_nc_u32_e32 v2, 0x300, v2
	s_waitcnt lgkmcnt(3)
	v_fma_f32 v6, -v16, v8, v6
	v_fma_f32 v6, -v17, v9, v6
	s_waitcnt lgkmcnt(1)
	s_delay_alu instid0(VALU_DEP_1) | instskip(NEXT) | instid1(VALU_DEP_1)
	v_fma_f32 v6, -v18, v10, v6
	v_fma_f32 v6, -v19, v11, v6
	s_waitcnt lgkmcnt(0)
	s_delay_alu instid0(VALU_DEP_1) | instskip(NEXT) | instid1(VALU_DEP_1)
	v_fma_f32 v3, -v3, v12, v6
	v_fma_f32 v4, -v4, v13, v3
	s_cbranch_scc0 .LBB30_94
; %bb.95:                               ;   in Loop: Header=BB30_91 Depth=1
	s_set_inst_prefetch_distance 0x2
	s_and_b32 s11, s5, 7
	s_delay_alu instid0(SALU_CYCLE_1)
	s_cmp_eq_u32 s11, 0
	s_cbranch_scc0 .LBB30_97
	s_branch .LBB30_90
.LBB30_96:                              ;   in Loop: Header=BB30_91 Depth=1
	s_mov_b32 s10, 0
	s_and_b32 s11, s5, 7
	s_delay_alu instid0(SALU_CYCLE_1)
	s_cmp_eq_u32 s11, 0
	s_cbranch_scc1 .LBB30_90
.LBB30_97:                              ;   in Loop: Header=BB30_91 Depth=1
	v_mad_u64_u32 v[2:3], null, 0x60, s10, v[1:2]
	s_and_b32 s11, s7, 7
	s_lshl_b32 s10, s10, 2
.LBB30_98:                              ;   Parent Loop BB30_91 Depth=1
                                        ; =>  This Inner Loop Header: Depth=2
	s_delay_alu instid0(SALU_CYCLE_1)
	s_add_i32 s13, s4, s10
	s_add_i32 s11, s11, -1
	v_mov_b32_e32 v3, s13
	s_add_i32 s10, s10, 4
	s_cmp_lg_u32 s11, 0
	ds_load_b32 v6, v2
	ds_load_b32 v3, v3
	v_add_nc_u32_e32 v2, 0x60, v2
	s_waitcnt lgkmcnt(0)
	v_fma_f32 v4, -v6, v3, v4
	s_cbranch_scc1 .LBB30_98
	s_branch .LBB30_90
.LBB30_99:
	s_and_saveexec_b32 s1, s21
	s_cbranch_execz .LBB30_106
; %bb.100:
	v_lshlrev_b32_e32 v3, 2, v0
	s_ashr_i32 s1, s0, 31
	s_cmp_lt_u32 s12, 4
	s_mov_b32 s13, 0
	s_cbranch_scc1 .LBB30_103
; %bb.101:
	v_add_co_u32 v1, s4, s18, v3
	s_delay_alu instid0(VALU_DEP_1)
	v_add_co_ci_u32_e64 v2, null, s19, 0, s4
	v_lshl_or_b32 v0, v0, 2, 0x900
	s_and_b32 s13, s12, 0x7ffffffc
	s_mul_hi_i32 s14, s0, 12
	s_mul_i32 s15, s0, 12
	s_lshl_b64 s[4:5], s[0:1], 4
	s_lshl_b64 s[6:7], s[0:1], 3
	;; [unrolled: 1-line block ×3, first 2 shown]
	s_mov_b32 s18, 0
	.p2align	6
.LBB30_102:                             ; =>This Inner Loop Header: Depth=1
	ds_load_2addr_b32 v[4:5], v0 offset1:24
	ds_load_2addr_b32 v[6:7], v0 offset0:48 offset1:72
	v_add_co_u32 v8, vcc_lo, v1, s10
	v_add_co_ci_u32_e32 v9, vcc_lo, s11, v2, vcc_lo
	v_add_co_u32 v10, vcc_lo, v1, s6
	v_add_co_ci_u32_e32 v11, vcc_lo, s7, v2, vcc_lo
	;; [unrolled: 2-line block ×3, first 2 shown]
	v_add_nc_u32_e32 v0, 0x180, v0
	s_add_i32 s18, s18, 4
	s_delay_alu instid0(SALU_CYCLE_1)
	s_cmp_lg_u32 s13, s18
	s_waitcnt lgkmcnt(1)
	global_store_b32 v[1:2], v4, off
	v_add_co_u32 v1, vcc_lo, v1, s4
	v_add_co_ci_u32_e32 v2, vcc_lo, s5, v2, vcc_lo
	global_store_b32 v[8:9], v5, off
	s_waitcnt lgkmcnt(0)
	s_clause 0x1
	global_store_b32 v[10:11], v6, off
	global_store_b32 v[12:13], v7, off
	s_cbranch_scc1 .LBB30_102
.LBB30_103:
	s_and_b32 s4, s12, 3
	s_delay_alu instid0(SALU_CYCLE_1)
	s_cmp_eq_u32 s4, 0
	s_cbranch_scc1 .LBB30_106
; %bb.104:
	s_mul_hi_i32 s7, s0, s13
	s_mul_i32 s6, s0, s13
	s_mul_i32 s5, s13, 0x60
	s_lshl_b64 s[6:7], s[6:7], 2
	v_add3_u32 v2, s5, v3, 0x900
	s_add_u32 s6, s6, s16
	s_addc_u32 s7, s7, s17
	s_add_u32 s6, s6, s8
	s_addc_u32 s7, s7, s9
	;; [unrolled: 2-line block ×3, first 2 shown]
	v_add_co_u32 v0, s2, s2, v3
	s_delay_alu instid0(VALU_DEP_1)
	v_add_co_ci_u32_e64 v1, null, s3, 0, s2
	s_lshl_b64 s[0:1], s[0:1], 2
.LBB30_105:                             ; =>This Inner Loop Header: Depth=1
	ds_load_b32 v3, v2
	v_add_nc_u32_e32 v2, 0x60, v2
	s_add_i32 s4, s4, -1
	s_delay_alu instid0(SALU_CYCLE_1)
	s_cmp_lg_u32 s4, 0
	s_waitcnt lgkmcnt(0)
	global_store_b32 v[0:1], v3, off
	v_add_co_u32 v0, vcc_lo, v0, s0
	v_add_co_ci_u32_e32 v1, vcc_lo, s1, v1, vcc_lo
	s_cbranch_scc1 .LBB30_105
.LBB30_106:
	s_nop 0
	s_sendmsg sendmsg(MSG_DEALLOC_VGPRS)
	s_endpgm
	.section	.rodata,"a",@progbits
	.p2align	6, 0x0
	.amdhsa_kernel _ZL31rocblas_trsm_small_right_deviceIffPKPKfPKPfLi24EEv13rocblas_fill_18rocblas_operation_17rocblas_diagonal_iiT0_T1_lilT2_lili
		.amdhsa_group_segment_fixed_size 4608
		.amdhsa_private_segment_fixed_size 0
		.amdhsa_kernarg_size 352
		.amdhsa_user_sgpr_count 14
		.amdhsa_user_sgpr_dispatch_ptr 0
		.amdhsa_user_sgpr_queue_ptr 0
		.amdhsa_user_sgpr_kernarg_segment_ptr 1
		.amdhsa_user_sgpr_dispatch_id 0
		.amdhsa_user_sgpr_private_segment_size 0
		.amdhsa_wavefront_size32 1
		.amdhsa_uses_dynamic_stack 0
		.amdhsa_enable_private_segment 0
		.amdhsa_system_sgpr_workgroup_id_x 1
		.amdhsa_system_sgpr_workgroup_id_y 0
		.amdhsa_system_sgpr_workgroup_id_z 1
		.amdhsa_system_sgpr_workgroup_info 0
		.amdhsa_system_vgpr_workitem_id 0
		.amdhsa_next_free_vgpr 31
		.amdhsa_next_free_sgpr 32
		.amdhsa_reserve_vcc 1
		.amdhsa_float_round_mode_32 0
		.amdhsa_float_round_mode_16_64 0
		.amdhsa_float_denorm_mode_32 3
		.amdhsa_float_denorm_mode_16_64 3
		.amdhsa_dx10_clamp 1
		.amdhsa_ieee_mode 1
		.amdhsa_fp16_overflow 0
		.amdhsa_workgroup_processor_mode 1
		.amdhsa_memory_ordered 1
		.amdhsa_forward_progress 0
		.amdhsa_shared_vgpr_count 0
		.amdhsa_exception_fp_ieee_invalid_op 0
		.amdhsa_exception_fp_denorm_src 0
		.amdhsa_exception_fp_ieee_div_zero 0
		.amdhsa_exception_fp_ieee_overflow 0
		.amdhsa_exception_fp_ieee_underflow 0
		.amdhsa_exception_fp_ieee_inexact 0
		.amdhsa_exception_int_div_zero 0
	.end_amdhsa_kernel
	.section	.text._ZL31rocblas_trsm_small_right_deviceIffPKPKfPKPfLi24EEv13rocblas_fill_18rocblas_operation_17rocblas_diagonal_iiT0_T1_lilT2_lili,"axG",@progbits,_ZL31rocblas_trsm_small_right_deviceIffPKPKfPKPfLi24EEv13rocblas_fill_18rocblas_operation_17rocblas_diagonal_iiT0_T1_lilT2_lili,comdat
.Lfunc_end30:
	.size	_ZL31rocblas_trsm_small_right_deviceIffPKPKfPKPfLi24EEv13rocblas_fill_18rocblas_operation_17rocblas_diagonal_iiT0_T1_lilT2_lili, .Lfunc_end30-_ZL31rocblas_trsm_small_right_deviceIffPKPKfPKPfLi24EEv13rocblas_fill_18rocblas_operation_17rocblas_diagonal_iiT0_T1_lilT2_lili
                                        ; -- End function
	.section	.AMDGPU.csdata,"",@progbits
; Kernel info:
; codeLenInByte = 8564
; NumSgprs: 34
; NumVgprs: 31
; ScratchSize: 0
; MemoryBound: 0
; FloatMode: 240
; IeeeMode: 1
; LDSByteSize: 4608 bytes/workgroup (compile time only)
; SGPRBlocks: 4
; VGPRBlocks: 3
; NumSGPRsForWavesPerEU: 34
; NumVGPRsForWavesPerEU: 31
; Occupancy: 7
; WaveLimiterHint : 0
; COMPUTE_PGM_RSRC2:SCRATCH_EN: 0
; COMPUTE_PGM_RSRC2:USER_SGPR: 14
; COMPUTE_PGM_RSRC2:TRAP_HANDLER: 0
; COMPUTE_PGM_RSRC2:TGID_X_EN: 1
; COMPUTE_PGM_RSRC2:TGID_Y_EN: 0
; COMPUTE_PGM_RSRC2:TGID_Z_EN: 1
; COMPUTE_PGM_RSRC2:TIDIG_COMP_CNT: 0
	.section	.text._ZL38rocblas_trsm_small_left_device_sharedBILi28ELi28ELb0EffPKPKfPKPfEv13rocblas_fill_18rocblas_operation_17rocblas_diagonal_iiT3_T4_lilT5_lili,"axG",@progbits,_ZL38rocblas_trsm_small_left_device_sharedBILi28ELi28ELb0EffPKPKfPKPfEv13rocblas_fill_18rocblas_operation_17rocblas_diagonal_iiT3_T4_lilT5_lili,comdat
	.globl	_ZL38rocblas_trsm_small_left_device_sharedBILi28ELi28ELb0EffPKPKfPKPfEv13rocblas_fill_18rocblas_operation_17rocblas_diagonal_iiT3_T4_lilT5_lili ; -- Begin function _ZL38rocblas_trsm_small_left_device_sharedBILi28ELi28ELb0EffPKPKfPKPfEv13rocblas_fill_18rocblas_operation_17rocblas_diagonal_iiT3_T4_lilT5_lili
	.p2align	8
	.type	_ZL38rocblas_trsm_small_left_device_sharedBILi28ELi28ELb0EffPKPKfPKPfEv13rocblas_fill_18rocblas_operation_17rocblas_diagonal_iiT3_T4_lilT5_lili,@function
_ZL38rocblas_trsm_small_left_device_sharedBILi28ELi28ELb0EffPKPKfPKPfEv13rocblas_fill_18rocblas_operation_17rocblas_diagonal_iiT3_T4_lilT5_lili: ; @_ZL38rocblas_trsm_small_left_device_sharedBILi28ELi28ELb0EffPKPKfPKPfEv13rocblas_fill_18rocblas_operation_17rocblas_diagonal_iiT3_T4_lilT5_lili
; %bb.0:
	s_clause 0x1
	s_load_b128 s[8:11], s[0:1], 0x38
	s_load_b128 s[4:7], s[0:1], 0x4
	s_mov_b32 s12, s15
	s_mov_b32 s13, 0
	s_delay_alu instid0(SALU_CYCLE_1)
	s_lshl_b64 s[20:21], s[12:13], 3
	s_mov_b32 s12, exec_lo
	s_waitcnt lgkmcnt(0)
	s_add_u32 s2, s8, s20
	s_addc_u32 s3, s9, s21
	s_load_b32 s27, s[0:1], 0x14
	s_load_b64 s[2:3], s[2:3], 0x0
	s_min_i32 s15, s6, 28
	s_delay_alu instid0(SALU_CYCLE_1)
	s_add_i32 s26, s15, -1
	v_cmpx_gt_i32_e64 s15, v0
	s_cbranch_execz .LBB31_10
; %bb.1:
	s_clause 0x1
	s_load_b32 s8, s[0:1], 0x28
	s_load_b128 s[16:19], s[0:1], 0x18
	s_waitcnt lgkmcnt(0)
	s_ashr_i32 s9, s8, 31
	s_add_u32 s16, s16, s20
	s_addc_u32 s17, s17, s21
	s_cmp_lt_u32 s26, 3
	s_load_b64 s[16:17], s[16:17], 0x0
	s_cbranch_scc1 .LBB31_4
; %bb.2:
	v_lshlrev_b32_e32 v3, 2, v0
	s_lshl_b64 s[20:21], s[18:19], 2
	s_mul_hi_i32 s28, s8, 12
	s_waitcnt lgkmcnt(0)
	s_add_u32 s13, s16, s20
	s_addc_u32 s20, s17, s21
	v_add_co_u32 v1, s13, s13, v3
	s_delay_alu instid0(VALU_DEP_1)
	v_add_co_ci_u32_e64 v2, null, s20, 0, s13
	s_and_b32 s13, s15, -4
	s_mul_i32 s29, s8, 12
	s_lshl_b64 s[20:21], s[8:9], 4
	s_lshl_b64 s[22:23], s[8:9], 3
	;; [unrolled: 1-line block ×3, first 2 shown]
	s_mov_b32 s30, 0
	.p2align	6
.LBB31_3:                               ; =>This Inner Loop Header: Depth=1
	v_add_co_u32 v4, vcc_lo, v1, s24
	v_add_co_ci_u32_e32 v5, vcc_lo, s25, v2, vcc_lo
	v_add_co_u32 v6, vcc_lo, v1, s22
	v_add_co_ci_u32_e32 v7, vcc_lo, s23, v2, vcc_lo
	v_add_co_u32 v8, vcc_lo, v1, s29
	v_add_co_ci_u32_e32 v9, vcc_lo, s28, v2, vcc_lo
	s_clause 0x3
	global_load_b32 v10, v[1:2], off
	global_load_b32 v4, v[4:5], off
	;; [unrolled: 1-line block ×4, first 2 shown]
	v_add_co_u32 v1, vcc_lo, v1, s20
	v_add_co_ci_u32_e32 v2, vcc_lo, s21, v2, vcc_lo
	s_add_i32 s30, s30, 4
	s_waitcnt vmcnt(2)
	ds_store_2addr_b32 v3, v10, v4 offset1:28
	s_waitcnt vmcnt(0)
	ds_store_2addr_b32 v3, v5, v6 offset0:56 offset1:84
	v_add_nc_u32_e32 v3, 0x1c0, v3
	s_cmp_eq_u32 s13, s30
	s_cbranch_scc0 .LBB31_3
.LBB31_4:
	s_and_b32 s20, s15, 3
	s_delay_alu instid0(SALU_CYCLE_1)
	s_cmp_eq_u32 s20, 0
	s_cbranch_scc1 .LBB31_7
; %bb.5:
	s_mul_i32 s21, s9, s13
	s_mul_hi_u32 s22, s8, s13
	s_lshl_b64 s[18:19], s[18:19], 2
	s_add_i32 s23, s22, s21
	s_mul_i32 s22, s8, s13
	s_mulk_i32 s13, 0x70
	s_lshl_b64 s[22:23], s[22:23], 2
	v_lshlrev_b32_e32 v1, 2, v0
	v_lshl_add_u32 v3, v0, 2, s13
	s_add_u32 s13, s22, s18
	s_addc_u32 s18, s23, s19
	s_waitcnt lgkmcnt(0)
	s_add_u32 s13, s16, s13
	s_addc_u32 s16, s17, s18
	v_add_co_u32 v1, s13, s13, v1
	s_delay_alu instid0(VALU_DEP_1)
	v_add_co_ci_u32_e64 v2, null, s16, 0, s13
	s_lshl_b64 s[8:9], s[8:9], 2
.LBB31_6:                               ; =>This Inner Loop Header: Depth=1
	global_load_b32 v4, v[1:2], off
	v_add_co_u32 v1, vcc_lo, v1, s8
	v_add_co_ci_u32_e32 v2, vcc_lo, s9, v2, vcc_lo
	s_add_i32 s20, s20, -1
	s_delay_alu instid0(SALU_CYCLE_1)
	s_cmp_lg_u32 s20, 0
	s_waitcnt vmcnt(0)
	ds_store_b32 v3, v4
	v_add_nc_u32_e32 v3, 0x70, v3
	s_cbranch_scc1 .LBB31_6
.LBB31_7:
	v_mul_u32_u24_e32 v1, 29, v0
	s_cmpk_lg_i32 s5, 0x84
	s_delay_alu instid0(VALU_DEP_1)
	v_dual_mov_b32 v2, 1.0 :: v_dual_lshlrev_b32 v1, 2, v1
	s_cbranch_scc0 .LBB31_9
; %bb.8:
	ds_load_b32 v2, v1
	s_waitcnt lgkmcnt(0)
	v_div_scale_f32 v3, null, v2, v2, 1.0
	s_delay_alu instid0(VALU_DEP_1) | instskip(SKIP_2) | instid1(VALU_DEP_1)
	v_rcp_f32_e32 v4, v3
	s_waitcnt_depctr 0xfff
	v_fma_f32 v5, -v3, v4, 1.0
	v_fmac_f32_e32 v4, v5, v4
	v_div_scale_f32 v5, vcc_lo, 1.0, v2, 1.0
	s_delay_alu instid0(VALU_DEP_1) | instskip(NEXT) | instid1(VALU_DEP_1)
	v_mul_f32_e32 v6, v5, v4
	v_fma_f32 v7, -v3, v6, v5
	s_delay_alu instid0(VALU_DEP_1) | instskip(NEXT) | instid1(VALU_DEP_1)
	v_fmac_f32_e32 v6, v7, v4
	v_fma_f32 v3, -v3, v6, v5
	s_delay_alu instid0(VALU_DEP_1) | instskip(NEXT) | instid1(VALU_DEP_1)
	v_div_fmas_f32 v3, v3, v4, v6
	v_div_fixup_f32 v2, v3, v2, 1.0
.LBB31_9:
	ds_store_b32 v1, v2
.LBB31_10:
	s_or_b32 exec_lo, exec_lo, s12
	s_load_b32 s5, s[0:1], 0x60
	s_waitcnt lgkmcnt(0)
	s_load_b32 s16, s[0:1], 0x48
	s_lshl_b64 s[0:1], s[10:11], 2
	s_mul_i32 s9, s14, 0xffffffe4
	s_mul_i32 s8, s14, 28
	s_waitcnt lgkmcnt(0)
	s_ashr_i32 s17, s16, 31
	s_add_u32 s12, s2, s0
	s_addc_u32 s13, s3, s1
	s_add_i32 s5, s5, -1
	s_add_i32 s9, s9, s7
	s_mul_hi_i32 s11, s16, s8
	s_cmp_ge_u32 s14, s5
	s_mul_i32 s10, s16, s8
	s_cselect_b32 s14, s9, 28
	s_lshl_b64 s[10:11], s[10:11], 2
	s_ashr_i32 s9, s8, 31
	s_add_u32 s5, s12, s10
	s_addc_u32 s7, s13, s11
	v_cmp_gt_i32_e32 vcc_lo, s14, v0
	s_cmp_gt_i32 s6, 0
	s_mov_b32 s10, 0
	s_cselect_b32 s11, -1, 0
	s_delay_alu instid0(SALU_CYCLE_1) | instskip(NEXT) | instid1(SALU_CYCLE_1)
	s_and_b32 s14, vcc_lo, s11
	s_and_saveexec_b32 s18, s14
	s_cbranch_execz .LBB31_17
; %bb.11:
	s_cmp_lt_i32 s6, 8
	s_cbranch_scc1 .LBB31_14
; %bb.12:
	v_mad_i64_i32 v[1:2], null, s16, v0, 0
	v_lshl_add_u32 v3, v0, 2, 0xc40
	s_lshl_b32 s10, s15, 2
	s_mov_b64 s[12:13], 0
	s_and_b32 s11, s10, 0x60
	s_mov_b32 s10, 0
	s_delay_alu instid0(VALU_DEP_2) | instskip(NEXT) | instid1(VALU_DEP_1)
	v_lshlrev_b64 v[1:2], 2, v[1:2]
	v_add_co_u32 v1, vcc_lo, s5, v1
	s_delay_alu instid0(VALU_DEP_2)
	v_add_co_ci_u32_e32 v2, vcc_lo, s7, v2, vcc_lo
	.p2align	6
.LBB31_13:                              ; =>This Inner Loop Header: Depth=1
	s_delay_alu instid0(VALU_DEP_2) | instskip(NEXT) | instid1(VALU_DEP_2)
	v_add_co_u32 v8, vcc_lo, v1, s12
	v_add_co_ci_u32_e32 v9, vcc_lo, s13, v2, vcc_lo
	s_add_i32 s10, s10, 8
	s_add_u32 s12, s12, 32
	s_addc_u32 s13, s13, 0
	s_clause 0x1
	global_load_b128 v[4:7], v[8:9], off
	global_load_b128 v[8:11], v[8:9], off offset:16
	s_cmp_lg_u32 s11, s12
	s_waitcnt vmcnt(1)
	v_dual_mul_f32 v4, s27, v4 :: v_dual_mul_f32 v5, s27, v5
	v_dual_mul_f32 v6, s27, v6 :: v_dual_mul_f32 v7, s27, v7
	s_waitcnt vmcnt(0)
	v_dual_mul_f32 v8, s27, v8 :: v_dual_mul_f32 v9, s27, v9
	v_dual_mul_f32 v10, s27, v10 :: v_dual_mul_f32 v11, s27, v11
	ds_store_2addr_b32 v3, v4, v5 offset1:28
	ds_store_2addr_b32 v3, v6, v7 offset0:56 offset1:84
	ds_store_2addr_b32 v3, v8, v9 offset0:112 offset1:140
	;; [unrolled: 1-line block ×3, first 2 shown]
	v_add_nc_u32_e32 v3, 0x380, v3
	s_cbranch_scc1 .LBB31_13
.LBB31_14:
	s_and_b32 s12, s15, 7
	s_mov_b32 s11, 0
	s_cmp_eq_u32 s12, 0
	s_cbranch_scc1 .LBB31_17
; %bb.15:
	v_lshlrev_b32_e32 v3, 2, v0
	s_lshl_b64 s[20:21], s[8:9], 2
	s_lshl_b64 s[22:23], s[10:11], 2
	s_mulk_i32 s10, 0x70
	s_delay_alu instid0(VALU_DEP_1) | instskip(NEXT) | instid1(VALU_DEP_1)
	v_add_co_u32 v4, s11, s20, v3
	v_add_co_ci_u32_e64 v5, null, s21, 0, s11
	s_add_u32 s11, s2, s22
	s_addc_u32 s13, s3, s23
	s_add_u32 s20, s11, s0
	s_addc_u32 s21, s13, s1
	v_mul_lo_u32 v5, v5, s16
	v_mad_u64_u32 v[1:2], null, v4, s16, s[20:21]
	v_mul_lo_u32 v4, v4, s17
	v_add3_u32 v3, s10, v3, 0xc40
	s_delay_alu instid0(VALU_DEP_2)
	v_add3_u32 v2, v5, v2, v4
.LBB31_16:                              ; =>This Inner Loop Header: Depth=1
	global_load_b32 v4, v[1:2], off
	v_add_co_u32 v1, vcc_lo, v1, 4
	v_add_co_ci_u32_e32 v2, vcc_lo, 0, v2, vcc_lo
	s_add_i32 s12, s12, -1
	s_delay_alu instid0(SALU_CYCLE_1)
	s_cmp_lg_u32 s12, 0
	s_waitcnt vmcnt(0)
	v_mul_f32_e32 v4, s27, v4
	ds_store_b32 v3, v4
	v_add_nc_u32_e32 v3, 0x70, v3
	s_cbranch_scc1 .LBB31_16
.LBB31_17:
	s_or_b32 exec_lo, exec_lo, s18
	s_cmpk_eq_i32 s4, 0x6f
	s_mov_b32 s4, -1
	s_waitcnt vmcnt(0) lgkmcnt(0)
	s_waitcnt_vscnt null, 0x0
	; wave barrier
	s_waitcnt lgkmcnt(0)
	buffer_gl0_inv
	s_cbranch_scc1 .LBB31_38
; %bb.18:
	s_cmp_gt_i32 s6, 27
	s_mov_b32 s4, 0
	s_cselect_b32 s12, -1, 0
	s_delay_alu instid0(SALU_CYCLE_1)
	s_and_b32 vcc_lo, exec_lo, s12
	s_cbranch_vccz .LBB31_20
; %bb.19:
	v_lshlrev_b32_e32 v20, 2, v0
	v_mov_b32_e32 v4, 0
	s_mov_b32 s4, 28
	s_delay_alu instid0(VALU_DEP_2)
	v_add_nc_u32_e32 v2, 0xc00, v20
	ds_load_b32 v19, v4
	ds_load_b64 v[80:81], v4 offset:112
	ds_load_b96 v[84:86], v4 offset:224
	ds_load_2addr_b32 v[5:6], v2 offset0:16 offset1:44
	ds_load_b128 v[7:10], v4 offset:336
	ds_load_b128 v[11:14], v4 offset:448
	ds_load_b32 v111, v4 offset:464
	ds_load_b128 v[15:18], v4 offset:560
	ds_load_b64 v[93:94], v4 offset:576
	ds_load_b128 v[21:24], v4 offset:672
	ds_load_b96 v[87:89], v4 offset:688
	ds_load_b128 v[25:28], v4 offset:784
	ds_load_b128 v[29:32], v4 offset:800
	;; [unrolled: 1-line block ×3, first 2 shown]
	ds_load_2addr_b32 v[95:96], v2 offset0:72 offset1:100
	ds_load_b128 v[37:40], v4 offset:912
	ds_load_b32 v112, v4 offset:928
	ds_load_b128 v[41:44], v4 offset:1008
	ds_load_b128 v[45:48], v4 offset:1024
	ds_load_b64 v[97:98], v4 offset:1040
	ds_load_b128 v[49:52], v4 offset:1120
	ds_load_b128 v[53:56], v4 offset:1136
	ds_load_b96 v[90:92], v4 offset:1152
	ds_load_2addr_b32 v[99:100], v2 offset0:128 offset1:156
	s_waitcnt lgkmcnt(20)
	v_mul_f32_e32 v5, v19, v5
	v_add_nc_u32_e32 v3, 0xe00, v20
	s_delay_alu instid0(VALU_DEP_2) | instskip(NEXT) | instid1(VALU_DEP_1)
	v_fma_f32 v6, -v5, v80, v6
	v_dual_mul_f32 v6, v81, v6 :: v_dual_add_nc_u32 v1, 0x1000, v20
	s_waitcnt lgkmcnt(9)
	v_fma_f32 v95, -v5, v84, v95
	v_fma_f32 v7, -v5, v7, v96
	s_delay_alu instid0(VALU_DEP_2) | instskip(NEXT) | instid1(VALU_DEP_2)
	v_fma_f32 v85, -v6, v85, v95
	v_fma_f32 v8, -v6, v8, v7
	s_waitcnt lgkmcnt(0)
	v_fma_f32 v11, -v5, v11, v99
	v_fma_f32 v15, -v5, v15, v100
	v_mul_f32_e32 v7, v86, v85
	ds_load_b128 v[57:60], v4 offset:1232
	ds_load_b128 v[61:64], v4 offset:1248
	;; [unrolled: 1-line block ×4, first 2 shown]
	ds_load_2addr_b32 v[101:102], v2 offset0:184 offset1:212
	ds_load_b32 v19, v4 offset:1392
	ds_load_b128 v[73:76], v4 offset:1456
	ds_load_b128 v[77:80], v4 offset:1472
	ds_load_2addr_b32 v[103:104], v3 offset0:112 offset1:140
	ds_load_b64 v[105:106], v4 offset:1504
	ds_load_b128 v[81:84], v4 offset:1568
	v_fma_f32 v11, -v6, v12, v11
	v_fma_f32 v8, -v7, v9, v8
	;; [unrolled: 1-line block ×3, first 2 shown]
	ds_load_2addr_b32 v[95:96], v1 offset0:40 offset1:68
	ds_load_2addr_b32 v[107:108], v1 offset0:96 offset1:124
	;; [unrolled: 1-line block ×4, first 2 shown]
	v_fma_f32 v11, -v7, v13, v11
	v_mul_f32_e32 v8, v10, v8
	v_fma_f32 v15, -v7, v17, v15
	s_delay_alu instid0(VALU_DEP_2)
	v_fma_f32 v11, -v8, v14, v11
	s_waitcnt lgkmcnt(6)
	v_fma_f32 v10, -v5, v33, v103
	v_fma_f32 v9, -v5, v21, v101
	;; [unrolled: 1-line block ×4, first 2 shown]
	s_delay_alu instid0(VALU_DEP_4) | instskip(NEXT) | instid1(VALU_DEP_4)
	v_fma_f32 v10, -v6, v34, v10
	v_fma_f32 v9, -v6, v22, v9
	s_delay_alu instid0(VALU_DEP_4) | instskip(NEXT) | instid1(VALU_DEP_4)
	v_fma_f32 v12, -v6, v26, v12
	v_fma_f32 v13, -v6, v42, v13
	s_waitcnt lgkmcnt(3)
	v_fma_f32 v14, -v5, v49, v95
	v_fma_f32 v17, -v5, v57, v96
	;; [unrolled: 1-line block ×3, first 2 shown]
	v_mul_f32_e32 v9, v111, v11
	v_fma_f32 v15, -v8, v18, v15
	v_fma_f32 v11, -v7, v27, v12
	;; [unrolled: 1-line block ×10, first 2 shown]
	v_mul_f32_e32 v10, v94, v15
	v_fma_f32 v15, -v8, v36, v16
	v_fma_f32 v11, -v9, v29, v11
	v_fma_f32 v14, -v7, v51, v14
	v_fma_f32 v13, -v9, v45, v13
	v_fma_f32 v12, -v10, v88, v12
	v_fma_f32 v15, -v9, v37, v15
	v_fma_f32 v16, -v10, v30, v11
	v_fma_f32 v14, -v8, v52, v14
	s_waitcnt lgkmcnt(2)
	v_fma_f32 v21, -v5, v69, v107
	v_mul_f32_e32 v11, v89, v12
	v_fma_f32 v12, -v6, v58, v17
	v_fma_f32 v15, -v10, v38, v15
	v_fma_f32 v13, -v10, v46, v13
	v_fma_f32 v14, -v9, v53, v14
	v_fma_f32 v16, -v11, v31, v16
	v_fma_f32 v17, -v7, v59, v12
	v_fma_f32 v22, -v11, v39, v15
	v_fma_f32 v13, -v11, v47, v13
	v_fma_f32 v21, -v6, v70, v21
	v_mul_f32_e32 v12, v32, v16
	v_fma_f32 v23, -v8, v60, v17
	ds_load_b128 v[15:18], v4 offset:1360
	v_fma_f32 v14, -v10, v54, v14
	v_fma_f32 v21, -v7, v71, v21
	;; [unrolled: 1-line block ×7, first 2 shown]
	v_mul_f32_e32 v13, v112, v22
	v_fma_f32 v22, -v5, v73, v108
	v_fma_f32 v23, -v10, v62, v23
	;; [unrolled: 1-line block ×3, first 2 shown]
	s_waitcnt lgkmcnt(2)
	v_fma_f32 v34, -v5, v81, v85
	v_fma_f32 v24, -v13, v97, v24
	;; [unrolled: 1-line block ×4, first 2 shown]
	ds_load_b128 v[29:32], v4 offset:1488
	v_fma_f32 v39, -v6, v82, v34
	v_mul_f32_e32 v14, v98, v24
	v_fma_f32 v28, -v7, v75, v22
	v_fma_f32 v37, -v13, v90, v25
	ds_load_b128 v[21:24], v4 offset:1376
	s_waitcnt lgkmcnt(2)
	v_fma_f32 v15, -v9, v15, v26
	v_fma_f32 v38, -v12, v64, v27
	;; [unrolled: 1-line block ×3, first 2 shown]
	ds_load_b128 v[25:28], v4 offset:1584
	v_fma_f32 v15, -v10, v16, v15
	v_fma_f32 v38, -v13, v65, v38
	;; [unrolled: 1-line block ×3, first 2 shown]
	ds_load_b96 v[57:59], v4 offset:1616
	ds_load_b128 v[33:36], v4 offset:1680
	v_fma_f32 v15, -v11, v17, v15
	v_fma_f32 v17, -v14, v91, v37
	;; [unrolled: 1-line block ×6, first 2 shown]
	s_delay_alu instid0(VALU_DEP_4)
	v_fma_f32 v18, -v11, v79, v16
	v_mul_f32_e32 v16, v92, v17
	v_fma_f32 v17, -v8, v84, v37
	s_waitcnt lgkmcnt(3)
	v_fma_f32 v21, -v13, v21, v15
	v_add_nc_u32_e32 v15, 0x1400, v20
	v_fma_f32 v18, -v12, v80, v18
	ds_load_b128 v[37:40], v4 offset:1600
	s_waitcnt lgkmcnt(3)
	v_fma_f32 v17, -v9, v25, v17
	v_fma_f32 v25, -v16, v67, v41
	;; [unrolled: 1-line block ×4, first 2 shown]
	s_waitcnt lgkmcnt(1)
	v_fma_f32 v22, -v5, v33, v86
	v_fma_f32 v17, -v10, v26, v17
	ds_load_b128 v[41:44], v4 offset:1696
	ds_load_b128 v[45:48], v4 offset:1728
	;; [unrolled: 1-line block ×3, first 2 shown]
	v_fma_f32 v21, -v16, v23, v21
	v_fma_f32 v18, -v14, v30, v18
	v_fma_f32 v22, -v6, v34, v22
	v_fma_f32 v26, -v11, v27, v17
	v_mul_f32_e32 v17, v68, v25
	ds_load_2addr_b32 v[60:61], v15 offset0:8 offset1:36
	ds_load_b64 v[62:63], v4 offset:1968
	v_fma_f32 v22, -v7, v35, v22
	ds_load_b128 v[53:56], v4 offset:1920
	v_fma_f32 v21, -v17, v24, v21
	v_fma_f32 v24, -v16, v31, v18
	v_add_nc_u32_e32 v20, 0x1600, v20
	v_fma_f32 v29, -v8, v36, v22
	s_delay_alu instid0(VALU_DEP_4) | instskip(NEXT) | instid1(VALU_DEP_4)
	v_mul_f32_e32 v18, v19, v21
	v_fma_f32 v19, -v17, v32, v24
	s_delay_alu instid0(VALU_DEP_1) | instskip(NEXT) | instid1(VALU_DEP_1)
	v_fma_f32 v19, -v18, v105, v19
	v_mul_f32_e32 v19, v106, v19
	v_fma_f32 v23, -v12, v28, v26
	ds_load_b128 v[25:28], v4 offset:1904
	s_waitcnt lgkmcnt(7)
	v_fma_f32 v23, -v13, v37, v23
	s_waitcnt lgkmcnt(6)
	v_fma_f32 v37, -v9, v41, v29
	ds_load_b128 v[29:32], v4 offset:1808
	v_fma_f32 v33, -v14, v38, v23
	ds_load_b128 v[21:24], v4 offset:1712
	s_waitcnt lgkmcnt(6)
	v_fma_f32 v38, -v5, v49, v109
	v_fma_f32 v37, -v10, v42, v37
	;; [unrolled: 1-line block ×3, first 2 shown]
	ds_load_b128 v[33:36], v4 offset:2016
	v_fma_f32 v38, -v6, v50, v38
	v_fma_f32 v37, -v11, v43, v37
	;; [unrolled: 1-line block ×3, first 2 shown]
	s_waitcnt lgkmcnt(3)
	v_fma_f32 v25, -v5, v25, v110
	v_fma_f32 v38, -v7, v51, v38
	;; [unrolled: 1-line block ×3, first 2 shown]
	s_delay_alu instid0(VALU_DEP_3) | instskip(NEXT) | instid1(VALU_DEP_3)
	v_fma_f32 v25, -v6, v26, v25
	v_fma_f32 v41, -v8, v52, v38
	;; [unrolled: 1-line block ×3, first 2 shown]
	ds_load_b128 v[37:40], v4 offset:1824
	v_fma_f32 v25, -v7, v27, v25
	s_waitcnt lgkmcnt(3)
	v_fma_f32 v29, -v9, v29, v41
	v_fma_f32 v49, -v19, v58, v26
	s_waitcnt lgkmcnt(2)
	v_fma_f32 v21, -v13, v21, v42
	v_fma_f32 v41, -v8, v28, v25
	ds_load_b128 v[25:28], v4 offset:2032
	s_waitcnt lgkmcnt(2)
	v_fma_f32 v33, -v5, v33, v60
	v_fma_f32 v29, -v10, v30, v29
	;; [unrolled: 1-line block ×4, first 2 shown]
	ds_load_b128 v[41:44], v4 offset:1936
	v_fma_f32 v30, -v6, v34, v33
	v_fma_f32 v29, -v11, v31, v29
	;; [unrolled: 1-line block ×4, first 2 shown]
	v_mul_f32_e32 v21, v59, v49
	v_fma_f32 v33, -v7, v35, v30
	v_fma_f32 v34, -v12, v32, v29
	;; [unrolled: 1-line block ×3, first 2 shown]
	ds_load_b128 v[29:32], v4 offset:1840
	v_fma_f32 v22, -v11, v55, v22
	v_fma_f32 v24, -v8, v36, v33
	s_waitcnt lgkmcnt(3)
	v_fma_f32 v37, -v13, v37, v34
	v_fma_f32 v45, -v18, v45, v23
	ds_load_b128 v[33:36], v4 offset:2048
	v_fma_f32 v53, -v12, v56, v22
	s_waitcnt lgkmcnt(3)
	v_fma_f32 v54, -v9, v25, v24
	v_fma_f32 v37, -v14, v38, v37
	ds_load_b128 v[22:25], v4 offset:2128
	ds_load_b128 v[49:52], v4 offset:1952
	ds_load_2addr_b32 v[59:60], v15 offset0:64 offset1:92
	s_waitcnt lgkmcnt(5)
	v_fma_f32 v38, -v13, v41, v53
	v_fma_f32 v26, -v10, v26, v54
	v_fma_f32 v37, -v16, v39, v37
	v_fma_f32 v39, -v19, v46, v45
	ds_load_b32 v46, v4 offset:1856
	v_fma_f32 v38, -v14, v42, v38
	v_fma_f32 v26, -v11, v27, v26
	v_fma_f32 v27, -v17, v40, v37
	v_fma_f32 v45, -v21, v47, v39
	s_delay_alu instid0(VALU_DEP_4) | instskip(NEXT) | instid1(VALU_DEP_4)
	v_fma_f32 v41, -v16, v43, v38
	v_fma_f32 v42, -v12, v28, v26
	s_waitcnt lgkmcnt(5)
	v_fma_f32 v47, -v18, v29, v27
	v_mul_f32_e32 v70, v48, v45
	ds_load_b128 v[26:29], v4 offset:2192
	ds_load_b128 v[37:40], v4 offset:2240
	ds_load_2addr_b32 v[64:65], v15 offset0:120 offset1:148
	s_waitcnt lgkmcnt(7)
	v_fma_f32 v33, -v13, v33, v42
	s_waitcnt lgkmcnt(6)
	v_fma_f32 v22, -v5, v22, v61
	v_fma_f32 v30, -v19, v30, v47
	ds_load_b128 v[53:56], v4 offset:2064
	v_fma_f32 v33, -v14, v34, v33
	v_fma_f32 v22, -v6, v23, v22
	;; [unrolled: 1-line block ×3, first 2 shown]
	s_delay_alu instid0(VALU_DEP_3) | instskip(NEXT) | instid1(VALU_DEP_3)
	v_fma_f32 v31, -v16, v35, v33
	v_fma_f32 v22, -v7, v24, v22
	s_delay_alu instid0(VALU_DEP_3) | instskip(NEXT) | instid1(VALU_DEP_2)
	v_fma_f32 v34, -v70, v32, v23
	v_fma_f32 v45, -v8, v25, v22
	s_waitcnt lgkmcnt(4)
	s_delay_alu instid0(VALU_DEP_2)
	v_mul_f32_e32 v72, v46, v34
	v_fma_f32 v57, -v17, v44, v41
	ds_load_b128 v[41:44], v4 offset:2144
	v_fma_f32 v36, -v17, v36, v31
	s_waitcnt lgkmcnt(3)
	v_fma_f32 v37, -v5, v37, v59
	v_fma_f32 v47, -v18, v49, v57
	s_waitcnt lgkmcnt(1)
	v_fma_f32 v36, -v18, v53, v36
	s_delay_alu instid0(VALU_DEP_3) | instskip(NEXT) | instid1(VALU_DEP_3)
	v_fma_f32 v38, -v6, v38, v37
	v_fma_f32 v30, -v19, v50, v47
	s_delay_alu instid0(VALU_DEP_3) | instskip(NEXT) | instid1(VALU_DEP_3)
	v_fma_f32 v46, -v19, v54, v36
	v_fma_f32 v38, -v7, v39, v38
	s_delay_alu instid0(VALU_DEP_3)
	v_fma_f32 v35, -v21, v51, v30
	ds_load_b128 v[22:25], v4 offset:2256
	ds_load_b32 v71, v4 offset:2320
	ds_load_b128 v[30:33], v4 offset:2352
	ds_load_b96 v[57:59], v4 offset:2080
	ds_load_2addr_b32 v[66:67], v15 offset0:176 offset1:204
	v_fma_f32 v53, -v21, v55, v46
	v_fma_f32 v49, -v8, v40, v38
	s_waitcnt lgkmcnt(5)
	v_fma_f32 v41, -v9, v41, v45
	v_fma_f32 v45, -v70, v52, v35
	ds_load_b128 v[34:37], v4 offset:2160
	v_fma_f32 v39, -v10, v42, v41
	v_fma_f32 v42, -v72, v62, v45
	s_delay_alu instid0(VALU_DEP_2)
	v_fma_f32 v43, -v11, v43, v39
	ds_load_b128 v[38:41], v4 offset:2272
	ds_load_b64 v[68:69], v4 offset:2432
	ds_load_b128 v[45:48], v4 offset:2464
	s_waitcnt lgkmcnt(8)
	v_fma_f32 v22, -v9, v22, v49
	ds_load_b128 v[49:52], v4 offset:2368
	s_waitcnt lgkmcnt(7)
	v_fma_f32 v30, -v5, v30, v60
	v_mul_f32_e32 v73, v63, v42
	v_fma_f32 v53, -v70, v56, v53
	v_fma_f32 v42, -v12, v44, v43
	;; [unrolled: 1-line block ×4, first 2 shown]
	s_waitcnt lgkmcnt(6)
	v_fma_f32 v30, -v72, v57, v53
	s_waitcnt lgkmcnt(4)
	v_fma_f32 v31, -v13, v34, v42
	ds_load_b128 v[53:56], v4 offset:2176
	v_fma_f32 v22, -v11, v24, v22
	v_fma_f32 v23, -v7, v32, v23
	v_fma_f32 v57, -v73, v58, v30
	v_fma_f32 v30, -v14, v35, v31
	s_delay_alu instid0(VALU_DEP_4) | instskip(NEXT) | instid1(VALU_DEP_4)
	v_fma_f32 v34, -v12, v25, v22
	v_fma_f32 v35, -v8, v33, v23
	ds_load_b128 v[22:25], v4 offset:2480
	s_waitcnt lgkmcnt(3)
	v_fma_f32 v42, -v5, v45, v64
	v_fma_f32 v36, -v16, v36, v30
	ds_load_b128 v[30:33], v4 offset:2384
	s_waitcnt lgkmcnt(3)
	v_fma_f32 v43, -v9, v49, v35
	v_fma_f32 v38, -v13, v38, v34
	;; [unrolled: 1-line block ×4, first 2 shown]
	ds_load_b128 v[34:37], v4 offset:2288
	v_fma_f32 v49, -v10, v50, v43
	v_fma_f32 v38, -v14, v39, v38
	;; [unrolled: 1-line block ×3, first 2 shown]
	ds_load_b96 v[61:63], v4 offset:2544
	ds_load_b128 v[42:45], v4 offset:2576
	s_waitcnt lgkmcnt(5)
	v_fma_f32 v50, -v18, v53, v46
	v_fma_f32 v47, -v11, v51, v49
	;; [unrolled: 1-line block ×4, first 2 shown]
	v_mul_f32_e32 v74, v59, v57
	v_fma_f32 v50, -v19, v54, v50
	v_fma_f32 v40, -v12, v52, v47
	;; [unrolled: 1-line block ×3, first 2 shown]
	s_waitcnt lgkmcnt(4)
	v_fma_f32 v22, -v9, v22, v39
	ds_load_b128 v[46:49], v4 offset:2496
	ds_load_b128 v[57:60], v4 offset:2592
	s_waitcnt lgkmcnt(5)
	v_fma_f32 v30, -v13, v30, v40
	ds_load_b128 v[38:41], v4 offset:2400
	v_fma_f32 v22, -v10, v23, v22
	v_fma_f32 v23, -v21, v55, v50
	ds_load_b128 v[50:53], v4 offset:2304
	s_waitcnt lgkmcnt(6)
	v_fma_f32 v34, -v18, v34, v54
	v_fma_f32 v30, -v14, v31, v30
	;; [unrolled: 1-line block ×3, first 2 shown]
	s_waitcnt lgkmcnt(4)
	v_fma_f32 v24, -v5, v42, v65
	v_fma_f32 v31, -v19, v35, v34
	;; [unrolled: 1-line block ×9, first 2 shown]
	s_delay_alu instid0(VALU_DEP_4)
	v_fma_f32 v43, -v7, v44, v32
	ds_load_b128 v[30:33], v4 offset:2416
	v_fma_f32 v26, -v73, v27, v26
	s_waitcnt lgkmcnt(4)
	v_fma_f32 v42, -v13, v46, v22
	ds_load_b128 v[22:25], v4 offset:2512
	v_fma_f32 v26, -v74, v28, v26
	s_delay_alu instid0(VALU_DEP_1)
	v_mul_f32_e32 v75, v29, v26
	s_waitcnt lgkmcnt(3)
	v_fma_f32 v36, -v18, v38, v36
	v_fma_f32 v38, -v14, v47, v42
	;; [unrolled: 1-line block ×4, first 2 shown]
	s_delay_alu instid0(VALU_DEP_4) | instskip(NEXT) | instid1(VALU_DEP_4)
	v_fma_f32 v39, -v19, v39, v36
	v_fma_f32 v38, -v16, v48, v38
	ds_load_b128 v[34:37], v4 offset:2608
	v_fma_f32 v42, -v9, v57, v42
	s_waitcnt lgkmcnt(3)
	v_fma_f32 v27, -v72, v50, v43
	v_fma_f32 v39, -v21, v40, v39
	v_fma_f32 v38, -v17, v49, v38
	v_fma_f32 v40, -v10, v58, v42
	ds_load_b128 v[42:45], v4 offset:2528
	ds_load_b128 v[46:49], v4 offset:2656
	;; [unrolled: 1-line block ×3, first 2 shown]
	v_fma_f32 v27, -v73, v51, v27
	s_waitcnt lgkmcnt(4)
	v_fma_f32 v22, -v18, v22, v38
	v_fma_f32 v28, -v70, v41, v39
	;; [unrolled: 1-line block ×3, first 2 shown]
	s_delay_alu instid0(VALU_DEP_3) | instskip(NEXT) | instid1(VALU_DEP_3)
	v_fma_f32 v22, -v19, v23, v22
	v_fma_f32 v30, -v72, v30, v28
	s_delay_alu instid0(VALU_DEP_3)
	v_fma_f32 v23, -v12, v60, v38
	v_fma_f32 v38, -v74, v52, v27
	ds_load_b128 v[26:29], v4 offset:2624
	ds_load_2addr_b32 v[58:59], v20 offset0:104 offset1:132
	v_fma_f32 v22, -v21, v24, v22
	v_fma_f32 v30, -v73, v31, v30
	s_waitcnt lgkmcnt(5)
	v_fma_f32 v23, -v13, v34, v23
	v_fma_f32 v34, -v75, v53, v38
	ds_load_b64 v[64:65], v4 offset:2896
	v_fma_f32 v38, -v70, v25, v22
	v_fma_f32 v30, -v74, v32, v30
	;; [unrolled: 1-line block ×3, first 2 shown]
	ds_load_b128 v[22:25], v4 offset:2704
	s_waitcnt lgkmcnt(4)
	v_fma_f32 v35, -v5, v54, v66
	v_fma_f32 v38, -v72, v42, v38
	v_mul_f32_e32 v66, v71, v34
	v_fma_f32 v31, -v16, v36, v31
	v_fma_f32 v42, -v75, v33, v30
	;; [unrolled: 1-line block ×4, first 2 shown]
	ds_load_b128 v[38:41], v4 offset:2800
	v_fma_f32 v35, -v17, v37, v31
	v_fma_f32 v54, -v66, v68, v42
	;; [unrolled: 1-line block ×4, first 2 shown]
	ds_load_b128 v[30:33], v4 offset:2640
	s_waitcnt lgkmcnt(5)
	v_fma_f32 v26, -v18, v26, v35
	ds_load_b128 v[34:37], v4 offset:2912
	v_fma_f32 v50, -v8, v57, v43
	v_fma_f32 v55, -v75, v45, v44
	ds_load_b128 v[42:45], v4 offset:2720
	v_fma_f32 v26, -v19, v27, v26
	v_mul_f32_e32 v68, v69, v54
	s_waitcnt lgkmcnt(4)
	v_fma_f32 v22, -v9, v22, v50
	ds_load_b128 v[50:53], v4 offset:3024
	v_fma_f32 v27, -v66, v61, v55
	ds_load_b128 v[54:57], v4 offset:2816
	v_fma_f32 v26, -v21, v28, v26
	v_fma_f32 v22, -v10, v23, v22
	s_waitcnt lgkmcnt(5)
	v_fma_f32 v23, -v5, v38, v67
	v_fma_f32 v38, -v68, v62, v27
	;; [unrolled: 1-line block ×4, first 2 shown]
	ds_load_b128 v[26:29], v4 offset:2928
	v_fma_f32 v23, -v6, v39, v23
	v_mul_f32_e32 v62, v63, v38
	s_waitcnt lgkmcnt(4)
	v_fma_f32 v24, -v5, v34, v58
	v_fma_f32 v58, -v12, v25, v22
	v_fma_f32 v30, -v72, v30, v60
	v_fma_f32 v34, -v7, v40, v23
	s_delay_alu instid0(VALU_DEP_4)
	v_fma_f32 v35, -v6, v35, v24
	ds_load_b128 v[22:25], v4 offset:3040
	s_waitcnt lgkmcnt(3)
	v_fma_f32 v50, -v5, v50, v59
	v_fma_f32 v34, -v8, v41, v34
	ds_load_b128 v[38:41], v4 offset:2736
	v_fma_f32 v35, -v7, v36, v35
	v_fma_f32 v36, -v13, v42, v58
	;; [unrolled: 1-line block ×3, first 2 shown]
	s_waitcnt lgkmcnt(3)
	v_fma_f32 v34, -v9, v54, v34
	ds_load_b128 v[58:61], v4 offset:2832
	v_fma_f32 v50, -v8, v37, v35
	v_fma_f32 v43, -v14, v43, v36
	;; [unrolled: 1-line block ×4, first 2 shown]
	ds_load_b128 v[34:37], v4 offset:2944
	s_waitcnt lgkmcnt(4)
	v_fma_f32 v26, -v9, v26, v50
	v_fma_f32 v30, -v73, v31, v30
	;; [unrolled: 1-line block ×6, first 2 shown]
	ds_load_b128 v[50:53], v4 offset:3056
	s_waitcnt lgkmcnt(4)
	v_fma_f32 v22, -v9, v22, v31
	v_fma_f32 v31, -v17, v45, v42
	;; [unrolled: 1-line block ×4, first 2 shown]
	ds_load_b128 v[42:45], v4 offset:2848
	v_fma_f32 v22, -v10, v23, v22
	v_fma_f32 v30, -v74, v32, v30
	s_waitcnt lgkmcnt(3)
	v_fma_f32 v23, -v13, v58, v27
	v_fma_f32 v32, -v12, v29, v26
	ds_load_b128 v[26:29], v4 offset:2752
	v_fma_f32 v22, -v11, v24, v22
	v_fma_f32 v24, -v18, v38, v31
	;; [unrolled: 1-line block ×3, first 2 shown]
	s_waitcnt lgkmcnt(3)
	v_fma_f32 v31, -v13, v34, v32
	ds_load_b128 v[54:57], v4 offset:2960
	v_fma_f32 v32, -v12, v25, v22
	v_fma_f32 v34, -v19, v39, v24
	;; [unrolled: 1-line block ×4, first 2 shown]
	ds_load_b128 v[22:25], v4 offset:3072
	v_fma_f32 v34, -v21, v40, v34
	v_fma_f32 v35, -v17, v61, v38
	v_fma_f32 v36, -v16, v36, v31
	v_fma_f32 v38, -v75, v33, v30
	s_delay_alu instid0(VALU_DEP_4)
	v_fma_f32 v34, -v70, v41, v34
	s_waitcnt lgkmcnt(3)
	v_fma_f32 v35, -v18, v42, v35
	v_fma_f32 v40, -v17, v37, v36
	;; [unrolled: 1-line block ×3, first 2 shown]
	s_waitcnt lgkmcnt(2)
	v_fma_f32 v26, -v72, v26, v34
	v_fma_f32 v41, -v19, v43, v35
	ds_load_b128 v[34:37], v4 offset:2976
	v_fma_f32 v32, -v13, v50, v32
	v_fma_f32 v26, -v73, v27, v26
	;; [unrolled: 1-line block ×3, first 2 shown]
	s_delay_alu instid0(VALU_DEP_3)
	v_fma_f32 v39, -v14, v51, v32
	ds_load_b128 v[30:33], v4 offset:2864
	s_waitcnt lgkmcnt(3)
	v_fma_f32 v40, -v18, v54, v40
	v_fma_f32 v27, -v70, v45, v27
	;; [unrolled: 1-line block ×4, first 2 shown]
	s_delay_alu instid0(VALU_DEP_4) | instskip(NEXT) | instid1(VALU_DEP_2)
	v_fma_f32 v42, -v19, v55, v40
	v_fma_f32 v39, -v17, v53, v39
	s_delay_alu instid0(VALU_DEP_2) | instskip(SKIP_1) | instid1(VALU_DEP_2)
	v_fma_f32 v54, -v21, v56, v42
	s_waitcnt lgkmcnt(2)
	v_fma_f32 v22, -v18, v22, v39
	ds_load_b128 v[38:41], v4 offset:3088
	ds_load_b128 v[50:53], v4 offset:2768
	;; [unrolled: 1-line block ×3, first 2 shown]
	v_fma_f32 v22, -v19, v23, v22
	s_waitcnt lgkmcnt(3)
	v_fma_f32 v23, -v72, v30, v27
	v_fma_f32 v27, -v70, v57, v54
	;; [unrolled: 1-line block ×3, first 2 shown]
	ds_load_b32 v47, v4 offset:2784
	v_fma_f32 v22, -v21, v24, v22
	v_fma_f32 v46, -v75, v29, v26
	;; [unrolled: 1-line block ×4, first 2 shown]
	ds_load_b128 v[26:29], v4 offset:2992
	v_fma_f32 v31, -v70, v25, v22
	v_fma_f32 v30, -v62, v48, v30
	;; [unrolled: 1-line block ×4, first 2 shown]
	ds_load_b128 v[22:25], v4 offset:3104
	s_waitcnt lgkmcnt(5)
	v_fma_f32 v31, -v72, v38, v31
	s_waitcnt lgkmcnt(4)
	v_fma_f32 v35, -v66, v50, v46
	v_fma_f32 v32, -v75, v33, v32
	;; [unrolled: 1-line block ×3, first 2 shown]
	v_mul_f32_e32 v38, v49, v30
	v_fma_f32 v31, -v73, v39, v31
	v_fma_f32 v34, -v68, v51, v35
	s_waitcnt lgkmcnt(3)
	v_fma_f32 v32, -v66, v42, v32
	v_fma_f32 v30, -v75, v37, v33
	;; [unrolled: 1-line block ×4, first 2 shown]
	ds_load_b96 v[34:36], v4 offset:3008
	v_fma_f32 v32, -v68, v43, v32
	s_waitcnt lgkmcnt(2)
	v_fma_f32 v26, -v66, v26, v30
	v_fma_f32 v30, -v75, v41, v31
	;; [unrolled: 1-line block ×4, first 2 shown]
	s_delay_alu instid0(VALU_DEP_4)
	v_fma_f32 v26, -v68, v27, v26
	s_waitcnt lgkmcnt(1)
	v_fma_f32 v22, -v66, v22, v30
	ds_load_b128 v[30:33], v4 offset:3120
	v_mul_f32_e32 v4, v47, v37
	v_fma_f32 v27, -v38, v45, v39
	v_fma_f32 v26, -v62, v28, v26
	;; [unrolled: 1-line block ×3, first 2 shown]
	ds_store_2addr_b32 v2, v5, v6 offset0:16 offset1:44
	ds_store_2addr_b32 v2, v7, v8 offset0:72 offset1:100
	;; [unrolled: 1-line block ×6, first 2 shown]
	v_fma_f32 v23, -v4, v64, v27
	v_fma_f32 v26, -v38, v29, v26
	;; [unrolled: 1-line block ×3, first 2 shown]
	s_delay_alu instid0(VALU_DEP_3) | instskip(SKIP_1) | instid1(VALU_DEP_3)
	v_mul_f32_e32 v23, v65, v23
	s_waitcnt lgkmcnt(7)
	v_fma_f32 v24, -v4, v34, v26
	s_delay_alu instid0(VALU_DEP_3)
	v_fma_f32 v22, -v38, v25, v22
	ds_store_2addr_b32 v1, v18, v19 offset0:96 offset1:124
	ds_store_2addr_b32 v1, v21, v70 offset0:152 offset1:180
	;; [unrolled: 1-line block ×4, first 2 shown]
	v_fma_f32 v24, -v23, v35, v24
	s_waitcnt lgkmcnt(10)
	v_fma_f32 v22, -v4, v30, v22
	s_delay_alu instid0(VALU_DEP_2) | instskip(NEXT) | instid1(VALU_DEP_2)
	v_mul_f32_e32 v5, v36, v24
	v_fma_f32 v6, -v23, v31, v22
	s_delay_alu instid0(VALU_DEP_1) | instskip(NEXT) | instid1(VALU_DEP_1)
	v_fma_f32 v2, -v5, v32, v6
	v_mul_f32_e32 v1, v33, v2
	ds_store_2addr_b32 v15, v66, v68 offset0:64 offset1:92
	ds_store_2addr_b32 v15, v62, v38 offset0:120 offset1:148
	;; [unrolled: 1-line block ×4, first 2 shown]
.LBB31_20:
	s_cmp_lt_i32 s4, s15
	s_cbranch_scc0 .LBB31_37
; %bb.21:
	s_add_i32 s10, s4, 23
	s_delay_alu instid0(SALU_CYCLE_1)
	s_cmp_ge_u32 s10, s15
	s_cbranch_scc1 .LBB31_26
; %bb.22:
	s_mul_i32 s11, s4, 28
	s_and_not1_b32 vcc_lo, exec_lo, s12
	v_add_lshl_u32 v25, s11, v0, 2
	s_add_i32 s13, s11, 0x284
	s_delay_alu instid0(SALU_CYCLE_1) | instskip(NEXT) | instid1(VALU_DEP_2)
	v_add_lshl_u32 v26, s13, v0, 2
	v_add_nc_u32_e32 v1, 0xc00, v25
	v_add_nc_u32_e32 v3, 0x1000, v25
	;; [unrolled: 1-line block ×4, first 2 shown]
	ds_load_2addr_b32 v[21:22], v1 offset0:16 offset1:44
	ds_load_2addr_b32 v[19:20], v1 offset0:72 offset1:100
	ds_load_2addr_b32 v[17:18], v1 offset0:128 offset1:156
	ds_load_2addr_b32 v[15:16], v1 offset0:184 offset1:212
	ds_load_2addr_b32 v[13:14], v2 offset0:112 offset1:140
	ds_load_2addr_b32 v[11:12], v3 offset0:40 offset1:68
	ds_load_2addr_b32 v[9:10], v3 offset0:96 offset1:124
	ds_load_2addr_b32 v[7:8], v3 offset0:152 offset1:180
	ds_load_2addr_b32 v[5:6], v3 offset0:208 offset1:236
	ds_load_2addr_b32 v[3:4], v23 offset0:8 offset1:36
	ds_load_2addr_b32 v[1:2], v23 offset0:64 offset1:92
	ds_load_b32 v24, v25 offset:5600
	ds_load_b32 v23, v26 offset:3136
	s_cbranch_vccnz .LBB31_25
; %bb.23:
	v_lshl_add_u32 v26, v0, 2, 0xc40
	s_mul_i32 s12, s4, 0x70
	s_mov_b32 s13, 0
.LBB31_24:                              ; =>This Inner Loop Header: Depth=1
	v_mov_b32_e32 v35, s12
	v_add_nc_u32_e64 v43, 0x400, s12
	v_add_nc_u32_e64 v45, 0x600, s12
	;; [unrolled: 1-line block ×3, first 2 shown]
	ds_load_b32 v51, v26
	v_add_nc_u32_e32 v26, 0x70, v26
	ds_load_2addr_b32 v[27:28], v35 offset1:28
	ds_load_2addr_b32 v[29:30], v35 offset0:56 offset1:84
	ds_load_2addr_b32 v[31:32], v35 offset0:112 offset1:140
	;; [unrolled: 1-line block ×11, first 2 shown]
	s_add_i32 s13, s13, 1
	s_add_i32 s12, s12, 4
	s_cmp_lt_u32 s13, s4
	s_waitcnt lgkmcnt(11)
	v_fma_f32 v21, -v51, v27, v21
	v_fma_f32 v22, -v51, v28, v22
	s_waitcnt lgkmcnt(10)
	v_fma_f32 v19, -v51, v29, v19
	v_fma_f32 v20, -v51, v30, v20
	;; [unrolled: 3-line block ×12, first 2 shown]
	s_cbranch_scc1 .LBB31_24
.LBB31_25:
	s_mul_i32 s13, s4, 0x74
	s_add_i32 s19, s11, 28
	v_dual_mov_b32 v50, s13 :: v_dual_add_nc_u32 v25, 0xc40, v25
	s_add_i32 s12, s19, s4
	s_add_i32 s20, s11, 56
	s_lshl_b32 s12, s12, 2
	s_add_i32 s18, s11, 0x54
	v_mov_b32_e32 v26, s12
	ds_load_2addr_b32 v[46:47], v50 offset1:116
	s_add_i32 s12, s20, s4
	s_add_i32 s21, s18, s4
	s_lshl_b32 s12, s12, 2
	s_add_i32 s22, s11, 0x8c
	v_mov_b32_e32 v27, s12
	ds_load_b64 v[48:49], v26
	s_lshl_b32 s12, s21, 2
	s_add_i32 s21, s11, 0x70
	s_add_i32 s23, s22, s4
	ds_load_b96 v[43:45], v27
	v_mov_b32_e32 v26, s12
	s_add_i32 s12, s21, s4
	s_lshl_b32 s23, s23, 2
	s_lshl_b32 s12, s12, 2
	s_add_i32 s30, s11, 0xc4
	v_mov_b32_e32 v31, s12
	ds_load_b128 v[27:30], v26
	s_add_i32 s12, s11, 0xa8
	s_add_i32 s29, s11, 0xe0
	s_waitcnt lgkmcnt(3)
	v_dual_mul_f32 v21, v46, v21 :: v_dual_mov_b32 v46, s23
	ds_load_b128 v[31:34], v31
	s_add_i32 s24, s12, s4
	ds_load_b32 v26, v50 offset:2320
	s_lshl_b32 s24, s24, 2
	s_waitcnt lgkmcnt(4)
	v_fma_f32 v22, -v21, v48, v22
	v_mov_b32_e32 v51, s24
	s_add_i32 s23, s30, s4
	s_add_i32 s24, s29, s4
	s_waitcnt lgkmcnt(3)
	v_fma_f32 v19, -v21, v43, v19
	v_mul_f32_e32 v22, v49, v22
	ds_load_b128 v[35:38], v46
	ds_load_b128 v[39:42], v51
	s_lshl_b32 s23, s23, 2
	s_lshl_b32 s24, s24, 2
	ds_load_b64 v[48:49], v51 offset:16
	v_fma_f32 v19, -v22, v44, v19
	s_waitcnt lgkmcnt(5)
	v_fma_f32 v20, -v21, v27, v20
	ds_load_b64 v[43:44], v46 offset:16
	s_add_i32 s27, s11, 0x134
	s_add_i32 s28, s11, 0x150
	v_mul_f32_e32 v52, v45, v19
	s_waitcnt lgkmcnt(5)
	v_fma_f32 v17, -v21, v31, v17
	v_mov_b32_e32 v31, s23
	v_fma_f32 v20, -v22, v28, v20
	s_add_i32 s23, s11, 0xfc
	s_mul_i32 s10, s10, 28
	v_fma_f32 v17, -v22, v32, v17
	s_delay_alu instid0(VALU_DEP_2) | instskip(SKIP_2) | instid1(VALU_DEP_3)
	v_fma_f32 v19, -v52, v29, v20
	s_waitcnt lgkmcnt(3)
	v_fma_f32 v27, -v21, v35, v18
	v_fma_f32 v28, -v52, v33, v17
	v_mov_b32_e32 v35, s24
	v_mul_f32_e32 v53, v30, v19
	ds_load_b128 v[17:20], v31
	s_add_i32 s24, s23, s4
	s_waitcnt lgkmcnt(3)
	v_fma_f32 v15, -v21, v39, v15
	s_lshl_b32 s24, s24, 2
	v_fma_f32 v27, -v22, v36, v27
	v_mov_b32_e32 v39, s24
	s_add_i32 s24, s11, 0x118
	v_fma_f32 v32, -v53, v34, v28
	s_add_i32 s25, s24, s4
	v_fma_f32 v33, -v52, v37, v27
	s_lshl_b32 s25, s25, 2
	v_fma_f32 v15, -v22, v40, v15
	v_mov_b32_e32 v56, s25
	ds_load_b128 v[27:30], v35
	v_mul_f32_e32 v54, v47, v32
	v_fma_f32 v32, -v53, v38, v33
	v_fma_f32 v15, -v52, v41, v15
	ds_load_2addr_b32 v[50:51], v50 offset0:174 offset1:203
	ds_load_b96 v[45:47], v31 offset:16
	s_add_i32 s25, s27, s4
	s_waitcnt lgkmcnt(4)
	v_fma_f32 v36, -v54, v43, v32
	s_waitcnt lgkmcnt(3)
	v_fma_f32 v16, -v21, v17, v16
	v_fma_f32 v15, -v53, v42, v15
	ds_load_b128 v[31:34], v39
	s_lshl_b32 s25, s25, 2
	v_mul_f32_e32 v55, v44, v36
	v_fma_f32 v36, -v22, v18, v16
	v_fma_f32 v40, -v54, v48, v15
	ds_load_b128 v[15:18], v35 offset:16
	v_fma_f32 v19, -v52, v19, v36
	ds_load_b128 v[35:38], v56
	s_waitcnt lgkmcnt(5)
	v_fma_f32 v13, -v21, v27, v13
	v_fma_f32 v27, -v55, v49, v40
	;; [unrolled: 1-line block ×3, first 2 shown]
	s_delay_alu instid0(VALU_DEP_3) | instskip(SKIP_1) | instid1(VALU_DEP_3)
	v_fma_f32 v13, -v22, v28, v13
	s_waitcnt lgkmcnt(4)
	v_mul_f32_e32 v57, v50, v27
	s_waitcnt lgkmcnt(3)
	v_fma_f32 v19, -v54, v45, v19
	v_fma_f32 v13, -v52, v29, v13
	s_waitcnt lgkmcnt(2)
	v_fma_f32 v14, -v21, v31, v14
	v_mov_b32_e32 v31, s25
	v_fma_f32 v19, -v55, v46, v19
	s_add_i32 s25, s28, s4
	v_fma_f32 v13, -v53, v30, v13
	ds_load_b128 v[27:30], v56 offset:16
	v_fma_f32 v14, -v22, v32, v14
	ds_load_b128 v[43:46], v31
	s_lshl_b32 s25, s25, 2
	s_waitcnt lgkmcnt(3)
	v_fma_f32 v13, -v54, v15, v13
	v_fma_f32 v15, -v57, v47, v19
	v_add_nc_u32_e64 v19, 0x200, s13
	v_fma_f32 v14, -v52, v33, v14
	v_mov_b32_e32 v49, s25
	v_fma_f32 v13, -v55, v16, v13
	v_mul_f32_e32 v58, v51, v15
	ds_load_b32 v20, v39 offset:32
	ds_load_b128 v[39:42], v39 offset:16
	ds_load_2addr_b32 v[47:48], v19 offset0:104 offset1:133
	s_waitcnt lgkmcnt(5)
	v_fma_f32 v11, -v21, v35, v11
	v_fma_f32 v14, -v53, v34, v14
	;; [unrolled: 1-line block ×3, first 2 shown]
	s_add_i32 s25, s4, 24
	s_delay_alu instid0(VALU_DEP_3) | instskip(NEXT) | instid1(VALU_DEP_2)
	v_fma_f32 v11, -v22, v36, v11
	v_fma_f32 v17, -v58, v18, v17
	s_delay_alu instid0(VALU_DEP_2) | instskip(NEXT) | instid1(VALU_DEP_1)
	v_fma_f32 v11, -v52, v37, v11
	v_fma_f32 v11, -v53, v38, v11
	s_waitcnt lgkmcnt(1)
	v_fma_f32 v14, -v54, v39, v14
	ds_load_b64 v[38:39], v56 offset:32
	s_waitcnt lgkmcnt(1)
	v_mul_f32_e32 v56, v47, v17
	v_fma_f32 v11, -v54, v27, v11
	v_fma_f32 v19, -v55, v40, v14
	ds_load_b128 v[13:16], v31 offset:16
	v_fma_f32 v12, -v21, v43, v12
	ds_load_b96 v[35:37], v31 offset:32
	ds_load_b128 v[31:34], v49
	v_fma_f32 v11, -v55, v28, v11
	v_fma_f32 v18, -v57, v41, v19
	v_add_lshl_u32 v43, s19, v0, 2
	v_fma_f32 v12, -v22, v44, v12
	v_add_nc_u32_e64 v44, 0x400, s13
	v_fma_f32 v11, -v57, v29, v11
	v_fma_f32 v17, -v58, v42, v18
	s_add_i32 s13, s11, 0x16c
	v_fma_f32 v12, -v52, v45, v12
	s_add_i32 s19, s13, s4
	v_fma_f32 v11, -v58, v30, v11
	v_fma_f32 v27, -v56, v20, v17
	ds_load_b128 v[17:20], v49 offset:16
	v_fma_f32 v12, -v53, v46, v12
	s_lshl_b32 s19, s19, 2
	ds_load_2addr_b32 v[40:41], v44 offset0:34 offset1:63
	v_mul_f32_e32 v59, v48, v27
	s_waitcnt lgkmcnt(5)
	v_fma_f32 v27, -v56, v38, v11
	s_waitcnt lgkmcnt(4)
	v_fma_f32 v12, -v54, v13, v12
	;; [unrolled: 2-line block ×3, first 2 shown]
	v_add_lshl_u32 v38, s18, v0, 2
	s_add_i32 s18, s11, 0x188
	v_mov_b32_e32 v45, s19
	v_fma_f32 v12, -v55, v14, v12
	v_fma_f32 v9, -v22, v32, v9
	s_add_i32 s19, s18, s4
	v_add_lshl_u32 v42, s20, v0, 2
	s_lshl_b32 s19, s19, 2
	v_add_lshl_u32 v46, s21, v0, 2
	v_fma_f32 v9, -v52, v33, v9
	v_mov_b32_e32 v50, s19
	v_fma_f32 v15, -v57, v15, v12
	ds_load_b128 v[11:14], v45
	s_add_i32 s19, s11, 0x1a4
	v_fma_f32 v9, -v53, v34, v9
	ds_load_b128 v[31:34], v50
	v_fma_f32 v15, -v58, v16, v15
	v_fma_f32 v16, -v59, v39, v27
	ds_load_b128 v[27:30], v49 offset:32
	s_waitcnt lgkmcnt(4)
	v_fma_f32 v9, -v54, v17, v9
	s_add_i32 s20, s19, s4
	v_fma_f32 v15, -v56, v35, v15
	s_waitcnt lgkmcnt(3)
	v_mul_f32_e32 v60, v40, v16
	v_add_lshl_u32 v35, s22, v0, 2
	v_fma_f32 v9, -v55, v18, v9
	s_lshl_b32 s20, s20, 2
	v_fma_f32 v36, -v59, v36, v15
	ds_load_b128 v[15:18], v45 offset:16
	ds_store_b32 v25, v21
	ds_store_b32 v43, v22 offset:3136
	ds_store_b32 v42, v52 offset:3136
	;; [unrolled: 1-line block ×5, first 2 shown]
	v_fma_f32 v9, -v57, v19, v9
	ds_load_2addr_b32 v[46:47], v44 offset0:92 offset1:208
	v_fma_f32 v19, -v60, v37, v36
	s_waitcnt lgkmcnt(10)
	v_fma_f32 v10, -v21, v11, v10
	v_mov_b32_e32 v25, s20
	v_fma_f32 v20, -v58, v20, v9
	s_waitcnt lgkmcnt(9)
	v_fma_f32 v7, -v21, v31, v7
	v_mul_f32_e32 v61, v41, v19
	v_fma_f32 v10, -v22, v12, v10
	ds_load_b128 v[35:38], v25
	s_waitcnt lgkmcnt(9)
	v_fma_f32 v20, -v56, v27, v20
	s_add_i32 s20, s11, 0x1c0
	v_fma_f32 v7, -v22, v32, v7
	v_fma_f32 v13, -v52, v13, v10
	ds_load_b128 v[9:12], v50 offset:16
	s_add_i32 s21, s20, s4
	s_delay_alu instid0(SALU_CYCLE_1)
	s_lshl_b32 s21, s21, 2
	v_fma_f32 v13, -v53, v14, v13
	v_fma_f32 v14, -v59, v28, v20
	;; [unrolled: 1-line block ×3, first 2 shown]
	v_mov_b32_e32 v62, s21
	s_add_i32 s21, s11, 0x1dc
	s_waitcnt lgkmcnt(9)
	v_fma_f32 v13, -v54, v15, v13
	v_fma_f32 v14, -v60, v29, v14
	;; [unrolled: 1-line block ×3, first 2 shown]
	s_add_i32 s22, s21, s4
	s_delay_alu instid0(VALU_DEP_3) | instskip(NEXT) | instid1(VALU_DEP_3)
	v_fma_f32 v13, -v55, v16, v13
	v_fma_f32 v51, -v61, v30, v14
	ds_load_b128 v[27:30], v25 offset:16
	s_waitcnt lgkmcnt(2)
	v_fma_f32 v8, -v21, v35, v8
	s_lshl_b32 s22, s22, 2
	v_fma_f32 v17, -v57, v17, v13
	v_mul_f32_e32 v64, v46, v51
	ds_load_b128 v[39:42], v45 offset:32
	ds_load_b128 v[13:16], v62
	s_waitcnt lgkmcnt(3)
	v_fma_f32 v7, -v54, v9, v7
	v_fma_f32 v9, -v58, v18, v17
	ds_load_b128 v[17:20], v50 offset:32
	v_fma_f32 v8, -v22, v36, v8
	v_mov_b32_e32 v63, s22
	v_fma_f32 v7, -v55, v10, v7
	s_add_i32 s22, s11, 0x1f8
	ds_load_b64 v[48:49], v45 offset:48
	v_fma_f32 v8, -v52, v37, v8
	s_add_i32 s31, s22, s4
	v_fma_f32 v7, -v57, v11, v7
	s_lshl_b32 s31, s31, 2
	ds_load_b128 v[31:34], v63
	v_fma_f32 v35, -v53, v38, v8
	v_mov_b32_e32 v46, s31
	v_fma_f32 v12, -v58, v12, v7
	s_add_i32 s31, s11, 0x214
	s_waitcnt lgkmcnt(4)
	v_fma_f32 v9, -v56, v39, v9
	s_waitcnt lgkmcnt(3)
	v_fma_f32 v5, -v21, v13, v5
	v_fma_f32 v13, -v54, v27, v35
	ds_load_b128 v[35:38], v63 offset:16
	s_waitcnt lgkmcnt(3)
	v_fma_f32 v12, -v56, v17, v12
	v_fma_f32 v11, -v59, v40, v9
	ds_load_b128 v[7:10], v62 offset:16
	v_fma_f32 v5, -v22, v14, v5
	v_fma_f32 v17, -v55, v28, v13
	;; [unrolled: 1-line block ×4, first 2 shown]
	s_add_i32 s33, s31, s4
	v_fma_f32 v5, -v52, v15, v5
	v_fma_f32 v29, -v57, v29, v17
	s_lshl_b32 s33, s33, 2
	v_fma_f32 v27, -v61, v42, v11
	ds_load_b128 v[11:14], v25 offset:32
	ds_load_b96 v[43:45], v50 offset:48
	v_fma_f32 v5, -v53, v16, v5
	ds_load_b128 v[15:18], v62 offset:32
	s_waitcnt lgkmcnt(5)
	v_fma_f32 v6, -v21, v31, v6
	ds_load_b64 v[50:51], v63 offset:64
	ds_load_b128 v[39:42], v46
	v_fma_f32 v6, -v22, v32, v6
	s_waitcnt lgkmcnt(5)
	v_fma_f32 v5, -v54, v7, v5
	v_fma_f32 v7, -v60, v19, v28
	;; [unrolled: 1-line block ×7, first 2 shown]
	ds_load_b128 v[5:8], v25 offset:48
	v_fma_f32 v9, -v57, v9, v27
	s_waitcnt lgkmcnt(5)
	v_fma_f32 v11, -v56, v11, v28
	s_waitcnt lgkmcnt(4)
	v_fma_f32 v20, -v64, v43, v20
	v_fma_f32 v31, -v58, v10, v9
	s_delay_alu instid0(VALU_DEP_3)
	v_fma_f32 v43, -v59, v12, v11
	ds_load_b128 v[9:12], v63 offset:32
	v_mul_f32_e32 v25, v49, v19
	v_fma_f32 v19, -v53, v34, v29
	s_waitcnt lgkmcnt(4)
	v_fma_f32 v15, -v56, v15, v31
	s_waitcnt lgkmcnt(2)
	v_fma_f32 v3, -v21, v39, v3
	ds_load_b128 v[31:34], v46 offset:16
	ds_load_b128 v[27:30], v62 offset:48
	v_fma_f32 v19, -v54, v35, v19
	v_fma_f32 v20, -v25, v44, v20
	;; [unrolled: 1-line block ×6, first 2 shown]
	v_mul_f32_e32 v62, v45, v20
	v_fma_f32 v3, -v52, v41, v3
	v_mov_b32_e32 v39, s33
	v_fma_f32 v17, -v60, v17, v15
	v_fma_f32 v16, -v57, v37, v19
	;; [unrolled: 1-line block ×4, first 2 shown]
	s_delay_alu instid0(VALU_DEP_3)
	v_fma_f32 v20, -v58, v38, v16
	ds_load_b128 v[13:16], v63 offset:48
	ds_load_b128 v[35:38], v46 offset:32
	s_waitcnt lgkmcnt(3)
	v_fma_f32 v3, -v54, v31, v3
	v_fma_f32 v5, -v64, v5, v19
	;; [unrolled: 1-line block ×4, first 2 shown]
	ds_load_b128 v[17:20], v39
	v_fma_f32 v3, -v55, v32, v3
	v_fma_f32 v5, -v25, v6, v5
	;; [unrolled: 1-line block ×3, first 2 shown]
	s_waitcnt lgkmcnt(3)
	v_fma_f32 v6, -v64, v27, v31
	v_add_lshl_u32 v10, s12, v0, 2
	v_fma_f32 v3, -v57, v33, v3
	v_fma_f32 v5, -v62, v7, v5
	;; [unrolled: 1-line block ×4, first 2 shown]
	s_add_i32 s12, s11, 0x230
	v_fma_f32 v3, -v58, v34, v3
	s_add_i32 s33, s12, s4
	v_fma_f32 v7, -v61, v12, v9
	s_lshl_b32 s33, s33, 2
	ds_store_b32 v10, v57 offset:3136
	ds_load_b128 v[9:12], v39 offset:16
	v_mul_f32_e32 v63, v8, v5
	v_fma_f32 v27, -v62, v29, v6
	s_waitcnt lgkmcnt(4)
	v_fma_f32 v13, -v64, v13, v7
	ds_load_b128 v[5:8], v46 offset:48
	s_waitcnt lgkmcnt(4)
	v_fma_f32 v3, -v56, v35, v3
	s_waitcnt lgkmcnt(3)
	v_fma_f32 v4, -v21, v17, v4
	v_mov_b32_e32 v65, s33
	v_fma_f32 v17, -v63, v30, v27
	v_fma_f32 v13, -v25, v14, v13
	;; [unrolled: 1-line block ×4, first 2 shown]
	ds_load_b128 v[27:30], v39 offset:64
	ds_load_b128 v[31:34], v65
	v_add_lshl_u32 v14, s30, v0, 2
	v_fma_f32 v13, -v62, v15, v13
	v_fma_f32 v3, -v60, v37, v3
	;; [unrolled: 1-line block ×3, first 2 shown]
	v_mul_f32_e32 v66, v47, v17
	s_add_i32 s30, s11, 0x24c
	v_fma_f32 v13, -v63, v16, v13
	v_fma_f32 v3, -v61, v38, v3
	;; [unrolled: 1-line block ×3, first 2 shown]
	ds_store_b32 v14, v58 offset:3136
	s_add_i32 s33, s30, s4
	v_fma_f32 v50, -v66, v50, v13
	s_waitcnt lgkmcnt(3)
	v_fma_f32 v3, -v64, v5, v3
	v_fma_f32 v4, -v54, v9, v4
	ds_load_b128 v[13:16], v39 offset:32
	s_lshl_b32 s33, s33, 2
	v_mul_f32_e32 v50, v51, v50
	v_fma_f32 v3, -v25, v6, v3
	v_fma_f32 v4, -v55, v10, v4
	s_waitcnt lgkmcnt(2)
	v_fma_f32 v1, -v21, v31, v1
	v_mov_b32_e32 v67, s33
	s_addk_i32 s11, 0x268
	ds_load_b96 v[47:49], v46 offset:64
	v_fma_f32 v7, -v62, v7, v3
	v_fma_f32 v9, -v57, v11, v4
	ds_load_b128 v[3:6], v65 offset:16
	v_fma_f32 v1, -v22, v32, v1
	ds_load_b128 v[17:20], v67
	ds_load_b128 v[35:38], v65 offset:32
	s_add_i32 s33, s11, s4
	v_fma_f32 v31, -v58, v12, v9
	s_lshl_b32 s33, s33, 2
	v_fma_f32 v1, -v52, v33, v1
	v_mov_b32_e32 v68, s33
	ds_load_b128 v[9:12], v39 offset:48
	s_waitcnt lgkmcnt(5)
	v_fma_f32 v13, -v56, v13, v31
	s_add_i32 s4, s10, s4
	v_fma_f32 v1, -v53, v34, v1
	ds_load_b128 v[31:34], v68
	s_lshl_b32 s4, s4, 2
	v_fma_f32 v7, -v63, v8, v7
	v_mov_b32_e32 v69, s4
	ds_load_b128 v[39:42], v67 offset:16
	ds_load_b128 v[43:46], v69
	s_waitcnt lgkmcnt(6)
	v_fma_f32 v1, -v54, v3, v1
	s_waitcnt lgkmcnt(5)
	v_fma_f32 v2, -v21, v17, v2
	v_fma_f32 v8, -v59, v14, v13
	;; [unrolled: 1-line block ×3, first 2 shown]
	v_add_lshl_u32 v47, s29, v0, 2
	v_fma_f32 v1, -v55, v4, v1
	v_fma_f32 v2, -v22, v18, v2
	;; [unrolled: 1-line block ×4, first 2 shown]
	s_mov_b32 s4, s25
	v_fma_f32 v5, -v57, v5, v1
	v_fma_f32 v13, -v52, v19, v2
	ds_load_b128 v[1:4], v68 offset:16
	s_waitcnt lgkmcnt(3)
	v_fma_f32 v14, -v21, v31, v24
	v_fma_f32 v7, -v61, v16, v7
	v_mul_f32_e32 v48, v49, v8
	v_fma_f32 v15, -v58, v6, v5
	v_fma_f32 v13, -v53, v20, v13
	;; [unrolled: 1-line block ×4, first 2 shown]
	ds_load_b128 v[5:8], v69 offset:16
	s_waitcnt lgkmcnt(2)
	v_fma_f32 v16, -v21, v43, v23
	v_fma_f32 v23, -v54, v39, v13
	;; [unrolled: 1-line block ×6, first 2 shown]
	ds_load_b128 v[13:16], v67 offset:32
	ds_load_b128 v[17:20], v65 offset:48
	v_fma_f32 v31, -v53, v34, v21
	v_fma_f32 v33, -v55, v40, v23
	v_fma_f32 v10, -v59, v36, v10
	v_fma_f32 v32, -v52, v45, v22
	ds_load_b128 v[21:24], v68 offset:32
	s_waitcnt lgkmcnt(4)
	v_fma_f32 v1, -v54, v1, v31
	v_fma_f32 v9, -v62, v11, v9
	;; [unrolled: 1-line block ×6, first 2 shown]
	ds_load_b128 v[31:34], v69 offset:32
	v_fma_f32 v9, -v63, v12, v9
	s_waitcnt lgkmcnt(4)
	v_fma_f32 v2, -v54, v5, v11
	v_fma_f32 v5, -v58, v42, v35
	;; [unrolled: 1-line block ×4, first 2 shown]
	ds_load_b128 v[35:38], v67 offset:48
	ds_load_b128 v[39:42], v65 offset:64
	v_fma_f32 v2, -v55, v6, v2
	s_waitcnt lgkmcnt(5)
	v_fma_f32 v3, -v56, v13, v5
	v_fma_f32 v5, -v58, v4, v1
	s_waitcnt lgkmcnt(4)
	v_fma_f32 v6, -v64, v17, v10
	ds_store_b32 v47, v56 offset:3136
	v_fma_f32 v7, -v57, v7, v2
	v_fma_f32 v10, -v59, v14, v3
	ds_load_b128 v[1:4], v68 offset:48
	s_waitcnt lgkmcnt(5)
	v_fma_f32 v5, -v56, v21, v5
	v_fma_f32 v12, -v25, v18, v6
	;; [unrolled: 1-line block ×6, first 2 shown]
	ds_load_b128 v[5:8], v69 offset:48
	s_waitcnt lgkmcnt(5)
	v_fma_f32 v11, -v56, v31, v11
	v_fma_f32 v10, -v61, v16, v10
	;; [unrolled: 1-line block ×6, first 2 shown]
	s_waitcnt lgkmcnt(4)
	v_fma_f32 v17, -v64, v35, v10
	ds_load_b128 v[9:12], v67 offset:64
	v_fma_f32 v13, -v61, v24, v13
	v_fma_f32 v20, -v63, v20, v15
	;; [unrolled: 1-line block ×5, first 2 shown]
	s_waitcnt lgkmcnt(2)
	v_fma_f32 v1, -v64, v1, v13
	ds_load_b128 v[13:16], v68 offset:64
	v_fma_f32 v19, -v61, v34, v19
	v_fma_f32 v21, -v62, v37, v17
	;; [unrolled: 1-line block ×4, first 2 shown]
	s_waitcnt lgkmcnt(2)
	v_fma_f32 v2, -v64, v5, v19
	ds_load_b128 v[17:20], v69 offset:64
	v_fma_f32 v5, -v63, v38, v21
	v_fma_f32 v24, -v50, v40, v22
	;; [unrolled: 1-line block ×3, first 2 shown]
	ds_load_b64 v[21:22], v67 offset:80
	v_fma_f32 v2, -v25, v6, v2
	s_waitcnt lgkmcnt(3)
	v_fma_f32 v3, -v66, v9, v5
	v_mul_f32_e32 v9, v30, v23
	v_fma_f32 v1, -v63, v4, v1
	v_fma_f32 v4, -v48, v41, v24
	;; [unrolled: 1-line block ×4, first 2 shown]
	ds_load_b96 v[5:7], v68 offset:80
	s_waitcnt lgkmcnt(3)
	v_fma_f32 v1, -v66, v13, v1
	v_fma_f32 v10, -v9, v42, v4
	v_fma_f32 v11, -v48, v11, v3
	s_delay_alu instid0(VALU_DEP_3) | instskip(NEXT) | instid1(VALU_DEP_3)
	v_fma_f32 v13, -v50, v14, v1
	v_mul_f32_e32 v10, v26, v10
	v_fma_f32 v8, -v63, v8, v2
	ds_load_b128 v[1:4], v69 offset:80
	v_fma_f32 v11, -v9, v12, v11
	v_fma_f32 v12, -v48, v15, v13
	v_add_lshl_u32 v14, s23, v0, 2
	s_waitcnt lgkmcnt(3)
	v_fma_f32 v8, -v66, v17, v8
	v_add_lshl_u32 v13, s24, v0, 2
	s_waitcnt lgkmcnt(2)
	v_fma_f32 v11, -v10, v21, v11
	v_fma_f32 v12, -v9, v16, v12
	ds_store_b32 v14, v59 offset:3136
	v_fma_f32 v8, -v50, v18, v8
	ds_store_b32 v13, v60 offset:3136
	v_mul_f32_e32 v11, v22, v11
	s_waitcnt lgkmcnt(3)
	v_fma_f32 v5, -v10, v5, v12
	v_add_lshl_u32 v13, s27, v0, 2
	v_fma_f32 v8, -v48, v19, v8
	v_add_lshl_u32 v12, s28, v0, 2
	v_add_lshl_u32 v14, s13, v0, 2
	v_fma_f32 v5, -v11, v6, v5
	v_add_lshl_u32 v6, s18, v0, 2
	v_fma_f32 v8, -v9, v20, v8
	v_add_lshl_u32 v15, s11, v0, 2
	ds_store_b32 v13, v61 offset:3136
	v_mul_f32_e32 v5, v7, v5
	v_add_lshl_u32 v7, s20, v0, 2
	s_waitcnt lgkmcnt(3)
	v_fma_f32 v1, -v10, v1, v8
	v_add_lshl_u32 v8, s21, v0, 2
	ds_store_b32 v12, v64 offset:3136
	ds_store_b32 v14, v25 offset:3136
	v_add_lshl_u32 v12, s22, v0, 2
	v_add_lshl_u32 v13, s12, v0, 2
	v_fma_f32 v1, -v11, v2, v1
	v_add_lshl_u32 v2, s19, v0, 2
	v_add_lshl_u32 v14, s30, v0, 2
	s_delay_alu instid0(VALU_DEP_3)
	v_fma_f32 v1, -v5, v3, v1
	v_add_lshl_u32 v3, s31, v0, 2
	ds_store_b32 v6, v62 offset:3136
	ds_store_b32 v2, v63 offset:3136
	;; [unrolled: 1-line block ×8, first 2 shown]
	v_mul_f32_e32 v1, v4, v1
	v_add_lshl_u32 v4, s10, v0, 2
	ds_store_b32 v15, v5 offset:3136
	ds_store_b32 v4, v1 offset:3136
.LBB31_26:
	s_cmp_ge_i32 s4, s15
	s_cbranch_scc1 .LBB31_37
; %bb.27:
	v_lshl_add_u32 v1, v0, 2, 0xc40
	s_add_i32 s10, s4, -1
	s_mul_i32 s11, s4, 0x70
	s_mov_b32 s12, 0
	s_mov_b32 s13, s4
	s_branch .LBB31_29
.LBB31_28:                              ;   in Loop: Header=BB31_29 Depth=1
	s_mul_i32 s18, s4, 0x74
	s_delay_alu instid0(SALU_CYCLE_1)
	v_dual_mov_b32 v3, s18 :: v_dual_add_nc_u32 v2, 0xc40, v4
	v_add_nc_u16 v4, s13, 1
	s_add_i32 s4, s4, 1
	s_add_i32 s12, s12, 1
	s_addk_i32 s11, 0x70
	ds_load_b32 v3, v3
	v_readfirstlane_b32 s13, v4
	s_cmp_ge_i32 s4, s15
	s_waitcnt lgkmcnt(0)
	v_mul_f32_e32 v3, v3, v5
	ds_store_b32 v2, v3
	s_cbranch_scc1 .LBB31_37
.LBB31_29:                              ; =>This Loop Header: Depth=1
                                        ;     Child Loop BB31_32 Depth 2
                                        ;     Child Loop BB31_36 Depth 2
	s_mul_i32 s18, s4, 28
	s_cmp_eq_u32 s4, 0
	v_add_lshl_u32 v4, s18, v0, 2
	ds_load_b32 v5, v4 offset:3136
	s_cbranch_scc1 .LBB31_28
; %bb.30:                               ;   in Loop: Header=BB31_29 Depth=1
	s_add_i32 s18, s10, s12
	s_delay_alu instid0(SALU_CYCLE_1)
	s_cmp_lt_u32 s18, 7
	s_cbranch_scc1 .LBB31_34
; %bb.31:                               ;   in Loop: Header=BB31_29 Depth=1
	v_mov_b32_e32 v2, v1
	s_and_b32 s18, s4, -8
	s_mov_b32 s19, 0
	s_mov_b32 s20, s11
	s_set_inst_prefetch_distance 0x1
	.p2align	6
.LBB31_32:                              ;   Parent Loop BB31_29 Depth=1
                                        ; =>  This Inner Loop Header: Depth=2
	v_mov_b32_e32 v3, s20
	s_add_i32 s19, s19, 8
	s_add_i32 s20, s20, 32
	s_cmp_lg_u32 s18, s19
	ds_load_2addr_b32 v[14:15], v2 offset1:28
	ds_load_b128 v[6:9], v3
	ds_load_2addr_b32 v[16:17], v2 offset0:56 offset1:84
	ds_load_2addr_b32 v[18:19], v2 offset0:112 offset1:140
	ds_load_b128 v[10:13], v3 offset:16
	s_waitcnt lgkmcnt(3)
	v_fma_f32 v3, -v14, v6, v5
	ds_load_2addr_b32 v[5:6], v2 offset0:168 offset1:196
	v_add_nc_u32_e32 v2, 0x380, v2
	v_fma_f32 v3, -v15, v7, v3
	s_waitcnt lgkmcnt(3)
	s_delay_alu instid0(VALU_DEP_1) | instskip(NEXT) | instid1(VALU_DEP_1)
	v_fma_f32 v3, -v16, v8, v3
	v_fma_f32 v3, -v17, v9, v3
	s_waitcnt lgkmcnt(1)
	s_delay_alu instid0(VALU_DEP_1) | instskip(NEXT) | instid1(VALU_DEP_1)
	v_fma_f32 v3, -v18, v10, v3
	;; [unrolled: 4-line block ×3, first 2 shown]
	v_fma_f32 v5, -v6, v13, v3
	s_cbranch_scc1 .LBB31_32
; %bb.33:                               ;   in Loop: Header=BB31_29 Depth=1
	s_set_inst_prefetch_distance 0x2
	s_and_b32 s19, s4, 7
	s_delay_alu instid0(SALU_CYCLE_1)
	s_cmp_eq_u32 s19, 0
	s_cbranch_scc0 .LBB31_35
	s_branch .LBB31_28
.LBB31_34:                              ;   in Loop: Header=BB31_29 Depth=1
	s_mov_b32 s18, 0
	s_and_b32 s19, s4, 7
	s_delay_alu instid0(SALU_CYCLE_1)
	s_cmp_eq_u32 s19, 0
	s_cbranch_scc1 .LBB31_28
.LBB31_35:                              ;   in Loop: Header=BB31_29 Depth=1
	v_mad_u64_u32 v[2:3], null, 0x70, s18, v[1:2]
	s_and_b32 s19, s13, 7
	s_lshl_b32 s18, s18, 2
.LBB31_36:                              ;   Parent Loop BB31_29 Depth=1
                                        ; =>  This Inner Loop Header: Depth=2
	s_delay_alu instid0(SALU_CYCLE_1)
	s_add_i32 s20, s11, s18
	s_add_i32 s19, s19, -1
	v_mov_b32_e32 v3, s20
	s_add_i32 s18, s18, 4
	s_cmp_lg_u32 s19, 0
	ds_load_b32 v6, v2
	ds_load_b32 v3, v3
	v_add_nc_u32_e32 v2, 0x70, v2
	s_waitcnt lgkmcnt(0)
	v_fma_f32 v5, -v6, v3, v5
	s_cbranch_scc1 .LBB31_36
	s_branch .LBB31_28
.LBB31_37:
	s_mov_b32 s4, 0
.LBB31_38:
	s_delay_alu instid0(SALU_CYCLE_1)
	s_and_b32 vcc_lo, exec_lo, s4
	s_cbranch_vccz .LBB31_60
; %bb.39:
	s_cmp_gt_i32 s6, 27
	s_mov_b32 s4, s26
	s_cbranch_scc0 .LBB31_41
; %bb.40:
	s_mul_i32 s4, s26, 28
	s_mul_i32 s35, s15, 28
	v_add_lshl_u32 v3, s4, v0, 2
	s_sub_i32 s4, s35, 28
	s_mul_i32 s30, s26, 0x74
	s_add_i32 s18, s15, s4
	s_sub_i32 s13, s35, 56
	s_lshl_b32 s18, s18, 2
	s_add_i32 s11, s35, 0xffffffac
	s_add_i32 s18, s18, -8
	s_add_i32 s21, s30, 0xffffff8c
	s_delay_alu instid0(SALU_CYCLE_1)
	v_dual_mov_b32 v8, s18 :: v_dual_mov_b32 v13, s21
	v_add_lshl_u32 v1, s13, v0, 2
	v_add_lshl_u32 v2, s11, v0, 2
	ds_load_b32 v10, v3 offset:3136
	ds_load_b32 v11, v1 offset:3136
	;; [unrolled: 1-line block ×3, first 2 shown]
	ds_load_2addr_b32 v[8:9], v8 offset1:1
	ds_load_b32 v13, v13
	s_add_i32 s22, s15, -4
	s_add_i32 s27, s15, -6
	s_add_i32 s21, s22, s4
	s_add_i32 s23, s22, s13
	s_lshl_b32 s21, s21, 2
	s_lshl_b32 s23, s23, 2
	s_add_i32 s22, s22, s11
	v_mov_b32_e32 v14, s21
	s_lshl_b32 s21, s22, 2
	s_add_i32 s28, s27, s4
	s_add_i32 s12, s35, 0xffffff90
	s_lshl_b32 s28, s28, 2
	v_mov_b32_e32 v18, s21
	s_add_i32 s21, s30, 0xfffffea4
	s_add_i32 s10, s35, 0xffffff74
	v_mov_b32_e32 v21, s21
	v_add_lshl_u32 v3, s12, v0, 2
	s_add_i32 s20, s35, 0xffffff58
	s_waitcnt lgkmcnt(1)
	v_mul_f32_e32 v10, v9, v10
	v_add_lshl_u32 v4, s10, v0, 2
	s_add_i32 s19, s35, 0xffffff3c
	v_add_lshl_u32 v5, s20, v0, 2
	s_add_i32 s18, s35, 0xffffff20
	v_fma_f32 v11, -v10, v8, v11
	v_mov_b32_e32 v16, s23
	v_add_lshl_u32 v6, s19, v0, 2
	v_add_lshl_u32 v7, s18, v0, 2
	s_add_i32 s29, s27, s11
	s_waitcnt lgkmcnt(0)
	v_mul_f32_e32 v13, v13, v11
	ds_load_2addr_b32 v[14:15], v14 offset1:1
	ds_load_2addr_b32 v[16:17], v16 offset1:1
	ds_load_b32 v20, v3 offset:3136
	ds_load_b32 v28, v4 offset:3136
	;; [unrolled: 1-line block ×5, first 2 shown]
	s_lshl_b32 s29, s29, 2
	s_add_i32 s31, s15, -8
	s_add_i32 s33, s30, 0xfffffd48
	s_add_i32 s23, s35, 0xffffff04
	;; [unrolled: 1-line block ×3, first 2 shown]
	v_add_lshl_u32 v8, s23, v0, 2
	s_add_i32 s24, s35, 0xfffffecc
	v_add_lshl_u32 v9, s25, v0, 2
	s_add_i32 s22, s35, 0xfffffeb0
	;; [unrolled: 2-line block ×3, first 2 shown]
	s_add_i32 s39, s15, -14
	s_add_i32 s38, s35, 0xfffffdd0
	s_add_i32 s40, s39, s23
	;; [unrolled: 1-line block ×3, first 2 shown]
	s_lshl_b32 s40, s40, 2
	ds_load_b32 v33, v21
	s_waitcnt lgkmcnt(7)
	v_fma_f32 v15, -v10, v15, v12
	v_add_lshl_u32 v12, s22, v0, 2
	s_waitcnt lgkmcnt(6)
	s_delay_alu instid0(VALU_DEP_2) | instskip(SKIP_4) | instid1(VALU_DEP_2)
	v_fma_f32 v15, -v13, v17, v15
	s_waitcnt lgkmcnt(5)
	v_fma_f32 v17, -v10, v14, v20
	v_mov_b32_e32 v20, s29
	s_add_i32 s29, s31, s4
	v_fma_f32 v16, -v13, v16, v17
	v_mov_b32_e32 v17, s28
	ds_load_2addr_b32 v[18:19], v18 offset1:1
	s_add_i32 s28, s27, s13
	s_delay_alu instid0(SALU_CYCLE_1)
	s_lshl_b32 s28, s28, 2
	s_waitcnt lgkmcnt(0)
	v_dual_mul_f32 v14, v19, v15 :: v_dual_mov_b32 v19, s28
	s_add_i32 s28, s27, s10
	s_add_i32 s27, s27, s12
	s_lshl_b32 s28, s28, 2
	s_lshl_b32 s27, s27, 2
	v_mov_b32_e32 v22, s28
	s_add_i32 s28, s30, 0xfffffdbc
	v_mov_b32_e32 v26, s27
	v_mov_b32_e32 v24, s28
	s_lshl_b32 s28, s29, 2
	s_add_i32 s29, s31, s13
	v_mov_b32_e32 v25, s28
	s_lshl_b32 s28, s29, 2
	v_fma_f32 v35, -v14, v18, v16
	v_mov_b32_e32 v29, s28
	ds_load_2addr_b32 v[16:17], v17 offset1:1
	ds_load_2addr_b32 v[18:19], v19 offset1:1
	ds_load_2addr_b32 v[20:21], v20 offset1:1
	s_add_i32 s27, s31, s11
	s_add_i32 s28, s31, s12
	s_lshl_b32 s27, s27, 2
	s_add_i32 s29, s35, 0xfffffe5c
	v_mov_b32_e32 v30, s27
	s_lshl_b32 s27, s28, 2
	s_add_i32 s28, s35, 0xfffffe40
	v_add_lshl_u32 v15, s21, v0, 2
	s_waitcnt lgkmcnt(2)
	v_fma_f32 v17, -v10, v17, v28
	v_fma_f32 v38, -v10, v16, v32
	v_mul_f32_e32 v16, v33, v35
	s_waitcnt lgkmcnt(1)
	s_delay_alu instid0(VALU_DEP_3)
	v_fma_f32 v17, -v13, v19, v17
	v_mov_b32_e32 v19, s27
	s_add_i32 s27, s31, s10
	v_fma_f32 v18, -v13, v18, v38
	s_lshl_b32 s27, s27, 2
	s_waitcnt lgkmcnt(0)
	v_fma_f32 v17, -v14, v21, v17
	v_mov_b32_e32 v35, s27
	s_add_i32 s27, s31, s20
	v_fma_f32 v18, -v14, v20, v18
	s_lshl_b32 s27, s27, 2
	s_add_i32 s31, s31, s19
	v_mov_b32_e32 v21, s27
	ds_load_2addr_b32 v[22:23], v22 offset1:1
	ds_load_b32 v37, v24
	ds_load_2addr_b32 v[24:25], v25 offset1:1
	ds_load_2addr_b32 v[26:27], v26 offset1:1
	;; [unrolled: 1-line block ×5, first 2 shown]
	s_add_i32 s27, s35, 0xfffffe78
	s_lshl_b32 s31, s31, 2
	s_waitcnt lgkmcnt(4)
	v_fma_f32 v19, -v10, v25, v34
	ds_load_2addr_b32 v[34:35], v35 offset1:1
	s_waitcnt lgkmcnt(4)
	v_fma_f32 v17, -v16, v27, v17
	v_fma_f32 v24, -v10, v24, v36
	s_waitcnt lgkmcnt(3)
	v_fma_f32 v19, -v13, v29, v19
	s_delay_alu instid0(VALU_DEP_3)
	v_dual_mul_f32 v20, v23, v17 :: v_dual_mov_b32 v23, s33
	v_fma_f32 v18, -v16, v26, v18
	ds_load_2addr_b32 v[25:26], v21 offset1:1
	s_waitcnt lgkmcnt(2)
	v_fma_f32 v19, -v14, v31, v19
	s_add_i32 s33, s15, -10
	v_add_lshl_u32 v17, s27, v0, 2
	v_fma_f32 v21, -v20, v22, v18
	s_add_i32 s34, s33, s4
	v_fma_f32 v22, -v16, v33, v19
	s_lshl_b32 s34, s34, 2
	s_add_i32 s36, s33, s13
	v_mul_f32_e32 v21, v37, v21
	v_add_lshl_u32 v18, s29, v0, 2
	s_waitcnt lgkmcnt(1)
	v_fma_f32 v22, -v20, v35, v22
	v_add_lshl_u32 v19, s28, v0, 2
	ds_load_b32 v33, v8 offset:3136
	ds_load_b32 v40, v9 offset:3136
	;; [unrolled: 1-line block ×8, first 2 shown]
	ds_load_b32 v42, v23
	v_fma_f32 v23, -v13, v28, v24
	v_mov_b32_e32 v24, s34
	s_lshl_b32 s34, s36, 2
	s_waitcnt lgkmcnt(9)
	v_fma_f32 v22, -v21, v26, v22
	v_mov_b32_e32 v26, s34
	s_add_i32 s34, s33, s11
	v_fma_f32 v28, -v14, v30, v23
	s_lshl_b32 s34, s34, 2
	s_delay_alu instid0(SALU_CYCLE_1) | instskip(SKIP_1) | instid1(VALU_DEP_2)
	v_dual_mov_b32 v30, s31 :: v_dual_mov_b32 v29, s34
	s_add_i32 s34, s33, s12
	v_fma_f32 v43, -v16, v32, v28
	s_lshl_b32 s31, s34, 2
	s_add_i32 s34, s30, 0xfffffcd4
	v_mov_b32_e32 v31, s31
	s_add_i32 s31, s33, s10
	ds_load_2addr_b32 v[23:24], v24 offset1:1
	s_lshl_b32 s31, s31, 2
	ds_load_2addr_b32 v[28:29], v29 offset1:1
	v_mov_b32_e32 v32, s31
	s_add_i32 s31, s33, s20
	v_mov_b32_e32 v38, s34
	s_lshl_b32 s31, s31, 2
	s_delay_alu instid0(SALU_CYCLE_1)
	v_mov_b32_e32 v35, s31
	ds_load_2addr_b32 v[26:27], v26 offset1:1
	s_add_i32 s31, s33, s19
	ds_load_b32 v46, v38
	s_lshl_b32 s31, s31, 2
	ds_load_2addr_b32 v[35:36], v35 offset1:1
	s_waitcnt lgkmcnt(4)
	v_fma_f32 v24, -v10, v24, v33
	v_fma_f32 v23, -v10, v23, v40
	s_waitcnt lgkmcnt(2)
	s_delay_alu instid0(VALU_DEP_2)
	v_fma_f32 v24, -v13, v27, v24
	v_mov_b32_e32 v27, s31
	ds_load_b32 v44, v30
	s_add_i32 s31, s33, s18
	v_fma_f32 v26, -v13, v26, v23
	s_lshl_b32 s31, s31, 2
	ds_load_2addr_b32 v[38:39], v27 offset1:1
	v_fma_f32 v27, -v20, v34, v43
	ds_load_2addr_b32 v[30:31], v31 offset1:1
	v_fma_f32 v24, -v14, v29, v24
	v_mov_b32_e32 v29, s31
	s_add_i32 s31, s30, 0xfffffc60
	v_mul_f32_e32 v22, v42, v22
	v_fma_f32 v27, -v21, v25, v27
	ds_load_2addr_b32 v[32:33], v32 offset1:1
	v_fma_f32 v26, -v14, v28, v26
	s_add_i32 s33, s33, s23
	s_addk_i32 s30, 0xfbec
	s_lshl_b32 s33, s33, 2
	s_waitcnt lgkmcnt(3)
	v_fma_f32 v27, -v22, v44, v27
	s_delay_alu instid0(VALU_DEP_1)
	v_mul_f32_e32 v23, v46, v27
	v_mov_b32_e32 v27, s31
	s_add_i32 s31, s15, -12
	s_waitcnt lgkmcnt(1)
	v_fma_f32 v31, -v16, v31, v24
	ds_load_2addr_b32 v[24:25], v29 offset1:1
	s_add_i32 s34, s31, s4
	ds_load_b32 v44, v27
	s_lshl_b32 s34, s34, 2
	s_add_i32 s36, s31, s11
	v_mov_b32_e32 v27, s34
	s_add_i32 s34, s31, s13
	v_fma_f32 v26, -v16, v30, v26
	s_lshl_b32 s34, s34, 2
	s_add_i32 s37, s31, s25
	ds_load_2addr_b32 v[27:28], v27 offset1:1
	s_waitcnt lgkmcnt(3)
	v_fma_f32 v29, -v20, v33, v31
	v_mov_b32_e32 v33, s33
	v_fma_f32 v26, -v20, v32, v26
	s_delay_alu instid0(VALU_DEP_3) | instskip(NEXT) | instid1(VALU_DEP_2)
	v_fma_f32 v29, -v21, v36, v29
	v_fma_f32 v26, -v21, v35, v26
	s_delay_alu instid0(VALU_DEP_2)
	v_fma_f32 v43, -v22, v39, v29
	v_mov_b32_e32 v29, s34
	s_lshl_b32 s34, s36, 2
	s_add_i32 s36, s31, s23
	v_mov_b32_e32 v31, s34
	s_add_i32 s34, s31, s12
	s_waitcnt lgkmcnt(2)
	v_fma_f32 v25, -v23, v25, v43
	s_lshl_b32 s33, s34, 2
	s_add_i32 s34, s31, s20
	v_mov_b32_e32 v34, s33
	s_add_i32 s33, s31, s10
	s_waitcnt lgkmcnt(0)
	v_fma_f32 v28, -v10, v28, v41
	s_lshl_b32 s33, s33, 2
	s_lshl_b32 s36, s36, 2
	v_mov_b32_e32 v36, s33
	ds_load_2addr_b32 v[29:30], v29 offset1:1
	ds_load_2addr_b32 v[31:32], v31 offset1:1
	ds_load_b32 v46, v33
	s_lshl_b32 s33, s34, 2
	ds_load_2addr_b32 v[33:34], v34 offset1:1
	ds_load_2addr_b32 v[39:40], v36 offset1:1
	v_dual_mov_b32 v36, s30 :: v_dual_mov_b32 v41, s33
	s_add_i32 s33, s31, s19
	s_add_i32 s34, s35, 0xfffffdec
	s_lshl_b32 s30, s33, 2
	ds_load_b32 v47, v36
	s_add_i32 s33, s35, 0xfffffe08
	s_waitcnt lgkmcnt(5)
	v_fma_f32 v28, -v13, v30, v28
	v_mov_b32_e32 v30, s30
	s_add_i32 s30, s31, s18
	s_add_i32 s31, s31, s24
	s_lshl_b32 s30, s30, 2
	s_waitcnt lgkmcnt(4)
	v_fma_f32 v28, -v14, v32, v28
	v_mov_b32_e32 v32, s30
	ds_load_2addr_b32 v[35:36], v30 offset1:1
	v_fma_f32 v30, -v22, v38, v26
	ds_load_2addr_b32 v[41:42], v41 offset1:1
	v_mul_f32_e32 v26, v44, v25
	ds_load_2addr_b32 v[43:44], v32 offset1:1
	v_fma_f32 v32, -v10, v27, v45
	v_fma_f32 v25, -v23, v24, v30
	s_waitcnt lgkmcnt(5)
	v_fma_f32 v28, -v16, v34, v28
	s_lshl_b32 s31, s31, 2
	s_add_i32 s30, s35, 0xfffffe24
	v_fma_f32 v29, -v13, v29, v32
	v_fma_f32 v30, -v26, v46, v25
	s_waitcnt lgkmcnt(4)
	v_fma_f32 v28, -v20, v40, v28
	v_mov_b32_e32 v40, s31
	s_add_i32 s31, s39, s11
	v_fma_f32 v29, -v14, v31, v29
	s_waitcnt lgkmcnt(3)
	v_dual_mul_f32 v27, v47, v30 :: v_dual_mov_b32 v30, s36
	s_lshl_b32 s36, s37, 2
	s_add_i32 s37, s39, s13
	v_mov_b32_e32 v31, s36
	s_add_i32 s36, s39, s4
	s_waitcnt lgkmcnt(1)
	v_fma_f32 v28, -v21, v42, v28
	s_lshl_b32 s36, s36, 2
	v_fma_f32 v29, -v16, v33, v29
	v_mov_b32_e32 v32, s36
	s_lshl_b32 s36, s37, 2
	v_fma_f32 v28, -v22, v36, v28
	v_mov_b32_e32 v36, s36
	s_lshl_b32 s31, s31, 2
	ds_load_2addr_b32 v[33:34], v32 offset1:1
	v_fma_f32 v42, -v20, v39, v29
	s_add_i32 s36, s39, s12
	ds_load_2addr_b32 v[38:39], v36 offset1:1
	v_mov_b32_e32 v36, s31
	s_lshl_b32 s31, s36, 2
	ds_load_2addr_b32 v[29:30], v30 offset1:1
	ds_load_2addr_b32 v[31:32], v31 offset1:1
	;; [unrolled: 1-line block ×3, first 2 shown]
	v_mov_b32_e32 v40, s31
	s_add_i32 s36, s39, s10
	ds_load_2addr_b32 v[47:48], v36 offset1:1
	s_lshl_b32 s36, s36, 2
	v_fma_f32 v36, -v21, v41, v42
	ds_load_2addr_b32 v[40:41], v40 offset1:1
	v_mov_b32_e32 v42, s36
	s_add_i32 s37, s39, s20
	s_mul_i32 s31, s15, 0x74
	s_lshl_b32 s36, s37, 2
	s_add_i32 s37, s31, 0xfffffa90
	v_mov_b32_e32 v51, s36
	s_add_i32 s36, s39, s19
	s_waitcnt lgkmcnt(6)
	v_fma_f32 v34, -v10, v34, v49
	ds_load_2addr_b32 v[49:50], v42 offset1:1
	s_lshl_b32 s36, s36, 2
	ds_load_2addr_b32 v[51:52], v51 offset1:1
	v_fma_f32 v36, -v22, v35, v36
	s_waitcnt lgkmcnt(7)
	v_fma_f32 v34, -v13, v39, v34
	v_mov_b32_e32 v39, s36
	s_add_i32 s36, s39, s18
	v_fma_f32 v28, -v23, v44, v28
	s_lshl_b32 s36, s36, 2
	s_waitcnt lgkmcnt(3)
	v_fma_f32 v34, -v14, v48, v34
	ds_load_2addr_b32 v[53:54], v39 offset1:1
	v_dual_mov_b32 v42, s36 :: v_dual_mov_b32 v39, s37
	v_fma_f32 v30, -v26, v30, v28
	s_waitcnt lgkmcnt(3)
	v_fma_f32 v41, -v16, v41, v34
	ds_load_2addr_b32 v[34:35], v42 offset1:1
	ds_load_b32 v61, v39
	v_fma_f32 v36, -v23, v43, v36
	v_fma_f32 v30, -v27, v32, v30
	s_add_i32 s42, s31, 0xfffff9a8
	s_waitcnt lgkmcnt(4)
	v_fma_f32 v39, -v20, v50, v41
	v_fma_f32 v33, -v10, v33, v55
	;; [unrolled: 1-line block ×3, first 2 shown]
	v_mul_f32_e32 v32, v46, v30
	s_add_i32 s44, s31, 0xfffff8c0
	s_waitcnt lgkmcnt(3)
	v_fma_f32 v39, -v21, v52, v39
	v_fma_f32 v33, -v13, v38, v33
	;; [unrolled: 1-line block ×3, first 2 shown]
	v_add_lshl_u32 v24, s30, v0, 2
	v_add_lshl_u32 v25, s33, v0, 2
	s_waitcnt lgkmcnt(2)
	v_fma_f32 v39, -v22, v54, v39
	v_fma_f32 v33, -v14, v47, v33
	;; [unrolled: 1-line block ×3, first 2 shown]
	v_add_lshl_u32 v28, s34, v0, 2
	s_add_i32 s36, s35, 0xfffffdb4
	s_waitcnt lgkmcnt(1)
	v_fma_f32 v60, -v23, v35, v39
	v_mov_b32_e32 v35, s40
	s_lshl_b32 s40, s41, 2
	s_add_i32 s41, s39, s21
	v_mov_b32_e32 v46, s40
	s_lshl_b32 s40, s41, 2
	s_add_i32 s41, s15, -16
	v_mov_b32_e32 v36, s40
	s_add_i32 s40, s41, s4
	v_mov_b32_e32 v39, s42
	s_lshl_b32 s40, s40, 2
	s_add_i32 s42, s41, s13
	v_mov_b32_e32 v43, s40
	ds_load_2addr_b32 v[41:42], v36 offset1:1
	ds_load_b32 v74, v39
	ds_load_2addr_b32 v[43:44], v43 offset1:1
	s_add_i32 s40, s39, s24
	s_add_i32 s39, s39, s22
	s_lshl_b32 s42, s42, 2
	s_lshl_b32 s39, s39, 2
	v_mov_b32_e32 v36, s42
	s_lshl_b32 s40, s40, 2
	s_add_i32 s43, s41, s21
	v_mov_b32_e32 v52, s39
	s_add_i32 s39, s41, s11
	s_lshl_b32 s43, s43, 2
	v_mov_b32_e32 v50, s40
	s_add_i32 s40, s41, s12
	s_lshl_b32 s39, s39, 2
	ds_load_2addr_b32 v[38:39], v36 offset1:1
	s_lshl_b32 s40, s40, 2
	v_fma_f32 v33, -v16, v40, v33
	v_mov_b32_e32 v36, s39
	v_mov_b32_e32 v40, s40
	s_add_i32 s39, s41, s10
	s_waitcnt lgkmcnt(1)
	v_fma_f32 v63, -v10, v44, v56
	v_fma_f32 v33, -v20, v49, v33
	ds_load_2addr_b32 v[44:45], v36 offset1:1
	ds_load_2addr_b32 v[48:49], v40 offset1:1
	s_lshl_b32 s39, s39, 2
	s_add_i32 s40, s41, s20
	v_mov_b32_e32 v40, s39
	ds_load_2addr_b32 v[35:36], v35 offset1:1
	ds_load_2addr_b32 v[46:47], v46 offset1:1
	;; [unrolled: 1-line block ×4, first 2 shown]
	s_lshl_b32 s39, s40, 2
	v_fma_f32 v33, -v21, v51, v33
	v_mov_b32_e32 v50, s39
	ds_load_2addr_b32 v[58:59], v40 offset1:1
	s_add_i32 s39, s41, s19
	s_add_i32 s40, s41, s18
	s_lshl_b32 s39, s39, 2
	s_waitcnt lgkmcnt(7)
	v_fma_f32 v51, -v13, v39, v63
	ds_load_2addr_b32 v[39:40], v50 offset1:1
	v_mov_b32_e32 v50, s39
	s_lshl_b32 s39, s40, 2
	v_fma_f32 v33, -v22, v53, v33
	v_mov_b32_e32 v52, s39
	s_add_i32 s39, s41, s23
	s_waitcnt lgkmcnt(7)
	v_fma_f32 v45, -v14, v45, v51
	ds_load_2addr_b32 v[50:51], v50 offset1:1
	s_lshl_b32 s39, s39, 2
	ds_load_2addr_b32 v[52:53], v52 offset1:1
	s_waitcnt lgkmcnt(7)
	v_fma_f32 v36, -v26, v36, v60
	v_fma_f32 v33, -v23, v34, v33
	;; [unrolled: 1-line block ×3, first 2 shown]
	v_mov_b32_e32 v49, s39
	s_add_i32 s39, s41, s25
	s_waitcnt lgkmcnt(6)
	v_fma_f32 v36, -v27, v47, v36
	s_lshl_b32 s39, s39, 2
	v_fma_f32 v33, -v26, v35, v33
	s_waitcnt lgkmcnt(3)
	v_fma_f32 v34, -v20, v59, v45
	ds_load_2addr_b32 v[59:60], v49 offset1:1
	v_mov_b32_e32 v45, s39
	v_mul_f32_e32 v35, v61, v62
	v_fma_f32 v36, -v32, v55, v36
	v_fma_f32 v33, -v27, v46, v33
	s_waitcnt lgkmcnt(3)
	v_fma_f32 v34, -v21, v40, v34
	ds_load_2addr_b32 v[61:62], v45 offset1:1
	s_add_i32 s42, s41, s24
	v_fma_f32 v36, -v35, v57, v36
	v_fma_f32 v40, -v32, v54, v33
	s_lshl_b32 s42, s42, 2
	s_waitcnt lgkmcnt(3)
	v_fma_f32 v34, -v22, v51, v34
	v_mov_b32_e32 v49, s42
	s_add_i32 s42, s41, s22
	v_mul_f32_e32 v36, v42, v36
	s_lshl_b32 s42, s42, 2
	v_fma_f32 v40, -v35, v56, v40
	s_waitcnt lgkmcnt(2)
	v_fma_f32 v45, -v23, v53, v34
	v_mov_b32_e32 v55, s42
	s_add_i32 s42, s41, s29
	v_fma_f32 v37, -v10, v43, v37
	s_lshl_b32 s42, s42, 2
	v_fma_f32 v79, -v36, v41, v40
	v_mov_b32_e32 v40, s42
	s_sub_i32 s42, s15, 18
	s_waitcnt lgkmcnt(1)
	v_fma_f32 v42, -v26, v60, v45
	v_mov_b32_e32 v57, s43
	s_add_i32 s43, s42, s4
	v_fma_f32 v37, -v13, v38, v37
	s_lshl_b32 s43, s43, 2
	s_waitcnt lgkmcnt(0)
	v_fma_f32 v60, -v27, v62, v42
	v_mov_b32_e32 v38, s44
	v_mov_b32_e32 v42, s43
	s_add_i32 s43, s42, s13
	v_add_lshl_u32 v29, s38, v0, 2
	s_add_i32 s37, s35, 0xfffffd98
	s_add_i32 s40, s35, 0xfffffd7c
	;; [unrolled: 1-line block ×3, first 2 shown]
	s_lshl_b32 s43, s43, 2
	v_add_lshl_u32 v30, s36, v0, 2
	v_add_lshl_u32 v31, s37, v0, 2
	;; [unrolled: 1-line block ×4, first 2 shown]
	ds_load_b32 v51, v24 offset:3136
	ds_load_b32 v75, v25 offset:3136
	;; [unrolled: 1-line block ×8, first 2 shown]
	ds_load_2addr_b32 v[40:41], v40 offset1:1
	ds_load_b32 v80, v38
	ds_load_2addr_b32 v[42:43], v42 offset1:1
	v_mov_b32_e32 v38, s43
	s_add_i32 s44, s42, s11
	v_fma_f32 v37, -v14, v44, v37
	s_lshl_b32 s43, s44, 2
	s_add_i32 s41, s41, s27
	ds_load_2addr_b32 v[53:54], v38 offset1:1
	v_mov_b32_e32 v44, s43
	s_lshl_b32 s41, s41, 2
	v_fma_f32 v66, -v16, v48, v37
	ds_load_2addr_b32 v[37:38], v49 offset1:1
	ds_load_2addr_b32 v[48:49], v44 offset1:1
	v_mov_b32_e32 v64, s41
	s_add_i32 s41, s42, s12
	ds_load_2addr_b32 v[55:56], v55 offset1:1
	ds_load_2addr_b32 v[62:63], v57 offset1:1
	;; [unrolled: 1-line block ×3, first 2 shown]
	s_lshl_b32 s41, s41, 2
	v_fma_f32 v57, -v20, v58, v66
	v_mov_b32_e32 v44, s41
	s_add_i32 s41, s42, s10
	s_waitcnt lgkmcnt(6)
	v_fma_f32 v51, -v10, v43, v51
	s_lshl_b32 s41, s41, 2
	s_add_i32 s43, s42, s20
	ds_load_2addr_b32 v[43:44], v44 offset1:1
	v_mov_b32_e32 v58, s41
	s_lshl_b32 s41, s43, 2
	v_fma_f32 v39, -v21, v39, v57
	v_mov_b32_e32 v66, s41
	s_waitcnt lgkmcnt(6)
	v_fma_f32 v54, -v13, v54, v51
	ds_load_2addr_b32 v[57:58], v58 offset1:1
	s_add_i32 s41, s42, s19
	v_fma_f32 v39, -v22, v50, v39
	ds_load_2addr_b32 v[50:51], v66 offset1:1
	s_lshl_b32 s41, s41, 2
	s_waitcnt lgkmcnt(6)
	v_fma_f32 v49, -v14, v49, v54
	v_mov_b32_e32 v54, s41
	s_add_i32 s43, s42, s18
	v_fma_f32 v39, -v23, v52, v39
	s_lshl_b32 s41, s43, 2
	v_fma_f32 v38, -v32, v38, v60
	v_mov_b32_e32 v52, s41
	ds_load_2addr_b32 v[66:67], v54 offset1:1
	s_add_i32 s41, s42, s23
	v_fma_f32 v39, -v26, v59, v39
	s_lshl_b32 s41, s41, 2
	ds_load_2addr_b32 v[59:60], v52 offset1:1
	s_waitcnt lgkmcnt(4)
	v_fma_f32 v44, -v16, v44, v49
	v_mov_b32_e32 v49, s41
	s_add_i32 s41, s42, s25
	s_add_i32 s43, s42, s22
	s_lshl_b32 s41, s41, 2
	s_waitcnt lgkmcnt(3)
	v_fma_f32 v44, -v20, v58, v44
	v_mov_b32_e32 v52, s41
	ds_load_2addr_b32 v[68:69], v49 offset1:1
	s_add_i32 s41, s42, s24
	v_fma_f32 v39, -v27, v61, v39
	s_lshl_b32 s41, s41, 2
	s_waitcnt lgkmcnt(3)
	v_fma_f32 v44, -v21, v51, v44
	ds_load_2addr_b32 v[51:52], v52 offset1:1
	v_mov_b32_e32 v49, s41
	s_lshl_b32 s41, s43, 2
	v_fma_f32 v38, -v35, v56, v38
	v_fma_f32 v39, -v32, v37, v39
	v_mul_f32_e32 v37, v74, v79
	ds_load_2addr_b32 v[70:71], v49 offset1:1
	s_waitcnt lgkmcnt(4)
	v_fma_f32 v44, -v22, v67, v44
	v_mov_b32_e32 v54, s41
	s_add_i32 s41, s42, s21
	v_fma_f32 v38, -v36, v63, v38
	s_lshl_b32 s41, s41, 2
	s_waitcnt lgkmcnt(3)
	v_fma_f32 v44, -v23, v60, v44
	v_mov_b32_e32 v49, s41
	ds_load_2addr_b32 v[60:61], v54 offset1:1
	s_add_i32 s41, s42, s27
	v_fma_f32 v39, -v35, v55, v39
	s_lshl_b32 s41, s41, 2
	ds_load_2addr_b32 v[72:73], v49 offset1:1
	s_waitcnt lgkmcnt(4)
	v_fma_f32 v44, -v26, v69, v44
	v_mov_b32_e32 v54, s41
	s_add_i32 s43, s42, s29
	v_fma_f32 v38, -v37, v65, v38
	s_lshl_b32 s43, s43, 2
	s_waitcnt lgkmcnt(3)
	v_fma_f32 v44, -v27, v52, v44
	ds_load_2addr_b32 v[54:55], v54 offset1:1
	v_mov_b32_e32 v63, s43
	v_fma_f32 v39, -v36, v62, v39
	v_mul_f32_e32 v38, v41, v38
	s_waitcnt lgkmcnt(3)
	v_fma_f32 v44, -v32, v71, v44
	v_fma_f32 v41, -v10, v42, v75
	s_sub_i32 s41, s15, 20
	v_fma_f32 v39, -v37, v64, v39
	s_add_i32 s44, s41, s4
	s_waitcnt lgkmcnt(2)
	v_fma_f32 v42, -v35, v61, v44
	s_lshl_b32 s44, s44, 2
	s_add_i32 s45, s41, s11
	v_fma_f32 v39, -v38, v40, v39
	v_fma_f32 v40, -v13, v53, v41
	s_waitcnt lgkmcnt(1)
	v_fma_f32 v41, -v36, v73, v42
	s_add_i32 s43, s41, s12
	s_add_i32 s46, s31, 0xfffff608
	s_lshl_b32 s43, s43, 2
	v_fma_f32 v40, -v14, v48, v40
	v_mul_f32_e32 v39, v80, v39
	s_waitcnt lgkmcnt(0)
	v_fma_f32 v79, -v37, v55, v41
	v_mov_b32_e32 v41, s44
	s_add_i32 s44, s41, s13
	v_fma_f32 v40, -v16, v43, v40
	s_lshl_b32 s44, s44, 2
	ds_load_2addr_b32 v[41:42], v41 offset1:1
	v_mov_b32_e32 v43, s44
	s_lshl_b32 s44, s45, 2
	v_fma_f32 v40, -v20, v57, v40
	v_mov_b32_e32 v48, s44
	s_add_i32 s44, s42, s28
	ds_load_2addr_b32 v[43:44], v43 offset1:1
	s_add_i32 s45, s41, s20
	v_fma_f32 v40, -v21, v50, v40
	ds_load_2addr_b32 v[48:49], v48 offset1:1
	v_mov_b32_e32 v50, s43
	s_lshl_b32 s43, s44, 2
	s_add_i32 s44, s41, s10
	v_fma_f32 v40, -v22, v66, v40
	s_lshl_b32 s44, s44, 2
	ds_load_2addr_b32 v[52:53], v50 offset1:1
	v_mov_b32_e32 v50, s44
	s_lshl_b32 s44, s45, 2
	v_mov_b32_e32 v65, s43
	v_mov_b32_e32 v57, s44
	s_waitcnt lgkmcnt(3)
	v_fma_f32 v42, -v10, v42, v76
	ds_load_2addr_b32 v[55:56], v50 offset1:1
	s_add_i32 s44, s41, s19
	s_add_i32 s43, s41, s18
	s_lshl_b32 s44, s44, 2
	ds_load_2addr_b32 v[57:58], v57 offset1:1
	s_waitcnt lgkmcnt(4)
	v_fma_f32 v42, -v13, v44, v42
	v_mov_b32_e32 v44, s44
	s_lshl_b32 s43, s43, 2
	v_fma_f32 v40, -v23, v59, v40
	s_add_i32 s42, s42, s30
	s_waitcnt lgkmcnt(3)
	v_fma_f32 v42, -v14, v49, v42
	ds_load_2addr_b32 v[49:50], v44 offset1:1
	v_mov_b32_e32 v44, s43
	s_add_i32 s43, s41, s23
	v_fma_f32 v40, -v26, v68, v40
	s_waitcnt lgkmcnt(3)
	v_fma_f32 v42, -v16, v53, v42
	s_lshl_b32 s43, s43, 2
	ds_load_2addr_b32 v[61:62], v44 offset1:1
	v_mov_b32_e32 v44, s43
	s_add_i32 s43, s41, s25
	s_waitcnt lgkmcnt(3)
	v_fma_f32 v42, -v20, v56, v42
	s_lshl_b32 s43, s43, 2
	v_fma_f32 v40, -v27, v51, v40
	v_mov_b32_e32 v51, s43
	s_lshl_b32 s42, s42, 2
	s_waitcnt lgkmcnt(2)
	v_fma_f32 v42, -v21, v58, v42
	ds_load_2addr_b32 v[58:59], v44 offset1:1
	v_fma_f32 v40, -v32, v70, v40
	s_add_i32 s43, s41, s22
	s_add_i32 s44, s41, s27
	v_fma_f32 v41, -v10, v41, v77
	s_waitcnt lgkmcnt(2)
	v_fma_f32 v42, -v22, v50, v42
	ds_load_2addr_b32 v[50:51], v51 offset1:1
	v_mov_b32_e32 v44, s42
	s_add_i32 s42, s41, s24
	v_fma_f32 v40, -v35, v60, v40
	s_lshl_b32 s42, s42, 2
	ds_load_2addr_b32 v[63:64], v63 offset1:1
	ds_load_2addr_b32 v[65:66], v65 offset1:1
	;; [unrolled: 1-line block ×3, first 2 shown]
	v_mov_b32_e32 v53, s42
	s_lshl_b32 s42, s43, 2
	s_add_i32 s43, s41, s21
	v_mov_b32_e32 v44, s42
	s_waitcnt lgkmcnt(5)
	v_fma_f32 v42, -v23, v62, v42
	ds_load_2addr_b32 v[69:70], v53 offset1:1
	s_lshl_b32 s43, s43, 2
	v_fma_f32 v40, -v36, v72, v40
	ds_load_2addr_b32 v[71:72], v44 offset1:1
	s_add_i32 s42, s31, 0xfffff7d8
	v_mov_b32_e32 v44, s43
	s_lshl_b32 s43, s44, 2
	s_waitcnt lgkmcnt(6)
	v_fma_f32 v42, -v26, v59, v42
	v_dual_mov_b32 v53, s42 :: v_dual_mov_b32 v56, s43
	s_add_i32 s42, s41, s29
	ds_load_2addr_b32 v[59:60], v44 offset1:1
	s_lshl_b32 s42, s42, 2
	s_waitcnt lgkmcnt(6)
	v_fma_f32 v42, -v27, v51, v42
	ds_load_b32 v51, v53
	ds_load_2addr_b32 v[73:74], v56 offset1:1
	v_mov_b32_e32 v44, s42
	s_add_i32 s42, s41, s28
	v_fma_f32 v40, -v37, v54, v40
	s_lshl_b32 s42, s42, 2
	s_waitcnt lgkmcnt(4)
	v_fma_f32 v42, -v32, v70, v42
	v_mov_b32_e32 v53, s42
	ds_load_2addr_b32 v[75:76], v44 offset1:1
	v_fma_f32 v56, -v38, v63, v40
	s_sub_i32 s43, s15, 22
	s_waitcnt lgkmcnt(4)
	v_fma_f32 v42, -v35, v72, v42
	ds_load_2addr_b32 v[53:54], v53 offset1:1
	v_fma_f32 v44, -v38, v64, v79
	v_fma_f32 v41, -v13, v43, v41
	s_add_i32 s42, s43, s4
	s_add_i32 s45, s43, s11
	s_waitcnt lgkmcnt(4)
	v_fma_f32 v42, -v36, v60, v42
	v_fma_f32 v44, -v39, v66, v44
	s_lshl_b32 s42, s42, 2
	s_add_i32 s44, s41, s30
	s_waitcnt lgkmcnt(2)
	v_fma_f32 v42, -v37, v74, v42
	v_mul_f32_e32 v40, v68, v44
	v_fma_f32 v44, -v39, v65, v56
	s_lshl_b32 s44, s44, 2
	s_waitcnt lgkmcnt(1)
	v_fma_f32 v42, -v38, v76, v42
	s_delay_alu instid0(VALU_DEP_2) | instskip(SKIP_2) | instid1(VALU_DEP_3)
	v_fma_f32 v43, -v40, v67, v44
	v_fma_f32 v44, -v14, v48, v41
	s_waitcnt lgkmcnt(0)
	v_fma_f32 v79, -v39, v54, v42
	s_delay_alu instid0(VALU_DEP_3)
	v_mul_f32_e32 v41, v51, v43
	v_mov_b32_e32 v43, s42
	s_add_i32 s42, s43, s13
	v_fma_f32 v42, -v16, v52, v44
	s_lshl_b32 s42, s42, 2
	ds_load_2addr_b32 v[51:52], v43 offset1:1
	v_mov_b32_e32 v43, s42
	s_lshl_b32 s42, s45, 2
	v_fma_f32 v42, -v20, v55, v42
	v_mov_b32_e32 v44, s42
	s_add_i32 s42, s43, s12
	ds_load_2addr_b32 v[54:55], v43 offset1:1
	s_lshl_b32 s42, s42, 2
	v_fma_f32 v42, -v21, v57, v42
	ds_load_2addr_b32 v[56:57], v44 offset1:1
	v_mov_b32_e32 v48, s42
	s_add_i32 s42, s43, s10
	s_add_i32 s45, s43, s33
	s_lshl_b32 s42, s42, 2
	v_fma_f32 v42, -v22, v49, v42
	ds_load_2addr_b32 v[48:49], v48 offset1:1
	v_mov_b32_e32 v44, s42
	s_add_i32 s42, s43, s20
	v_mov_b32_e32 v43, s44
	s_lshl_b32 s42, s42, 2
	v_fma_f32 v42, -v23, v61, v42
	s_waitcnt lgkmcnt(3)
	v_fma_f32 v52, -v10, v52, v78
	v_mov_b32_e32 v62, s42
	ds_load_2addr_b32 v[60:61], v44 offset1:1
	s_add_i32 s42, s43, s19
	v_fma_f32 v42, -v26, v58, v42
	s_lshl_b32 s42, s42, 2
	ds_load_2addr_b32 v[62:63], v62 offset1:1
	s_waitcnt lgkmcnt(4)
	v_fma_f32 v44, -v13, v55, v52
	v_mov_b32_e32 v52, s42
	s_add_i32 s44, s43, s18
	v_fma_f32 v42, -v27, v50, v42
	s_lshl_b32 s44, s44, 2
	s_waitcnt lgkmcnt(3)
	v_fma_f32 v44, -v14, v57, v44
	ds_load_2addr_b32 v[57:58], v52 offset1:1
	v_mov_b32_e32 v50, s44
	s_add_i32 s42, s41, s33
	s_add_i32 s41, s41, s34
	s_lshl_b32 s42, s42, 2
	s_waitcnt lgkmcnt(3)
	v_fma_f32 v44, -v16, v49, v44
	ds_load_2addr_b32 v[49:50], v50 offset1:1
	v_mov_b32_e32 v52, s42
	s_add_i32 s42, s43, s23
	v_fma_f32 v42, -v32, v69, v42
	s_lshl_b32 s42, s42, 2
	s_lshl_b32 s41, s41, 2
	s_waitcnt lgkmcnt(3)
	v_fma_f32 v44, -v20, v61, v44
	v_mov_b32_e32 v55, s42
	v_mov_b32_e32 v61, s41
	s_add_i32 s41, s43, s25
	v_fma_f32 v42, -v35, v71, v42
	s_lshl_b32 s41, s41, 2
	s_waitcnt lgkmcnt(2)
	v_fma_f32 v44, -v21, v63, v44
	ds_load_2addr_b32 v[63:64], v55 offset1:1
	v_mov_b32_e32 v55, s41
	v_fma_f32 v42, -v36, v59, v42
	s_add_i32 s42, s43, s24
	s_waitcnt lgkmcnt(2)
	v_fma_f32 v44, -v22, v58, v44
	s_lshl_b32 s41, s42, 2
	ds_load_2addr_b32 v[58:59], v55 offset1:1
	v_fma_f32 v71, -v37, v73, v42
	v_mov_b32_e32 v42, s41
	s_add_i32 s41, s43, s22
	s_add_i32 s42, s43, s27
	s_lshl_b32 s41, s41, 2
	s_add_i32 s44, s43, s30
	ds_load_2addr_b32 v[65:66], v42 offset1:1
	s_waitcnt lgkmcnt(3)
	v_fma_f32 v44, -v23, v50, v44
	v_mov_b32_e32 v50, s41
	s_add_i32 s41, s43, s21
	ds_load_2addr_b32 v[42:43], v43 offset1:1
	ds_load_2addr_b32 v[67:68], v52 offset1:1
	;; [unrolled: 1-line block ×3, first 2 shown]
	s_lshl_b32 s41, s41, 2
	v_fma_f32 v52, -v38, v75, v71
	ds_load_2addr_b32 v[71:72], v50 offset1:1
	v_mov_b32_e32 v50, s41
	s_lshl_b32 s41, s42, 2
	s_waitcnt lgkmcnt(6)
	v_fma_f32 v44, -v26, v64, v44
	v_mov_b32_e32 v55, s41
	s_add_i32 s41, s43, s29
	ds_load_2addr_b32 v[73:74], v50 offset1:1
	s_lshl_b32 s41, s41, 2
	s_waitcnt lgkmcnt(6)
	v_fma_f32 v44, -v27, v59, v44
	ds_load_2addr_b32 v[75:76], v55 offset1:1
	v_mov_b32_e32 v59, s41
	s_add_i32 s42, s31, 0xfffff6f0
	s_add_i32 s41, s43, s28
	s_waitcnt lgkmcnt(6)
	v_fma_f32 v44, -v32, v66, v44
	s_lshl_b32 s41, s41, 2
	ds_load_2addr_b32 v[77:78], v59 offset1:1
	v_dual_mov_b32 v50, s42 :: v_dual_mov_b32 v55, s41
	s_waitcnt lgkmcnt(6)
	v_fma_f32 v43, -v40, v43, v79
	v_fma_f32 v59, -v39, v53, v52
	s_waitcnt lgkmcnt(3)
	v_fma_f32 v44, -v35, v72, v44
	ds_load_b32 v50, v50
	ds_load_2addr_b32 v[52:53], v55 offset1:1
	v_fma_f32 v43, -v41, v68, v43
	v_fma_f32 v42, -v40, v42, v59
	s_lshl_b32 s44, s44, 2
	s_waitcnt lgkmcnt(4)
	v_fma_f32 v44, -v36, v74, v44
	v_fma_f32 v47, -v10, v51, v47
	v_mul_f32_e32 v43, v70, v43
	v_fma_f32 v42, -v41, v67, v42
	s_add_i32 s41, s35, 0xfffffd44
	s_waitcnt lgkmcnt(3)
	v_fma_f32 v44, -v37, v76, v44
	v_fma_f32 v47, -v13, v54, v47
	s_add_i32 s42, s35, 0xfffffd28
	v_fma_f32 v55, -v43, v69, v42
	v_mov_b32_e32 v69, s44
	s_lshl_b32 s44, s45, 2
	s_add_i32 s45, s43, s36
	v_mov_b32_e32 v70, s44
	s_lshl_b32 s44, s45, 2
	s_waitcnt lgkmcnt(2)
	v_fma_f32 v59, -v38, v78, v44
	s_waitcnt lgkmcnt(1)
	v_mul_f32_e32 v44, v50, v55
	v_mov_b32_e32 v50, s44
	s_sub_i32 s44, s15, 24
	v_fma_f32 v47, -v14, v56, v47
	s_add_i32 s47, s44, s4
	s_waitcnt lgkmcnt(0)
	v_fma_f32 v76, -v39, v53, v59
	v_mov_b32_e32 v53, s46
	s_lshl_b32 s46, s47, 2
	s_add_i32 s47, s44, s13
	v_mov_b32_e32 v54, s46
	s_lshl_b32 s46, s47, 2
	ds_load_2addr_b32 v[50:51], v50 offset1:1
	ds_load_b32 v86, v53
	ds_load_2addr_b32 v[53:54], v54 offset1:1
	v_mov_b32_e32 v55, s46
	s_add_i32 s46, s44, s11
	v_fma_f32 v47, -v16, v48, v47
	s_lshl_b32 s46, s46, 2
	s_add_i32 s47, s44, s12
	ds_load_2addr_b32 v[55:56], v55 offset1:1
	v_mov_b32_e32 v48, s46
	s_add_i32 s45, s43, s34
	s_lshl_b32 s46, s47, 2
	s_lshl_b32 s45, s45, 2
	v_mov_b32_e32 v59, s46
	ds_load_2addr_b32 v[66:67], v48 offset1:1
	v_fma_f32 v47, -v20, v60, v47
	v_mov_b32_e32 v72, s45
	s_add_i32 s45, s44, s10
	ds_load_2addr_b32 v[59:60], v59 offset1:1
	s_lshl_b32 s45, s45, 2
	v_fma_f32 v47, -v21, v62, v47
	v_mov_b32_e32 v48, s45
	s_add_i32 s45, s44, s20
	s_add_i32 s43, s43, s38
	s_lshl_b32 s45, s45, 2
	s_lshl_b32 s43, s43, 2
	s_waitcnt lgkmcnt(3)
	v_fma_f32 v46, -v10, v54, v46
	ds_load_2addr_b32 v[61:62], v48 offset1:1
	v_mov_b32_e32 v48, s45
	v_fma_f32 v47, -v22, v57, v47
	v_mov_b32_e32 v54, s43
	s_add_i32 s43, s44, s19
	s_waitcnt lgkmcnt(3)
	v_fma_f32 v46, -v13, v56, v46
	s_lshl_b32 s43, s43, 2
	ds_load_2addr_b32 v[56:57], v48 offset1:1
	v_fma_f32 v47, -v23, v49, v47
	v_mov_b32_e32 v48, s43
	s_waitcnt lgkmcnt(3)
	v_fma_f32 v46, -v14, v67, v46
	s_add_i32 s43, s44, s18
	s_add_i32 s45, s44, s21
	v_fma_f32 v47, -v26, v63, v47
	ds_load_2addr_b32 v[63:64], v48 offset1:1
	s_lshl_b32 s43, s43, 2
	s_waitcnt lgkmcnt(3)
	v_fma_f32 v46, -v16, v60, v46
	v_mov_b32_e32 v49, s43
	s_add_i32 s43, s44, s23
	v_fma_f32 v47, -v27, v58, v47
	s_lshl_b32 s43, s43, 2
	s_waitcnt lgkmcnt(2)
	v_fma_f32 v46, -v20, v62, v46
	ds_load_2addr_b32 v[67:68], v49 offset1:1
	v_mov_b32_e32 v48, s43
	s_add_i32 s43, s44, s25
	v_fma_f32 v60, -v32, v65, v47
	s_lshl_b32 s43, s43, 2
	s_waitcnt lgkmcnt(2)
	v_fma_f32 v62, -v21, v57, v46
	ds_load_2addr_b32 v[57:58], v48 offset1:1
	v_mov_b32_e32 v65, s43
	s_add_i32 s43, s44, s24
	ds_load_2addr_b32 v[46:47], v69 offset1:1
	ds_load_2addr_b32 v[48:49], v70 offset1:1
	;; [unrolled: 1-line block ×4, first 2 shown]
	s_lshl_b32 s43, s43, 2
	v_fma_f32 v54, -v35, v71, v60
	ds_load_2addr_b32 v[71:72], v65 offset1:1
	s_waitcnt lgkmcnt(7)
	v_fma_f32 v60, -v22, v64, v62
	v_mov_b32_e32 v62, s43
	s_add_i32 s43, s44, s22
	v_fma_f32 v54, -v36, v73, v54
	s_lshl_b32 s43, s43, 2
	v_add_lshl_u32 v42, s41, v0, 2
	ds_load_2addr_b32 v[64:65], v62 offset1:1
	v_mov_b32_e32 v62, s43
	s_lshl_b32 s43, s45, 2
	s_waitcnt lgkmcnt(7)
	v_fma_f32 v60, -v23, v68, v60
	v_mov_b32_e32 v68, s43
	s_add_i32 s43, s44, s27
	ds_load_2addr_b32 v[73:74], v62 offset1:1
	s_lshl_b32 s43, s43, 2
	v_fma_f32 v54, -v37, v75, v54
	s_waitcnt lgkmcnt(7)
	v_fma_f32 v58, -v26, v58, v60
	s_waitcnt lgkmcnt(6)
	v_fma_f32 v47, -v40, v47, v76
	ds_load_2addr_b32 v[75:76], v68 offset1:1
	v_mov_b32_e32 v60, s43
	s_add_i32 s43, s44, s29
	s_waitcnt lgkmcnt(3)
	v_fma_f32 v58, -v27, v72, v58
	s_lshl_b32 s43, s43, 2
	s_add_i32 s45, s44, s28
	ds_load_2addr_b32 v[80:81], v60 offset1:1
	v_mov_b32_e32 v60, s43
	s_lshl_b32 s43, s45, 2
	v_fma_f32 v54, -v38, v77, v54
	s_waitcnt lgkmcnt(3)
	v_fma_f32 v58, -v32, v65, v58
	v_mov_b32_e32 v62, s43
	ds_load_2addr_b32 v[82:83], v60 offset1:1
	s_add_i32 s43, s44, s30
	v_fma_f32 v52, -v39, v52, v54
	s_lshl_b32 s43, s43, 2
	ds_load_2addr_b32 v[84:85], v62 offset1:1
	s_waitcnt lgkmcnt(4)
	v_fma_f32 v54, -v35, v74, v58
	v_mov_b32_e32 v58, s43
	v_fma_f32 v47, -v41, v49, v47
	v_fma_f32 v46, -v40, v46, v52
	s_add_i32 s43, s44, s33
	s_waitcnt lgkmcnt(3)
	v_fma_f32 v49, -v36, v76, v54
	ds_load_2addr_b32 v[76:77], v58 offset1:1
	s_lshl_b32 s43, s43, 2
	v_fma_f32 v47, -v43, v70, v47
	v_fma_f32 v48, -v41, v48, v46
	v_mov_b32_e32 v52, s43
	s_waitcnt lgkmcnt(3)
	v_fma_f32 v49, -v37, v81, v49
	s_add_i32 s43, s35, 0xfffffd0c
	v_fma_f32 v47, -v44, v79, v47
	v_fma_f32 v48, -v43, v69, v48
	ds_load_2addr_b32 v[68:69], v52 offset1:1
	s_waitcnt lgkmcnt(3)
	v_fma_f32 v52, -v38, v83, v49
	s_addk_i32 s35, 0xfcf0
	v_mul_f32_e32 v49, v51, v47
	v_fma_f32 v51, -v44, v78, v48
	v_add_lshl_u32 v48, s35, v0, 2
	s_waitcnt lgkmcnt(2)
	v_fma_f32 v52, -v39, v85, v52
	s_add_i32 s35, s44, s34
	s_add_i32 s45, s44, s36
	v_fma_f32 v50, -v49, v50, v51
	s_lshl_b32 s35, s35, 2
	s_waitcnt lgkmcnt(1)
	v_fma_f32 v51, -v40, v77, v52
	v_fma_f32 v52, -v10, v53, v45
	v_mov_b32_e32 v53, s35
	s_add_i32 s35, s44, s38
	v_add_lshl_u32 v46, s42, v0, 2
	s_lshl_b32 s35, s35, 2
	v_fma_f32 v52, -v13, v55, v52
	v_mov_b32_e32 v65, s35
	s_lshl_b32 s35, s45, 2
	s_add_i32 s45, s44, s40
	v_add_lshl_u32 v47, s43, v0, 2
	v_fma_f32 v52, -v14, v66, v52
	s_lshl_b32 s45, s45, 2
	s_add_i32 s46, s44, s37
	s_sub_i32 s44, s15, 26
	ds_load_b32 v62, v42 offset:3136
	ds_load_b32 v90, v46 offset:3136
	;; [unrolled: 1-line block ×4, first 2 shown]
	v_fma_f32 v52, -v16, v59, v52
	v_mul_f32_e32 v45, v86, v50
	s_waitcnt lgkmcnt(4)
	v_fma_f32 v74, -v41, v69, v51
	ds_load_2addr_b32 v[50:51], v53 offset1:1
	v_mov_b32_e32 v53, s45
	s_add_i32 s45, s44, s4
	s_add_i32 s47, s31, 0xfffff520
	s_lshl_b32 s45, s45, 2
	v_fma_f32 v52, -v20, v61, v52
	v_dual_mov_b32 v54, s47 :: v_dual_mov_b32 v55, s45
	s_add_i32 s45, s44, s13
	v_mov_b32_e32 v69, s35
	s_lshl_b32 s45, s45, 2
	v_fma_f32 v56, -v21, v56, v52
	ds_load_2addr_b32 v[52:53], v53 offset1:1
	ds_load_b32 v93, v54
	ds_load_2addr_b32 v[54:55], v55 offset1:1
	v_mov_b32_e32 v58, s45
	s_add_i32 s45, s44, s11
	s_lshl_b32 s35, s46, 2
	s_lshl_b32 s45, s45, 2
	v_fma_f32 v56, -v22, v63, v56
	ds_load_2addr_b32 v[58:59], v58 offset1:1
	v_mov_b32_e32 v60, s45
	s_add_i32 s46, s44, s12
	s_waitcnt lgkmcnt(4)
	v_fma_f32 v51, -v43, v51, v74
	s_lshl_b32 s45, s46, 2
	v_fma_f32 v56, -v23, v67, v56
	v_mov_b32_e32 v63, s45
	ds_load_2addr_b32 v[60:61], v60 offset1:1
	s_add_i32 s45, s44, s10
	v_mov_b32_e32 v67, s35
	s_lshl_b32 s45, s45, 2
	v_fma_f32 v72, -v26, v57, v56
	ds_load_2addr_b32 v[56:57], v63 offset1:1
	v_mov_b32_e32 v66, s45
	s_add_i32 s35, s44, s20
	s_waitcnt lgkmcnt(3)
	v_fma_f32 v55, -v10, v55, v62
	s_lshl_b32 s35, s35, 2
	s_add_i32 s45, s44, s25
	ds_load_2addr_b32 v[62:63], v66 offset1:1
	ds_load_2addr_b32 v[65:66], v65 offset1:1
	;; [unrolled: 1-line block ×4, first 2 shown]
	v_mov_b32_e32 v67, s35
	s_waitcnt lgkmcnt(6)
	v_fma_f32 v55, -v13, v59, v55
	v_fma_f32 v59, -v27, v71, v72
	s_add_i32 s35, s44, s19
	ds_load_2addr_b32 v[71:72], v67 offset1:1
	s_lshl_b32 s35, s35, 2
	s_waitcnt lgkmcnt(6)
	v_fma_f32 v55, -v14, v61, v55
	v_mov_b32_e32 v67, s35
	v_fma_f32 v59, -v32, v64, v59
	s_add_i32 s35, s44, s18
	s_delay_alu instid0(SALU_CYCLE_1)
	s_lshl_b32 s35, s35, 2
	ds_load_2addr_b32 v[85:86], v67 offset1:1
	s_waitcnt lgkmcnt(6)
	v_fma_f32 v55, -v16, v57, v55
	v_fma_f32 v57, -v35, v73, v59
	v_mov_b32_e32 v59, s35
	s_add_i32 s35, s44, s23
	s_waitcnt lgkmcnt(4)
	v_fma_f32 v51, -v44, v66, v51
	s_lshl_b32 s35, s35, 2
	v_fma_f32 v55, -v20, v63, v55
	ds_load_2addr_b32 v[63:64], v59 offset1:1
	v_mov_b32_e32 v59, s35
	s_lshl_b32 s35, s45, 2
	s_add_i32 s45, s44, s22
	v_mov_b32_e32 v61, s35
	s_waitcnt lgkmcnt(2)
	v_fma_f32 v55, -v21, v72, v55
	ds_load_2addr_b32 v[72:73], v59 offset1:1
	s_add_i32 s35, s44, s24
	v_fma_f32 v57, -v36, v75, v57
	ds_load_2addr_b32 v[66:67], v61 offset1:1
	s_lshl_b32 s35, s35, 2
	v_fma_f32 v51, -v49, v70, v51
	v_mov_b32_e32 v59, s35
	s_lshl_b32 s35, s45, 2
	s_waitcnt lgkmcnt(3)
	v_fma_f32 v55, -v22, v86, v55
	v_mov_b32_e32 v61, s35
	s_add_i32 s35, s44, s21
	ds_load_2addr_b32 v[74:75], v59 offset1:1
	s_lshl_b32 s35, s35, 2
	v_fma_f32 v57, -v37, v80, v57
	ds_load_2addr_b32 v[79:80], v61 offset1:1
	s_waitcnt lgkmcnt(4)
	v_fma_f32 v55, -v23, v64, v55
	v_mov_b32_e32 v59, s35
	s_add_i32 s35, s44, s27
	v_fma_f32 v57, -v38, v82, v57
	s_lshl_b32 s35, s35, 2
	s_waitcnt lgkmcnt(3)
	v_fma_f32 v55, -v26, v73, v55
	v_mov_b32_e32 v61, s35
	ds_load_2addr_b32 v[81:82], v59 offset1:1
	s_add_i32 s35, s44, s29
	v_fma_f32 v57, -v39, v84, v57
	s_lshl_b32 s35, s35, 2
	ds_load_2addr_b32 v[83:84], v61 offset1:1
	s_waitcnt lgkmcnt(4)
	v_fma_f32 v55, -v27, v67, v55
	v_mov_b32_e32 v59, s35
	s_add_i32 s45, s44, s28
	v_fma_f32 v57, -v40, v76, v57
	s_lshl_b32 s35, s45, 2
	s_waitcnt lgkmcnt(3)
	v_fma_f32 v55, -v32, v75, v55
	v_mov_b32_e32 v61, s35
	ds_load_2addr_b32 v[75:76], v59 offset1:1
	s_add_i32 s35, s44, s30
	v_fma_f32 v57, -v41, v68, v57
	s_lshl_b32 s35, s35, 2
	;; [unrolled: 14-line block ×3, first 2 shown]
	s_waitcnt lgkmcnt(3)
	v_fma_f32 v55, -v37, v84, v55
	ds_load_2addr_b32 v[50:51], v61 offset1:1
	v_mov_b32_e32 v61, s35
	s_add_i32 s45, s44, s38
	v_fma_f32 v73, -v10, v54, v90
	s_lshl_b32 s35, s45, 2
	s_waitcnt lgkmcnt(3)
	v_fma_f32 v55, -v38, v76, v55
	v_mov_b32_e32 v64, s35
	ds_load_2addr_b32 v[88:89], v61 offset1:1
	s_add_i32 s35, s44, s36
	v_mul_f32_e32 v78, v53, v59
	s_lshl_b32 s35, s35, 2
	s_waitcnt lgkmcnt(3)
	v_fma_f32 v61, -v39, v87, v55
	v_mov_b32_e32 v70, s35
	ds_load_2addr_b32 v[54:55], v64 offset1:1
	v_fma_f32 v64, -v44, v65, v57
	v_fma_f32 v65, -v13, v58, v73
	s_waitcnt lgkmcnt(3)
	v_fma_f32 v61, -v40, v68, v61
	ds_load_2addr_b32 v[57:58], v70 offset1:1
	s_add_i32 s35, s44, s37
	v_fma_f32 v64, -v49, v69, v64
	v_fma_f32 v65, -v14, v60, v65
	s_lshl_b32 s35, s35, 2
	s_waitcnt lgkmcnt(3)
	v_fma_f32 v51, -v41, v51, v61
	v_mov_b32_e32 v68, s35
	v_fma_f32 v53, -v45, v77, v64
	v_fma_f32 v56, -v16, v56, v65
	s_sub_i32 s35, s15, 28
	s_waitcnt lgkmcnt(2)
	v_fma_f32 v51, -v43, v89, v51
	ds_load_2addr_b32 v[59:60], v68 offset1:1
	v_fma_f32 v52, -v78, v52, v53
	v_fma_f32 v53, -v20, v62, v56
	s_add_i32 s46, s35, s4
	s_add_i32 s45, s44, s40
	s_waitcnt lgkmcnt(2)
	v_fma_f32 v51, -v44, v55, v51
	v_mul_f32_e32 v80, v93, v52
	v_fma_f32 v52, -v21, v71, v53
	s_lshl_b32 s46, s46, 2
	s_add_i32 s13, s35, s13
	s_waitcnt lgkmcnt(1)
	v_fma_f32 v53, -v49, v58, v51
	s_lshl_b32 s45, s45, 2
	v_fma_f32 v51, -v22, v85, v52
	v_mov_b32_e32 v52, s46
	s_lshl_b32 s13, s13, 2
	v_mov_b32_e32 v56, s45
	v_mov_b32_e32 v58, s13
	v_fma_f32 v55, -v23, v63, v51
	ds_load_2addr_b32 v[51:52], v52 offset1:1
	s_add_i32 s11, s35, s11
	s_waitcnt lgkmcnt(1)
	v_fma_f32 v82, -v45, v60, v53
	ds_load_2addr_b32 v[60:61], v58 offset1:1
	v_fma_f32 v53, -v26, v72, v55
	ds_load_2addr_b32 v[55:56], v56 offset1:1
	s_lshl_b32 s11, s11, 2
	s_add_i32 s12, s35, s12
	v_mov_b32_e32 v58, s11
	v_fma_f32 v53, -v27, v66, v53
	s_lshl_b32 s11, s12, 2
	s_add_i32 s10, s35, s10
	v_mov_b32_e32 v64, s11
	ds_load_2addr_b32 v[62:63], v58 offset1:1
	v_fma_f32 v53, -v32, v74, v53
	s_lshl_b32 s10, s10, 2
	s_add_i32 s12, s35, s19
	ds_load_2addr_b32 v[64:65], v64 offset1:1
	s_add_i32 s13, s44, s39
	v_fma_f32 v53, -v35, v79, v53
	s_waitcnt lgkmcnt(4)
	v_fma_f32 v52, -v10, v52, v91
	s_lshl_b32 s11, s13, 2
	s_add_i32 s13, s35, s25
	v_fma_f32 v51, -v10, v51, v92
	v_fma_f32 v58, -v36, v81, v53
	v_mov_b32_e32 v53, s10
	s_add_i32 s10, s35, s20
	s_waitcnt lgkmcnt(3)
	v_fma_f32 v61, -v13, v61, v52
	s_lshl_b32 s10, s10, 2
	v_fma_f32 v58, -v37, v83, v58
	ds_load_2addr_b32 v[52:53], v53 offset1:1
	v_mov_b32_e32 v66, s10
	s_lshl_b32 s10, s12, 2
	s_waitcnt lgkmcnt(2)
	v_fma_f32 v61, -v14, v63, v61
	v_mov_b32_e32 v70, s10
	s_add_i32 s10, s35, s18
	ds_load_2addr_b32 v[68:69], v66 offset1:1
	s_lshl_b32 s10, s10, 2
	s_waitcnt lgkmcnt(2)
	v_fma_f32 v61, -v16, v65, v61
	v_mov_b32_e32 v63, s10
	ds_load_2addr_b32 v[70:71], v70 offset1:1
	s_add_i32 s10, s35, s23
	v_fma_f32 v58, -v38, v75, v58
	s_lshl_b32 s10, s10, 2
	ds_load_2addr_b32 v[65:66], v63 offset1:1
	v_mov_b32_e32 v63, s10
	s_lshl_b32 s10, s13, 2
	v_fma_f32 v58, -v39, v86, v58
	v_fma_f32 v60, -v13, v60, v51
	s_add_i32 s44, s44, s41
	s_waitcnt lgkmcnt(3)
	v_fma_f32 v53, -v20, v53, v61
	ds_load_2addr_b32 v[72:73], v63 offset1:1
	v_mov_b32_e32 v61, s10
	s_add_i32 s10, s35, s24
	v_fma_f32 v58, -v40, v67, v58
	s_lshl_b32 s10, s10, 2
	s_waitcnt lgkmcnt(3)
	v_fma_f32 v53, -v21, v69, v53
	ds_load_2addr_b32 v[74:75], v61 offset1:1
	v_mov_b32_e32 v63, s10
	s_add_i32 s10, s35, s22
	v_fma_f32 v50, -v41, v50, v58
	s_lshl_b32 s10, s10, 2
	s_waitcnt lgkmcnt(3)
	v_fma_f32 v53, -v22, v71, v53
	v_mov_b32_e32 v61, s10
	s_add_i32 s10, s35, s21
	ds_load_2addr_b32 v[76:77], v63 offset1:1
	s_lshl_b32 s10, s10, 2
	s_waitcnt lgkmcnt(3)
	v_fma_f32 v53, -v23, v66, v53
	v_mov_b32_e32 v58, s10
	ds_load_2addr_b32 v[66:67], v61 offset1:1
	v_mov_b32_e32 v69, s11
	s_add_i32 s11, s35, s27
	s_waitcnt lgkmcnt(3)
	v_fma_f32 v53, -v26, v73, v53
	v_fma_f32 v73, -v43, v88, v50
	ds_load_2addr_b32 v[50:51], v58 offset1:1
	v_fma_f32 v58, -v14, v62, v60
	s_lshl_b32 s11, s11, 2
	s_waitcnt lgkmcnt(3)
	v_fma_f32 v53, -v27, v75, v53
	s_lshl_b32 s12, s44, 2
	s_add_i32 s10, s31, 0xfffff438
	v_fma_f32 v58, -v16, v64, v58
	v_mov_b32_e32 v71, s12
	s_add_i32 s12, s35, s28
	v_mov_b32_e32 v75, s10
	s_add_i32 s10, s35, s30
	v_fma_f32 v58, -v20, v52, v58
	s_waitcnt lgkmcnt(2)
	v_fma_f32 v60, -v32, v77, v53
	v_mov_b32_e32 v53, s11
	s_add_i32 s11, s35, s29
	s_lshl_b32 s10, s10, 2
	v_fma_f32 v58, -v21, v68, v58
	s_lshl_b32 s11, s11, 2
	ds_load_2addr_b32 v[52:53], v53 offset1:1
	v_mov_b32_e32 v61, s11
	s_lshl_b32 s11, s12, 2
	v_fma_f32 v58, -v22, v70, v58
	v_mov_b32_e32 v62, s11
	s_waitcnt lgkmcnt(2)
	v_fma_f32 v64, -v35, v67, v60
	ds_load_2addr_b32 v[60:61], v61 offset1:1
	ds_load_2addr_b32 v[62:63], v62 offset1:1
	v_fma_f32 v58, -v23, v65, v58
	v_mov_b32_e32 v70, s10
	s_add_i32 s11, s35, s33
	s_waitcnt lgkmcnt(3)
	v_fma_f32 v51, -v36, v51, v64
	s_lshl_b32 s10, s11, 2
	v_fma_f32 v58, -v26, v72, v58
	ds_load_2addr_b32 v[64:65], v69 offset1:1
	ds_load_2addr_b32 v[67:68], v71 offset1:1
	ds_load_b32 v75, v75
	v_mov_b32_e32 v71, s10
	ds_load_2addr_b32 v[69:70], v70 offset1:1
	v_fma_f32 v77, -v78, v56, v82
	v_fma_f32 v58, -v27, v74, v58
	s_waitcnt lgkmcnt(6)
	v_fma_f32 v51, -v37, v53, v51
	v_fma_f32 v56, -v44, v54, v73
	ds_load_2addr_b32 v[53:54], v71 offset1:1
	s_add_i32 s10, s35, s34
	v_fma_f32 v58, -v32, v76, v58
	s_add_i32 s11, s35, s38
	s_lshl_b32 s10, s10, 2
	s_waitcnt lgkmcnt(6)
	v_fma_f32 v51, -v38, v61, v51
	s_lshl_b32 s11, s11, 2
	v_fma_f32 v58, -v35, v66, v58
	v_mov_b32_e32 v61, s10
	v_mov_b32_e32 v71, s11
	s_waitcnt lgkmcnt(5)
	v_fma_f32 v51, -v39, v63, v51
	v_fma_f32 v63, -v49, v57, v56
	;; [unrolled: 1-line block ×3, first 2 shown]
	ds_load_2addr_b32 v[56:57], v61 offset1:1
	ds_load_2addr_b32 v[71:72], v71 offset1:1
	s_add_i32 s10, s35, s36
	s_waitcnt lgkmcnt(3)
	v_fma_f32 v51, -v40, v70, v51
	s_lshl_b32 s10, s10, 2
	v_fma_f32 v50, -v37, v52, v50
	s_add_i32 s11, s35, s37
	v_fma_f32 v61, -v80, v65, v77
	s_waitcnt lgkmcnt(2)
	v_fma_f32 v54, -v41, v54, v51
	v_mov_b32_e32 v51, s10
	v_fma_f32 v52, -v38, v60, v50
	s_lshl_b32 s10, s11, 2
	s_add_i32 s11, s35, s40
	v_mov_b32_e32 v58, s10
	ds_load_2addr_b32 v[50:51], v51 offset1:1
	v_fma_f32 v52, -v39, v62, v52
	s_lshl_b32 s10, s11, 2
	v_fma_f32 v59, -v45, v59, v63
	v_mov_b32_e32 v60, s10
	s_add_i32 s10, s35, s39
	s_waitcnt lgkmcnt(2)
	v_fma_f32 v54, -v43, v57, v54
	ds_load_2addr_b32 v[57:58], v58 offset1:1
	v_fma_f32 v52, -v40, v69, v52
	s_lshl_b32 s10, s10, 2
	v_mul_f32_e32 v61, v68, v61
	v_fma_f32 v62, -v78, v55, v59
	v_mov_b32_e32 v55, s10
	v_fma_f32 v63, -v41, v53, v52
	ds_load_2addr_b32 v[52:53], v60 offset1:1
	s_add_i32 s10, s35, s41
	s_waitcnt lgkmcnt(3)
	v_fma_f32 v59, -v44, v72, v54
	s_lshl_b32 s10, s10, 2
	ds_load_2addr_b32 v[54:55], v55 offset1:1
	v_fma_f32 v56, -v43, v56, v63
	v_mov_b32_e32 v60, s10
	s_add_i32 s11, s35, s42
	s_waitcnt lgkmcnt(3)
	v_fma_f32 v51, -v49, v51, v59
	s_lshl_b32 s10, s11, 2
	v_fma_f32 v56, -v44, v71, v56
	v_mov_b32_e32 v63, s10
	ds_load_2addr_b32 v[59:60], v60 offset1:1
	s_add_i32 s35, s35, s43
	s_waitcnt lgkmcnt(3)
	v_fma_f32 v58, -v45, v58, v51
	s_lshl_b32 s10, s35, 2
	v_fma_f32 v56, -v49, v50, v56
	ds_load_2addr_b32 v[50:51], v63 offset1:1
	v_mov_b32_e32 v63, s10
	s_add_i32 s10, s31, 0xfffff350
	s_waitcnt lgkmcnt(3)
	v_fma_f32 v53, -v78, v53, v58
	v_fma_f32 v58, -v45, v57, v56
	ds_load_2addr_b32 v[56:57], v63 offset1:1
	v_mov_b32_e32 v63, s10
	v_fma_f32 v62, -v80, v64, v62
	s_waitcnt lgkmcnt(3)
	v_fma_f32 v53, -v80, v55, v53
	v_fma_f32 v52, -v78, v52, v58
	v_add_lshl_u32 v55, s4, v0, 2
	s_sub_i32 s4, s15, 29
	v_fma_f32 v62, -v61, v67, v62
	s_waitcnt lgkmcnt(2)
	v_fma_f32 v53, -v61, v60, v53
	v_fma_f32 v52, -v80, v54, v52
	ds_store_b32 v55, v10 offset:3136
	v_mul_f32_e32 v58, v75, v62
	ds_load_b32 v62, v63
	ds_store_b32 v1, v13 offset:3136
	ds_store_b32 v2, v14 offset:3136
	ds_store_b32 v3, v16 offset:3136
	ds_store_b32 v4, v20 offset:3136
	ds_store_b32 v5, v21 offset:3136
	ds_store_b32 v6, v22 offset:3136
	ds_store_b32 v7, v23 offset:3136
	ds_store_b32 v8, v26 offset:3136
	ds_store_b32 v9, v27 offset:3136
	ds_store_b32 v11, v32 offset:3136
	ds_store_b32 v12, v35 offset:3136
	ds_store_b32 v15, v36 offset:3136
	ds_store_b32 v17, v37 offset:3136
	ds_store_b32 v18, v38 offset:3136
	ds_store_b32 v19, v39 offset:3136
	ds_store_b32 v24, v40 offset:3136
	ds_store_b32 v25, v41 offset:3136
	s_waitcnt lgkmcnt(20)
	v_fma_f32 v10, -v58, v51, v53
	v_fma_f32 v51, -v61, v59, v52
	ds_store_b32 v28, v43 offset:3136
	ds_store_b32 v29, v44 offset:3136
	;; [unrolled: 1-line block ×8, first 2 shown]
	s_waitcnt lgkmcnt(27)
	v_mul_f32_e32 v1, v57, v10
	v_fma_f32 v2, -v58, v50, v51
	s_delay_alu instid0(VALU_DEP_1) | instskip(SKIP_1) | instid1(VALU_DEP_1)
	v_fma_f32 v2, -v1, v56, v2
	s_waitcnt lgkmcnt(25)
	v_mul_f32_e32 v2, v62, v2
	ds_store_b32 v47, v1 offset:3136
	ds_store_b32 v48, v2 offset:3136
.LBB31_41:
	s_cmp_gt_i32 s4, -1
	s_cbranch_scc0 .LBB31_60
; %bb.42:
	s_cmp_lt_u32 s4, 23
	s_cbranch_scc1 .LBB31_47
; %bb.43:
	s_mul_i32 s10, s4, 28
	s_delay_alu instid0(SALU_CYCLE_1) | instskip(SKIP_3) | instid1(VALU_DEP_2)
	v_add_lshl_u32 v24, s10, v0, 2
	s_sub_i32 s11, s10, 28
	s_cmp_le_i32 s26, s4
	v_add_lshl_u32 v25, s11, v0, 2
	v_add_nc_u32_e32 v1, 0x800, v24
	v_add_nc_u32_e32 v2, 0x400, v24
	;; [unrolled: 1-line block ×3, first 2 shown]
	ds_load_b32 v23, v24 offset:3136
	ds_load_b32 v26, v25 offset:3136
	ds_load_2addr_b32 v[21:22], v1 offset0:188 offset1:216
	ds_load_2addr_b32 v[19:20], v1 offset0:132 offset1:160
	;; [unrolled: 1-line block ×11, first 2 shown]
	s_cbranch_scc1 .LBB31_46
; %bb.44:
	v_lshlrev_b32_e32 v27, 2, v0
	s_mul_i32 s12, s15, 0x70
	s_lshl_b32 s13, s4, 2
	s_delay_alu instid0(SALU_CYCLE_1) | instskip(NEXT) | instid1(VALU_DEP_1)
	s_add_i32 s13, s12, s13
	v_add3_u32 v27, s12, v27, 0xbd0
	s_add_i32 s12, s13, 0xffffff34
	s_mov_b32 s13, s26
.LBB31_45:                              ; =>This Inner Loop Header: Depth=1
	v_mov_b32_e32 v50, s12
	ds_load_b32 v52, v27
	v_add_nc_u32_e32 v27, 0xffffff90, v27
	s_add_i32 s13, s13, -1
	s_addk_i32 s12, 0xff90
	ds_load_2addr_b32 v[28:29], v50 offset0:22 offset1:23
	ds_load_2addr_b32 v[30:31], v50 offset0:20 offset1:21
	;; [unrolled: 1-line block ×11, first 2 shown]
	ds_load_2addr_b32 v[50:51], v50 offset1:1
	s_cmp_gt_i32 s13, s4
	s_waitcnt lgkmcnt(11)
	v_fma_f32 v23, -v52, v29, v23
	v_fma_f32 v26, -v52, v28, v26
	s_waitcnt lgkmcnt(10)
	v_fma_f32 v22, -v52, v31, v22
	v_fma_f32 v21, -v52, v30, v21
	;; [unrolled: 3-line block ×12, first 2 shown]
	s_cbranch_scc1 .LBB31_45
.LBB31_46:
	s_mul_i32 s12, s4, 0x74
	s_add_i32 s18, s4, -3
	s_add_i32 s13, s12, -4
	s_delay_alu instid0(SALU_CYCLE_1)
	v_dual_mov_b32 v27, s13 :: v_dual_add_nc_u32 v24, 0xc40, v24
	s_sub_i32 s13, s11, 28
	s_add_i32 s21, s18, s10
	s_add_i32 s20, s4, -5
	s_add_i32 s22, s18, s11
	ds_load_2addr_b32 v[27:28], v27 offset1:1
	s_add_i32 s18, s18, s13
	s_lshl_b32 s21, s21, 2
	s_delay_alu instid0(SALU_CYCLE_1)
	v_dual_mov_b32 v30, s21 :: v_dual_add_nc_u32 v25, 0xc40, v25
	s_add_i32 s19, s12, 0xffffff8c
	s_add_i32 s21, s20, s10
	s_lshl_b32 s18, s18, 2
	s_lshl_b32 s22, s22, 2
	v_mov_b32_e32 v33, s18
	s_lshl_b32 s18, s21, 2
	s_delay_alu instid0(SALU_CYCLE_1)
	v_dual_mov_b32 v29, s19 :: v_dual_mov_b32 v36, s18
	ds_load_b32 v37, v29
	ds_load_2addr_b32 v[29:30], v30 offset1:1
	v_mov_b32_e32 v31, s22
	s_add_i32 s19, s12, 0xfffffea4
	s_add_i32 s22, s20, s11
	s_waitcnt lgkmcnt(2)
	v_mul_f32_e32 v23, v28, v23
	s_add_i32 s21, s20, s13
	s_sub_i32 s18, s11, 56
	s_lshl_b32 s21, s21, 2
	s_add_i32 s23, s20, s18
	v_fma_f32 v39, -v23, v27, v26
	v_mov_b32_e32 v35, s19
	s_lshl_b32 s19, s22, 2
	ds_load_2addr_b32 v[33:34], v33 offset1:1
	v_mov_b32_e32 v28, s19
	ds_load_2addr_b32 v[31:32], v31 offset1:1
	ds_load_b32 v38, v35
	ds_load_2addr_b32 v[35:36], v36 offset1:1
	s_add_i32 s19, s11, 0xffffffac
	s_add_i32 s22, s4, -7
	ds_load_2addr_b32 v[26:27], v28 offset1:1
	s_add_i32 s20, s20, s19
	s_waitcnt lgkmcnt(5)
	v_fma_f32 v28, -v23, v30, v22
	v_mul_f32_e32 v22, v37, v39
	v_fma_f32 v21, -v23, v29, v21
	v_mov_b32_e32 v29, s21
	s_add_i32 s21, s12, 0xfffffdbc
	s_add_i32 s24, s22, s10
	s_lshl_b32 s20, s20, 2
	s_lshl_b32 s23, s23, 2
	s_add_i32 s29, s4, -13
	s_add_i32 s31, s4, -15
	s_add_i32 s30, s29, s10
	s_add_i32 s33, s31, s18
	s_lshl_b32 s30, s30, 2
	s_sub_i32 s34, s4, 17
	s_waitcnt lgkmcnt(3)
	v_fma_f32 v28, -v22, v32, v28
	v_fma_f32 v30, -v22, v31, v21
	v_mov_b32_e32 v32, s20
	s_lshl_b32 s20, s24, 2
	s_waitcnt lgkmcnt(1)
	v_fma_f32 v20, -v23, v36, v20
	v_dual_mul_f32 v21, v34, v28 :: v_dual_mov_b32 v36, s20
	v_mov_b32_e32 v34, s21
	ds_load_2addr_b32 v[28:29], v29 offset1:1
	s_add_i32 s20, s22, s11
	v_fma_f32 v30, -v21, v33, v30
	s_lshl_b32 s20, s20, 2
	v_mov_b32_e32 v31, s23
	s_waitcnt lgkmcnt(1)
	v_fma_f32 v27, -v22, v27, v20
	s_add_i32 s21, s22, s18
	v_mul_f32_e32 v20, v38, v30
	ds_load_2addr_b32 v[30:31], v31 offset1:1
	ds_load_2addr_b32 v[32:33], v32 offset1:1
	ds_load_b32 v42, v34
	v_mov_b32_e32 v34, s20
	ds_load_2addr_b32 v[36:37], v36 offset1:1
	s_add_i32 s20, s22, s13
	v_fma_f32 v19, -v23, v35, v19
	s_lshl_b32 s20, s20, 2
	ds_load_2addr_b32 v[38:39], v34 offset1:1
	s_add_i32 s23, s4, -9
	s_add_i32 s35, s12, 0xfffff934
	v_fma_f32 v19, -v22, v26, v19
	s_add_i32 s24, s23, s10
	s_waitcnt lgkmcnt(5)
	v_fma_f32 v29, -v21, v29, v27
	v_mov_b32_e32 v27, s20
	s_lshl_b32 s20, s21, 2
	s_add_i32 s21, s22, s19
	v_mov_b32_e32 v40, s20
	s_lshl_b32 s21, s21, 2
	s_add_i32 s20, s11, 0xffffff90
	s_waitcnt lgkmcnt(4)
	v_fma_f32 v31, -v20, v31, v29
	v_fma_f32 v19, -v21, v28, v19
	ds_load_2addr_b32 v[40:41], v40 offset1:1
	ds_load_2addr_b32 v[34:35], v27 offset1:1
	v_mov_b32_e32 v27, s21
	s_waitcnt lgkmcnt(3)
	v_fma_f32 v18, -v23, v37, v18
	s_add_i32 s21, s22, s20
	v_fma_f32 v19, -v20, v30, v19
	s_lshl_b32 s21, s21, 2
	s_lshl_b32 s24, s24, 2
	v_mov_b32_e32 v37, s21
	s_waitcnt lgkmcnt(2)
	v_fma_f32 v39, -v22, v39, v18
	v_mul_f32_e32 v18, v33, v31
	ds_load_2addr_b32 v[26:27], v27 offset1:1
	s_add_i32 s21, s12, 0xfffffd48
	ds_load_2addr_b32 v[28:29], v37 offset1:1
	s_add_i32 s25, s23, s11
	v_fma_f32 v19, -v18, v32, v19
	v_fma_f32 v17, -v23, v36, v17
	s_sub_i32 s36, s4, 19
	s_sub_i32 s39, s4, 21
	s_add_i32 s37, s36, s11
	v_mul_f32_e32 v19, v42, v19
	s_waitcnt lgkmcnt(2)
	v_fma_f32 v30, -v21, v35, v39
	v_fma_f32 v17, -v22, v38, v17
	s_add_i32 s38, s39, s11
	v_add_lshl_u32 v61, s13, v0, 2
	s_lshl_b32 s38, s38, 2
	v_fma_f32 v30, -v20, v41, v30
	v_fma_f32 v17, -v21, v34, v17
	v_add_lshl_u32 v62, s18, v0, 2
	v_add_lshl_u32 v63, s19, v0, 2
	;; [unrolled: 1-line block ×3, first 2 shown]
	s_waitcnt lgkmcnt(1)
	v_fma_f32 v27, -v18, v27, v30
	v_mov_b32_e32 v30, s21
	s_add_i32 s21, s11, 0xffffff74
	v_fma_f32 v17, -v20, v40, v17
	s_add_i32 s22, s22, s21
	s_waitcnt lgkmcnt(0)
	v_fma_f32 v27, -v19, v29, v27
	v_mov_b32_e32 v29, s24
	s_lshl_b32 s24, s25, 2
	ds_load_b32 v39, v30
	v_mov_b32_e32 v31, s24
	s_add_i32 s24, s23, s13
	s_lshl_b32 s22, s22, 2
	s_lshl_b32 s24, s24, 2
	v_mov_b32_e32 v35, s22
	v_mov_b32_e32 v33, s24
	s_add_i32 s24, s23, s18
	ds_load_2addr_b32 v[31:32], v31 offset1:1
	s_lshl_b32 s22, s24, 2
	s_add_i32 s24, s12, 0xfffffcd4
	v_mov_b32_e32 v36, s22
	s_add_i32 s22, s23, s19
	v_mov_b32_e32 v41, s24
	s_lshl_b32 s22, s22, 2
	v_fma_f32 v17, -v18, v26, v17
	v_mov_b32_e32 v37, s22
	s_add_i32 s22, s23, s20
	s_add_i32 s24, s23, s21
	s_lshl_b32 s22, s22, 2
	v_fma_f32 v17, -v19, v28, v17
	v_mov_b32_e32 v42, s22
	ds_load_2addr_b32 v[29:30], v29 offset1:1
	ds_load_2addr_b32 v[33:34], v33 offset1:1
	ds_load_b32 v40, v35
	ds_load_2addr_b32 v[35:36], v36 offset1:1
	ds_load_2addr_b32 v[37:38], v37 offset1:1
	s_add_i32 s22, s11, 0xffffff58
	s_lshl_b32 s24, s24, 2
	s_add_i32 s25, s23, s22
	s_add_i32 s40, s39, s13
	s_lshl_b32 s25, s25, 2
	s_add_i32 s41, s12, 0xfffff67c
	s_waitcnt lgkmcnt(4)
	v_fma_f32 v30, -v23, v30, v16
	v_mul_f32_e32 v16, v39, v27
	v_fma_f32 v15, -v23, v29, v15
	s_delay_alu instid0(VALU_DEP_3)
	v_fma_f32 v30, -v22, v32, v30
	ds_load_b32 v32, v41
	ds_load_2addr_b32 v[26:27], v42 offset1:1
	s_waitcnt lgkmcnt(4)
	v_fma_f32 v17, -v16, v40, v17
	v_fma_f32 v15, -v22, v31, v15
	;; [unrolled: 1-line block ×3, first 2 shown]
	v_mov_b32_e32 v30, s24
	s_add_i32 s24, s12, 0xfffffc60
	v_mov_b32_e32 v34, s25
	s_add_i32 s25, s4, -11
	s_waitcnt lgkmcnt(3)
	v_fma_f32 v28, -v20, v36, v28
	s_add_i32 s27, s25, s10
	ds_load_2addr_b32 v[39:40], v30 offset1:1
	ds_load_2addr_b32 v[41:42], v34 offset1:1
	s_lshl_b32 s27, s27, 2
	s_add_i32 s28, s25, s13
	s_waitcnt lgkmcnt(4)
	v_fma_f32 v28, -v18, v38, v28
	v_fma_f32 v15, -v21, v33, v15
	s_waitcnt lgkmcnt(2)
	s_delay_alu instid0(VALU_DEP_2)
	v_fma_f32 v45, -v19, v27, v28
	v_mov_b32_e32 v27, s24
	s_add_i32 s24, s11, 0xffffff3c
	v_fma_f32 v15, -v20, v35, v15
	s_add_i32 s23, s23, s24
	ds_load_b32 v47, v27
	v_mov_b32_e32 v27, s27
	s_add_i32 s27, s25, s11
	s_lshl_b32 s23, s23, 2
	s_lshl_b32 s27, s27, 2
	v_mov_b32_e32 v43, s23
	ds_load_2addr_b32 v[27:28], v27 offset1:1
	v_mov_b32_e32 v29, s27
	s_lshl_b32 s27, s28, 2
	s_add_i32 s23, s25, s19
	v_mov_b32_e32 v31, s27
	s_add_i32 s27, s25, s18
	ds_load_2addr_b32 v[29:30], v29 offset1:1
	s_lshl_b32 s27, s27, 2
	s_lshl_b32 s23, s23, 2
	v_mov_b32_e32 v33, s27
	s_add_i32 s27, s25, s20
	v_mov_b32_e32 v35, s23
	s_lshl_b32 s23, s27, 2
	s_add_i32 s27, s12, 0xfffffbec
	s_delay_alu instid0(SALU_CYCLE_1)
	v_dual_mul_f32 v17, v32, v17 :: v_dual_mov_b32 v46, s27
	ds_load_2addr_b32 v[31:32], v31 offset1:1
	ds_load_2addr_b32 v[33:34], v33 offset1:1
	;; [unrolled: 1-line block ×3, first 2 shown]
	v_fma_f32 v15, -v18, v37, v15
	s_waitcnt lgkmcnt(4)
	v_fma_f32 v14, -v23, v28, v14
	v_mov_b32_e32 v28, s23
	s_add_i32 s23, s25, s21
	ds_load_2addr_b32 v[37:38], v28 offset1:1
	ds_load_b32 v28, v43
	s_lshl_b32 s23, s23, 2
	s_waitcnt lgkmcnt(5)
	v_fma_f32 v14, -v22, v30, v14
	v_mov_b32_e32 v30, s23
	v_fma_f32 v15, -v19, v26, v15
	s_add_i32 s23, s25, s22
	ds_load_b32 v26, v46
	s_lshl_b32 s23, s23, 2
	ds_load_2addr_b32 v[43:44], v30 offset1:1
	v_fma_f32 v30, -v16, v40, v45
	s_waitcnt lgkmcnt(6)
	v_fma_f32 v14, -v21, v32, v14
	v_mov_b32_e32 v32, s23
	v_fma_f32 v15, -v16, v39, v15
	v_fma_f32 v13, -v23, v27, v13
	;; [unrolled: 1-line block ×3, first 2 shown]
	s_waitcnt lgkmcnt(5)
	v_fma_f32 v14, -v20, v34, v14
	ds_load_2addr_b32 v[45:46], v32 offset1:1
	v_fma_f32 v15, -v17, v41, v15
	s_add_i32 s23, s25, s24
	s_add_i32 s28, s11, 0xffffff20
	s_waitcnt lgkmcnt(5)
	v_fma_f32 v32, -v18, v36, v14
	v_mul_f32_e32 v14, v47, v30
	s_lshl_b32 s23, s23, 2
	s_waitcnt lgkmcnt(4)
	s_delay_alu instid0(VALU_DEP_2)
	v_fma_f32 v30, -v19, v38, v32
	s_waitcnt lgkmcnt(3)
	v_fma_f32 v15, -v14, v28, v15
	v_fma_f32 v28, -v22, v29, v13
	v_mov_b32_e32 v29, s23
	s_add_i32 s23, s25, s28
	s_waitcnt lgkmcnt(1)
	v_fma_f32 v27, -v16, v44, v30
	s_lshl_b32 s27, s23, 2
	s_add_i32 s23, s10, 0xfffffee8
	v_mov_b32_e32 v36, s27
	s_add_i32 s25, s25, s23
	s_add_i32 s27, s29, s13
	s_lshl_b32 s25, s25, 2
	s_waitcnt lgkmcnt(0)
	v_fma_f32 v44, -v17, v46, v27
	v_mov_b32_e32 v40, s25
	s_add_i32 s25, s29, s11
	s_delay_alu instid0(SALU_CYCLE_1) | instskip(NEXT) | instid1(SALU_CYCLE_1)
	s_lshl_b32 s25, s25, 2
	v_mov_b32_e32 v30, s25
	s_lshl_b32 s25, s27, 2
	s_add_i32 s27, s12, 0xfffffb04
	s_delay_alu instid0(SALU_CYCLE_1)
	v_dual_mul_f32 v13, v26, v15 :: v_dual_mov_b32 v42, s27
	v_fma_f32 v15, -v21, v31, v28
	v_mov_b32_e32 v28, s30
	v_mov_b32_e32 v32, s25
	s_add_i32 s25, s29, s18
	ds_load_2addr_b32 v[30:31], v30 offset1:1
	v_fma_f32 v15, -v20, v33, v15
	s_lshl_b32 s25, s25, 2
	ds_load_2addr_b32 v[32:33], v32 offset1:1
	v_mov_b32_e32 v34, s25
	ds_load_2addr_b32 v[26:27], v29 offset1:1
	v_fma_f32 v15, -v18, v35, v15
	s_add_i32 s25, s29, s19
	s_add_i32 s27, s29, s28
	s_lshl_b32 s25, s25, 2
	ds_load_2addr_b32 v[34:35], v34 offset1:1
	v_fma_f32 v15, -v19, v37, v15
	ds_load_2addr_b32 v[36:37], v36 offset1:1
	ds_load_2addr_b32 v[28:29], v28 offset1:1
	v_mov_b32_e32 v38, s25
	s_add_i32 s25, s29, s20
	v_fma_f32 v15, -v16, v43, v15
	s_lshl_b32 s25, s25, 2
	s_lshl_b32 s27, s27, 2
	ds_load_2addr_b32 v[38:39], v38 offset1:1
	ds_load_2addr_b32 v[40:41], v40 offset1:1
	ds_load_b32 v55, v42
	v_fma_f32 v15, -v17, v45, v15
	s_waitcnt lgkmcnt(6)
	v_fma_f32 v27, -v14, v27, v44
	s_delay_alu instid0(VALU_DEP_2) | instskip(SKIP_1) | instid1(VALU_DEP_1)
	v_fma_f32 v15, -v14, v26, v15
	s_waitcnt lgkmcnt(4)
	v_fma_f32 v15, -v13, v36, v15
	s_waitcnt lgkmcnt(3)
	v_fma_f32 v12, -v23, v29, v12
	v_mov_b32_e32 v29, s25
	s_add_i32 s25, s29, s21
	v_fma_f32 v11, -v23, v28, v11
	s_lshl_b32 s25, s25, 2
	v_fma_f32 v12, -v22, v31, v12
	v_mov_b32_e32 v31, s25
	ds_load_2addr_b32 v[42:43], v29 offset1:1
	s_add_i32 s25, s29, s22
	v_fma_f32 v11, -v22, v30, v11
	s_lshl_b32 s25, s25, 2
	ds_load_2addr_b32 v[44:45], v31 offset1:1
	v_fma_f32 v12, -v21, v33, v12
	v_fma_f32 v31, -v13, v37, v27
	v_mov_b32_e32 v29, s25
	s_add_i32 s25, s29, s24
	v_fma_f32 v11, -v21, v32, v11
	s_lshl_b32 s25, s25, 2
	v_fma_f32 v12, -v20, v35, v12
	ds_load_2addr_b32 v[26:27], v29 offset1:1
	v_mov_b32_e32 v33, s25
	s_add_i32 s25, s10, 0xfffffecc
	v_fma_f32 v11, -v20, v34, v11
	s_add_i32 s30, s29, s25
	ds_load_2addr_b32 v[35:36], v33 offset1:1
	s_waitcnt lgkmcnt(6)
	v_fma_f32 v29, -v18, v39, v12
	s_waitcnt lgkmcnt(5)
	v_dual_mul_f32 v12, v41, v31 :: v_dual_mov_b32 v31, s27
	s_lshl_b32 s30, s30, 2
	s_add_i32 s27, s29, s23
	s_waitcnt lgkmcnt(3)
	v_fma_f32 v29, -v19, v43, v29
	v_mov_b32_e32 v37, s30
	s_add_i32 s30, s31, s10
	s_lshl_b32 s27, s27, 2
	s_lshl_b32 s30, s30, 2
	s_waitcnt lgkmcnt(2)
	v_fma_f32 v29, -v16, v45, v29
	ds_load_2addr_b32 v[45:46], v31 offset1:1
	v_mov_b32_e32 v33, s27
	v_fma_f32 v15, -v12, v40, v15
	ds_load_2addr_b32 v[39:40], v33 offset1:1
	ds_load_2addr_b32 v[47:48], v37 offset1:1
	s_waitcnt lgkmcnt(4)
	v_fma_f32 v27, -v17, v27, v29
	s_add_i32 s27, s10, 0xfffffeb0
	v_fma_f32 v11, -v18, v38, v11
	s_add_i32 s29, s29, s27
	s_waitcnt lgkmcnt(3)
	v_fma_f32 v29, -v14, v36, v27
	v_mov_b32_e32 v27, s30
	s_add_i32 s30, s31, s11
	s_lshl_b32 s29, s29, 2
	s_lshl_b32 s30, s30, 2
	v_mov_b32_e32 v36, s29
	v_mov_b32_e32 v30, s30
	ds_load_2addr_b32 v[27:28], v27 offset1:1
	s_add_i32 s30, s31, s13
	s_waitcnt lgkmcnt(3)
	v_fma_f32 v46, -v13, v46, v29
	s_lshl_b32 s30, s30, 2
	ds_load_2addr_b32 v[29:30], v30 offset1:1
	v_mov_b32_e32 v31, s30
	s_lshl_b32 s30, s33, 2
	v_fma_f32 v11, -v19, v42, v11
	v_mov_b32_e32 v33, s30
	s_add_i32 s30, s31, s19
	ds_load_2addr_b32 v[31:32], v31 offset1:1
	s_lshl_b32 s29, s30, 2
	v_fma_f32 v11, -v16, v44, v11
	v_mov_b32_e32 v38, s29
	ds_load_2addr_b32 v[33:34], v33 offset1:1
	s_add_i32 s29, s31, s20
	s_add_i32 s30, s31, s22
	s_lshl_b32 s29, s29, 2
	ds_load_2addr_b32 v[41:42], v38 offset1:1
	ds_load_2addr_b32 v[36:37], v36 offset1:1
	s_waitcnt lgkmcnt(5)
	v_fma_f32 v10, -v23, v28, v10
	v_mov_b32_e32 v28, s29
	s_add_i32 s29, s31, s21
	v_fma_f32 v11, -v17, v26, v11
	s_lshl_b32 s29, s29, 2
	s_waitcnt lgkmcnt(4)
	v_fma_f32 v10, -v22, v30, v10
	ds_load_2addr_b32 v[43:44], v28 offset1:1
	v_mov_b32_e32 v28, s29
	s_lshl_b32 s29, s30, 2
	v_fma_f32 v11, -v14, v35, v11
	s_waitcnt lgkmcnt(4)
	v_fma_f32 v10, -v21, v32, v10
	v_mov_b32_e32 v30, s29
	ds_load_2addr_b32 v[49:50], v28 offset1:1
	s_add_i32 s29, s31, s24
	s_add_i32 s30, s31, s23
	s_lshl_b32 s29, s29, 2
	ds_load_2addr_b32 v[51:52], v30 offset1:1
	s_waitcnt lgkmcnt(5)
	v_fma_f32 v10, -v20, v34, v10
	v_mov_b32_e32 v28, s29
	s_add_i32 s29, s31, s28
	s_lshl_b32 s30, s30, 2
	s_lshl_b32 s29, s29, 2
	s_waitcnt lgkmcnt(4)
	v_fma_f32 v26, -v18, v42, v10
	v_mov_b32_e32 v30, s29
	ds_load_2addr_b32 v[53:54], v28 offset1:1
	s_add_i32 s29, s12, 0xfffffa1c
	s_add_i32 s33, s31, s25
	s_waitcnt lgkmcnt(3)
	v_fma_f32 v26, -v19, v44, v26
	ds_load_2addr_b32 v[34:35], v30 offset1:1
	v_mov_b32_e32 v28, s29
	v_mov_b32_e32 v32, s30
	s_lshl_b32 s30, s33, 2
	s_waitcnt lgkmcnt(3)
	v_fma_f32 v26, -v16, v50, v26
	v_fma_f32 v11, -v13, v45, v11
	ds_load_b32 v58, v28
	v_mul_f32_e32 v10, v55, v15
	v_fma_f32 v15, -v12, v40, v46
	s_waitcnt lgkmcnt(3)
	v_fma_f32 v26, -v17, v52, v26
	s_add_i32 s33, s31, s27
	v_fma_f32 v30, -v12, v39, v11
	s_lshl_b32 s33, s33, 2
	v_fma_f32 v15, -v10, v48, v15
	v_mov_b32_e32 v39, s33
	v_fma_f32 v9, -v23, v27, v9
	s_waitcnt lgkmcnt(2)
	v_fma_f32 v26, -v14, v54, v26
	s_add_i32 s29, s10, 0xfffffe94
	v_mul_f32_e32 v11, v37, v15
	v_mov_b32_e32 v37, s30
	s_add_i32 s30, s10, 0xfffffe78
	s_waitcnt lgkmcnt(1)
	v_fma_f32 v48, -v13, v35, v26
	s_add_i32 s33, s31, s30
	v_fma_f32 v9, -v22, v29, v9
	s_lshl_b32 s33, s33, 2
	s_add_i32 s31, s31, s29
	v_mov_b32_e32 v26, s33
	s_add_i32 s33, s34, s10
	s_lshl_b32 s31, s31, 2
	s_lshl_b32 s33, s33, 2
	s_delay_alu instid0(SALU_CYCLE_1)
	v_dual_mov_b32 v28, s35 :: v_dual_mov_b32 v29, s33
	s_add_i32 s33, s34, s11
	v_fma_f32 v9, -v21, v31, v9
	s_lshl_b32 s33, s33, 2
	s_add_i32 s35, s34, s13
	v_mov_b32_e32 v42, s31
	s_add_i32 s31, s34, s18
	v_fma_f32 v15, -v10, v47, v30
	s_lshl_b32 s31, s31, 2
	v_mov_b32_e32 v30, s33
	s_lshl_b32 s33, s35, 2
	v_fma_f32 v9, -v20, v33, v9
	v_mov_b32_e32 v35, s33
	ds_load_2addr_b32 v[26:27], v26 offset1:1
	ds_load_b32 v59, v28
	ds_load_2addr_b32 v[28:29], v29 offset1:1
	v_fma_f32 v15, -v11, v36, v15
	s_add_i32 s33, s34, s20
	v_fma_f32 v9, -v18, v41, v9
	v_mov_b32_e32 v41, s31
	ds_load_2addr_b32 v[30:31], v30 offset1:1
	ds_load_2addr_b32 v[32:33], v32 offset1:1
	;; [unrolled: 1-line block ×3, first 2 shown]
	s_add_i32 s31, s34, s19
	v_fma_f32 v9, -v19, v43, v9
	s_lshl_b32 s31, s31, 2
	s_add_i32 s35, s36, s10
	s_delay_alu instid0(SALU_CYCLE_1) | instskip(NEXT) | instid1(VALU_DEP_1)
	s_lshl_b32 s35, s35, 2
	v_fma_f32 v9, -v16, v49, v9
	s_delay_alu instid0(VALU_DEP_1)
	v_fma_f32 v9, -v17, v51, v9
	s_waitcnt lgkmcnt(3)
	v_fma_f32 v8, -v23, v29, v8
	v_mov_b32_e32 v29, s31
	s_lshl_b32 s31, s33, 2
	ds_load_2addr_b32 v[37:38], v37 offset1:1
	ds_load_2addr_b32 v[39:40], v39 offset1:1
	ds_load_2addr_b32 v[44:45], v42 offset1:1
	ds_load_2addr_b32 v[41:42], v41 offset1:1
	v_mov_b32_e32 v43, s31
	s_add_i32 s31, s34, s21
	s_waitcnt lgkmcnt(6)
	v_fma_f32 v8, -v22, v31, v8
	s_lshl_b32 s31, s31, 2
	ds_load_2addr_b32 v[46:47], v29 offset1:1
	v_mov_b32_e32 v31, s31
	s_add_i32 s33, s34, s22
	s_waitcnt lgkmcnt(5)
	v_fma_f32 v8, -v21, v36, v8
	s_lshl_b32 s31, s33, 2
	v_fma_f32 v28, -v23, v28, v7
	ds_load_2addr_b32 v[50:51], v31 offset1:1
	v_fma_f32 v29, -v12, v33, v48
	ds_load_2addr_b32 v[48:49], v43 offset1:1
	v_mov_b32_e32 v33, s31
	s_add_i32 s31, s34, s24
	v_fma_f32 v28, -v22, v30, v28
	s_lshl_b32 s31, s31, 2
	v_fma_f32 v9, -v14, v53, v9
	v_mov_b32_e32 v31, s31
	s_waitcnt lgkmcnt(3)
	v_fma_f32 v8, -v20, v42, v8
	ds_load_2addr_b32 v[42:43], v33 offset1:1
	s_add_i32 s31, s34, s28
	v_fma_f32 v30, -v21, v35, v28
	s_lshl_b32 s31, s31, 2
	s_waitcnt lgkmcnt(3)
	v_fma_f32 v8, -v18, v47, v8
	v_mov_b32_e32 v28, s35
	ds_load_2addr_b32 v[52:53], v31 offset1:1
	s_lshl_b32 s35, s37, 2
	v_mov_b32_e32 v33, s31
	s_add_i32 s31, s34, s23
	v_fma_f32 v9, -v13, v34, v9
	s_lshl_b32 s31, s31, 2
	s_waitcnt lgkmcnt(2)
	v_fma_f32 v8, -v19, v49, v8
	ds_load_2addr_b32 v[33:34], v33 offset1:1
	v_mov_b32_e32 v31, s31
	s_add_i32 s33, s34, s25
	v_fma_f32 v29, -v10, v38, v29
	s_lshl_b32 s31, s33, 2
	v_fma_f32 v8, -v16, v51, v8
	v_mov_b32_e32 v36, s31
	ds_load_2addr_b32 v[54:55], v31 offset1:1
	s_add_i32 s31, s34, s27
	v_fma_f32 v9, -v12, v32, v9
	s_lshl_b32 s31, s31, 2
	s_waitcnt lgkmcnt(3)
	v_fma_f32 v8, -v17, v43, v8
	v_mov_b32_e32 v31, s31
	ds_load_2addr_b32 v[56:57], v36 offset1:1
	s_add_i32 s31, s34, s29
	v_fma_f32 v9, -v10, v37, v9
	s_lshl_b32 s31, s31, 2
	ds_load_2addr_b32 v[31:32], v31 offset1:1
	s_waitcnt lgkmcnt(4)
	v_fma_f32 v36, -v14, v53, v8
	v_mov_b32_e32 v38, s31
	v_mul_f32_e32 v8, v58, v15
	v_fma_f32 v15, -v11, v40, v29
	s_add_i32 s31, s34, s30
	s_waitcnt lgkmcnt(3)
	v_fma_f32 v29, -v13, v34, v36
	ds_load_2addr_b32 v[36:37], v38 offset1:1
	v_fma_f32 v34, -v11, v39, v9
	v_fma_f32 v15, -v8, v45, v15
	s_lshl_b32 s31, s31, 2
	s_waitcnt lgkmcnt(3)
	v_fma_f32 v29, -v12, v55, v29
	v_fma_f32 v30, -v20, v41, v30
	v_mul_f32_e32 v9, v27, v15
	v_fma_f32 v15, -v8, v44, v34
	s_waitcnt lgkmcnt(2)
	v_fma_f32 v27, -v10, v57, v29
	ds_load_2addr_b32 v[28:29], v28 offset1:1
	v_fma_f32 v30, -v18, v46, v30
	v_fma_f32 v15, -v9, v26, v15
	s_waitcnt lgkmcnt(2)
	v_fma_f32 v26, -v11, v32, v27
	v_mov_b32_e32 v27, s31
	s_add_i32 s31, s10, 0xfffffe5c
	v_mov_b32_e32 v32, s35
	s_add_i32 s33, s34, s31
	v_mul_f32_e32 v7, v59, v15
	s_lshl_b32 s33, s33, 2
	s_waitcnt lgkmcnt(1)
	v_fma_f32 v15, -v8, v37, v26
	ds_load_2addr_b32 v[26:27], v27 offset1:1
	v_mov_b32_e32 v53, s33
	s_add_i32 s33, s36, s13
	ds_load_2addr_b32 v[34:35], v32 offset1:1
	s_lshl_b32 s35, s33, 2
	v_fma_f32 v30, -v19, v48, v30
	v_mov_b32_e32 v37, s35
	s_add_i32 s35, s36, s18
	s_add_i32 s33, s10, 0xfffffe40
	s_lshl_b32 s35, s35, 2
	v_fma_f32 v41, -v16, v50, v30
	ds_load_2addr_b32 v[37:38], v37 offset1:1
	v_mov_b32_e32 v32, s35
	s_add_i32 s35, s36, s19
	s_waitcnt lgkmcnt(3)
	v_fma_f32 v6, -v23, v29, v6
	s_lshl_b32 s35, s35, 2
	s_add_i32 s34, s34, s33
	ds_load_2addr_b32 v[39:40], v32 offset1:1
	v_mov_b32_e32 v32, s35
	s_add_i32 s35, s36, s20
	s_lshl_b32 s34, s34, 2
	s_lshl_b32 s35, s35, 2
	v_fma_f32 v5, -v23, v28, v5
	v_mov_b32_e32 v43, s35
	ds_load_2addr_b32 v[29:30], v32 offset1:1
	v_fma_f32 v32, -v17, v42, v41
	s_add_i32 s35, s36, s21
	s_waitcnt lgkmcnt(3)
	v_fma_f32 v6, -v22, v35, v6
	s_lshl_b32 s35, s35, 2
	ds_load_2addr_b32 v[41:42], v43 offset1:1
	v_fma_f32 v32, -v14, v52, v32
	v_mov_b32_e32 v35, s35
	s_add_i32 s35, s36, s22
	s_waitcnt lgkmcnt(3)
	v_fma_f32 v6, -v21, v38, v6
	s_lshl_b32 s35, s35, 2
	v_fma_f32 v32, -v13, v33, v32
	v_mov_b32_e32 v33, s35
	ds_load_2addr_b32 v[43:44], v35 offset1:1
	s_waitcnt lgkmcnt(3)
	v_fma_f32 v6, -v20, v40, v6
	s_add_i32 s35, s12, 0xfffff84c
	v_fma_f32 v38, -v12, v54, v32
	ds_load_2addr_b32 v[32:33], v33 offset1:1
	v_mov_b32_e32 v35, s34
	s_add_i32 s34, s36, s24
	s_waitcnt lgkmcnt(3)
	v_fma_f32 v6, -v18, v30, v6
	s_lshl_b32 s34, s34, 2
	v_mov_b32_e32 v40, s35
	v_mov_b32_e32 v30, s34
	s_add_i32 s34, s36, s28
	s_waitcnt lgkmcnt(2)
	v_fma_f32 v6, -v19, v42, v6
	s_lshl_b32 s34, s34, 2
	s_add_i32 s35, s36, s25
	v_mov_b32_e32 v42, s34
	ds_load_2addr_b32 v[45:46], v30 offset1:1
	s_add_i32 s34, s36, s23
	s_lshl_b32 s35, s35, 2
	s_lshl_b32 s34, s34, 2
	ds_load_2addr_b32 v[47:48], v42 offset1:1
	v_mov_b32_e32 v30, s34
	v_mov_b32_e32 v42, s35
	s_waitcnt lgkmcnt(3)
	v_fma_f32 v6, -v16, v44, v6
	s_add_i32 s34, s36, s27
	ds_load_2addr_b32 v[49:50], v30 offset1:1
	ds_load_2addr_b32 v[51:52], v42 offset1:1
	s_lshl_b32 s34, s34, 2
	s_waitcnt lgkmcnt(4)
	v_fma_f32 v6, -v17, v33, v6
	v_mov_b32_e32 v30, s34
	s_add_i32 s34, s36, s29
	ds_load_2addr_b32 v[53:54], v53 offset1:1
	ds_load_2addr_b32 v[57:58], v35 offset1:1
	ds_load_b32 v33, v40
	s_lshl_b32 s34, s34, 2
	v_fma_f32 v15, -v9, v27, v15
	v_mov_b32_e32 v35, s34
	ds_load_2addr_b32 v[59:60], v30 offset1:1
	s_waitcnt lgkmcnt(7)
	v_fma_f32 v6, -v14, v46, v6
	v_fma_f32 v27, -v10, v56, v38
	s_add_i32 s34, s36, s30
	ds_load_2addr_b32 v[55:56], v35 offset1:1
	s_lshl_b32 s34, s34, 2
	s_waitcnt lgkmcnt(7)
	v_fma_f32 v6, -v13, v48, v6
	v_fma_f32 v27, -v11, v31, v27
	v_mov_b32_e32 v30, s34
	s_add_i32 s34, s36, s31
	v_fma_f32 v34, -v22, v34, v5
	s_lshl_b32 s34, s34, 2
	s_waitcnt lgkmcnt(6)
	v_fma_f32 v6, -v12, v50, v6
	v_fma_f32 v27, -v8, v36, v27
	v_mov_b32_e32 v35, s34
	ds_load_2addr_b32 v[30:31], v30 offset1:1
	s_waitcnt lgkmcnt(5)
	v_fma_f32 v15, -v7, v54, v15
	v_fma_f32 v6, -v10, v52, v6
	v_fma_f32 v28, -v9, v26, v27
	ds_load_2addr_b32 v[26:27], v35 offset1:1
	ds_store_b32 v24, v23
	ds_store_b32 v25, v22
	ds_store_b32 v61, v21 offset:3136
	ds_store_b32 v62, v20 offset:3136
	;; [unrolled: 1-line block ×4, first 2 shown]
	s_waitcnt lgkmcnt(11)
	v_mul_f32_e32 v5, v58, v15
	s_waitcnt lgkmcnt(9)
	v_fma_f32 v6, -v11, v60, v6
	v_fma_f32 v15, -v7, v53, v28
	;; [unrolled: 1-line block ×3, first 2 shown]
	s_add_i32 s35, s36, s33
	s_add_i32 s34, s10, 0xfffffe24
	s_waitcnt lgkmcnt(8)
	v_fma_f32 v6, -v8, v56, v6
	v_fma_f32 v15, -v5, v57, v15
	;; [unrolled: 1-line block ×3, first 2 shown]
	s_lshl_b32 s35, s35, 2
	v_mov_b32_e32 v28, s38
	s_lshl_b32 s38, s40, 2
	s_add_i32 s37, s36, s34
	v_add_lshl_u32 v35, s21, v0, 2
	s_waitcnt lgkmcnt(7)
	v_fma_f32 v24, -v9, v31, v6
	v_mul_f32_e32 v6, v33, v15
	s_lshl_b32 s37, s37, 2
	s_delay_alu instid0(SALU_CYCLE_1)
	v_mov_b32_e32 v37, s37
	s_waitcnt lgkmcnt(6)
	v_fma_f32 v15, -v7, v27, v24
	v_fma_f32 v24, -v18, v29, v25
	v_mov_b32_e32 v29, s35
	s_add_i32 s35, s39, s10
	ds_store_b32 v35, v16 offset:3136
	s_lshl_b32 s35, s35, 2
	v_fma_f32 v24, -v19, v41, v24
	v_mov_b32_e32 v25, s35
	s_add_i32 s35, s10, 0xfffffe08
	s_add_i32 s37, s39, s22
	;; [unrolled: 1-line block ×3, first 2 shown]
	v_fma_f32 v27, -v16, v43, v24
	ds_load_2addr_b32 v[24:25], v25 offset1:1
	s_lshl_b32 s36, s36, 2
	s_delay_alu instid0(SALU_CYCLE_1)
	v_mov_b32_e32 v39, s36
	v_fma_f32 v31, -v17, v32, v27
	ds_load_2addr_b32 v[27:28], v28 offset1:1
	v_mov_b32_e32 v32, s38
	s_add_i32 s38, s39, s18
	s_add_i32 s36, s39, s19
	s_lshl_b32 s38, s38, 2
	v_fma_f32 v33, -v14, v45, v31
	ds_load_2addr_b32 v[31:32], v32 offset1:1
	v_mov_b32_e32 v34, s38
	s_lshl_b32 s36, s36, 2
	s_add_i32 s38, s39, s35
	v_fma_f32 v41, -v13, v47, v33
	s_lshl_b32 s38, s38, 2
	ds_load_2addr_b32 v[33:34], v34 offset1:1
	ds_load_2addr_b32 v[35:36], v29 offset1:1
	;; [unrolled: 1-line block ×4, first 2 shown]
	s_waitcnt lgkmcnt(6)
	v_fma_f32 v4, -v23, v25, v4
	v_mov_b32_e32 v25, s36
	s_add_i32 s36, s39, s20
	v_fma_f32 v43, -v12, v49, v41
	s_lshl_b32 s36, s36, 2
	s_waitcnt lgkmcnt(5)
	v_fma_f32 v4, -v22, v28, v4
	ds_load_2addr_b32 v[28:29], v25 offset1:1
	v_mov_b32_e32 v25, s36
	s_add_i32 s36, s39, s21
	v_fma_f32 v3, -v23, v24, v3
	s_lshl_b32 s36, s36, 2
	s_waitcnt lgkmcnt(5)
	v_fma_f32 v4, -v21, v32, v4
	ds_load_2addr_b32 v[41:42], v25 offset1:1
	v_mov_b32_e32 v25, s36
	s_lshl_b32 s36, s37, 2
	v_fma_f32 v32, -v10, v51, v43
	v_mov_b32_e32 v45, s36
	s_add_i32 s36, s39, s24
	ds_load_2addr_b32 v[43:44], v25 offset1:1
	s_lshl_b32 s36, s36, 2
	s_waitcnt lgkmcnt(6)
	v_fma_f32 v4, -v20, v34, v4
	ds_load_2addr_b32 v[45:46], v45 offset1:1
	v_mov_b32_e32 v25, s36
	s_add_i32 s36, s39, s28
	v_fma_f32 v32, -v11, v59, v32
	s_lshl_b32 s36, s36, 2
	s_waitcnt lgkmcnt(3)
	v_fma_f32 v4, -v18, v29, v4
	v_mov_b32_e32 v29, s36
	ds_load_2addr_b32 v[47:48], v25 offset1:1
	s_add_i32 s36, s39, s23
	s_add_i32 s37, s39, s27
	s_lshl_b32 s36, s36, 2
	ds_load_2addr_b32 v[49:50], v29 offset1:1
	v_fma_f32 v25, -v8, v55, v32
	s_waitcnt lgkmcnt(4)
	v_fma_f32 v4, -v19, v42, v4
	v_mov_b32_e32 v32, s36
	s_add_i32 s36, s39, s25
	s_lshl_b32 s37, s37, 2
	s_lshl_b32 s36, s36, 2
	v_fma_f32 v25, -v9, v30, v25
	s_waitcnt lgkmcnt(3)
	v_fma_f32 v4, -v16, v44, v4
	v_mov_b32_e32 v34, s36
	ds_load_2addr_b32 v[29:30], v32 offset1:1
	s_add_i32 s36, s12, 0xfffff764
	v_fma_f32 v15, -v5, v36, v15
	s_waitcnt lgkmcnt(3)
	v_fma_f32 v4, -v17, v46, v4
	ds_load_2addr_b32 v[51:52], v34 offset1:1
	v_mov_b32_e32 v32, s37
	s_add_i32 s37, s39, s29
	v_mov_b32_e32 v34, s36
	s_lshl_b32 s37, s37, 2
	s_waitcnt lgkmcnt(3)
	v_fma_f32 v4, -v14, v48, v4
	v_mov_b32_e32 v42, s37
	ds_load_2addr_b32 v[53:54], v32 offset1:1
	s_add_i32 s36, s39, s30
	ds_load_b32 v34, v34
	s_lshl_b32 s36, s36, 2
	s_waitcnt lgkmcnt(4)
	v_fma_f32 v4, -v13, v50, v4
	ds_load_2addr_b32 v[55:56], v42 offset1:1
	v_mov_b32_e32 v32, s36
	s_add_i32 s36, s39, s31
	v_fma_f32 v15, -v6, v38, v15
	s_lshl_b32 s36, s36, 2
	s_waitcnt lgkmcnt(4)
	v_fma_f32 v4, -v12, v30, v4
	ds_load_2addr_b32 v[57:58], v32 offset1:1
	v_mov_b32_e32 v30, s36
	v_fma_f32 v32, -v7, v26, v25
	s_add_i32 s36, s39, s33
	s_waitcnt lgkmcnt(4)
	v_fma_f32 v4, -v10, v52, v4
	s_lshl_b32 s37, s36, 2
	ds_load_2addr_b32 v[25:26], v30 offset1:1
	v_fma_f32 v30, -v5, v35, v32
	v_mul_f32_e32 v52, v40, v15
	s_waitcnt lgkmcnt(4)
	v_fma_f32 v4, -v11, v54, v4
	v_add_lshl_u32 v36, s22, v0, 2
	v_add_lshl_u32 v32, s24, v0, 2
	v_fma_f32 v15, -v6, v37, v30
	v_mov_b32_e32 v30, s37
	s_waitcnt lgkmcnt(2)
	v_fma_f32 v4, -v8, v56, v4
	s_add_i32 s37, s39, s34
	v_mov_b32_e32 v24, s38
	s_lshl_b32 s37, s37, 2
	v_fma_f32 v15, -v52, v39, v15
	v_mov_b32_e32 v46, s37
	s_add_i32 s37, s10, 0xfffffdd0
	s_waitcnt lgkmcnt(1)
	v_fma_f32 v4, -v9, v58, v4
	s_sub_i32 s38, s4, 23
	v_add_lshl_u32 v35, s28, v0, 2
	s_add_i32 s40, s39, s37
	v_fma_f32 v3, -v22, v27, v3
	s_add_i32 s11, s38, s11
	s_lshl_b32 s40, s40, 2
	s_lshl_b32 s11, s11, 2
	ds_store_b32 v36, v17 offset:3136
	ds_store_b32 v32, v14 offset:3136
	ds_store_b32 v35, v13 offset:3136
	v_mul_f32_e32 v54, v34, v15
	s_waitcnt lgkmcnt(3)
	v_fma_f32 v15, -v7, v26, v4
	v_mov_b32_e32 v4, s40
	s_add_i32 s40, s38, s10
	ds_load_2addr_b32 v[34:35], v30 offset1:1
	v_fma_f32 v30, -v21, v31, v3
	v_mov_b32_e32 v31, s11
	s_add_i32 s11, s38, s13
	s_lshl_b32 s40, s40, 2
	s_lshl_b32 s11, s11, 2
	v_dual_mov_b32 v26, s41 :: v_dual_mov_b32 v27, s40
	v_fma_f32 v32, -v20, v33, v30
	v_mov_b32_e32 v33, s11
	ds_load_2addr_b32 v[3:4], v4 offset1:1
	ds_load_b32 v56, v26
	ds_load_2addr_b32 v[26:27], v27 offset1:1
	ds_load_2addr_b32 v[30:31], v31 offset1:1
	s_add_i32 s13, s38, s18
	s_add_i32 s18, s38, s19
	s_lshl_b32 s13, s13, 2
	v_fma_f32 v28, -v18, v28, v32
	ds_load_2addr_b32 v[32:33], v33 offset1:1
	v_mov_b32_e32 v36, s13
	s_lshl_b32 s13, s18, 2
	s_add_i32 s36, s10, 0xfffffdec
	v_mov_b32_e32 v38, s13
	s_add_i32 s13, s38, s20
	v_fma_f32 v28, -v19, v41, v28
	s_lshl_b32 s13, s13, 2
	s_add_i32 s39, s39, s36
	v_mov_b32_e32 v39, s13
	s_add_i32 s13, s38, s21
	ds_load_2addr_b32 v[36:37], v36 offset1:1
	s_lshl_b32 s13, s13, 2
	v_fma_f32 v40, -v16, v43, v28
	s_waitcnt lgkmcnt(3)
	v_fma_f32 v2, -v23, v27, v2
	v_fma_f32 v1, -v23, v26, v1
	s_lshl_b32 s11, s39, 2
	s_add_i32 s18, s38, s36
	v_fma_f32 v42, -v17, v45, v40
	s_waitcnt lgkmcnt(2)
	v_fma_f32 v2, -v22, v31, v2
	v_mov_b32_e32 v31, s13
	s_add_i32 s13, s38, s22
	ds_load_2addr_b32 v[27:28], v38 offset1:1
	s_lshl_b32 s13, s13, 2
	s_waitcnt lgkmcnt(2)
	v_fma_f32 v2, -v21, v33, v2
	ds_load_2addr_b32 v[40:41], v31 offset1:1
	v_mov_b32_e32 v31, s13
	v_fma_f32 v33, -v14, v47, v42
	s_add_i32 s13, s38, s24
	v_fma_f32 v22, -v22, v30, v1
	s_lshl_b32 s13, s13, 2
	ds_load_2addr_b32 v[42:43], v31 offset1:1
	ds_load_2addr_b32 v[38:39], v39 offset1:1
	s_waitcnt lgkmcnt(4)
	v_fma_f32 v2, -v20, v37, v2
	v_mov_b32_e32 v37, s13
	s_add_i32 s13, s38, s28
	v_fma_f32 v31, -v13, v49, v33
	s_lshl_b32 s13, s13, 2
	v_mov_b32_e32 v33, s11
	ds_load_2addr_b32 v[44:45], v37 offset1:1
	s_add_i32 s11, s38, s23
	v_fma_f32 v31, -v12, v29, v31
	s_waitcnt lgkmcnt(4)
	v_fma_f32 v2, -v18, v28, v2
	v_mov_b32_e32 v28, s13
	s_lshl_b32 s11, s11, 2
	v_fma_f32 v30, -v21, v32, v22
	s_add_i32 s13, s38, s29
	s_addk_i32 s12, 0xf594
	ds_load_2addr_b32 v[28:29], v28 offset1:1
	v_mov_b32_e32 v37, s11
	ds_load_2addr_b32 v[46:47], v46 offset1:1
	ds_load_2addr_b32 v[48:49], v24 offset1:1
	ds_load_2addr_b32 v[58:59], v33 offset1:1
	v_fma_f32 v24, -v10, v51, v31
	s_waitcnt lgkmcnt(5)
	v_fma_f32 v2, -v19, v39, v2
	s_add_i32 s11, s38, s25
	v_fma_f32 v31, -v5, v35, v15
	s_lshl_b32 s11, s11, 2
	ds_load_2addr_b32 v[50:51], v37 offset1:1
	v_fma_f32 v2, -v16, v41, v2
	v_fma_f32 v15, -v11, v53, v24
	;; [unrolled: 1-line block ×3, first 2 shown]
	s_sub_i32 s4, s4, 24
	s_delay_alu instid0(VALU_DEP_3) | instskip(NEXT) | instid1(VALU_DEP_3)
	v_fma_f32 v2, -v17, v43, v2
	v_fma_f32 v15, -v8, v55, v15
	s_delay_alu instid0(VALU_DEP_3) | instskip(SKIP_1) | instid1(VALU_DEP_3)
	v_fma_f32 v18, -v18, v27, v20
	s_waitcnt lgkmcnt(5)
	v_fma_f32 v24, -v14, v45, v2
	v_mov_b32_e32 v2, s11
	s_add_i32 s11, s38, s27
	v_fma_f32 v30, -v19, v38, v18
	s_lshl_b32 s11, s11, 2
	s_waitcnt lgkmcnt(4)
	v_fma_f32 v29, -v13, v29, v24
	ds_load_2addr_b32 v[1:2], v2 offset1:1
	v_mov_b32_e32 v23, s11
	s_lshl_b32 s11, s13, 2
	s_add_i32 s13, s38, s31
	v_mov_b32_e32 v26, s11
	ds_load_2addr_b32 v[21:22], v23 offset1:1
	ds_load_2addr_b32 v[23:24], v26 offset1:1
	s_add_i32 s11, s38, s30
	v_fma_f32 v30, -v16, v40, v30
	s_lshl_b32 s11, s11, 2
	s_waitcnt lgkmcnt(3)
	v_fma_f32 v29, -v12, v51, v29
	v_mov_b32_e32 v26, s11
	s_lshl_b32 s11, s13, 2
	v_fma_f32 v17, -v17, v42, v30
	v_mov_b32_e32 v20, s11
	s_add_i32 s11, s38, s33
	ds_load_2addr_b32 v[26:27], v26 offset1:1
	s_lshl_b32 s11, s11, 2
	s_waitcnt lgkmcnt(3)
	v_fma_f32 v2, -v10, v2, v29
	ds_load_2addr_b32 v[18:19], v20 offset1:1
	v_mov_b32_e32 v29, s11
	s_add_i32 s11, s38, s34
	v_fma_f32 v14, -v14, v44, v17
	s_lshl_b32 s11, s11, 2
	v_fma_f32 v20, -v9, v57, v15
	s_waitcnt lgkmcnt(3)
	v_fma_f32 v2, -v11, v22, v2
	v_mov_b32_e32 v22, s11
	ds_load_2addr_b32 v[15:16], v29 offset1:1
	v_fma_f32 v13, -v13, v28, v14
	v_fma_f32 v20, -v7, v25, v20
	s_waitcnt lgkmcnt(3)
	v_fma_f32 v2, -v8, v24, v2
	ds_load_2addr_b32 v[24:25], v22 offset1:1
	s_add_i32 s13, s38, s35
	v_fma_f32 v13, -v12, v50, v13
	v_fma_f32 v17, -v5, v34, v20
	s_lshl_b32 s13, s13, 2
	s_waitcnt lgkmcnt(3)
	v_fma_f32 v2, -v9, v27, v2
	s_add_i32 s11, s10, 0xfffffdb4
	v_fma_f32 v1, -v10, v1, v13
	v_fma_f32 v14, -v6, v46, v17
	;; [unrolled: 1-line block ×3, first 2 shown]
	s_waitcnt lgkmcnt(2)
	v_fma_f32 v2, -v7, v19, v2
	v_fma_f32 v13, -v11, v21, v1
	v_fma_f32 v27, -v52, v48, v14
	v_fma_f32 v20, -v52, v49, v29
	s_waitcnt lgkmcnt(1)
	v_fma_f32 v19, -v5, v16, v2
	v_mov_b32_e32 v2, s13
	s_lshl_b32 s13, s18, 2
	v_fma_f32 v16, -v8, v23, v13
	v_mov_b32_e32 v14, s13
	s_add_i32 s13, s38, s37
	v_fma_f32 v20, -v54, v59, v20
	s_lshl_b32 s13, s13, 2
	v_fma_f32 v21, -v9, v26, v16
	v_mov_b32_e32 v17, s13
	ds_load_2addr_b32 v[1:2], v2 offset1:1
	s_add_i32 s13, s38, s11
	v_mul_f32_e32 v4, v4, v20
	s_lshl_b32 s13, s13, 2
	v_fma_f32 v21, -v7, v18, v21
	v_mov_b32_e32 v23, s13
	ds_load_2addr_b32 v[13:14], v14 offset1:1
	s_add_i32 s13, s10, 0xfffffd98
	ds_load_2addr_b32 v[16:17], v17 offset1:1
	v_fma_f32 v15, -v5, v15, v21
	s_add_i32 s38, s38, s13
	s_waitcnt lgkmcnt(3)
	v_fma_f32 v25, -v6, v25, v19
	ds_load_2addr_b32 v[18:19], v23 offset1:1
	s_lshl_b32 s18, s38, 2
	v_fma_f32 v15, -v6, v24, v15
	v_mov_b32_e32 v23, s18
	v_fma_f32 v26, -v54, v58, v27
	v_add_lshl_u32 v22, s23, v0, 2
	v_add_lshl_u32 v24, s31, v0, 2
	s_addk_i32 s10, 0xfd7c
	s_waitcnt lgkmcnt(3)
	v_fma_f32 v2, -v52, v2, v25
	ds_load_2addr_b32 v[20:21], v23 offset1:1
	v_fma_f32 v1, -v52, v1, v15
	v_fma_f32 v3, -v4, v3, v26
	v_add_lshl_u32 v23, s25, v0, 2
	v_add_lshl_u32 v15, s29, v0, 2
	s_waitcnt lgkmcnt(3)
	v_fma_f32 v2, -v54, v14, v2
	v_fma_f32 v1, -v54, v13, v1
	v_mov_b32_e32 v13, s12
	v_mul_f32_e32 v3, v56, v3
	v_add_lshl_u32 v14, s27, v0, 2
	ds_load_b32 v13, v13
	s_waitcnt lgkmcnt(3)
	v_fma_f32 v2, -v4, v17, v2
	v_fma_f32 v1, -v4, v16, v1
	v_add_lshl_u32 v17, s30, v0, 2
	v_add_lshl_u32 v16, s33, v0, 2
	s_waitcnt lgkmcnt(2)
	v_fma_f32 v2, -v3, v19, v2
	v_add_lshl_u32 v19, s34, v0, 2
	ds_store_b32 v22, v12 offset:3136
	ds_store_b32 v23, v10 offset:3136
	ds_store_b32 v14, v11 offset:3136
	ds_store_b32 v15, v8 offset:3136
	ds_store_b32 v17, v9 offset:3136
	ds_store_b32 v24, v7 offset:3136
	ds_store_b32 v16, v5 offset:3136
	ds_store_b32 v19, v6 offset:3136
	v_add_lshl_u32 v5, s35, v0, 2
	v_add_lshl_u32 v6, s36, v0, 2
	s_waitcnt lgkmcnt(9)
	v_mul_f32_e32 v2, v21, v2
	v_fma_f32 v1, -v3, v18, v1
	v_add_lshl_u32 v7, s37, v0, 2
	v_add_lshl_u32 v8, s11, v0, 2
	;; [unrolled: 1-line block ×4, first 2 shown]
	v_fma_f32 v1, -v2, v20, v1
	s_waitcnt lgkmcnt(8)
	s_delay_alu instid0(VALU_DEP_1)
	v_mul_f32_e32 v1, v13, v1
	ds_store_b32 v5, v52 offset:3136
	ds_store_b32 v6, v54 offset:3136
	;; [unrolled: 1-line block ×6, first 2 shown]
.LBB31_47:
	s_cmp_lt_i32 s4, 0
	s_cbranch_scc1 .LBB31_60
; %bb.48:
	s_bitcmp1_b32 s4, 0
	s_cselect_b32 s10, -1, 0
	s_delay_alu instid0(SALU_CYCLE_1)
	s_and_b32 vcc_lo, exec_lo, s10
	s_mov_b32 s10, s4
	s_cbranch_vccnz .LBB31_53
; %bb.49:
	s_mul_i32 s10, s4, 28
	s_cmp_le_i32 s26, s4
	v_add_lshl_u32 v2, s10, v0, 2
	ds_load_b32 v1, v2 offset:3136
	s_cbranch_scc1 .LBB31_52
; %bb.50:
	v_lshlrev_b32_e32 v3, 2, v0
	s_mul_i32 s10, s15, 0x70
	s_lshl_b32 s11, s4, 2
	s_delay_alu instid0(SALU_CYCLE_1) | instskip(NEXT) | instid1(VALU_DEP_1)
	s_add_i32 s11, s10, s11
	v_add3_u32 v3, s10, v3, 0xbd0
	s_add_i32 s10, s11, 0xffffff90
	s_mov_b32 s11, s26
.LBB31_51:                              ; =>This Inner Loop Header: Depth=1
	v_mov_b32_e32 v4, s10
	s_add_i32 s11, s11, -1
	s_addk_i32 s10, 0xff90
	s_cmp_gt_i32 s11, s4
	ds_load_b32 v5, v3
	ds_load_b32 v4, v4
	v_add_nc_u32_e32 v3, 0xffffff90, v3
	s_waitcnt lgkmcnt(0)
	v_fma_f32 v1, -v5, v4, v1
	s_cbranch_scc1 .LBB31_51
.LBB31_52:
	s_mul_i32 s10, s4, 0x74
	s_delay_alu instid0(SALU_CYCLE_1)
	v_dual_mov_b32 v3, s10 :: v_dual_add_nc_u32 v2, 0xc40, v2
	s_add_i32 s10, s4, -1
	ds_load_b32 v3, v3
	s_waitcnt lgkmcnt(0)
	v_mul_f32_e32 v1, v3, v1
	ds_store_b32 v2, v1
.LBB31_53:
	s_cmp_eq_u32 s4, 0
	s_cbranch_scc1 .LBB31_60
; %bb.54:
	v_lshlrev_b32_e32 v1, 2, v0
	s_mul_i32 s4, s15, 0x70
	s_lshl_b32 s11, s10, 2
	s_delay_alu instid0(SALU_CYCLE_1) | instskip(NEXT) | instid1(VALU_DEP_1)
	s_add_i32 s11, s4, s11
	v_add3_u32 v1, s4, v1, 0xbd0
	s_add_i32 s4, s11, 0xffffff90
	s_addk_i32 s11, 0xff8c
	s_branch .LBB31_56
.LBB31_55:                              ;   in Loop: Header=BB31_56 Depth=1
	s_addk_i32 s12, 0xff8c
	s_add_i32 s4, s4, -8
	v_mov_b32_e32 v3, s12
	s_add_i32 s12, s10, -2
	s_add_i32 s11, s11, -8
	s_cmp_lt_i32 s10, 2
	s_mov_b32 s10, s12
	ds_load_b32 v3, v3
	s_waitcnt lgkmcnt(0)
	v_mul_f32_e32 v3, v3, v4
	ds_store_b32 v2, v3
	s_cbranch_scc1 .LBB31_60
.LBB31_56:                              ; =>This Loop Header: Depth=1
                                        ;     Child Loop BB31_57 Depth 2
                                        ;     Child Loop BB31_59 Depth 2
	s_mul_i32 s12, s10, 28
	v_mov_b32_e32 v4, v1
	v_add_lshl_u32 v2, s12, v0, 2
	s_cmp_le_i32 s26, s10
	s_mov_b32 s12, s4
	s_mov_b32 s13, s26
	ds_load_b32 v3, v2 offset:3136
	s_cbranch_scc1 .LBB31_58
.LBB31_57:                              ;   Parent Loop BB31_56 Depth=1
                                        ; =>  This Inner Loop Header: Depth=2
	v_mov_b32_e32 v5, s12
	s_add_i32 s13, s13, -1
	s_addk_i32 s12, 0xff90
	s_cmp_gt_i32 s13, s10
	ds_load_b32 v6, v4
	ds_load_b32 v5, v5
	v_add_nc_u32_e32 v4, 0xffffff90, v4
	s_waitcnt lgkmcnt(0)
	v_fma_f32 v3, -v6, v5, v3
	s_cbranch_scc1 .LBB31_57
.LBB31_58:                              ;   in Loop: Header=BB31_56 Depth=1
	s_mul_i32 s12, s10, 0x74
	s_delay_alu instid0(SALU_CYCLE_1)
	v_dual_mov_b32 v2, s12 :: v_dual_add_nc_u32 v5, 0xc40, v2
	s_cmp_lt_i32 s26, s10
	s_mov_b32 s13, s11
	s_mov_b32 s18, s15
	ds_load_b32 v6, v2
	v_add_nc_u32_e32 v2, 0xffffff90, v5
	s_waitcnt lgkmcnt(0)
	v_dual_mul_f32 v6, v6, v3 :: v_dual_mov_b32 v3, v1
	ds_load_b32 v4, v2
	ds_store_b32 v5, v6
	s_cbranch_scc1 .LBB31_55
.LBB31_59:                              ;   Parent Loop BB31_56 Depth=1
                                        ; =>  This Inner Loop Header: Depth=2
	v_mov_b32_e32 v5, s13
	s_add_i32 s18, s18, -1
	s_addk_i32 s13, 0xff90
	s_cmp_gt_i32 s18, s10
	ds_load_b32 v6, v3
	ds_load_b32 v5, v5
	v_add_nc_u32_e32 v3, 0xffffff90, v3
	s_waitcnt lgkmcnt(0)
	v_fma_f32 v4, -v6, v5, v4
	s_cbranch_scc1 .LBB31_59
	s_branch .LBB31_55
.LBB31_60:
	s_waitcnt vmcnt(0) lgkmcnt(0)
	s_waitcnt_vscnt null, 0x0
	; wave barrier
	s_waitcnt lgkmcnt(0)
	buffer_gl0_inv
	s_and_saveexec_b32 s4, s14
	s_cbranch_execz .LBB31_67
; %bb.61:
	s_cmp_lt_i32 s6, 8
	s_mov_b32 s4, 0
	s_cbranch_scc1 .LBB31_64
; %bb.62:
	v_mad_i64_i32 v[1:2], null, s16, v0, 0
	v_lshl_add_u32 v3, v0, 2, 0xc40
	s_lshl_b32 s4, s15, 2
	s_delay_alu instid0(VALU_DEP_2) | instskip(NEXT) | instid1(VALU_DEP_1)
	v_lshlrev_b64 v[1:2], 2, v[1:2]
	v_add_co_u32 v1, vcc_lo, s5, v1
	s_delay_alu instid0(VALU_DEP_2)
	v_add_co_ci_u32_e32 v2, vcc_lo, s7, v2, vcc_lo
	s_and_b32 s5, s4, 0x60
	s_mov_b32 s4, 0
	s_mov_b64 s[6:7], 0
	.p2align	6
.LBB31_63:                              ; =>This Inner Loop Header: Depth=1
	ds_load_2addr_b32 v[4:5], v3 offset1:28
	ds_load_2addr_b32 v[6:7], v3 offset0:56 offset1:84
	ds_load_2addr_b32 v[8:9], v3 offset0:112 offset1:140
	;; [unrolled: 1-line block ×3, first 2 shown]
	v_add_co_u32 v12, vcc_lo, v1, s6
	v_add_co_ci_u32_e32 v13, vcc_lo, s7, v2, vcc_lo
	s_add_i32 s4, s4, 8
	v_add_nc_u32_e32 v3, 0x380, v3
	s_add_u32 s6, s6, 32
	s_addc_u32 s7, s7, 0
	s_cmp_lg_u32 s5, s6
	s_waitcnt lgkmcnt(2)
	global_store_b128 v[12:13], v[4:7], off
	s_waitcnt lgkmcnt(0)
	global_store_b128 v[12:13], v[8:11], off offset:16
	s_cbranch_scc1 .LBB31_63
.LBB31_64:
	s_and_b32 s6, s15, 7
	s_mov_b32 s5, 0
	s_cmp_eq_u32 s6, 0
	s_cbranch_scc1 .LBB31_67
; %bb.65:
	v_lshlrev_b32_e32 v2, 2, v0
	s_lshl_b64 s[8:9], s[8:9], 2
	s_lshl_b64 s[10:11], s[4:5], 2
	s_delay_alu instid0(SALU_CYCLE_1) | instskip(NEXT) | instid1(VALU_DEP_1)
	s_add_u32 s2, s2, s10
	v_add_co_u32 v3, s5, s8, v2
	s_delay_alu instid0(VALU_DEP_1) | instskip(SKIP_3) | instid1(VALU_DEP_1)
	v_add_co_ci_u32_e64 v4, null, s9, 0, s5
	s_addc_u32 s3, s3, s11
	s_add_u32 s0, s2, s0
	s_addc_u32 s1, s3, s1
	v_mul_lo_u32 v4, v4, s16
	v_mad_u64_u32 v[0:1], null, v3, s16, s[0:1]
	v_mul_lo_u32 v3, v3, s17
	s_mul_i32 s0, s4, 0x70
	s_delay_alu instid0(SALU_CYCLE_1) | instskip(NEXT) | instid1(VALU_DEP_2)
	v_add3_u32 v2, s0, v2, 0xc40
	v_add3_u32 v1, v4, v1, v3
.LBB31_66:                              ; =>This Inner Loop Header: Depth=1
	ds_load_b32 v3, v2
	v_add_nc_u32_e32 v2, 0x70, v2
	s_add_i32 s6, s6, -1
	s_delay_alu instid0(SALU_CYCLE_1)
	s_cmp_lg_u32 s6, 0
	s_waitcnt lgkmcnt(0)
	global_store_b32 v[0:1], v3, off
	v_add_co_u32 v0, vcc_lo, v0, 4
	v_add_co_ci_u32_e32 v1, vcc_lo, 0, v1, vcc_lo
	s_cbranch_scc1 .LBB31_66
.LBB31_67:
	s_nop 0
	s_sendmsg sendmsg(MSG_DEALLOC_VGPRS)
	s_endpgm
	.section	.rodata,"a",@progbits
	.p2align	6, 0x0
	.amdhsa_kernel _ZL38rocblas_trsm_small_left_device_sharedBILi28ELi28ELb0EffPKPKfPKPfEv13rocblas_fill_18rocblas_operation_17rocblas_diagonal_iiT3_T4_lilT5_lili
		.amdhsa_group_segment_fixed_size 6272
		.amdhsa_private_segment_fixed_size 0
		.amdhsa_kernarg_size 352
		.amdhsa_user_sgpr_count 14
		.amdhsa_user_sgpr_dispatch_ptr 0
		.amdhsa_user_sgpr_queue_ptr 0
		.amdhsa_user_sgpr_kernarg_segment_ptr 1
		.amdhsa_user_sgpr_dispatch_id 0
		.amdhsa_user_sgpr_private_segment_size 0
		.amdhsa_wavefront_size32 1
		.amdhsa_uses_dynamic_stack 0
		.amdhsa_enable_private_segment 0
		.amdhsa_system_sgpr_workgroup_id_x 1
		.amdhsa_system_sgpr_workgroup_id_y 0
		.amdhsa_system_sgpr_workgroup_id_z 1
		.amdhsa_system_sgpr_workgroup_info 0
		.amdhsa_system_vgpr_workitem_id 0
		.amdhsa_next_free_vgpr 113
		.amdhsa_next_free_sgpr 48
		.amdhsa_reserve_vcc 1
		.amdhsa_float_round_mode_32 0
		.amdhsa_float_round_mode_16_64 0
		.amdhsa_float_denorm_mode_32 3
		.amdhsa_float_denorm_mode_16_64 3
		.amdhsa_dx10_clamp 1
		.amdhsa_ieee_mode 1
		.amdhsa_fp16_overflow 0
		.amdhsa_workgroup_processor_mode 1
		.amdhsa_memory_ordered 1
		.amdhsa_forward_progress 0
		.amdhsa_shared_vgpr_count 0
		.amdhsa_exception_fp_ieee_invalid_op 0
		.amdhsa_exception_fp_denorm_src 0
		.amdhsa_exception_fp_ieee_div_zero 0
		.amdhsa_exception_fp_ieee_overflow 0
		.amdhsa_exception_fp_ieee_underflow 0
		.amdhsa_exception_fp_ieee_inexact 0
		.amdhsa_exception_int_div_zero 0
	.end_amdhsa_kernel
	.section	.text._ZL38rocblas_trsm_small_left_device_sharedBILi28ELi28ELb0EffPKPKfPKPfEv13rocblas_fill_18rocblas_operation_17rocblas_diagonal_iiT3_T4_lilT5_lili,"axG",@progbits,_ZL38rocblas_trsm_small_left_device_sharedBILi28ELi28ELb0EffPKPKfPKPfEv13rocblas_fill_18rocblas_operation_17rocblas_diagonal_iiT3_T4_lilT5_lili,comdat
.Lfunc_end31:
	.size	_ZL38rocblas_trsm_small_left_device_sharedBILi28ELi28ELb0EffPKPKfPKPfEv13rocblas_fill_18rocblas_operation_17rocblas_diagonal_iiT3_T4_lilT5_lili, .Lfunc_end31-_ZL38rocblas_trsm_small_left_device_sharedBILi28ELi28ELb0EffPKPKfPKPfEv13rocblas_fill_18rocblas_operation_17rocblas_diagonal_iiT3_T4_lilT5_lili
                                        ; -- End function
	.section	.AMDGPU.csdata,"",@progbits
; Kernel info:
; codeLenInByte = 28436
; NumSgprs: 50
; NumVgprs: 113
; ScratchSize: 0
; MemoryBound: 0
; FloatMode: 240
; IeeeMode: 1
; LDSByteSize: 6272 bytes/workgroup (compile time only)
; SGPRBlocks: 6
; VGPRBlocks: 14
; NumSGPRsForWavesPerEU: 50
; NumVGPRsForWavesPerEU: 113
; Occupancy: 5
; WaveLimiterHint : 1
; COMPUTE_PGM_RSRC2:SCRATCH_EN: 0
; COMPUTE_PGM_RSRC2:USER_SGPR: 14
; COMPUTE_PGM_RSRC2:TRAP_HANDLER: 0
; COMPUTE_PGM_RSRC2:TGID_X_EN: 1
; COMPUTE_PGM_RSRC2:TGID_Y_EN: 0
; COMPUTE_PGM_RSRC2:TGID_Z_EN: 1
; COMPUTE_PGM_RSRC2:TIDIG_COMP_CNT: 0
	.section	.text._ZL30rocblas_trsm_small_left_deviceILi28ELi28ELb0EffPKPKfPKPfEv13rocblas_fill_18rocblas_operation_17rocblas_diagonal_iiT3_T4_lilT5_lili,"axG",@progbits,_ZL30rocblas_trsm_small_left_deviceILi28ELi28ELb0EffPKPKfPKPfEv13rocblas_fill_18rocblas_operation_17rocblas_diagonal_iiT3_T4_lilT5_lili,comdat
	.globl	_ZL30rocblas_trsm_small_left_deviceILi28ELi28ELb0EffPKPKfPKPfEv13rocblas_fill_18rocblas_operation_17rocblas_diagonal_iiT3_T4_lilT5_lili ; -- Begin function _ZL30rocblas_trsm_small_left_deviceILi28ELi28ELb0EffPKPKfPKPfEv13rocblas_fill_18rocblas_operation_17rocblas_diagonal_iiT3_T4_lilT5_lili
	.p2align	8
	.type	_ZL30rocblas_trsm_small_left_deviceILi28ELi28ELb0EffPKPKfPKPfEv13rocblas_fill_18rocblas_operation_17rocblas_diagonal_iiT3_T4_lilT5_lili,@function
_ZL30rocblas_trsm_small_left_deviceILi28ELi28ELb0EffPKPKfPKPfEv13rocblas_fill_18rocblas_operation_17rocblas_diagonal_iiT3_T4_lilT5_lili: ; @_ZL30rocblas_trsm_small_left_deviceILi28ELi28ELb0EffPKPKfPKPfEv13rocblas_fill_18rocblas_operation_17rocblas_diagonal_iiT3_T4_lilT5_lili
; %bb.0:
	s_clause 0x1
	s_load_b128 s[8:11], s[0:1], 0x38
	s_load_b128 s[4:7], s[0:1], 0x4
	s_mov_b32 s2, s15
	s_mov_b32 s3, 0
	s_delay_alu instid0(SALU_CYCLE_1)
	s_lshl_b64 s[22:23], s[2:3], 3
	s_waitcnt lgkmcnt(0)
	s_add_u32 s8, s8, s22
	s_addc_u32 s9, s9, s23
	s_load_b32 s15, s[0:1], 0x14
	s_load_b64 s[12:13], s[8:9], 0x0
	s_min_i32 s2, s6, 28
	s_mov_b32 s9, exec_lo
	s_add_i32 s8, s2, -1
	v_cmpx_gt_i32_e64 s2, v0
	s_cbranch_execz .LBB32_10
; %bb.1:
	s_clause 0x1
	s_load_b32 s20, s[0:1], 0x28
	s_load_b128 s[16:19], s[0:1], 0x18
	v_lshlrev_b32_e32 v3, 2, v0
	s_waitcnt lgkmcnt(0)
	s_ashr_i32 s21, s20, 31
	s_add_u32 s16, s16, s22
	s_addc_u32 s17, s17, s23
	s_cmp_lt_u32 s8, 3
	s_load_b64 s[16:17], s[16:17], 0x0
	s_cbranch_scc1 .LBB32_4
; %bb.2:
	s_lshl_b64 s[22:23], s[18:19], 2
	v_mov_b32_e32 v4, v3
	s_waitcnt lgkmcnt(0)
	s_add_u32 s3, s16, s22
	s_addc_u32 s22, s17, s23
	v_add_co_u32 v1, s3, s3, v3
	s_delay_alu instid0(VALU_DEP_1)
	v_add_co_ci_u32_e64 v2, null, s22, 0, s3
	s_and_b32 s3, s2, -4
	s_mul_hi_i32 s28, s20, 12
	s_mul_i32 s29, s20, 12
	s_lshl_b64 s[22:23], s[20:21], 4
	s_lshl_b64 s[24:25], s[20:21], 3
	;; [unrolled: 1-line block ×3, first 2 shown]
	s_mov_b32 s30, 0
	.p2align	6
.LBB32_3:                               ; =>This Inner Loop Header: Depth=1
	v_add_co_u32 v5, vcc_lo, v1, s26
	v_add_co_ci_u32_e32 v6, vcc_lo, s27, v2, vcc_lo
	v_add_co_u32 v7, vcc_lo, v1, s24
	v_add_co_ci_u32_e32 v8, vcc_lo, s25, v2, vcc_lo
	;; [unrolled: 2-line block ×3, first 2 shown]
	s_clause 0x3
	global_load_b32 v11, v[1:2], off
	global_load_b32 v5, v[5:6], off
	;; [unrolled: 1-line block ×4, first 2 shown]
	v_add_co_u32 v1, vcc_lo, v1, s22
	v_add_co_ci_u32_e32 v2, vcc_lo, s23, v2, vcc_lo
	s_add_i32 s30, s30, 4
	s_waitcnt vmcnt(2)
	ds_store_2addr_b32 v4, v11, v5 offset1:28
	s_waitcnt vmcnt(0)
	ds_store_2addr_b32 v4, v6, v7 offset0:56 offset1:84
	v_add_nc_u32_e32 v4, 0x1c0, v4
	s_cmp_eq_u32 s3, s30
	s_cbranch_scc0 .LBB32_3
.LBB32_4:
	s_and_b32 s22, s2, 3
	s_delay_alu instid0(SALU_CYCLE_1)
	s_cmp_eq_u32 s22, 0
	s_cbranch_scc1 .LBB32_7
; %bb.5:
	s_mul_i32 s23, s21, s3
	s_mul_hi_u32 s24, s20, s3
	s_lshl_b64 s[18:19], s[18:19], 2
	s_add_i32 s25, s24, s23
	s_mul_i32 s24, s20, s3
	s_mulk_i32 s3, 0x70
	s_lshl_b64 s[24:25], s[24:25], 2
	v_lshl_add_u32 v4, v0, 2, s3
	s_add_u32 s3, s24, s18
	s_addc_u32 s18, s25, s19
	s_waitcnt lgkmcnt(0)
	s_add_u32 s3, s16, s3
	s_addc_u32 s16, s17, s18
	v_add_co_u32 v1, s3, s3, v3
	s_delay_alu instid0(VALU_DEP_1)
	v_add_co_ci_u32_e64 v2, null, s16, 0, s3
	s_lshl_b64 s[16:17], s[20:21], 2
.LBB32_6:                               ; =>This Inner Loop Header: Depth=1
	global_load_b32 v3, v[1:2], off
	v_add_co_u32 v1, vcc_lo, v1, s16
	v_add_co_ci_u32_e32 v2, vcc_lo, s17, v2, vcc_lo
	s_add_i32 s22, s22, -1
	s_delay_alu instid0(SALU_CYCLE_1)
	s_cmp_lg_u32 s22, 0
	s_waitcnt vmcnt(0)
	ds_store_b32 v4, v3
	v_add_nc_u32_e32 v4, 0x70, v4
	s_cbranch_scc1 .LBB32_6
.LBB32_7:
	v_mul_u32_u24_e32 v1, 29, v0
	s_cmpk_lg_i32 s5, 0x84
	s_delay_alu instid0(VALU_DEP_1)
	v_dual_mov_b32 v2, 1.0 :: v_dual_lshlrev_b32 v1, 2, v1
	s_cbranch_scc0 .LBB32_9
; %bb.8:
	ds_load_b32 v2, v1
	s_waitcnt lgkmcnt(0)
	v_div_scale_f32 v3, null, v2, v2, 1.0
	s_delay_alu instid0(VALU_DEP_1) | instskip(SKIP_2) | instid1(VALU_DEP_1)
	v_rcp_f32_e32 v4, v3
	s_waitcnt_depctr 0xfff
	v_fma_f32 v5, -v3, v4, 1.0
	v_fmac_f32_e32 v4, v5, v4
	v_div_scale_f32 v5, vcc_lo, 1.0, v2, 1.0
	s_delay_alu instid0(VALU_DEP_1) | instskip(NEXT) | instid1(VALU_DEP_1)
	v_mul_f32_e32 v6, v5, v4
	v_fma_f32 v7, -v3, v6, v5
	s_delay_alu instid0(VALU_DEP_1) | instskip(NEXT) | instid1(VALU_DEP_1)
	v_fmac_f32_e32 v6, v7, v4
	v_fma_f32 v3, -v3, v6, v5
	s_delay_alu instid0(VALU_DEP_1) | instskip(NEXT) | instid1(VALU_DEP_1)
	v_div_fmas_f32 v3, v3, v4, v6
	v_div_fixup_f32 v2, v3, v2, 1.0
.LBB32_9:
	ds_store_b32 v1, v2
.LBB32_10:
	s_or_b32 exec_lo, exec_lo, s9
	s_load_b32 s3, s[0:1], 0x60
	s_mul_i32 s5, s14, 0xffffffe4
	s_waitcnt lgkmcnt(0)
	s_add_i32 s5, s5, s7
	; wave barrier
	buffer_gl0_inv
	s_add_i32 s3, s3, -1
	s_delay_alu instid0(SALU_CYCLE_1) | instskip(SKIP_1) | instid1(SALU_CYCLE_1)
	s_cmp_ge_u32 s14, s3
	s_cselect_b32 s3, s5, 28
	v_cmp_gt_i32_e32 vcc_lo, s3, v0
	s_mov_b32 s3, -1
	s_and_saveexec_b32 s5, vcc_lo
	s_cbranch_execz .LBB32_54
; %bb.11:
	s_load_b32 s0, s[0:1], 0x48
	v_mad_u64_u32 v[1:2], null, s14, 28, v[0:1]
	s_waitcnt lgkmcnt(0)
	s_delay_alu instid0(VALU_DEP_1) | instskip(SKIP_1) | instid1(SALU_CYCLE_1)
	v_mad_i64_i32 v[2:3], null, s0, v1, 0
	s_lshl_b64 s[0:1], s[10:11], 2
	s_add_u32 s5, s12, s0
	s_addc_u32 s7, s13, s1
	s_cmpk_eq_i32 s4, 0x6f
	s_delay_alu instid0(VALU_DEP_1) | instskip(NEXT) | instid1(VALU_DEP_1)
	v_lshlrev_b64 v[31:32], 2, v[2:3]
	v_add_co_u32 v29, vcc_lo, s5, v31
	s_delay_alu instid0(VALU_DEP_2)
	v_add_co_ci_u32_e32 v30, vcc_lo, s7, v32, vcc_lo
	s_cbranch_scc1 .LBB32_32
; %bb.12:
	s_cmp_gt_i32 s6, 27
	s_mov_b32 s4, 0
	s_cselect_b32 s3, -1, 0
	s_delay_alu instid0(SALU_CYCLE_1)
	s_and_b32 vcc_lo, exec_lo, s3
	s_cbranch_vccz .LBB32_14
; %bb.13:
	s_clause 0x5
	global_load_b128 v[0:3], v[29:30], off
	global_load_b128 v[13:16], v[29:30], off offset:16
	global_load_b128 v[17:20], v[29:30], off offset:32
	;; [unrolled: 1-line block ×5, first 2 shown]
	v_mov_b32_e32 v12, 0
	s_mov_b32 s4, 28
	ds_load_b32 v8, v12
	ds_load_b64 v[56:57], v12 offset:112
	ds_load_b96 v[79:81], v12 offset:224
	ds_load_b128 v[33:36], v12 offset:336
	s_waitcnt vmcnt(5)
	v_mul_f32_e32 v0, s15, v0
	s_waitcnt lgkmcnt(3)
	s_delay_alu instid0(VALU_DEP_1) | instskip(SKIP_1) | instid1(VALU_DEP_1)
	v_mul_f32_e32 v0, v8, v0
	s_waitcnt lgkmcnt(2)
	v_mul_f32_e32 v49, v0, v56
	s_waitcnt lgkmcnt(1)
	v_mul_f32_e32 v58, v0, v79
	ds_load_b128 v[8:11], v12 offset:448
	ds_load_b128 v[37:40], v12 offset:560
	ds_load_b128 v[41:44], v12 offset:672
	ds_load_b128 v[45:48], v12 offset:784
	v_fma_f32 v1, v1, s15, -v49
	v_fma_f32 v2, v2, s15, -v58
	ds_load_b128 v[49:52], v12 offset:896
	ds_load_b128 v[53:56], v12 offset:1120
	v_mul_f32_e32 v1, v57, v1
	ds_load_b128 v[57:60], v12 offset:1008
	ds_load_b128 v[61:64], v12 offset:1232
	;; [unrolled: 1-line block ×3, first 2 shown]
	v_fma_f32 v2, -v1, v80, v2
	s_waitcnt lgkmcnt(9)
	v_mul_f32_e32 v33, v0, v33
	ds_load_b128 v[69:72], v12 offset:1456
	ds_load_b128 v[73:76], v12 offset:1568
	;; [unrolled: 1-line block ×3, first 2 shown]
	v_mul_f32_e32 v2, v81, v2
	v_fma_f32 v3, v3, s15, -v33
	ds_load_b128 v[81:84], v12 offset:1792
	ds_load_b128 v[85:88], v12 offset:2016
	;; [unrolled: 1-line block ×4, first 2 shown]
	s_waitcnt lgkmcnt(15)
	v_mul_f32_e32 v8, v0, v8
	s_waitcnt lgkmcnt(14)
	v_mul_f32_e32 v33, v0, v37
	ds_load_b128 v[97:100], v12 offset:2240
	ds_load_b128 v[101:104], v12 offset:2352
	;; [unrolled: 1-line block ×3, first 2 shown]
	v_fma_f32 v3, -v1, v34, v3
	s_waitcnt lgkmcnt(16)
	v_mul_f32_e32 v34, v0, v41
	s_waitcnt vmcnt(4)
	v_fma_f32 v8, v13, s15, -v8
	s_waitcnt lgkmcnt(12)
	v_mul_f32_e32 v37, v0, v57
	v_mul_f32_e32 v13, v0, v53
	v_fma_f32 v3, -v2, v35, v3
	v_fma_f32 v41, v14, s15, -v33
	s_waitcnt lgkmcnt(11)
	v_mul_f32_e32 v14, v0, v61
	s_waitcnt vmcnt(3)
	v_fma_f32 v37, v18, s15, -v37
	v_fma_f32 v57, v19, s15, -v13
	v_mul_f32_e32 v3, v36, v3
	v_mul_f32_e32 v36, v0, v49
	s_waitcnt lgkmcnt(8)
	v_mul_f32_e32 v13, v0, v73
	v_fma_f32 v61, v20, s15, -v14
	v_mul_f32_e32 v35, v0, v45
	s_waitcnt lgkmcnt(4)
	v_mul_f32_e32 v18, v0, v89
	v_fma_f32 v53, v17, s15, -v36
	v_mul_f32_e32 v17, v0, v81
	s_waitcnt vmcnt(2)
	v_fma_f32 v73, v23, s15, -v13
	v_mul_f32_e32 v13, v0, v85
	s_waitcnt vmcnt(1)
	v_fma_f32 v85, v26, s15, -v18
	v_fma_f32 v45, v15, s15, -v34
	;; [unrolled: 1-line block ×3, first 2 shown]
	global_load_b128 v[17:20], v[29:30], off offset:96
	v_fma_f32 v49, v16, s15, -v35
	v_mul_f32_e32 v15, v0, v65
	v_mul_f32_e32 v16, v0, v69
	;; [unrolled: 1-line block ×3, first 2 shown]
	v_fma_f32 v89, v27, s15, -v13
	s_waitcnt lgkmcnt(0)
	v_mul_f32_e32 v13, v0, v105
	v_fma_f32 v65, v21, s15, -v15
	v_fma_f32 v69, v22, s15, -v16
	v_fma_f32 v77, v24, s15, -v14
	v_mul_f32_e32 v14, v0, v93
	v_mul_f32_e32 v15, v0, v97
	;; [unrolled: 1-line block ×3, first 2 shown]
	s_waitcnt vmcnt(1)
	v_fma_f32 v105, v6, s15, -v13
	v_fma_f32 v8, -v1, v9, v8
	v_fma_f32 v93, v28, s15, -v14
	v_fma_f32 v97, v4, s15, -v15
	v_fma_f32 v101, v5, s15, -v16
	ds_load_b128 v[13:16], v12 offset:2576
	ds_load_b128 v[21:24], v12 offset:2800
	v_fma_f32 v8, -v2, v10, v8
	ds_load_b128 v[25:28], v12 offset:2912
	ds_load_b128 v[33:36], v12 offset:3024
	v_fma_f32 v9, -v1, v54, v57
	v_fma_f32 v57, -v1, v86, v89
	;; [unrolled: 1-line block ×5, first 2 shown]
	s_delay_alu instid0(VALU_DEP_4) | instskip(NEXT) | instid1(VALU_DEP_3)
	v_fma_f32 v57, -v2, v87, v57
	v_fma_f32 v8, -v2, v39, v8
	s_delay_alu instid0(VALU_DEP_1) | instskip(SKIP_4) | instid1(VALU_DEP_3)
	v_fma_f32 v110, -v3, v40, v8
	v_fma_f32 v8, -v1, v42, v45
	s_waitcnt lgkmcnt(3)
	v_mul_f32_e32 v4, v0, v13
	v_fma_f32 v45, -v1, v74, v73
	v_fma_f32 v8, -v2, v43, v8
	s_delay_alu instid0(VALU_DEP_3)
	v_fma_f32 v13, v7, s15, -v4
	ds_load_b128 v[4:7], v12 offset:2688
	v_fma_f32 v111, -v3, v44, v8
	v_fma_f32 v8, -v1, v46, v49
	;; [unrolled: 1-line block ×5, first 2 shown]
	s_delay_alu instid0(VALU_DEP_4) | instskip(NEXT) | instid1(VALU_DEP_4)
	v_fma_f32 v8, -v2, v47, v8
	v_fma_f32 v118, -v3, v72, v46
	s_delay_alu instid0(VALU_DEP_4) | instskip(NEXT) | instid1(VALU_DEP_3)
	v_fma_f32 v54, -v2, v79, v49
	v_fma_f32 v112, -v3, v48, v8
	;; [unrolled: 1-line block ×4, first 2 shown]
	ds_load_b128 v[45:48], v12 offset:2816
	v_fma_f32 v53, -v1, v82, v81
	s_waitcnt lgkmcnt(1)
	v_mul_f32_e32 v4, v0, v4
	v_fma_f32 v8, -v2, v51, v8
	v_fma_f32 v119, -v3, v76, v50
	v_fma_f32 v53, -v2, v83, v53
	s_delay_alu instid0(VALU_DEP_3) | instskip(SKIP_3) | instid1(VALU_DEP_3)
	v_fma_f32 v113, -v3, v52, v8
	v_fma_f32 v8, -v1, v58, v37
	v_fma_f32 v37, -v1, v66, v65
	v_fma_f32 v65, -v1, v106, v105
	v_fma_f32 v8, -v2, v59, v8
	s_delay_alu instid0(VALU_DEP_3) | instskip(SKIP_1) | instid1(VALU_DEP_4)
	v_fma_f32 v42, -v2, v67, v37
	v_fma_f32 v59, -v1, v94, v93
	;; [unrolled: 1-line block ×3, first 2 shown]
	s_delay_alu instid0(VALU_DEP_4) | instskip(NEXT) | instid1(VALU_DEP_4)
	v_fma_f32 v114, -v3, v60, v8
	v_fma_f32 v117, -v3, v68, v42
	ds_load_b128 v[41:44], v12 offset:2144
	s_waitcnt vmcnt(0)
	v_fma_f32 v4, v17, s15, -v4
	v_mul_f32_e32 v17, v0, v21
	s_delay_alu instid0(VALU_DEP_2) | instskip(NEXT) | instid1(VALU_DEP_2)
	v_fma_f32 v4, -v1, v5, v4
	v_fma_f32 v21, v18, s15, -v17
	v_mul_f32_e32 v17, v0, v25
	v_fma_f32 v18, -v2, v55, v9
	ds_load_b128 v[8:11], v12 offset:1024
	v_fma_f32 v55, -v1, v90, v85
	v_fma_f32 v6, -v2, v6, v4
	v_fma_f32 v25, v19, s15, -v17
	v_mul_f32_e32 v17, v0, v33
	v_fma_f32 v115, -v3, v56, v18
	v_fma_f32 v58, -v2, v91, v55
	;; [unrolled: 1-line block ×4, first 2 shown]
	v_fma_f32 v33, v20, s15, -v17
	v_fma_f32 v17, -v1, v62, v61
	v_fma_f32 v61, -v1, v98, v97
	;; [unrolled: 1-line block ×4, first 2 shown]
	s_delay_alu instid0(VALU_DEP_4)
	v_fma_f32 v38, -v2, v63, v17
	ds_load_b128 v[17:20], v12 offset:1248
	v_fma_f32 v63, -v1, v102, v101
	v_fma_f32 v61, -v2, v99, v61
	;; [unrolled: 1-line block ×3, first 2 shown]
	ds_load_b128 v[37:40], v12 offset:1920
	ds_load_b128 v[49:52], v12 offset:3040
	ds_load_b32 v69, v12 offset:464
	ds_load_b64 v[73:74], v12 offset:576
	ds_load_b96 v[76:78], v12 offset:688
	v_fma_f32 v66, -v2, v103, v63
	ds_load_b64 v[81:82], v12 offset:1040
	s_waitcnt lgkmcnt(3)
	v_mul_f32_e32 v4, v69, v109
	v_fma_f32 v83, -v3, v80, v54
	v_fma_f32 v84, -v3, v84, v53
	ds_load_b128 v[53:56], v12 offset:800
	v_fma_f32 v89, -v3, v92, v58
	v_fma_f32 v88, -v3, v88, v57
	ds_load_b128 v[57:60], v12 offset:1264
	ds_load_b32 v97, v12 offset:1392
	v_fma_f32 v92, -v3, v96, v62
	ds_load_b64 v[90:91], v12 offset:1504
	v_fma_f32 v93, -v3, v100, v61
	ds_load_b128 v[61:64], v12 offset:912
	ds_load_b32 v94, v12 offset:928
	v_fma_f32 v98, -v3, v16, v5
	v_fma_f32 v5, -v2, v23, v21
	;; [unrolled: 1-line block ×3, first 2 shown]
	s_waitcnt lgkmcnt(8)
	v_fma_f32 v6, -v4, v73, v110
	v_fma_f32 v95, -v3, v104, v66
	ds_load_b128 v[65:68], v12 offset:1136
	ds_load_b96 v[85:87], v12 offset:1152
	v_fma_f32 v100, -v3, v24, v5
	v_fma_f32 v7, -v2, v27, v25
	s_waitcnt lgkmcnt(9)
	v_fma_f32 v25, -v4, v76, v111
	v_mul_f32_e32 v5, v74, v6
	v_fma_f32 v96, -v3, v108, v14
	ds_load_b128 v[13:16], v12 offset:1360
	ds_load_b128 v[69:72], v12 offset:1376
	v_fma_f32 v6, -v1, v34, v33
	v_fma_f32 v101, -v3, v28, v7
	s_waitcnt lgkmcnt(9)
	v_fma_f32 v7, -v4, v53, v112
	v_fma_f32 v33, -v5, v77, v25
	ds_load_b128 v[21:24], v12 offset:1472
	ds_load_b128 v[73:76], v12 offset:1488
	v_fma_f32 v34, -v2, v35, v6
	s_waitcnt lgkmcnt(7)
	v_fma_f32 v35, -v4, v61, v113
	v_fma_f32 v7, -v5, v54, v7
	v_mul_f32_e32 v6, v78, v33
	ds_load_b128 v[25:28], v12 offset:1584
	ds_load_b128 v[77:80], v12 offset:1600
	v_fma_f32 v8, -v4, v8, v114
	v_fma_f32 v53, -v5, v62, v35
	;; [unrolled: 1-line block ×4, first 2 shown]
	ds_load_b128 v[33:36], v12 offset:1696
	s_waitcnt lgkmcnt(8)
	v_fma_f32 v61, -v4, v65, v115
	v_fma_f32 v8, -v5, v9, v8
	v_mul_f32_e32 v7, v56, v7
	v_fma_f32 v9, -v6, v63, v53
	v_fma_f32 v17, -v4, v17, v116
	;; [unrolled: 1-line block ×3, first 2 shown]
	s_waitcnt lgkmcnt(6)
	v_fma_f32 v13, -v4, v13, v117
	s_waitcnt lgkmcnt(4)
	v_fma_f32 v21, -v4, v21, v118
	v_fma_f32 v103, -v7, v64, v9
	ds_load_b128 v[61:64], v12 offset:1808
	v_fma_f32 v17, -v5, v18, v17
	v_fma_f32 v18, -v6, v67, v65
	v_fma_f32 v13, -v5, v14, v13
	s_waitcnt lgkmcnt(3)
	v_fma_f32 v25, -v4, v25, v119
	v_fma_f32 v21, -v5, v22, v21
	;; [unrolled: 1-line block ×4, first 2 shown]
	ds_load_b128 v[65:68], v12 offset:2032
	v_fma_f32 v25, -v5, v26, v25
	s_waitcnt lgkmcnt(2)
	v_fma_f32 v22, -v4, v33, v83
	v_fma_f32 v106, -v7, v20, v14
	ds_load_b128 v[17:20], v12 offset:2256
	v_fma_f32 v21, -v6, v23, v21
	v_fma_f32 v25, -v6, v27, v25
	;; [unrolled: 1-line block ×6, first 2 shown]
	ds_load_b128 v[21:24], v12 offset:2272
	s_waitcnt lgkmcnt(3)
	v_fma_f32 v33, -v4, v61, v84
	v_fma_f32 v34, -v6, v35, v26
	;; [unrolled: 1-line block ×3, first 2 shown]
	ds_load_b128 v[25:28], v12 offset:2368
	v_fma_f32 v107, -v7, v16, v13
	v_fma_f32 v61, -v5, v62, v33
	ds_load_b128 v[13:16], v12 offset:2048
	v_fma_f32 v89, -v7, v36, v34
	ds_load_b128 v[33:36], v12 offset:2480
	v_fma_f32 v37, -v5, v38, v37
	v_fma_f32 v38, -v6, v63, v61
	;; [unrolled: 1-line block ×3, first 2 shown]
	s_waitcnt lgkmcnt(4)
	v_fma_f32 v17, -v4, v17, v93
	ds_load_b64 v[92:93], v12 offset:1968
	v_fma_f32 v62, -v4, v65, v88
	v_fma_f32 v110, -v7, v64, v38
	;; [unrolled: 1-line block ×6, first 2 shown]
	ds_load_b128 v[61:64], v12 offset:2592
	v_fma_f32 v104, -v7, v11, v8
	v_fma_f32 v41, -v5, v42, v41
	s_waitcnt lgkmcnt(4)
	v_fma_f32 v25, -v4, v25, v95
	v_fma_f32 v18, -v6, v67, v65
	;; [unrolled: 1-line block ×3, first 2 shown]
	v_mul_f32_e32 v17, v94, v103
	v_fma_f32 v111, -v7, v40, v37
	ds_load_b128 v[37:40], v12 offset:2384
	v_fma_f32 v41, -v6, v43, v41
	v_fma_f32 v112, -v7, v68, v18
	s_waitcnt lgkmcnt(3)
	v_fma_f32 v18, -v4, v33, v96
	v_fma_f32 v25, -v5, v26, v25
	;; [unrolled: 1-line block ×3, first 2 shown]
	ds_load_b128 v[65:68], v12 offset:2704
	v_fma_f32 v103, -v7, v44, v41
	ds_load_b128 v[41:44], v12 offset:2496
	v_fma_f32 v104, -v7, v20, v19
	v_fma_f32 v19, -v5, v34, v18
	;; [unrolled: 1-line block ×3, first 2 shown]
	v_mul_f32_e32 v18, v82, v26
	ds_load_b128 v[81:84], v12 offset:2608
	s_waitcnt lgkmcnt(4)
	v_fma_f32 v33, -v4, v61, v98
	v_fma_f32 v34, -v17, v85, v105
	ds_load_b128 v[53:56], v12 offset:1712
	v_fma_f32 v19, -v6, v35, v19
	v_fma_f32 v98, -v7, v28, v20
	;; [unrolled: 1-line block ×8, first 2 shown]
	v_mul_f32_e32 v19, v87, v61
	ds_load_b96 v[85:87], v12 offset:1616
	v_fma_f32 v57, -v18, v58, v57
	v_fma_f32 v58, -v18, v70, v69
	;; [unrolled: 1-line block ×4, first 2 shown]
	s_waitcnt lgkmcnt(4)
	v_fma_f32 v65, -v4, v65, v99
	v_fma_f32 v57, -v19, v59, v57
	ds_load_b128 v[25:28], v12 offset:2928
	ds_load_b128 v[33:36], v12 offset:2720
	v_fma_f32 v69, -v18, v74, v20
	v_fma_f32 v70, -v19, v71, v58
	v_mul_f32_e32 v20, v60, v57
	v_fma_f32 v65, -v5, v66, v65
	v_fma_f32 v66, -v17, v77, v109
	ds_load_b128 v[8:11], v12 offset:1824
	ds_load_b128 v[61:64], v12 offset:1728
	v_fma_f32 v73, -v19, v75, v69
	v_fma_f32 v74, -v20, v72, v70
	v_fma_f32 v66, -v18, v78, v66
	s_waitcnt lgkmcnt(5)
	v_fma_f32 v75, -v17, v53, v89
	v_fma_f32 v65, -v6, v67, v65
	;; [unrolled: 1-line block ×3, first 2 shown]
	v_mul_f32_e32 v53, v97, v74
	v_fma_f32 v76, -v19, v79, v66
	v_fma_f32 v54, -v18, v54, v75
	;; [unrolled: 1-line block ×3, first 2 shown]
	ds_load_b128 v[57:60], v12 offset:2944
	v_fma_f32 v73, -v53, v90, v73
	v_fma_f32 v74, -v20, v80, v76
	v_fma_f32 v55, -v19, v55, v54
	ds_load_b128 v[69:72], v12 offset:2192
	ds_load_b32 v99, v12 offset:2320
	v_fma_f32 v107, -v7, v68, v65
	ds_load_b128 v[65:68], v12 offset:1936
	s_waitcnt lgkmcnt(8)
	v_fma_f32 v77, -v53, v85, v74
	v_mul_f32_e32 v54, v91, v73
	s_waitcnt lgkmcnt(7)
	v_fma_f32 v25, -v4, v25, v101
	v_fma_f32 v45, -v5, v46, v45
	;; [unrolled: 1-line block ×3, first 2 shown]
	ds_load_b64 v[94:95], v12 offset:2432
	v_fma_f32 v55, -v54, v86, v77
	ds_load_b128 v[77:80], v12 offset:2160
	v_fma_f32 v25, -v5, v26, v25
	v_fma_f32 v26, -v6, v47, v45
	s_waitcnt lgkmcnt(6)
	v_fma_f32 v45, -v53, v61, v46
	v_mul_f32_e32 v55, v87, v55
	v_fma_f32 v49, -v4, v49, v102
	v_fma_f32 v25, -v6, v27, v25
	v_fma_f32 v8, -v17, v8, v110
	v_fma_f32 v27, -v54, v62, v45
	v_fma_f32 v91, -v7, v48, v26
	v_fma_f32 v49, -v5, v50, v49
	ds_load_b128 v[45:48], v12 offset:1952
	v_fma_f32 v8, -v18, v9, v8
	v_fma_f32 v50, -v55, v63, v27
	;; [unrolled: 1-line block ×3, first 2 shown]
	ds_load_b96 v[88:90], v12 offset:2544
	ds_load_b128 v[73:76], v12 offset:2656
	v_fma_f32 v8, -v19, v10, v8
	v_mul_f32_e32 v56, v64, v50
	s_waitcnt lgkmcnt(5)
	v_fma_f32 v50, -v17, v65, v111
	ds_load_b64 v[96:97], v12 offset:2896
	v_fma_f32 v100, -v7, v28, v25
	ds_load_b128 v[25:28], v12 offset:1840
	ds_load_b32 v101, v12 offset:1856
	s_waitcnt lgkmcnt(6)
	v_fma_f32 v65, -v17, v77, v103
	v_fma_f32 v13, -v18, v66, v50
	;; [unrolled: 1-line block ×4, first 2 shown]
	ds_load_b128 v[8:11], v12 offset:2832
	ds_load_b32 v109, v12 offset:2784
	v_fma_f32 v13, -v19, v67, v13
	v_fma_f32 v49, -v6, v51, v49
	;; [unrolled: 1-line block ×4, first 2 shown]
	ds_load_b128 v[61:64], v12 offset:2064
	ds_load_b96 v[85:87], v12 offset:2080
	v_fma_f32 v104, -v20, v68, v13
	ds_load_b128 v[65:68], v12 offset:3056
	v_fma_f32 v102, -v7, v52, v49
	ds_load_b128 v[49:52], v12 offset:2176
	v_fma_f32 v14, -v19, v15, v14
	v_fma_f32 v37, -v17, v37, v98
	;; [unrolled: 1-line block ×6, first 2 shown]
	ds_load_b128 v[13:16], v12 offset:2288
	v_fma_f32 v37, -v18, v38, v37
	v_fma_f32 v38, -v17, v81, v106
	;; [unrolled: 1-line block ×4, first 2 shown]
	s_waitcnt lgkmcnt(6)
	v_fma_f32 v8, -v17, v8, v91
	v_fma_f32 v33, -v18, v34, v33
	;; [unrolled: 1-line block ×7, first 2 shown]
	ds_load_b128 v[77:80], v12 offset:2304
	v_fma_f32 v34, -v19, v83, v42
	v_fma_f32 v91, -v20, v44, v41
	ds_load_b128 v[41:44], v12 offset:2400
	v_fma_f32 v8, -v18, v9, v8
	v_fma_f32 v9, -v19, v35, v33
	s_waitcnt lgkmcnt(4)
	v_fma_f32 v65, -v17, v65, v102
	v_fma_f32 v57, -v18, v58, v57
	;; [unrolled: 1-line block ×6, first 2 shown]
	ds_load_b128 v[81:84], v12 offset:2416
	v_fma_f32 v8, -v19, v10, v8
	v_fma_f32 v102, -v20, v36, v9
	ds_load_b128 v[33:36], v12 offset:2512
	v_fma_f32 v58, -v18, v66, v65
	v_fma_f32 v57, -v19, v59, v57
	;; [unrolled: 1-line block ×5, first 2 shown]
	s_waitcnt lgkmcnt(5)
	v_fma_f32 v46, -v53, v49, v105
	v_fma_f32 v37, -v19, v39, v37
	;; [unrolled: 1-line block ×3, first 2 shown]
	ds_load_b128 v[8:11], v12 offset:2528
	v_fma_f32 v65, -v19, v67, v58
	v_fma_f32 v103, -v20, v60, v57
	ds_load_b128 v[57:60], v12 offset:2624
	v_fma_f32 v25, -v55, v27, v25
	v_fma_f32 v49, -v54, v62, v26
	s_waitcnt lgkmcnt(6)
	v_fma_f32 v13, -v53, v13, v106
	v_fma_f32 v50, -v54, v50, v46
	ds_load_b128 v[21:24], v12 offset:2848
	v_fma_f32 v107, -v20, v40, v37
	v_fma_f32 v104, -v20, v68, v65
	ds_load_b128 v[65:68], v12 offset:2640
	v_fma_f32 v98, -v56, v28, v25
	ds_load_b128 v[25:28], v12 offset:2736
	v_fma_f32 v49, -v55, v63, v49
	v_fma_f32 v13, -v54, v14, v13
	;; [unrolled: 1-line block ×3, first 2 shown]
	s_waitcnt lgkmcnt(7)
	v_fma_f32 v41, -v53, v41, v107
	ds_load_b128 v[37:40], v12 offset:3072
	v_fma_f32 v106, -v56, v64, v49
	s_waitcnt lgkmcnt(6)
	v_fma_f32 v33, -v53, v33, v91
	v_fma_f32 v107, -v56, v52, v14
	ds_load_b128 v[49:52], v12 offset:2960
	v_fma_f32 v45, -v55, v47, v45
	v_fma_f32 v41, -v54, v42, v41
	v_fma_f32 v13, -v55, v15, v13
	s_waitcnt lgkmcnt(5)
	v_fma_f32 v14, -v53, v57, v100
	v_fma_f32 v15, -v54, v34, v33
	;; [unrolled: 1-line block ×7, first 2 shown]
	s_waitcnt lgkmcnt(2)
	v_fma_f32 v25, -v53, v25, v102
	ds_load_b128 v[13:16], v12 offset:2864
	v_fma_f32 v57, -v53, v21, v108
	v_mul_f32_e32 v21, v101, v98
	v_fma_f32 v102, -v56, v44, v33
	v_fma_f32 v25, -v54, v26, v25
	;; [unrolled: 1-line block ×4, first 2 shown]
	ds_load_b128 v[33:36], v12 offset:2880
	s_waitcnt lgkmcnt(2)
	v_fma_f32 v49, -v53, v49, v103
	v_fma_f32 v22, -v54, v22, v57
	;; [unrolled: 1-line block ×4, first 2 shown]
	ds_load_b128 v[45:48], v12 offset:2752
	ds_load_b128 v[61:64], v12 offset:2768
	v_fma_f32 v49, -v54, v50, v49
	v_fma_f32 v23, -v55, v23, v22
	v_mul_f32_e32 v22, v93, v57
	ds_load_b96 v[91:93], v12 offset:3008
	v_fma_f32 v37, -v53, v37, v104
	ds_load_b128 v[41:44], v12 offset:2976
	v_fma_f32 v25, -v55, v27, v25
	v_fma_f32 v8, -v22, v9, v8
	;; [unrolled: 1-line block ×10, first 2 shown]
	s_waitcnt lgkmcnt(5)
	v_fma_f32 v13, -v21, v13, v85
	v_fma_f32 v69, -v22, v70, v23
	;; [unrolled: 1-line block ×3, first 2 shown]
	v_mul_f32_e32 v23, v87, v37
	v_fma_f32 v37, -v56, v40, v24
	v_fma_f32 v24, -v21, v81, v102
	;; [unrolled: 1-line block ×3, first 2 shown]
	s_delay_alu instid0(VALU_DEP_4) | instskip(SKIP_1) | instid1(VALU_DEP_4)
	v_fma_f32 v40, -v23, v71, v69
	v_fma_f32 v39, -v23, v79, v39
	;; [unrolled: 1-line block ×5, first 2 shown]
	v_mul_f32_e32 v24, v72, v40
	s_delay_alu instid0(VALU_DEP_4) | instskip(NEXT) | instid1(VALU_DEP_2)
	v_fma_f32 v9, -v23, v83, v69
	v_fma_f32 v39, -v24, v80, v39
	;; [unrolled: 1-line block ×3, first 2 shown]
	s_delay_alu instid0(VALU_DEP_3) | instskip(SKIP_1) | instid1(VALU_DEP_4)
	v_fma_f32 v9, -v24, v84, v9
	v_fma_f32 v13, -v24, v16, v13
	v_mul_f32_e32 v8, v99, v39
	s_delay_alu instid0(VALU_DEP_1) | instskip(SKIP_3) | instid1(VALU_DEP_3)
	v_fma_f32 v9, -v8, v94, v9
	v_fma_f32 v10, -v8, v88, v10
	s_waitcnt lgkmcnt(4)
	v_fma_f32 v13, -v8, v33, v13
	v_mul_f32_e32 v9, v95, v9
	v_fma_f32 v108, -v56, v60, v26
	v_fma_f32 v98, -v56, v28, v25
	;; [unrolled: 1-line block ×3, first 2 shown]
	ds_load_b128 v[25:28], v12 offset:2992
	ds_load_b128 v[57:60], v12 offset:3088
	;; [unrolled: 1-line block ×3, first 2 shown]
	v_fma_f32 v65, -v21, v65, v108
	s_waitcnt lgkmcnt(6)
	v_fma_f32 v45, -v21, v45, v98
	s_waitcnt lgkmcnt(3)
	v_fma_f32 v38, -v21, v41, v38
	v_fma_f32 v10, -v9, v89, v10
	;; [unrolled: 1-line block ×6, first 2 shown]
	v_mul_f32_e32 v10, v90, v10
	s_delay_alu instid0(VALU_DEP_4) | instskip(NEXT) | instid1(VALU_DEP_4)
	v_fma_f32 v14, -v23, v67, v40
	v_fma_f32 v38, -v23, v47, v39
	s_delay_alu instid0(VALU_DEP_4) | instskip(NEXT) | instid1(VALU_DEP_3)
	v_fma_f32 v11, -v23, v43, v11
	v_fma_f32 v14, -v24, v68, v14
	s_delay_alu instid0(VALU_DEP_3) | instskip(NEXT) | instid1(VALU_DEP_3)
	v_fma_f32 v15, -v24, v48, v38
	v_fma_f32 v11, -v24, v44, v11
	s_waitcnt lgkmcnt(1)
	v_fma_f32 v37, -v21, v57, v37
	v_fma_f32 v14, -v8, v73, v14
	;; [unrolled: 1-line block ×4, first 2 shown]
	s_delay_alu instid0(VALU_DEP_4) | instskip(NEXT) | instid1(VALU_DEP_4)
	v_fma_f32 v37, -v22, v58, v37
	v_fma_f32 v14, -v9, v74, v14
	s_delay_alu instid0(VALU_DEP_4) | instskip(NEXT) | instid1(VALU_DEP_4)
	v_fma_f32 v15, -v9, v62, v15
	v_fma_f32 v25, -v9, v26, v25
	s_delay_alu instid0(VALU_DEP_4) | instskip(SKIP_4) | instid1(VALU_DEP_3)
	v_fma_f32 v16, -v23, v59, v37
	v_fma_f32 v26, -v10, v35, v33
	;; [unrolled: 1-line block ×5, first 2 shown]
	v_mul_f32_e32 v11, v76, v14
	ds_load_b128 v[12:15], v12 offset:3120
	s_clause 0x1
	global_store_b128 v[29:30], v[0:3], off
	global_store_b128 v[29:30], v[4:7], off offset:16
	v_fma_f32 v33, -v11, v64, v34
	v_fma_f32 v26, -v11, v36, v26
	;; [unrolled: 1-line block ×3, first 2 shown]
	s_delay_alu instid0(VALU_DEP_3)
	v_mul_f32_e32 v25, v109, v33
	v_fma_f32 v16, -v24, v60, v16
	s_clause 0x3
	global_store_b128 v[29:30], v[17:20], off offset:32
	global_store_b128 v[29:30], v[53:56], off offset:48
	;; [unrolled: 1-line block ×4, first 2 shown]
	v_fma_f32 v26, -v25, v96, v26
	s_waitcnt lgkmcnt(1)
	v_fma_f32 v16, -v8, v49, v16
	v_fma_f32 v27, -v25, v91, v27
	s_delay_alu instid0(VALU_DEP_3) | instskip(NEXT) | instid1(VALU_DEP_3)
	v_mul_f32_e32 v26, v97, v26
	v_fma_f32 v16, -v9, v50, v16
	s_delay_alu instid0(VALU_DEP_1) | instskip(NEXT) | instid1(VALU_DEP_1)
	v_fma_f32 v16, -v10, v51, v16
	v_fma_f32 v16, -v11, v52, v16
	s_waitcnt lgkmcnt(0)
	s_delay_alu instid0(VALU_DEP_1) | instskip(SKIP_1) | instid1(VALU_DEP_2)
	v_fma_f32 v12, -v25, v12, v16
	v_fma_f32 v16, -v26, v92, v27
	;; [unrolled: 1-line block ×3, first 2 shown]
	s_delay_alu instid0(VALU_DEP_2) | instskip(NEXT) | instid1(VALU_DEP_1)
	v_mul_f32_e32 v27, v93, v16
	v_fma_f32 v12, -v27, v14, v12
	s_delay_alu instid0(VALU_DEP_1)
	v_mul_f32_e32 v28, v15, v12
	global_store_b128 v[29:30], v[25:28], off offset:96
.LBB32_14:
	s_cmp_lt_i32 s4, s2
	s_cbranch_scc0 .LBB32_31
; %bb.15:
	s_add_i32 s5, s4, 23
	s_delay_alu instid0(SALU_CYCLE_1)
	s_cmp_ge_u32 s5, s2
	s_cbranch_scc1 .LBB32_20
; %bb.16:
	s_lshl_b32 s7, s4, 2
	s_delay_alu instid0(SALU_CYCLE_1)
	v_add_co_u32 v12, vcc_lo, v29, s7
	v_add_co_ci_u32_e32 v13, vcc_lo, 0, v30, vcc_lo
	s_and_not1_b32 vcc_lo, exec_lo, s3
	s_mov_b32 s3, 0
	s_clause 0x5
	global_load_b128 v[0:3], v[12:13], off
	global_load_b128 v[4:7], v[12:13], off offset:16
	global_load_b128 v[14:17], v[12:13], off offset:32
	;; [unrolled: 1-line block ×5, first 2 shown]
	s_waitcnt vmcnt(5)
	v_dual_mul_f32 v28, s15, v0 :: v_dual_mul_f32 v27, s15, v1
	v_dual_mul_f32 v26, s15, v2 :: v_dual_mul_f32 v25, s15, v3
	s_waitcnt vmcnt(4)
	v_dual_mul_f32 v2, s15, v4 :: v_dual_mul_f32 v3, s15, v6
	s_waitcnt vmcnt(3)
	v_dual_mul_f32 v8, s15, v5 :: v_dual_mul_f32 v5, s15, v14
	v_dual_mul_f32 v4, s15, v7 :: v_dual_mul_f32 v9, s15, v17
	;; [unrolled: 1-line block ×3, first 2 shown]
	s_waitcnt vmcnt(2)
	v_dual_mul_f32 v24, s15, v18 :: v_dual_mul_f32 v23, s15, v20
	v_dual_mul_f32 v10, s15, v19 :: v_dual_mul_f32 v11, s15, v21
	s_waitcnt vmcnt(1)
	v_dual_mul_f32 v22, s15, v33 :: v_dual_mul_f32 v21, s15, v34
	s_waitcnt vmcnt(0)
	v_dual_mul_f32 v20, s15, v35 :: v_dual_mul_f32 v17, s15, v37
	v_dual_mul_f32 v18, s15, v36 :: v_dual_mul_f32 v15, s15, v39
	v_mul_f32_e32 v16, s15, v38
	v_mul_f32_e32 v14, s15, v40
	s_cbranch_vccnz .LBB32_19
; %bb.17:
	v_dual_mov_b32 v0, v29 :: v_dual_mov_b32 v1, v30
	s_mul_i32 s7, s4, 0x70
.LBB32_18:                              ; =>This Inner Loop Header: Depth=1
	global_load_b32 v19, v[0:1], off
	v_mov_b32_e32 v41, s7
	v_add_nc_u32_e64 v49, 0x400, s7
	v_add_nc_u32_e64 v51, 0x600, s7
	;; [unrolled: 1-line block ×3, first 2 shown]
	ds_load_2addr_b32 v[33:34], v41 offset1:28
	ds_load_2addr_b32 v[35:36], v41 offset0:56 offset1:84
	ds_load_2addr_b32 v[37:38], v41 offset0:112 offset1:140
	;; [unrolled: 1-line block ×11, first 2 shown]
	v_add_co_u32 v0, vcc_lo, v0, 4
	v_add_co_ci_u32_e32 v1, vcc_lo, 0, v1, vcc_lo
	s_add_i32 s3, s3, 1
	s_add_i32 s7, s7, 4
	s_cmp_lt_u32 s3, s4
	s_waitcnt vmcnt(0) lgkmcnt(11)
	v_fma_f32 v28, -v19, v33, v28
	v_fma_f32 v27, -v19, v34, v27
	s_waitcnt lgkmcnt(10)
	v_fma_f32 v26, -v19, v35, v26
	v_fma_f32 v25, -v19, v36, v25
	s_waitcnt lgkmcnt(9)
	;; [unrolled: 3-line block ×11, first 2 shown]
	v_fma_f32 v15, -v19, v55, v15
	v_fma_f32 v14, -v19, v56, v14
	s_cbranch_scc1 .LBB32_18
.LBB32_19:
	s_or_b32 s3, s4, 1
	s_mul_i32 s7, s4, 0x74
	s_mul_i32 s3, s3, 28
	v_add_nc_u32_e64 v0, 0x200, s7
	s_add_i32 s3, s3, s4
	s_delay_alu instid0(SALU_CYCLE_1) | instskip(NEXT) | instid1(SALU_CYCLE_1)
	s_lshl_b32 s3, s3, 2
	v_dual_mov_b32 v19, s7 :: v_dual_mov_b32 v76, s3
	s_add_i32 s10, s3, 0x404
	s_add_i32 s9, s3, 0x3fc
	;; [unrolled: 1-line block ×3, first 2 shown]
	ds_load_2addr_b32 v[52:53], v19 offset1:116
	ds_load_2addr_b64 v[33:36], v76 offset1:58
	ds_load_b96 v[49:51], v76 offset:112
	ds_load_b128 v[37:40], v76 offset:224
	ds_load_2addr_b32 v[54:55], v19 offset0:174 offset1:203
	ds_load_2addr_b32 v[56:57], v0 offset0:104 offset1:133
	ds_load_b128 v[41:44], v76 offset:336
	ds_load_b128 v[45:48], v76 offset:448
	v_add_nc_u32_e64 v77, 0x200, s3
	s_add_i32 s14, s3, 0x464
	v_add_nc_u32_e64 v78, 0x400, s3
	v_mov_b32_e32 v79, s10
	s_add_i32 s10, s3, 0x47c
	s_waitcnt lgkmcnt(7)
	v_mul_f32_e32 v0, v52, v28
	s_waitcnt lgkmcnt(6)
	s_delay_alu instid0(VALU_DEP_1)
	v_fma_f32 v1, -v0, v33, v27
	v_mov_b32_e32 v28, s9
	s_waitcnt lgkmcnt(5)
	v_fma_f32 v49, -v0, v49, v26
	s_waitcnt lgkmcnt(4)
	v_fma_f32 v25, -v0, v37, v25
	s_waitcnt lgkmcnt(1)
	v_fma_f32 v41, -v0, v41, v2
	v_mul_f32_e32 v1, v34, v1
	ds_load_2addr_b32 v[26:27], v76 offset0:140 offset1:145
	ds_load_2addr_b32 v[33:34], v76 offset0:168 offset1:196
	s_waitcnt lgkmcnt(2)
	v_fma_f32 v8, -v0, v45, v8
	s_add_i32 s9, s3, 0x46c
	v_fma_f32 v37, -v1, v50, v49
	v_fma_f32 v25, -v1, v38, v25
	ds_load_2addr_b32 v[49:50], v76 offset0:141 offset1:142
	ds_load_2addr_b32 v[58:59], v76 offset0:143 offset1:144
	;; [unrolled: 1-line block ×5, first 2 shown]
	v_fma_f32 v45, -v1, v42, v41
	v_fma_f32 v8, -v1, v46, v8
	v_mul_f32_e32 v2, v51, v37
	ds_load_2addr_b32 v[37:38], v76 offset0:173 offset1:174
	ds_load_2addr_b32 v[51:52], v76 offset0:197 offset1:198
	;; [unrolled: 1-line block ×8, first 2 shown]
	v_fma_f32 v25, -v2, v39, v25
	v_mov_b32_e32 v80, s11
	v_fma_f32 v43, -v2, v43, v45
	v_fma_f32 v8, -v2, v47, v8
	s_waitcnt lgkmcnt(14)
	v_fma_f32 v39, -v0, v26, v3
	v_mul_f32_e32 v3, v40, v25
	s_waitcnt lgkmcnt(13)
	v_fma_f32 v4, -v0, v33, v4
	ds_load_2addr_b32 v[25:26], v77 offset0:124 offset1:133
	v_fma_f32 v5, -v0, v34, v5
	s_waitcnt lgkmcnt(13)
	v_fma_f32 v33, -v1, v49, v39
	v_fma_f32 v47, -v3, v44, v43
	ds_load_2addr_b32 v[39:40], v76 offset0:253 offset1:254
	ds_load_2addr_b32 v[43:44], v28 offset1:1
	ds_load_2addr_b32 v[45:46], v79 offset1:1
	;; [unrolled: 1-line block ×3, first 2 shown]
	s_waitcnt lgkmcnt(15)
	v_fma_f32 v28, -v1, v60, v4
	v_fma_f32 v8, -v3, v48, v8
	s_waitcnt lgkmcnt(11)
	v_fma_f32 v34, -v1, v51, v5
	v_mul_f32_e32 v4, v53, v47
	v_fma_f32 v7, -v0, v65, v7
	s_delay_alu instid0(VALU_DEP_2) | instskip(SKIP_1) | instid1(VALU_DEP_2)
	v_fma_f32 v8, -v4, v35, v8
	s_waitcnt lgkmcnt(8)
	v_fma_f32 v7, -v1, v41, v7
	s_delay_alu instid0(VALU_DEP_2)
	v_mul_f32_e32 v5, v36, v8
	v_fma_f32 v33, -v2, v50, v33
	v_fma_f32 v28, -v2, v61, v28
	;; [unrolled: 1-line block ×3, first 2 shown]
	s_waitcnt lgkmcnt(4)
	v_fma_f32 v6, -v0, v25, v6
	v_fma_f32 v7, -v2, v42, v7
	;; [unrolled: 1-line block ×5, first 2 shown]
	s_delay_alu instid0(VALU_DEP_4) | instskip(NEXT) | instid1(VALU_DEP_4)
	v_fma_f32 v7, -v3, v70, v7
	v_fma_f32 v33, -v4, v59, v33
	s_delay_alu instid0(VALU_DEP_1)
	v_fma_f32 v27, -v5, v27, v33
	v_mov_b32_e32 v33, s14
	v_fma_f32 v25, -v4, v63, v28
	s_waitcnt lgkmcnt(3)
	v_fma_f32 v28, -v1, v39, v6
	v_fma_f32 v8, -v4, v67, v8
	v_mul_f32_e32 v6, v54, v27
	v_fma_f32 v7, -v4, v71, v7
	v_fma_f32 v25, -v5, v37, v25
	;; [unrolled: 1-line block ×3, first 2 shown]
	ds_load_2addr_b32 v[27:28], v78 offset0:24 offset1:52
	v_fma_f32 v8, -v5, v68, v8
	v_fma_f32 v35, -v5, v72, v7
	;; [unrolled: 1-line block ×3, first 2 shown]
	s_waitcnt lgkmcnt(3)
	v_fma_f32 v36, -v3, v43, v34
	ds_load_2addr_b32 v[33:34], v33 offset1:1
	v_mov_b32_e32 v39, s10
	v_add_nc_u32_e64 v43, 0x400, s7
	v_mul_f32_e32 v7, v55, v25
	v_fma_f32 v8, -v6, v69, v8
	v_fma_f32 v25, -v6, v73, v35
	;; [unrolled: 1-line block ×3, first 2 shown]
	v_mov_b32_e32 v36, s9
	s_add_i32 s9, s3, 0x474
	v_fma_f32 v8, -v7, v64, v8
	v_fma_f32 v25, -v7, v74, v25
	s_waitcnt lgkmcnt(3)
	v_fma_f32 v37, -v5, v45, v35
	ds_load_2addr_b32 v[35:36], v36 offset1:1
	v_mov_b32_e32 v38, s9
	s_add_i32 s9, s3, 0x4d4
	v_mul_f32_e32 v8, v56, v8
	s_waitcnt lgkmcnt(2)
	v_fma_f32 v9, -v0, v27, v9
	v_fma_f32 v27, -v6, v46, v37
	s_add_i32 s7, s3, 0x4dc
	v_fma_f32 v24, -v0, v28, v24
	s_waitcnt lgkmcnt(1)
	v_fma_f32 v9, -v1, v33, v9
	v_mov_b32_e32 v33, s9
	v_fma_f32 v25, -v8, v75, v25
	v_fma_f32 v27, -v7, v76, v27
	s_add_i32 s9, s3, 0x4ec
	v_fma_f32 v41, -v2, v34, v9
	s_delay_alu instid0(VALU_DEP_3)
	v_mul_f32_e32 v9, v57, v25
	ds_load_2addr_b32 v[37:38], v38 offset1:1
	ds_load_2addr_b32 v[39:40], v39 offset1:1
	;; [unrolled: 1-line block ×3, first 2 shown]
	v_fma_f32 v25, -v8, v77, v27
	s_waitcnt lgkmcnt(3)
	v_fma_f32 v27, -v3, v35, v41
	ds_load_2addr_b32 v[44:45], v43 offset0:34 offset1:63
	ds_load_2addr_b32 v[49:50], v78 offset0:63 offset1:80
	v_fma_f32 v48, -v9, v26, v25
	v_mov_b32_e32 v25, s7
	v_fma_f32 v26, -v4, v36, v27
	s_add_i32 s7, s3, 0x4e4
	v_mov_b32_e32 v27, s9
	s_add_i32 s9, s3, 0x55c
	ds_load_2addr_b32 v[35:36], v25 offset1:1
	v_mov_b32_e32 v25, s7
	s_add_i32 s7, s3, 0x544
	ds_load_2addr_b32 v[41:42], v25 offset1:1
	ds_load_2addr_b32 v[46:47], v27 offset1:1
	v_mov_b32_e32 v28, s7
	s_add_i32 s7, s3, 0x484
	s_waitcnt lgkmcnt(5)
	v_fma_f32 v24, -v1, v33, v24
	v_fma_f32 v25, -v5, v37, v26
	v_mov_b32_e32 v26, s7
	ds_load_2addr_b32 v[51:52], v28 offset1:1
	s_add_i32 s7, s3, 0x54c
	v_fma_f32 v28, -v2, v34, v24
	v_fma_f32 v34, -v6, v38, v25
	ds_load_2addr_b32 v[53:54], v26 offset1:1
	ds_load_b128 v[24:27], v19 offset:1568
	v_mov_b32_e32 v33, s7
	s_add_i32 s7, s3, 0x554
	s_waitcnt lgkmcnt(6)
	v_fma_f32 v10, -v0, v50, v10
	s_waitcnt lgkmcnt(5)
	v_fma_f32 v28, -v3, v35, v28
	v_mov_b32_e32 v35, s9
	ds_load_2addr_b32 v[37:38], v33 offset1:1
	v_mov_b32_e32 v33, s7
	s_add_i32 s7, s3, 0x4f4
	v_fma_f32 v28, -v4, v36, v28
	v_fma_f32 v34, -v7, v39, v34
	s_waitcnt lgkmcnt(5)
	s_delay_alu instid0(VALU_DEP_2) | instskip(NEXT) | instid1(VALU_DEP_2)
	v_fma_f32 v28, -v5, v41, v28
	v_fma_f32 v39, -v8, v40, v34
	s_delay_alu instid0(VALU_DEP_2)
	v_fma_f32 v28, -v6, v42, v28
	s_waitcnt lgkmcnt(1)
	v_fma_f32 v23, -v0, v24, v23
	v_mov_b32_e32 v24, s7
	s_add_i32 s7, s3, 0x564
	s_addk_i32 s3, 0x56c
	v_fma_f32 v41, -v9, v53, v39
	v_mov_b32_e32 v42, s3
	ds_load_2addr_b32 v[55:56], v33 offset1:1
	ds_load_2addr_b32 v[57:58], v35 offset1:1
	v_fma_f32 v33, -v1, v51, v10
	v_fma_f32 v23, -v1, v25, v23
	ds_load_2addr_b32 v[50:51], v24 offset1:1
	v_dual_mov_b32 v25, s7 :: v_dual_mul_f32 v10, v44, v48
	v_fma_f32 v40, -v2, v52, v33
	ds_load_b128 v[33:36], v19 offset:1584
	v_fma_f32 v23, -v2, v26, v23
	v_fma_f32 v26, -v7, v46, v28
	;; [unrolled: 1-line block ×3, first 2 shown]
	s_waitcnt lgkmcnt(4)
	v_fma_f32 v37, -v3, v37, v40
	s_mul_i32 s3, s5, 28
	v_fma_f32 v23, -v3, v27, v23
	ds_load_2addr_b32 v[27:28], v25 offset1:1
	v_fma_f32 v47, -v8, v47, v26
	v_fma_f32 v24, -v4, v38, v37
	ds_load_b128 v[37:40], v19 offset:1680
	s_add_i32 s3, s3, s4
	s_add_i32 s4, s4, 24
	s_lshl_b32 s3, s3, 2
	s_waitcnt lgkmcnt(5)
	v_fma_f32 v24, -v5, v55, v24
	v_mov_b32_e32 v73, s3
	s_delay_alu instid0(VALU_DEP_2)
	v_fma_f32 v41, -v6, v56, v24
	s_waitcnt lgkmcnt(2)
	v_fma_f32 v33, -v4, v33, v23
	ds_load_2addr_b32 v[59:60], v43 offset0:92 offset1:121
	ds_load_b128 v[23:26], v19 offset:1600
	ds_load_b96 v[61:63], v19 offset:1616
	v_fma_f32 v48, -v7, v57, v41
	v_fma_f32 v33, -v5, v34, v33
	ds_load_2addr_b32 v[56:57], v42 offset1:1
	ds_load_b128 v[41:44], v19 offset:1696
	s_waitcnt lgkmcnt(5)
	v_fma_f32 v34, -v0, v37, v11
	v_fma_f32 v37, -v9, v50, v47
	;; [unrolled: 1-line block ×4, first 2 shown]
	v_mul_f32_e32 v11, v45, v46
	v_fma_f32 v34, -v1, v38, v34
	ds_load_b128 v[45:48], v19 offset:1792
	v_fma_f32 v35, -v10, v51, v37
	v_fma_f32 v27, -v9, v27, v50
	;; [unrolled: 1-line block ×4, first 2 shown]
	s_delay_alu instid0(VALU_DEP_4) | instskip(NEXT) | instid1(VALU_DEP_4)
	v_fma_f32 v37, -v11, v49, v35
	v_fma_f32 v27, -v10, v28, v27
	s_waitcnt lgkmcnt(4)
	v_fma_f32 v28, -v8, v23, v33
	v_fma_f32 v38, -v3, v40, v34
	ds_load_b128 v[33:36], v19 offset:1904
	v_mul_f32_e32 v23, v59, v37
	s_waitcnt lgkmcnt(3)
	v_fma_f32 v27, -v11, v56, v27
	v_fma_f32 v24, -v9, v24, v28
	s_waitcnt lgkmcnt(2)
	v_fma_f32 v28, -v4, v41, v38
	ds_load_b128 v[37:40], v19 offset:1808
	ds_load_b128 v[49:52], v19 offset:2016
	;; [unrolled: 1-line block ×3, first 2 shown]
	ds_load_b32 v69, v19 offset:1856
	v_fma_f32 v27, -v23, v57, v27
	v_fma_f32 v25, -v10, v25, v24
	;; [unrolled: 1-line block ×3, first 2 shown]
	s_waitcnt lgkmcnt(5)
	v_fma_f32 v22, -v0, v45, v22
	v_mul_f32_e32 v24, v60, v27
	v_fma_f32 v64, -v11, v26, v25
	v_fma_f32 v41, -v6, v43, v28
	ds_load_b128 v[25:28], v19 offset:1920
	v_fma_f32 v22, -v1, v46, v22
	ds_load_b128 v[57:60], v19 offset:1824
	v_fma_f32 v61, -v23, v61, v64
	s_waitcnt lgkmcnt(6)
	v_fma_f32 v21, -v0, v33, v21
	v_fma_f32 v22, -v2, v47, v22
	;; [unrolled: 1-line block ×3, first 2 shown]
	ds_load_b128 v[41:44], v19 offset:1728
	s_waitcnt lgkmcnt(5)
	v_fma_f32 v20, -v0, v49, v20
	v_fma_f32 v21, -v1, v34, v21
	;; [unrolled: 1-line block ×3, first 2 shown]
	ds_load_b128 v[45:48], v19 offset:2032
	s_waitcnt lgkmcnt(5)
	v_fma_f32 v33, -v8, v53, v33
	v_fma_f32 v20, -v1, v50, v20
	;; [unrolled: 1-line block ×4, first 2 shown]
	s_delay_alu instid0(VALU_DEP_4) | instskip(NEXT) | instid1(VALU_DEP_4)
	v_fma_f32 v33, -v9, v54, v33
	v_fma_f32 v20, -v2, v51, v20
	s_delay_alu instid0(VALU_DEP_4) | instskip(NEXT) | instid1(VALU_DEP_4)
	v_fma_f32 v21, -v3, v36, v21
	v_fma_f32 v22, -v5, v38, v22
	s_delay_alu instid0(VALU_DEP_4)
	v_fma_f32 v37, -v10, v55, v33
	ds_load_b128 v[33:36], v19 offset:1936
	s_waitcnt lgkmcnt(4)
	v_fma_f32 v21, -v4, v25, v21
	v_fma_f32 v22, -v6, v39, v22
	v_fma_f32 v20, -v3, v52, v20
	ds_load_b128 v[49:52], v19 offset:2128
	v_fma_f32 v25, -v11, v56, v37
	v_fma_f32 v21, -v5, v26, v21
	;; [unrolled: 1-line block ×3, first 2 shown]
	s_waitcnt lgkmcnt(2)
	v_fma_f32 v20, -v4, v45, v20
	ds_load_b128 v[37:40], v19 offset:2048
	ds_load_b128 v[53:56], v19 offset:1840
	v_fma_f32 v26, -v24, v62, v61
	v_fma_f32 v21, -v6, v27, v21
	;; [unrolled: 1-line block ×5, first 2 shown]
	v_mul_f32_e32 v25, v63, v26
	v_fma_f32 v21, -v7, v28, v21
	v_fma_f32 v22, -v9, v58, v22
	;; [unrolled: 1-line block ×3, first 2 shown]
	ds_load_b128 v[61:64], v19 offset:1952
	v_fma_f32 v26, -v24, v42, v27
	ds_load_b64 v[27:28], v19 offset:1968
	s_waitcnt lgkmcnt(5)
	v_fma_f32 v21, -v8, v33, v21
	v_fma_f32 v22, -v10, v59, v22
	;; [unrolled: 1-line block ×3, first 2 shown]
	s_waitcnt lgkmcnt(4)
	v_fma_f32 v18, -v0, v49, v18
	ds_load_b128 v[45:48], v19 offset:2144
	ds_load_b128 v[65:68], v19 offset:2064
	v_fma_f32 v21, -v9, v34, v21
	v_fma_f32 v22, -v11, v60, v22
	;; [unrolled: 1-line block ×4, first 2 shown]
	s_waitcnt lgkmcnt(5)
	v_fma_f32 v20, -v8, v37, v20
	v_fma_f32 v21, -v10, v35, v21
	s_waitcnt lgkmcnt(4)
	v_fma_f32 v22, -v23, v53, v22
	v_fma_f32 v18, -v2, v51, v18
	v_mul_f32_e32 v26, v44, v26
	v_fma_f32 v20, -v9, v38, v20
	v_fma_f32 v21, -v11, v36, v21
	ds_load_b128 v[33:36], v19 offset:2240
	v_fma_f32 v22, -v24, v54, v22
	v_fma_f32 v18, -v3, v52, v18
	;; [unrolled: 1-line block ×3, first 2 shown]
	s_waitcnt lgkmcnt(4)
	v_fma_f32 v21, -v23, v61, v21
	v_fma_f32 v41, -v25, v55, v22
	s_waitcnt lgkmcnt(2)
	v_fma_f32 v18, -v4, v45, v18
	s_delay_alu instid0(VALU_DEP_3) | instskip(NEXT) | instid1(VALU_DEP_3)
	v_fma_f32 v42, -v24, v62, v21
	v_fma_f32 v45, -v26, v56, v41
	ds_load_b128 v[53:56], v19 offset:2464
	v_fma_f32 v18, -v5, v46, v18
	v_fma_f32 v46, -v25, v63, v42
	s_delay_alu instid0(VALU_DEP_2) | instskip(NEXT) | instid1(VALU_DEP_2)
	v_fma_f32 v18, -v6, v47, v18
	v_fma_f32 v50, -v26, v64, v46
	s_waitcnt lgkmcnt(1)
	v_fma_f32 v17, -v0, v33, v17
	v_mul_f32_e32 v33, v69, v45
	v_fma_f32 v18, -v7, v48, v18
	ds_load_b128 v[45:48], v19 offset:2352
	v_fma_f32 v17, -v1, v34, v17
	v_fma_f32 v27, -v33, v27, v50
	s_delay_alu instid0(VALU_DEP_2) | instskip(NEXT) | instid1(VALU_DEP_2)
	v_fma_f32 v17, -v2, v35, v17
	v_mul_f32_e32 v34, v28, v27
	v_fma_f32 v20, -v11, v40, v20
	ds_load_b128 v[37:40], v19 offset:2160
	s_waitcnt lgkmcnt(2)
	v_fma_f32 v15, -v0, v53, v15
	v_fma_f32 v17, -v3, v36, v17
	;; [unrolled: 1-line block ×3, first 2 shown]
	ds_load_b96 v[20:22], v19 offset:2080
	v_fma_f32 v49, -v24, v66, v43
	ds_load_b128 v[41:44], v19 offset:2256
	s_waitcnt lgkmcnt(3)
	v_fma_f32 v16, -v0, v45, v16
	v_fma_f32 v49, -v25, v67, v49
	s_delay_alu instid0(VALU_DEP_2) | instskip(SKIP_2) | instid1(VALU_DEP_3)
	v_fma_f32 v16, -v1, v46, v16
	s_waitcnt lgkmcnt(2)
	v_fma_f32 v18, -v8, v37, v18
	v_fma_f32 v37, -v26, v68, v49
	ds_load_b128 v[49:52], v19 offset:2176
	v_fma_f32 v16, -v2, v47, v16
	v_fma_f32 v18, -v9, v38, v18
	s_waitcnt lgkmcnt(2)
	v_fma_f32 v20, -v33, v20, v37
	s_delay_alu instid0(VALU_DEP_3) | instskip(NEXT) | instid1(VALU_DEP_3)
	v_fma_f32 v27, -v3, v48, v16
	v_fma_f32 v18, -v10, v39, v18
	ds_load_b128 v[36:39], v73
	ds_load_b128 v[57:60], v19 offset:2272
	ds_load_b128 v[61:64], v19 offset:2368
	s_waitcnt lgkmcnt(4)
	v_fma_f32 v17, -v4, v41, v17
	v_fma_f32 v20, -v34, v21, v20
	ds_load_b128 v[65:68], v19 offset:2192
	v_fma_f32 v18, -v11, v40, v18
	ds_load_b128 v[69:72], v19 offset:2384
	v_fma_f32 v17, -v5, v42, v17
	v_mul_f32_e32 v35, v22, v20
	v_fma_f32 v22, -v1, v54, v15
	s_waitcnt lgkmcnt(5)
	v_fma_f32 v18, -v23, v49, v18
	v_fma_f32 v17, -v6, v43, v17
	ds_load_b128 v[40:43], v19 offset:2480
	v_fma_f32 v22, -v2, v55, v22
	v_fma_f32 v20, -v24, v50, v18
	;; [unrolled: 1-line block ×3, first 2 shown]
	ds_load_b128 v[15:18], v73 offset:16
	s_waitcnt lgkmcnt(6)
	v_fma_f32 v14, -v0, v36, v14
	s_waitcnt lgkmcnt(4)
	v_fma_f32 v27, -v4, v61, v27
	v_fma_f32 v22, -v3, v56, v22
	;; [unrolled: 1-line block ×3, first 2 shown]
	ds_load_b128 v[48:51], v19 offset:2496
	v_fma_f32 v14, -v1, v37, v14
	v_fma_f32 v27, -v5, v62, v27
	ds_load_b128 v[44:47], v19 offset:2288
	v_fma_f32 v21, -v8, v57, v21
	v_fma_f32 v20, -v26, v52, v20
	;; [unrolled: 1-line block ×4, first 2 shown]
	ds_load_b128 v[52:55], v19 offset:2400
	v_fma_f32 v21, -v9, v58, v21
	s_waitcnt lgkmcnt(4)
	v_fma_f32 v22, -v4, v40, v22
	v_fma_f32 v14, -v3, v39, v14
	ds_load_b128 v[36:39], v73 offset:32
	v_fma_f32 v20, -v33, v65, v20
	v_fma_f32 v21, -v10, v59, v21
	;; [unrolled: 1-line block ×3, first 2 shown]
	s_waitcnt lgkmcnt(4)
	v_fma_f32 v14, -v4, v15, v14
	v_fma_f32 v15, -v7, v64, v27
	v_fma_f32 v20, -v34, v66, v20
	v_fma_f32 v21, -v11, v60, v21
	v_fma_f32 v22, -v6, v42, v22
	v_fma_f32 v14, -v5, v16, v14
	v_fma_f32 v15, -v8, v69, v15
	v_fma_f32 v20, -v35, v67, v20
	ds_load_b128 v[56:59], v73 offset:48
	v_fma_f32 v22, -v7, v43, v22
	v_fma_f32 v27, -v6, v17, v14
	;; [unrolled: 1-line block ×3, first 2 shown]
	ds_load_b128 v[14:17], v19 offset:2512
	ds_load_b128 v[40:43], v19 offset:2304
	s_waitcnt lgkmcnt(6)
	v_fma_f32 v22, -v8, v48, v22
	ds_load_b32 v48, v19 offset:2320
	v_fma_f32 v18, -v7, v18, v27
	v_fma_f32 v27, -v10, v71, v28
	ds_load_b128 v[60:63], v19 offset:2416
	v_fma_f32 v22, -v9, v49, v22
	s_waitcnt lgkmcnt(5)
	v_fma_f32 v18, -v8, v36, v18
	v_mul_f32_e32 v36, v68, v20
	v_fma_f32 v21, -v23, v44, v21
	v_fma_f32 v27, -v11, v72, v27
	;; [unrolled: 1-line block ×4, first 2 shown]
	s_delay_alu instid0(VALU_DEP_4) | instskip(NEXT) | instid1(VALU_DEP_4)
	v_fma_f32 v21, -v24, v45, v21
	v_fma_f32 v27, -v23, v52, v27
	s_delay_alu instid0(VALU_DEP_4) | instskip(NEXT) | instid1(VALU_DEP_4)
	v_fma_f32 v22, -v11, v51, v22
	v_fma_f32 v18, -v10, v38, v18
	;; [unrolled: 3-line block ×3, first 2 shown]
	s_delay_alu instid0(VALU_DEP_3) | instskip(NEXT) | instid1(VALU_DEP_3)
	v_fma_f32 v18, -v11, v39, v18
	v_fma_f32 v21, -v26, v47, v21
	ds_load_b128 v[44:47], v19 offset:2528
	s_waitcnt lgkmcnt(4)
	v_fma_f32 v14, -v23, v14, v22
	v_fma_f32 v22, -v25, v54, v27
	ds_load_b64 v[27:28], v19 offset:2432
	s_waitcnt lgkmcnt(4)
	v_fma_f32 v21, -v33, v40, v21
	ds_load_b128 v[37:40], v73 offset:64
	v_fma_f32 v14, -v24, v15, v14
	v_fma_f32 v15, -v23, v56, v18
	;; [unrolled: 1-line block ×4, first 2 shown]
	s_delay_alu instid0(VALU_DEP_4) | instskip(NEXT) | instid1(VALU_DEP_4)
	v_fma_f32 v14, -v25, v16, v14
	v_fma_f32 v15, -v24, v57, v15
	s_waitcnt lgkmcnt(3)
	v_fma_f32 v16, -v33, v60, v18
	s_delay_alu instid0(VALU_DEP_3) | instskip(NEXT) | instid1(VALU_DEP_3)
	v_fma_f32 v14, -v26, v17, v14
	v_fma_f32 v15, -v25, v58, v15
	;; [unrolled: 1-line block ×3, first 2 shown]
	ds_load_b96 v[20:22], v19 offset:2544
	v_fma_f32 v16, -v34, v61, v16
	s_waitcnt lgkmcnt(3)
	v_fma_f32 v14, -v33, v44, v14
	v_fma_f32 v18, -v26, v59, v15
	;; [unrolled: 1-line block ×4, first 2 shown]
	s_delay_alu instid0(VALU_DEP_4)
	v_fma_f32 v42, -v34, v45, v14
	ds_load_b128 v[14:17], v73 offset:80
	s_waitcnt lgkmcnt(2)
	v_fma_f32 v37, -v33, v37, v18
	v_mul_f32_e32 v18, v48, v19
	v_fma_f32 v19, -v36, v63, v41
	v_fma_f32 v41, -v35, v46, v42
	s_clause 0x1
	global_store_b128 v[12:13], v[0:3], off
	global_store_b128 v[12:13], v[4:7], off offset:16
	v_fma_f32 v37, -v34, v38, v37
	v_fma_f32 v19, -v18, v27, v19
	;; [unrolled: 1-line block ×3, first 2 shown]
	s_delay_alu instid0(VALU_DEP_3) | instskip(NEXT) | instid1(VALU_DEP_3)
	v_fma_f32 v37, -v35, v39, v37
	v_mul_f32_e32 v19, v28, v19
	s_waitcnt lgkmcnt(1)
	s_delay_alu instid0(VALU_DEP_3) | instskip(NEXT) | instid1(VALU_DEP_3)
	v_fma_f32 v20, -v18, v20, v27
	v_fma_f32 v27, -v36, v40, v37
	s_delay_alu instid0(VALU_DEP_2) | instskip(SKIP_1) | instid1(VALU_DEP_2)
	v_fma_f32 v20, -v19, v21, v20
	s_waitcnt lgkmcnt(0)
	v_fma_f32 v14, -v18, v14, v27
	s_delay_alu instid0(VALU_DEP_2) | instskip(NEXT) | instid1(VALU_DEP_2)
	v_mul_f32_e32 v20, v22, v20
	v_fma_f32 v14, -v19, v15, v14
	s_delay_alu instid0(VALU_DEP_1) | instskip(NEXT) | instid1(VALU_DEP_1)
	v_fma_f32 v14, -v20, v16, v14
	v_mul_f32_e32 v21, v17, v14
	s_clause 0x3
	global_store_b128 v[12:13], v[8:11], off offset:32
	global_store_b128 v[12:13], v[23:26], off offset:48
	;; [unrolled: 1-line block ×4, first 2 shown]
.LBB32_20:
	s_cmp_ge_i32 s4, s2
	s_cbranch_scc1 .LBB32_31
; %bb.21:
	s_add_i32 s3, s4, -1
	s_add_u32 s5, s12, s0
	s_addc_u32 s7, s13, s1
	v_add_co_u32 v6, vcc_lo, s5, v31
	v_add_co_ci_u32_e32 v7, vcc_lo, s7, v32, vcc_lo
	s_mul_i32 s7, s4, 0x70
	s_delay_alu instid0(VALU_DEP_2) | instskip(NEXT) | instid1(VALU_DEP_2)
	v_add_co_u32 v0, vcc_lo, v6, 28
	v_add_co_ci_u32_e32 v1, vcc_lo, 0, v7, vcc_lo
	s_mov_b32 s11, 0
	s_mov_b32 s14, s4
	;; [unrolled: 1-line block ×3, first 2 shown]
	s_branch .LBB32_23
.LBB32_22:                              ;   in Loop: Header=BB32_23 Depth=1
	s_mul_i32 s5, s4, 0x74
	v_add_nc_u16 v5, s14, 1
	v_mov_b32_e32 v4, s5
	s_add_i32 s4, s4, 1
	s_add_i32 s9, s9, 1
	s_addk_i32 s7, 0x70
	v_readfirstlane_b32 s14, v5
	ds_load_b32 v4, v4
	s_cmp_ge_i32 s4, s2
	s_waitcnt lgkmcnt(0)
	v_mul_f32_e32 v4, v4, v8
	global_store_b32 v[2:3], v4, off
	s_cbranch_scc1 .LBB32_31
.LBB32_23:                              ; =>This Loop Header: Depth=1
                                        ;     Child Loop BB32_26 Depth 2
                                        ;     Child Loop BB32_30 Depth 2
	s_ashr_i32 s5, s4, 31
	s_delay_alu instid0(SALU_CYCLE_1)
	s_lshl_b64 s[16:17], s[4:5], 2
	s_cmp_eq_u32 s4, 0
	v_add_co_u32 v2, vcc_lo, v29, s16
	v_add_co_ci_u32_e32 v3, vcc_lo, s17, v30, vcc_lo
	global_load_b32 v4, v[2:3], off
	s_waitcnt vmcnt(0)
	v_mul_f32_e32 v8, s15, v4
	s_cbranch_scc1 .LBB32_22
; %bb.24:                               ;   in Loop: Header=BB32_23 Depth=1
	s_add_i32 s5, s3, s9
	s_delay_alu instid0(SALU_CYCLE_1)
	s_cmp_lt_u32 s5, 7
	s_cbranch_scc1 .LBB32_28
; %bb.25:                               ;   in Loop: Header=BB32_23 Depth=1
	v_dual_mov_b32 v5, v1 :: v_dual_mov_b32 v4, v0
	s_and_b32 s10, s4, -8
	s_mov_b32 s5, 0
	s_mov_b32 s16, s7
	.p2align	6
.LBB32_26:                              ;   Parent Loop BB32_23 Depth=1
                                        ; =>  This Inner Loop Header: Depth=2
	s_clause 0x1
	global_load_b128 v[9:12], v[4:5], off offset:-28
	global_load_b128 v[13:16], v[4:5], off offset:-12
	v_mov_b32_e32 v21, s16
	v_add_co_u32 v4, vcc_lo, v4, 32
	v_add_co_ci_u32_e32 v5, vcc_lo, 0, v5, vcc_lo
	ds_load_b128 v[17:20], v21
	ds_load_b128 v[21:24], v21 offset:16
	s_add_i32 s5, s5, 8
	s_add_i32 s16, s16, 32
	s_cmp_lg_u32 s10, s5
	s_waitcnt vmcnt(1) lgkmcnt(1)
	v_fma_f32 v8, -v9, v17, v8
	s_delay_alu instid0(VALU_DEP_1) | instskip(NEXT) | instid1(VALU_DEP_1)
	v_fma_f32 v8, -v10, v18, v8
	v_fma_f32 v8, -v11, v19, v8
	s_delay_alu instid0(VALU_DEP_1) | instskip(SKIP_1) | instid1(VALU_DEP_1)
	v_fma_f32 v8, -v12, v20, v8
	s_waitcnt vmcnt(0) lgkmcnt(0)
	v_fma_f32 v8, -v13, v21, v8
	s_delay_alu instid0(VALU_DEP_1) | instskip(NEXT) | instid1(VALU_DEP_1)
	v_fma_f32 v8, -v14, v22, v8
	v_fma_f32 v8, -v15, v23, v8
	s_delay_alu instid0(VALU_DEP_1)
	v_fma_f32 v8, -v16, v24, v8
	s_cbranch_scc1 .LBB32_26
; %bb.27:                               ;   in Loop: Header=BB32_23 Depth=1
	s_and_b32 s5, s4, 7
	s_delay_alu instid0(SALU_CYCLE_1)
	s_cmp_eq_u32 s5, 0
	s_cbranch_scc0 .LBB32_29
	s_branch .LBB32_22
.LBB32_28:                              ;   in Loop: Header=BB32_23 Depth=1
	s_mov_b32 s10, 0
	s_and_b32 s5, s4, 7
	s_delay_alu instid0(SALU_CYCLE_1)
	s_cmp_eq_u32 s5, 0
	s_cbranch_scc1 .LBB32_22
.LBB32_29:                              ;   in Loop: Header=BB32_23 Depth=1
	s_lshl_b64 s[16:17], s[10:11], 2
	s_and_b32 s5, s14, 7
	v_add_co_u32 v4, vcc_lo, v6, s16
	v_add_co_ci_u32_e32 v5, vcc_lo, s17, v7, vcc_lo
	s_lshl_b32 s10, s10, 2
.LBB32_30:                              ;   Parent Loop BB32_23 Depth=1
                                        ; =>  This Inner Loop Header: Depth=2
	global_load_b32 v9, v[4:5], off
	s_add_i32 s16, s7, s10
	v_add_co_u32 v4, vcc_lo, v4, 4
	v_mov_b32_e32 v10, s16
	v_add_co_ci_u32_e32 v5, vcc_lo, 0, v5, vcc_lo
	s_add_i32 s5, s5, -1
	s_add_i32 s10, s10, 4
	ds_load_b32 v10, v10
	s_cmp_lg_u32 s5, 0
	s_waitcnt vmcnt(0) lgkmcnt(0)
	v_fma_f32 v8, -v9, v10, v8
	s_cbranch_scc1 .LBB32_30
	s_branch .LBB32_22
.LBB32_31:
	s_mov_b32 s3, 0
.LBB32_32:
	s_delay_alu instid0(SALU_CYCLE_1)
	s_and_b32 vcc_lo, exec_lo, s3
	s_cbranch_vccz .LBB32_54
; %bb.33:
	s_cmp_gt_i32 s6, 27
	s_mov_b32 s4, s8
	s_cbranch_scc0 .LBB32_35
; %bb.34:
	s_ashr_i32 s9, s8, 31
	s_mov_b32 s3, 0
	s_lshl_b64 s[4:5], s[8:9], 2
	s_mul_i32 s7, s8, 0x74
	v_add_co_u32 v33, vcc_lo, v29, s4
	v_add_co_ci_u32_e32 v34, vcc_lo, s5, v30, vcc_lo
	s_lshl_b64 s[4:5], s[2:3], 2
	s_add_i32 s9, s2, -4
	v_add_co_u32 v0, vcc_lo, v29, s4
	global_load_b32 v27, v[33:34], off
	v_add_co_ci_u32_e32 v1, vcc_lo, s5, v30, vcc_lo
	s_clause 0x5
	global_load_b128 v[12:15], v[0:1], off offset:-32
	global_load_b128 v[8:11], v[0:1], off offset:-48
	global_load_b128 v[4:7], v[0:1], off offset:-64
	global_load_b96 v[24:26], v[0:1], off offset:-16
	global_load_b128 v[16:19], v[0:1], off offset:-96
	global_load_b128 v[20:23], v[0:1], off offset:-80
	s_mul_i32 s4, s8, 28
	s_add_i32 s10, s2, -6
	s_add_i32 s24, s2, s4
	s_add_i32 s25, s7, 0xffffff8c
	s_lshl_b32 s24, s24, 2
	s_add_i32 s29, s7, 0xfffffea4
	s_add_i32 s31, s7, 0xfffffdbc
	s_addk_i32 s7, 0xfd48
	s_add_i32 s24, s24, -8
	s_mul_i32 s3, s2, 0x74
	s_add_i32 s16, s2, -11
	s_add_i32 s17, s2, -12
	s_add_i32 s26, s9, s4
	s_sub_i32 s27, s4, 28
	s_sub_i32 s28, s4, 56
	s_add_i32 s30, s10, s4
	s_add_i32 s5, s4, 0xffffff74
	;; [unrolled: 1-line block ×3, first 2 shown]
	v_dual_mov_b32 v36, s7 :: v_dual_mov_b32 v37, s24
	s_add_i32 s20, s2, -15
	s_add_i32 s21, s2, -16
	s_add_i32 s34, s3, 0xfffffbec
	s_add_i32 s39, s4, 0xfffffe94
	v_dual_mov_b32 v28, s25 :: v_dual_mov_b32 v35, s29
	s_lshl_b32 s25, s26, 2
	s_add_i32 s26, s9, s27
	s_add_i32 s9, s9, s28
	s_lshl_b32 s29, s30, 2
	s_add_i32 s27, s10, s27
	s_add_i32 s10, s10, s28
	;; [unrolled: 1-line block ×7, first 2 shown]
	s_add_i32 s18, s2, -13
	s_add_i32 s19, s2, -14
	s_add_i32 s37, s4, 0xfffffecc
	v_dual_mov_b32 v64, s31 :: v_dual_mov_b32 v65, s34
	s_add_i32 s34, s5, s20
	s_add_i32 s20, s20, s39
	s_add_i32 s39, s39, s21
	s_add_i32 s21, s21, s5
	s_lshl_b32 s9, s9, 2
	s_lshl_b32 s10, s10, 2
	;; [unrolled: 1-line block ×3, first 2 shown]
	s_delay_alu instid0(SALU_CYCLE_1)
	v_dual_mov_b32 v44, s25 :: v_dual_mov_b32 v73, s17
	s_lshl_b32 s25, s26, 2
	s_lshl_b32 s26, s27, 2
	;; [unrolled: 1-line block ×3, first 2 shown]
	s_add_i32 s31, s5, s18
	s_add_i32 s18, s18, s37
	;; [unrolled: 1-line block ×4, first 2 shown]
	s_lshl_b32 s20, s20, 2
	s_lshl_b32 s21, s21, 2
	v_dual_mov_b32 v46, s25 :: v_dual_mov_b32 v77, s20
	v_dual_mov_b32 v38, s9 :: v_dual_mov_b32 v79, s21
	s_add_i32 s25, s10, 0xffffff20
	s_delay_alu instid0(SALU_CYCLE_1) | instskip(SKIP_3) | instid1(SALU_CYCLE_1)
	v_dual_mov_b32 v68, s27 :: v_dual_mov_b32 v83, s25
	ds_load_b32 v94, v36
	ds_load_2addr_b32 v[36:37], v37 offset1:1
	s_lshl_b32 s19, s19, 2
	v_dual_mov_b32 v40, s29 :: v_dual_mov_b32 v75, s19
	global_load_b128 v[0:3], v[0:1], off offset:-112
	ds_load_2addr_b32 v[38:39], v38 offset1:1
	ds_load_b32 v110, v35
	ds_load_2addr_b32 v[40:41], v40 offset1:1
	ds_load_2addr_b32 v[42:43], v68 offset0:132 offset1:133
	s_add_i32 s11, s2, -9
	s_add_i32 s14, s2, -10
	s_add_i32 s33, s4, 0xffffff3c
	s_add_i32 s7, s5, s11
	;; [unrolled: 1-line block ×6, first 2 shown]
	s_lshl_b32 s28, s7, 2
	s_lshl_b32 s11, s11, 2
	;; [unrolled: 1-line block ×10, first 2 shown]
	v_dual_mov_b32 v82, s38 :: v_dual_mov_b32 v69, s11
	s_add_i32 s24, s10, 0xffffff90
	s_delay_alu instid0(SALU_CYCLE_1) | instskip(SKIP_4) | instid1(SALU_CYCLE_1)
	v_dual_mov_b32 v48, s26 :: v_dual_mov_b32 v81, s24
	s_sub_i32 s26, s27, 32
	s_add_i32 s27, s28, 0xffffff90
	s_add_i32 s11, s30, 0xffffff90
	s_add_i32 s28, s30, 0xfffffeb0
	v_dual_mov_b32 v50, s14 :: v_dual_mov_b32 v87, s28
	s_add_i32 s14, s30, 0xffffff20
	s_add_i32 s17, s31, 0xffffff20
	s_delay_alu instid0(SALU_CYCLE_1) | instskip(SKIP_1) | instid1(SALU_CYCLE_1)
	v_dual_mov_b32 v72, s33 :: v_dual_mov_b32 v89, s17
	s_add_i32 s30, s31, 0xfffffe40
	v_dual_mov_b32 v60, s18 :: v_dual_mov_b32 v91, s30
	s_add_i32 s18, s35, 0x4d0
	s_add_i32 s33, s35, 0x460
	s_delay_alu instid0(SALU_CYCLE_1)
	v_dual_mov_b32 v74, s35 :: v_dual_mov_b32 v93, s33
	s_add_i32 s35, s34, 0xffffff20
	s_sub_i32 s22, s2, 17
	s_add_i32 s36, s3, 0xfffffb04
	v_mov_b32_e32 v96, s35
	s_sub_i32 s23, s2, 18
	s_sub_i32 s6, s2, 19
	s_add_i32 s40, s3, 0xfffff934
	s_add_i32 s41, s4, 0xfffffe5c
	v_dual_mov_b32 v66, s36 :: v_dual_mov_b32 v67, s10
	s_add_i32 s36, s5, s22
	s_lshl_b32 s16, s16, 2
	s_lshl_b32 s37, s39, 2
	v_dual_mov_b32 v76, s40 :: v_dual_mov_b32 v71, s16
	s_add_i32 s22, s22, s41
	s_add_i32 s41, s41, s23
	;; [unrolled: 1-line block ×4, first 2 shown]
	s_lshl_b32 s36, s36, 2
	v_dual_mov_b32 v70, s29 :: v_dual_mov_b32 v85, s11
	s_add_i32 s16, s31, 0xffffff90
	s_add_i32 s29, s31, 0xfffffeb0
	s_addk_i32 s31, 0xfdd0
	s_add_i32 s20, s37, 0x5b0
	s_lshl_b32 s39, s41, 2
	s_lshl_b32 s7, s38, 2
	s_add_i32 s19, s34, 0xffffff90
	s_add_i32 s38, s34, 0xfffffeb0
	;; [unrolled: 1-line block ×4, first 2 shown]
	s_addk_i32 s34, 0xfcf0
	s_delay_alu instid0(SALU_CYCLE_1) | instskip(SKIP_2) | instid1(SALU_CYCLE_1)
	v_dual_mov_b32 v56, s26 :: v_dual_mov_b32 v101, s34
	s_add_i32 s23, s23, s5
	s_add_i32 s48, s36, 0xfffffdd0
	v_dual_mov_b32 v58, s31 :: v_dual_mov_b32 v111, s48
	s_lshl_b32 s23, s23, 2
	s_add_i32 s50, s36, 0xfffffcf0
	s_delay_alu instid0(SALU_CYCLE_1)
	v_dual_mov_b32 v62, s18 :: v_dual_mov_b32 v113, s50
	s_add_i32 s54, s39, 0x540
	v_dual_mov_b32 v92, s23 :: v_dual_mov_b32 v99, s41
	s_add_i32 s23, s7, 0xffffff90
	ds_load_b32 v115, v28
	ds_load_2addr_b32 v[44:45], v44 offset1:1
	ds_load_2addr_b32 v[46:47], v46 offset1:1
	;; [unrolled: 1-line block ×3, first 2 shown]
	s_add_i32 s44, s37, 0x4d0
	s_add_i32 s21, s36, 0xffffff90
	;; [unrolled: 1-line block ×4, first 2 shown]
	s_delay_alu instid0(SALU_CYCLE_1) | instskip(SKIP_2) | instid1(SALU_CYCLE_1)
	v_dual_mov_b32 v84, s27 :: v_dual_mov_b32 v103, s43
	s_add_i32 s10, s7, 0xffffff20
	s_add_i32 s45, s37, 0x460
	v_dual_mov_b32 v86, s14 :: v_dual_mov_b32 v105, s45
	s_add_i32 s14, s3, 0xfffff84c
	s_lshl_b32 s22, s22, 2
	v_dual_mov_b32 v78, s37 :: v_dual_mov_b32 v95, s19
	v_dual_mov_b32 v80, s22 :: v_dual_mov_b32 v97, s38
	s_add_i32 s22, s39, 0x690
	s_add_i32 s37, s36, 0xffffff20
	;; [unrolled: 1-line block ×5, first 2 shown]
	s_addk_i32 s36, 0xfc10
	v_mov_b32_e32 v108, s46
	s_add_i32 s52, s39, 0x620
	s_add_i32 s53, s39, 0x5b0
	v_dual_mov_b32 v88, s16 :: v_dual_mov_b32 v107, s37
	v_dual_mov_b32 v114, s51 :: v_dual_mov_b32 v121, s53
	;; [unrolled: 1-line block ×3, first 2 shown]
	s_addk_i32 s39, 0x4d0
	s_add_i32 s9, s7, 0xfffffeb0
	s_add_i32 s17, s7, 0xfffffdd0
	v_mov_b32_e32 v123, s23
	s_waitcnt vmcnt(7)
	v_dual_mul_f32 v35, s15, v27 :: v_dual_mov_b32 v98, s40
	ds_load_2addr_b32 v[50:51], v50 offset1:1
	ds_load_2addr_b32 v[27:28], v70 offset0:196 offset1:197
	ds_load_2addr_b32 v[52:53], v70 offset0:168 offset1:169
	ds_load_2addr_b32 v[54:55], v72 offset0:252 offset1:253
	ds_load_2addr_b32 v[56:57], v56 offset1:1
	ds_load_2addr_b32 v[58:59], v58 offset1:1
	;; [unrolled: 1-line block ×4, first 2 shown]
	s_waitcnt lgkmcnt(16)
	v_dual_mul_f32 v35, v37, v35 :: v_dual_mov_b32 v102, s20
	v_mov_b32_e32 v100, s42
	v_mov_b32_e32 v104, s44
	s_waitcnt lgkmcnt(13)
	s_delay_alu instid0(VALU_DEP_3)
	v_dual_mov_b32 v106, s21 :: v_dual_mul_f32 v37, v35, v41
	v_mul_f32_e32 v116, v35, v40
	s_waitcnt lgkmcnt(12)
	v_mul_f32_e32 v117, v35, v43
	v_mul_f32_e32 v118, v35, v42
	ds_load_2addr_b32 v[40:41], v77 offset1:1
	ds_load_2addr_b32 v[42:43], v102 offset1:1
	v_mov_b32_e32 v112, s49
	s_waitcnt vmcnt(6)
	v_fma_f32 v37, v15, s15, -v37
	v_fma_f32 v77, v14, s15, -v116
	;; [unrolled: 1-line block ×4, first 2 shown]
	ds_load_2addr_b32 v[12:13], v73 offset1:1
	ds_load_b32 v117, v66
	ds_load_2addr_b32 v[14:15], v72 offset0:224 offset1:225
	s_waitcnt lgkmcnt(11)
	v_mul_f32_e32 v28, v35, v28
	v_mul_f32_e32 v27, v35, v27
	s_waitcnt lgkmcnt(9)
	v_mul_f32_e32 v55, v35, v55
	v_mul_f32_e32 v54, v35, v54
	s_waitcnt lgkmcnt(5)
	v_mul_f32_e32 v62, v35, v62
	s_waitcnt vmcnt(5)
	v_fma_f32 v66, v11, s15, -v28
	v_fma_f32 v27, v10, s15, -v27
	;; [unrolled: 1-line block ×4, first 2 shown]
	ds_load_2addr_b32 v[8:9], v93 offset1:1
	ds_load_2addr_b32 v[10:11], v103 offset1:1
	;; [unrolled: 1-line block ×3, first 2 shown]
	s_waitcnt vmcnt(4)
	v_fma_f32 v62, v6, s15, -v62
	v_mul_f32_e32 v28, v35, v63
	v_mul_f32_e32 v36, v35, v36
	s_waitcnt lgkmcnt(6)
	v_mul_f32_e32 v43, v35, v43
	v_dual_mul_f32 v42, v35, v42 :: v_dual_mov_b32 v73, s36
	v_fma_f32 v63, v7, s15, -v28
	s_waitcnt vmcnt(3)
	v_fma_f32 v7, v26, s15, -v36
	v_fma_f32 v93, v5, s15, -v43
	ds_load_2addr_b32 v[5:6], v68 offset0:104 offset1:105
	v_fma_f32 v103, v4, s15, -v42
	v_mul_f32_e32 v4, v35, v45
	v_mul_f32_e32 v26, v35, v44
	v_dual_mul_f32 v28, v115, v7 :: v_dual_mov_b32 v115, s54
	s_delay_alu instid0(VALU_DEP_3) | instskip(NEXT) | instid1(VALU_DEP_3)
	v_fma_f32 v4, v25, s15, -v4
	v_fma_f32 v7, v24, s15, -v26
	ds_load_2addr_b32 v[24:25], v67 offset1:1
	v_fma_f32 v49, -v28, v49, v37
	ds_load_2addr_b32 v[36:37], v68 offset0:76 offset1:77
	v_fma_f32 v26, -v28, v47, v4
	v_fma_f32 v46, -v28, v46, v7
	;; [unrolled: 1-line block ×4, first 2 shown]
	s_waitcnt lgkmcnt(6)
	v_fma_f32 v66, -v28, v15, v118
	s_waitcnt lgkmcnt(5)
	v_fma_f32 v63, -v28, v9, v63
	v_fma_f32 v62, -v28, v8, v62
	v_mov_b32_e32 v104, s22
	s_waitcnt lgkmcnt(2)
	v_fma_f32 v67, -v28, v6, v102
	v_fma_f32 v77, -v28, v5, v116
	ds_load_2addr_b32 v[4:5], v70 offset0:140 offset1:141
	ds_load_2addr_b32 v[6:7], v68 offset0:48 offset1:49
	;; [unrolled: 1-line block ×3, first 2 shown]
	v_fma_f32 v68, -v28, v14, v119
	ds_load_2addr_b32 v[14:15], v72 offset0:196 offset1:197
	ds_load_2addr_b32 v[8:9], v74 offset0:252 offset1:253
	v_fma_f32 v52, -v28, v52, v27
	v_mul_f32_e32 v27, v39, v26
	v_fma_f32 v26, -v28, v11, v93
	v_fma_f32 v93, -v28, v10, v103
	ds_load_2addr_b32 v[10:11], v70 offset0:112 offset1:113
	ds_load_2addr_b32 v[44:45], v71 offset1:1
	v_fma_f32 v71, -v27, v38, v46
	ds_load_2addr_b32 v[38:39], v81 offset1:1
	ds_load_2addr_b32 v[46:47], v83 offset1:1
	ds_load_b32 v102, v64
	s_waitcnt lgkmcnt(11)
	v_fma_f32 v81, -v27, v25, v49
	v_fma_f32 v83, -v27, v24, v48
	s_waitcnt lgkmcnt(10)
	v_fma_f32 v103, -v27, v37, v67
	v_fma_f32 v77, -v27, v36, v77
	ds_load_2addr_b32 v[24:25], v72 offset0:168 offset1:169
	ds_load_2addr_b32 v[36:37], v72 offset0:140 offset1:141
	ds_load_2addr_b32 v[48:49], v75 offset1:1
	v_fma_f32 v93, -v27, v54, v93
	s_waitcnt lgkmcnt(12)
	v_fma_f32 v75, -v27, v5, v53
	v_fma_f32 v116, -v27, v4, v52
	s_waitcnt lgkmcnt(9)
	v_fma_f32 v118, -v27, v15, v66
	v_fma_f32 v119, -v27, v14, v68
	ds_load_2addr_b32 v[4:5], v74 offset0:224 offset1:225
	ds_load_2addr_b32 v[14:15], v74 offset0:196 offset1:197
	s_waitcnt lgkmcnt(10)
	v_fma_f32 v124, -v27, v9, v63
	v_fma_f32 v125, -v27, v8, v62
	ds_load_2addr_b32 v[8:9], v84 offset1:1
	ds_load_2addr_b32 v[52:53], v69 offset1:1
	ds_load_2addr_b32 v[62:63], v70 offset0:84 offset1:85
	v_fma_f32 v84, -v27, v55, v26
	ds_load_2addr_b32 v[54:55], v105 offset1:1
	v_mul_f32_e32 v26, v110, v71
	ds_load_b32 v105, v65
	ds_load_2addr_b32 v[64:65], v85 offset1:1
	ds_load_2addr_b32 v[66:67], v86 offset1:1
	;; [unrolled: 1-line block ×3, first 2 shown]
	s_waitcnt lgkmcnt(15)
	v_fma_f32 v81, -v26, v39, v81
	v_fma_f32 v83, -v26, v38, v83
	ds_load_2addr_b32 v[38:39], v73 offset1:1
	ds_load_2addr_b32 v[70:71], v80 offset1:1
	;; [unrolled: 1-line block ×3, first 2 shown]
	v_mov_b32_e32 v120, s52
	v_fma_f32 v85, -v26, v7, v103
	s_waitcnt lgkmcnt(17)
	v_mul_f32_e32 v7, v47, v81
	v_fma_f32 v6, -v26, v6, v77
	v_fma_f32 v86, -v26, v11, v75
	;; [unrolled: 1-line block ×3, first 2 shown]
	ds_load_2addr_b32 v[10:11], v78 offset0:252 offset1:253
	ds_load_2addr_b32 v[74:75], v79 offset1:1
	ds_load_b32 v104, v76
	s_waitcnt lgkmcnt(18)
	v_fma_f32 v103, -v26, v25, v118
	v_fma_f32 v110, -v26, v24, v119
	;; [unrolled: 1-line block ×3, first 2 shown]
	v_mov_b32_e32 v122, s39
	s_waitcnt lgkmcnt(10)
	v_fma_f32 v116, -v26, v55, v84
	v_fma_f32 v118, -v26, v54, v93
	ds_load_2addr_b32 v[24:25], v88 offset1:1
	ds_load_2addr_b32 v[54:55], v89 offset1:1
	;; [unrolled: 1-line block ×4, first 2 shown]
	v_fma_f32 v84, -v7, v46, v83
	ds_load_2addr_b32 v[46:47], v120 offset1:1
	ds_load_2addr_b32 v[80:81], v121 offset1:1
	v_fma_f32 v5, -v26, v5, v124
	v_fma_f32 v4, -v26, v4, v125
	;; [unrolled: 1-line block ×3, first 2 shown]
	s_waitcnt lgkmcnt(9)
	v_mul_f32_e32 v125, v35, v72
	v_mul_f32_e32 v6, v35, v73
	v_fma_f32 v120, -v7, v63, v86
	v_fma_f32 v121, -v7, v62, v87
	ds_load_b32 v124, v82
	ds_load_2addr_b32 v[42:43], v95 offset1:1
	ds_load_2addr_b32 v[62:63], v96 offset1:1
	;; [unrolled: 1-line block ×4, first 2 shown]
	s_waitcnt vmcnt(1)
	v_fma_f32 v23, v23, s15, -v6
	v_mul_f32_e32 v6, v102, v84
	v_fma_f32 v126, -v7, v14, v4
	v_fma_f32 v115, -v7, v37, v103
	;; [unrolled: 1-line block ×3, first 2 shown]
	ds_load_2addr_b32 v[36:37], v98 offset1:1
	ds_load_2addr_b32 v[84:85], v99 offset1:1
	;; [unrolled: 1-line block ×4, first 2 shown]
	v_fma_f32 v4, -v6, v57, v90
	ds_load_2addr_b32 v[90:91], v122 offset1:1
	ds_load_2addr_b32 v[92:93], v92 offset1:1
	v_fma_f32 v13, -v6, v13, v115
	s_waitcnt lgkmcnt(12)
	v_fma_f32 v23, -v28, v47, v23
	v_fma_f32 v47, -v7, v15, v5
	v_mul_f32_e32 v5, v94, v4
	v_fma_f32 v4, -v6, v51, v120
	v_fma_f32 v10, -v7, v10, v118
	s_waitcnt lgkmcnt(11)
	v_fma_f32 v23, -v27, v81, v23
	v_fma_f32 v81, -v6, v56, v119
	;; [unrolled: 1-line block ×5, first 2 shown]
	s_waitcnt lgkmcnt(6)
	v_fma_f32 v23, -v26, v73, v23
	v_fma_f32 v9, -v5, v9, v81
	;; [unrolled: 1-line block ×4, first 2 shown]
	ds_load_2addr_b32 v[14:15], v106 offset1:1
	ds_load_2addr_b32 v[56:57], v107 offset1:1
	;; [unrolled: 1-line block ×8, first 2 shown]
	v_mul_f32_e32 v4, v53, v9
	s_waitcnt lgkmcnt(9)
	v_fma_f32 v9, -v7, v91, v23
	v_fma_f32 v11, -v5, v65, v11
	v_fma_f32 v23, -v6, v49, v47
	v_fma_f32 v47, -v6, v48, v126
	v_fma_f32 v8, -v4, v52, v8
	v_fma_f32 v49, -v6, v74, v10
	v_fma_f32 v48, -v4, v67, v11
	v_fma_f32 v10, -v5, v25, v12
	v_fma_f32 v12, -v4, v66, v13
	v_mul_f32_e32 v11, v105, v8
	s_waitcnt lgkmcnt(8)
	v_fma_f32 v25, -v6, v93, v9
	v_fma_f32 v9, -v5, v24, v23
	;; [unrolled: 1-line block ×9, first 2 shown]
	v_mul_f32_e32 v10, v45, v13
	v_fma_f32 v13, -v5, v43, v47
	v_fma_f32 v24, -v11, v76, v9
	s_waitcnt lgkmcnt(7)
	v_fma_f32 v15, -v5, v15, v49
	v_fma_f32 v8, -v4, v62, v8
	v_fma_f32 v12, -v10, v44, v12
	v_fma_f32 v13, -v4, v63, v13
	v_fma_f32 v23, -v10, v79, v23
	s_waitcnt lgkmcnt(6)
	v_fma_f32 v15, -v4, v57, v15
	v_fma_f32 v22, v22, s15, -v125
	v_mul_f32_e32 v9, v117, v12
	v_fma_f32 v12, -v5, v14, v25
	v_fma_f32 v13, -v11, v83, v13
	;; [unrolled: 1-line block ×5, first 2 shown]
	s_waitcnt lgkmcnt(5)
	v_fma_f32 v15, -v11, v95, v15
	v_fma_f32 v13, -v10, v37, v13
	;; [unrolled: 1-line block ×4, first 2 shown]
	v_mul_f32_e32 v8, v61, v23
	v_fma_f32 v23, -v10, v36, v24
	v_fma_f32 v13, -v9, v85, v13
	s_waitcnt lgkmcnt(4)
	v_fma_f32 v24, -v10, v97, v15
	v_fma_f32 v12, -v11, v94, v12
	;; [unrolled: 1-line block ×5, first 2 shown]
	s_delay_alu instid0(VALU_DEP_4) | instskip(NEXT) | instid1(VALU_DEP_4)
	v_fma_f32 v12, -v10, v96, v12
	v_mul_f32_e32 v15, v124, v14
	v_fma_f32 v14, -v28, v46, v22
	s_waitcnt lgkmcnt(3)
	v_fma_f32 v22, -v9, v51, v24
	v_fma_f32 v23, -v8, v86, v23
	;; [unrolled: 1-line block ×5, first 2 shown]
	s_waitcnt lgkmcnt(2)
	v_fma_f32 v25, -v8, v99, v22
	v_fma_f32 v36, -v15, v88, v23
	ds_load_2addr_b32 v[22:23], v123 offset1:1
	v_dual_mul_f32 v14, v41, v13 :: v_dual_mov_b32 v13, s10
	v_fma_f32 v37, -v26, v72, v24
	s_waitcnt lgkmcnt(2)
	v_fma_f32 v41, -v15, v101, v25
	v_fma_f32 v12, -v8, v98, v12
	;; [unrolled: 1-line block ×3, first 2 shown]
	ds_load_2addr_b32 v[24:25], v13 offset1:1
	v_fma_f32 v37, -v7, v90, v37
	v_mov_b32_e32 v40, s9
	s_add_i32 s9, s4, 0xfffffe24
	v_mul_f32_e32 v13, v104, v36
	s_sub_i32 s10, s2, 20
	v_fma_f32 v42, -v6, v92, v37
	ds_load_2addr_b32 v[36:37], v40 offset1:1
	v_fma_f32 v12, -v15, v100, v12
	s_waitcnt lgkmcnt(3)
	v_fma_f32 v41, -v14, v103, v41
	s_add_i32 s11, s9, s10
	s_add_i32 s6, s6, s9
	s_lshl_b32 s11, s11, 2
	s_waitcnt lgkmcnt(2)
	v_fma_f32 v23, -v5, v23, v42
	v_fma_f32 v12, -v14, v102, v12
	;; [unrolled: 1-line block ×3, first 2 shown]
	s_add_i32 s16, s11, 0x770
	s_lshl_b32 s6, s6, 2
	s_add_i32 s10, s10, s5
	v_fma_f32 v56, -v13, v38, v12
	s_waitcnt lgkmcnt(1)
	v_fma_f32 v23, -v4, v25, v23
	v_dual_mov_b32 v25, s16 :: v_dual_mul_f32 v12, v71, v39
	s_add_i32 s16, s7, 0xfffffe40
	s_lshl_b32 s10, s10, 2
	s_add_i32 s9, s4, 0xfffffdec
	ds_load_2addr_b32 v[38:39], v25 offset1:1
	v_dual_mov_b32 v40, s16 :: v_dual_mov_b32 v25, s14
	s_add_i32 s14, s11, 0x700
	v_fma_f32 v64, -v12, v70, v56
	v_mov_b32_e32 v42, s17
	s_waitcnt lgkmcnt(1)
	v_fma_f32 v23, -v11, v37, v23
	v_mov_b32_e32 v37, s14
	s_add_i32 s14, s11, 0x690
	ds_load_2addr_b32 v[40:41], v40 offset1:1
	ds_load_2addr_b32 v[42:43], v42 offset1:1
	v_mov_b32_e32 v46, s14
	s_add_i32 s14, s7, 0xfffffcf0
	ds_load_2addr_b32 v[44:45], v37 offset1:1
	s_add_i32 s16, s7, 0xfffffd60
	ds_load_2addr_b32 v[46:47], v46 offset1:1
	v_mov_b32_e32 v37, s14
	s_add_i32 s14, s11, 0x620
	v_mov_b32_e32 v48, s16
	v_mov_b32_e32 v52, s14
	s_addk_i32 s11, 0x5b0
	ds_load_2addr_b32 v[48:49], v48 offset1:1
	ds_load_2addr_b32 v[50:51], v37 offset1:1
	s_waitcnt lgkmcnt(6)
	v_mul_f32_e32 v37, v35, v39
	ds_load_2addr_b32 v[52:53], v52 offset1:1
	v_mov_b32_e32 v39, s11
	s_add_i32 s11, s7, 0xfffffc80
	s_waitcnt lgkmcnt(6)
	v_fma_f32 v23, -v10, v41, v23
	v_fma_f32 v21, v21, s15, -v37
	v_mov_b32_e32 v37, s10
	ds_load_2addr_b32 v[54:55], v39 offset1:1
	ds_load_b32 v41, v25
	s_add_i32 s10, s3, 0xfffff764
	s_waitcnt lgkmcnt(7)
	v_fma_f32 v23, -v9, v43, v23
	s_waitcnt lgkmcnt(6)
	v_fma_f32 v21, -v28, v45, v21
	ds_load_2addr_b32 v[56:57], v37 offset1:1
	v_mov_b32_e32 v25, s10
	s_add_i32 s10, s7, 0xfffffc10
	v_mul_f32_e32 v39, v35, v38
	s_waitcnt lgkmcnt(6)
	v_fma_f32 v21, -v27, v47, v21
	ds_load_b32 v65, v25
	v_mov_b32_e32 v37, s11
	v_mov_b32_e32 v25, s10
	s_add_i32 s10, s7, 0xfffffba0
	s_waitcnt lgkmcnt(4)
	v_fma_f32 v21, -v26, v53, v21
	s_addk_i32 s7, 0xfb30
	ds_load_2addr_b32 v[58:59], v37 offset1:1
	ds_load_2addr_b32 v[37:38], v25 offset1:1
	v_mov_b32_e32 v43, s7
	s_waitcnt lgkmcnt(5)
	v_fma_f32 v21, -v7, v55, v21
	s_sub_i32 s7, s2, 21
	v_mov_b32_e32 v25, s10
	s_add_i32 s10, s5, s7
	v_fma_f32 v23, -v8, v49, v23
	s_waitcnt lgkmcnt(3)
	v_fma_f32 v21, -v6, v57, v21
	v_fma_f32 v20, v20, s15, -v39
	s_lshl_b32 s10, s10, 2
	ds_load_2addr_b32 v[60:61], v25 offset1:1
	ds_load_2addr_b32 v[62:63], v43 offset1:1
	s_add_i32 s11, s10, 0xffffff90
	v_fma_f32 v21, -v5, v22, v21
	v_fma_f32 v23, -v15, v51, v23
	;; [unrolled: 1-line block ×3, first 2 shown]
	v_mov_b32_e32 v22, s11
	s_add_i32 s11, s10, 0xffffff20
	v_fma_f32 v21, -v4, v24, v21
	v_mov_b32_e32 v24, s11
	s_waitcnt lgkmcnt(3)
	v_fma_f32 v25, -v14, v59, v23
	v_fma_f32 v20, -v27, v46, v20
	ds_load_2addr_b32 v[22:23], v22 offset1:1
	v_fma_f32 v21, -v11, v36, v21
	s_add_i32 s11, s10, 0xfffffeb0
	s_waitcnt lgkmcnt(3)
	v_fma_f32 v43, -v13, v38, v25
	ds_load_2addr_b32 v[24:25], v24 offset1:1
	v_fma_f32 v20, -v26, v52, v20
	v_mov_b32_e32 v36, s11
	v_fma_f32 v40, -v10, v40, v21
	s_add_i32 s11, s10, 0xfffffe40
	v_mul_f32_e32 v21, v41, v64
	v_fma_f32 v20, -v7, v54, v20
	ds_load_2addr_b32 v[38:39], v36 offset1:1
	v_fma_f32 v36, -v9, v42, v40
	v_mov_b32_e32 v44, s11
	s_sub_i32 s11, s2, 22
	v_fma_f32 v20, -v6, v56, v20
	s_add_i32 s14, s9, s11
	v_fma_f32 v36, -v8, v48, v36
	s_lshl_b32 s14, s14, 2
	ds_load_2addr_b32 v[40:41], v44 offset1:1
	s_waitcnt lgkmcnt(3)
	v_fma_f32 v20, -v5, v23, v20
	v_fma_f32 v45, -v12, v61, v43
	;; [unrolled: 1-line block ×3, first 2 shown]
	s_add_i32 s16, s14, 0x7e0
	s_add_i32 s7, s7, s9
	s_waitcnt lgkmcnt(2)
	v_fma_f32 v20, -v4, v25, v20
	v_mov_b32_e32 v25, s6
	s_add_i32 s6, s14, 0x850
	v_fma_f32 v23, -v14, v58, v23
	v_mov_b32_e32 v36, s6
	s_add_i32 s6, s10, 0xfffffdd0
	ds_load_2addr_b32 v[42:43], v25 offset1:1
	s_waitcnt lgkmcnt(2)
	v_fma_f32 v20, -v11, v39, v20
	v_fma_f32 v23, -v13, v37, v23
	ds_load_2addr_b32 v[36:37], v36 offset1:1
	v_mov_b32_e32 v39, s6
	s_add_i32 s6, s10, 0xfffffd60
	s_add_i32 s11, s11, s5
	v_mov_b32_e32 v48, s6
	s_add_i32 s6, s14, 0x770
	ds_load_2addr_b32 v[46:47], v39 offset1:1
	s_waitcnt lgkmcnt(3)
	v_fma_f32 v20, -v10, v41, v20
	v_mov_b32_e32 v41, s16
	s_add_i32 s16, s10, 0xfffffcf0
	v_mov_b32_e32 v39, s6
	s_add_i32 s6, s14, 0x700
	v_fma_f32 v25, -v21, v63, v45
	ds_load_2addr_b32 v[44:45], v41 offset1:1
	v_mov_b32_e32 v41, s6
	s_add_i32 s6, s14, 0x690
	s_lshl_b32 s7, s7, 2
	v_mov_b32_e32 v50, s16
	v_mov_b32_e32 v56, s6
	s_lshl_b32 s6, s11, 2
	s_waitcnt lgkmcnt(2)
	v_mul_f32_e32 v37, v35, v37
	ds_load_2addr_b32 v[48:49], v48 offset1:1
	ds_load_2addr_b32 v[50:51], v50 offset1:1
	;; [unrolled: 1-line block ×4, first 2 shown]
	s_add_i32 s16, s10, 0xfffffc80
	v_fma_f32 v19, v19, s15, -v37
	v_mov_b32_e32 v37, s6
	v_fma_f32 v23, -v12, v60, v23
	ds_load_2addr_b32 v[56:57], v56 offset1:1
	s_add_i32 s6, s10, 0xfffffa50
	v_mul_f32_e32 v36, v35, v36
	ds_load_2addr_b32 v[60:61], v37 offset1:1
	v_mov_b32_e32 v39, s16
	s_waitcnt lgkmcnt(6)
	v_fma_f32 v19, -v28, v45, v19
	v_mov_b32_e32 v37, s6
	s_add_i32 s6, s10, 0xfffffc10
	v_fma_f32 v23, -v21, v62, v23
	ds_load_2addr_b32 v[58:59], v39 offset1:1
	v_fma_f32 v39, -v9, v47, v20
	v_mul_f32_e32 v20, v43, v25
	v_fma_f32 v18, v18, s15, -v36
	s_add_i32 s14, s3, 0xfffff67c
	s_waitcnt lgkmcnt(4)
	v_fma_f32 v19, -v27, v53, v19
	v_fma_f32 v25, -v8, v49, v39
	v_mov_b32_e32 v39, s7
	s_add_i32 s7, s10, 0xfffffba0
	v_fma_f32 v18, -v28, v44, v18
	s_waitcnt lgkmcnt(3)
	v_fma_f32 v19, -v26, v55, v19
	v_fma_f32 v25, -v15, v51, v25
	s_delay_alu instid0(VALU_DEP_3) | instskip(NEXT) | instid1(VALU_DEP_1)
	v_fma_f32 v18, -v27, v52, v18
	v_fma_f32 v18, -v26, v54, v18
	s_waitcnt lgkmcnt(0)
	s_delay_alu instid0(VALU_DEP_3)
	v_fma_f32 v45, -v14, v59, v25
	v_mov_b32_e32 v25, s6
	v_fma_f32 v23, -v20, v42, v23
	ds_load_2addr_b32 v[41:42], v37 offset1:1
	ds_load_2addr_b32 v[62:63], v39 offset1:1
	v_fma_f32 v37, -v7, v57, v19
	s_add_i32 s6, s10, 0xfffffb30
	v_fma_f32 v18, -v7, v56, v18
	v_mul_f32_e32 v19, v65, v23
	v_mov_b32_e32 v43, s6
	v_fma_f32 v23, -v6, v61, v37
	v_mov_b32_e32 v37, s7
	s_add_i32 s7, s10, 0xfffffac0
	v_fma_f32 v18, -v6, v60, v18
	v_mov_b32_e32 v47, s7
	v_fma_f32 v39, -v5, v22, v23
	s_sub_i32 s7, s2, 23
	ds_load_2addr_b32 v[22:23], v25 offset1:1
	s_add_i32 s6, s5, s7
	s_sub_i32 s10, s2, 24
	v_fma_f32 v39, -v4, v24, v39
	s_lshl_b32 s6, s6, 2
	ds_load_2addr_b32 v[24:25], v37 offset1:1
	s_add_i32 s9, s6, 0xffffff90
	v_fma_f32 v49, -v11, v38, v39
	ds_load_2addr_b32 v[36:37], v43 offset1:1
	ds_load_2addr_b32 v[38:39], v47 offset1:1
	v_mov_b32_e32 v43, s9
	s_add_i32 s9, s6, 0xffffff20
	v_fma_f32 v40, -v10, v40, v49
	v_mov_b32_e32 v47, s9
	ds_load_2addr_b32 v[43:44], v43 offset1:1
	s_add_i32 s9, s6, 0xfffffeb0
	v_fma_f32 v40, -v9, v46, v40
	s_waitcnt lgkmcnt(4)
	v_fma_f32 v23, -v13, v23, v45
	ds_load_2addr_b32 v[45:46], v47 offset1:1
	v_mov_b32_e32 v47, s9
	s_add_i32 s9, s6, 0xfffffe40
	s_waitcnt lgkmcnt(4)
	v_fma_f32 v23, -v12, v25, v23
	v_fma_f32 v25, -v8, v48, v40
	v_mov_b32_e32 v40, s9
	s_add_i32 s9, s6, 0xfffffdd0
	s_delay_alu instid0(SALU_CYCLE_1) | instskip(NEXT) | instid1(VALU_DEP_3)
	v_mov_b32_e32 v51, s9
	v_fma_f32 v25, -v15, v50, v25
	ds_load_2addr_b32 v[49:50], v40 offset1:1
	s_add_i32 s9, s6, 0xfffffd60
	s_waitcnt lgkmcnt(4)
	v_fma_f32 v37, -v21, v37, v23
	s_waitcnt lgkmcnt(2)
	v_fma_f32 v18, -v5, v44, v18
	v_mov_b32_e32 v44, s14
	ds_load_2addr_b32 v[47:48], v47 offset1:1
	v_fma_f32 v25, -v14, v58, v25
	v_mov_b32_e32 v40, s9
	ds_load_2addr_b32 v[51:52], v51 offset1:1
	s_waitcnt lgkmcnt(3)
	v_fma_f32 v18, -v4, v46, v18
	s_add_i32 s9, s6, 0xfffffcf0
	v_fma_f32 v25, -v13, v22, v25
	ds_load_2addr_b32 v[22:23], v40 offset1:1
	v_mov_b32_e32 v40, s9
	s_add_i32 s9, s4, 0xfffffdb4
	v_fma_f32 v37, -v20, v39, v37
	s_add_i32 s11, s9, s10
	v_fma_f32 v39, -v12, v24, v25
	ds_load_2addr_b32 v[53:54], v40 offset1:1
	s_lshl_b32 s11, s11, 2
	v_fma_f32 v42, -v19, v42, v37
	s_add_i32 s16, s11, 0x930
	s_add_i32 s14, s11, 0x8c0
	v_mov_b32_e32 v40, s16
	ds_load_2addr_b32 v[24:25], v40 offset1:1
	ds_load_b32 v44, v44
	s_waitcnt lgkmcnt(5)
	v_fma_f32 v18, -v11, v48, v18
	s_add_i32 s16, s6, 0xfffffc80
	v_fma_f32 v46, -v21, v36, v39
	v_mov_b32_e32 v39, s16
	s_add_i32 s16, s11, 0x7e0
	v_fma_f32 v18, -v10, v50, v18
	s_add_i32 s10, s10, s5
	s_add_i32 s7, s7, s9
	s_lshl_b32 s10, s10, 2
	s_lshl_b32 s7, s7, 2
	s_waitcnt lgkmcnt(4)
	v_fma_f32 v18, -v9, v52, v18
	s_sub_i32 s9, s2, 25
	s_waitcnt lgkmcnt(3)
	s_delay_alu instid0(VALU_DEP_1)
	v_fma_f32 v18, -v8, v23, v18
	v_mov_b32_e32 v23, s14
	s_add_i32 s14, s6, 0xfffffc10
	s_waitcnt lgkmcnt(1)
	v_dual_mul_f32 v25, v35, v25 :: v_dual_mov_b32 v48, s14
	s_add_i32 s14, s11, 0x850
	ds_load_2addr_b32 v[36:37], v23 offset1:1
	v_mov_b32_e32 v23, s14
	s_add_i32 s14, s6, 0xfffffba0
	s_addk_i32 s11, 0x770
	v_fma_f32 v17, v17, s15, -v25
	v_mov_b32_e32 v50, s11
	ds_load_2addr_b32 v[39:40], v39 offset1:1
	ds_load_2addr_b32 v[55:56], v48 offset1:1
	v_mov_b32_e32 v48, s14
	ds_load_2addr_b32 v[57:58], v23 offset1:1
	s_add_i32 s14, s6, 0xfffffa50
	ds_load_2addr_b32 v[64:65], v50 offset1:1
	ds_load_2addr_b32 v[66:67], v48 offset1:1
	v_mov_b32_e32 v23, s16
	ds_load_2addr_b32 v[59:60], v23 offset1:1
	v_mov_b32_e32 v23, s10
	s_waitcnt lgkmcnt(6)
	v_fma_f32 v17, -v28, v37, v17
	s_add_i32 s10, s6, 0xfffffb30
	v_fma_f32 v37, -v20, v38, v46
	v_mov_b32_e32 v25, s10
	ds_load_2addr_b32 v[68:69], v23 offset1:1
	s_add_i32 s10, s3, 0xfffff594
	v_mov_b32_e32 v46, s14
	ds_load_2addr_b32 v[70:71], v25 offset1:1
	s_waitcnt lgkmcnt(5)
	v_fma_f32 v17, -v27, v58, v17
	v_fma_f32 v23, -v15, v54, v18
	v_dual_mov_b32 v25, s10 :: v_dual_mul_f32 v18, v63, v42
	s_add_i32 s10, s6, 0xfffffac0
	s_delay_alu instid0(VALU_DEP_2)
	v_fma_f32 v23, -v14, v40, v23
	v_mul_f32_e32 v40, v35, v24
	ds_load_b32 v74, v25
	s_waitcnt lgkmcnt(3)
	v_fma_f32 v17, -v26, v60, v17
	v_fma_f32 v25, -v19, v41, v37
	v_mov_b32_e32 v37, s7
	s_add_i32 s7, s5, s9
	v_fma_f32 v23, -v13, v56, v23
	v_fma_f32 v17, -v7, v65, v17
	v_fma_f32 v16, v16, s15, -v40
	s_lshl_b32 s7, s7, 2
	v_fma_f32 v25, -v18, v62, v25
	s_add_i32 s11, s7, 0xffffff90
	s_waitcnt lgkmcnt(2)
	v_fma_f32 v17, -v6, v69, v17
	v_fma_f32 v38, -v12, v67, v23
	;; [unrolled: 1-line block ×3, first 2 shown]
	v_mov_b32_e32 v36, s11
	s_add_i32 s11, s7, 0xffffff20
	v_fma_f32 v17, -v5, v43, v17
	ds_load_2addr_b32 v[23:24], v37 offset1:1
	v_mul_f32_e32 v25, v44, v25
	s_waitcnt lgkmcnt(2)
	v_fma_f32 v56, -v21, v71, v38
	v_fma_f32 v38, -v27, v57, v16
	v_fma_f32 v17, -v4, v45, v17
	v_mov_b32_e32 v40, s11
	v_mov_b32_e32 v44, s10
	s_add_i32 s10, s7, 0xfffffeb0
	v_fma_f32 v38, -v26, v59, v38
	v_fma_f32 v37, -v11, v47, v17
	ds_load_2addr_b32 v[16:17], v36 offset1:1
	ds_load_2addr_b32 v[44:45], v44 offset1:1
	s_add_i32 s11, s6, 0xfffff9e0
	v_fma_f32 v38, -v7, v64, v38
	v_fma_f32 v41, -v10, v49, v37
	ds_load_2addr_b32 v[36:37], v40 offset1:1
	v_mov_b32_e32 v48, s11
	s_addk_i32 s6, 0xf970
	v_fma_f32 v38, -v6, v68, v38
	v_fma_f32 v40, -v9, v51, v41
	v_mov_b32_e32 v41, s10
	s_add_i32 s10, s7, 0xfffffe40
	v_mov_b32_e32 v50, s6
	v_mov_b32_e32 v42, s10
	v_fma_f32 v22, -v8, v22, v40
	ds_load_2addr_b32 v[40:41], v41 offset1:1
	s_add_i32 s10, s7, 0xfffffdd0
	s_add_i32 s6, s7, 0xfffffd60
	ds_load_2addr_b32 v[42:43], v42 offset1:1
	v_fma_f32 v22, -v15, v53, v22
	s_waitcnt lgkmcnt(4)
	v_fma_f32 v17, -v5, v17, v38
	v_mov_b32_e32 v38, s10
	s_sub_i32 s10, s2, 26
	s_add_i32 s11, s7, 0xfffffc80
	v_fma_f32 v22, -v14, v39, v22
	s_waitcnt lgkmcnt(2)
	v_fma_f32 v17, -v4, v37, v17
	ds_load_2addr_b32 v[37:38], v38 offset1:1
	v_mov_b32_e32 v39, s6
	ds_load_2addr_b32 v[46:47], v46 offset1:1
	ds_load_2addr_b32 v[48:49], v48 offset1:1
	;; [unrolled: 1-line block ×3, first 2 shown]
	s_add_i32 s6, s7, 0xfffffcf0
	v_fma_f32 v22, -v13, v55, v22
	ds_load_2addr_b32 v[52:53], v39 offset1:1
	v_mov_b32_e32 v39, s6
	s_add_i32 s6, s4, 0xfffffd7c
	s_waitcnt lgkmcnt(6)
	v_fma_f32 v17, -v11, v41, v17
	s_add_i32 s14, s6, s10
	v_fma_f32 v22, -v12, v66, v22
	s_lshl_b32 s14, s14, 2
	ds_load_2addr_b32 v[54:55], v39 offset1:1
	v_mov_b32_e32 v39, s11
	s_add_i32 s11, s14, 0xa10
	s_waitcnt lgkmcnt(6)
	v_fma_f32 v17, -v10, v43, v17
	v_mov_b32_e32 v41, s11
	v_fma_f32 v43, -v20, v45, v56
	ds_load_2addr_b32 v[56:57], v39 offset1:1
	s_add_i32 s11, s7, 0xfffffc10
	s_waitcnt lgkmcnt(6)
	v_fma_f32 v17, -v9, v38, v17
	ds_load_2addr_b32 v[38:39], v41 offset1:1
	s_waitcnt lgkmcnt(6)
	v_fma_f32 v41, -v19, v47, v43
	v_mov_b32_e32 v43, s11
	s_add_i32 s11, s14, 0x9a0
	s_add_i32 s16, s14, 0x8c0
	v_fma_f32 v22, -v21, v70, v22
	s_waitcnt lgkmcnt(5)
	v_fma_f32 v41, -v18, v49, v41
	v_mov_b32_e32 v45, s11
	v_mov_b32_e32 v49, s16
	s_add_i32 s11, s14, 0x930
	v_fma_f32 v22, -v20, v44, v22
	ds_load_2addr_b32 v[43:44], v43 offset1:1
	ds_load_2addr_b32 v[58:59], v45 offset1:1
	ds_load_2addr_b32 v[62:63], v49 offset1:1
	v_mov_b32_e32 v45, s11
	s_add_i32 s11, s7, 0xfffffba0
	s_add_i32 s10, s10, s5
	v_mov_b32_e32 v47, s11
	s_add_i32 s11, s14, 0x850
	ds_load_2addr_b32 v[60:61], v45 offset1:1
	s_waitcnt lgkmcnt(4)
	v_mul_f32_e32 v39, v35, v39
	v_mov_b32_e32 v45, s11
	s_lshl_b32 s10, s10, 2
	s_add_i32 s14, s7, 0xfffffb30
	v_fma_f32 v17, -v8, v53, v17
	s_waitcnt vmcnt(0)
	v_fma_f32 v3, v3, s15, -v39
	ds_load_2addr_b32 v[64:65], v45 offset1:1
	v_mov_b32_e32 v39, s10
	ds_load_2addr_b32 v[66:67], v47 offset1:1
	v_mov_b32_e32 v45, s14
	s_add_i32 s10, s7, 0xfffffac0
	v_fma_f32 v17, -v15, v55, v17
	s_waitcnt lgkmcnt(4)
	v_fma_f32 v3, -v28, v59, v3
	ds_load_2addr_b32 v[68:69], v39 offset1:1
	v_mov_b32_e32 v39, s10
	ds_load_2addr_b32 v[70:71], v45 offset1:1
	v_fma_f32 v17, -v14, v57, v17
	v_fma_f32 v22, -v19, v46, v22
	s_add_i32 s9, s9, s6
	s_waitcnt lgkmcnt(4)
	v_fma_f32 v3, -v27, v61, v3
	ds_load_2addr_b32 v[45:46], v39 offset1:1
	v_fma_f32 v17, -v13, v44, v17
	s_add_i32 s6, s7, 0xfffff890
	s_lshl_b32 s9, s9, 2
	v_fma_f32 v3, -v26, v63, v3
	v_mov_b32_e32 v39, s6
	s_add_i32 s6, s7, 0xfffffa50
	v_fma_f32 v41, -v25, v51, v41
	s_waitcnt lgkmcnt(3)
	v_fma_f32 v17, -v12, v67, v17
	v_fma_f32 v3, -v7, v65, v3
	v_mov_b32_e32 v44, s9
	v_fma_f32 v22, -v18, v48, v22
	ds_load_2addr_b32 v[47:48], v39 offset1:1
	ds_load_2addr_b32 v[72:73], v44 offset1:1
	s_waitcnt lgkmcnt(4)
	v_fma_f32 v3, -v6, v69, v3
	s_waitcnt lgkmcnt(3)
	v_fma_f32 v17, -v21, v71, v17
	v_mul_f32_e32 v24, v24, v41
	s_add_i32 s9, s7, 0xfffff970
	v_fma_f32 v22, -v25, v50, v22
	v_fma_f32 v3, -v5, v16, v3
	v_mov_b32_e32 v16, s6
	s_add_i32 s6, s7, 0xfffff9e0
	s_waitcnt lgkmcnt(2)
	v_fma_f32 v41, -v20, v46, v17
	v_mov_b32_e32 v39, s9
	v_fma_f32 v3, -v4, v36, v3
	ds_load_2addr_b32 v[16:17], v16 offset1:1
	v_mul_f32_e32 v36, v35, v38
	v_mov_b32_e32 v38, s6
	s_add_i32 s6, s7, 0xfffff900
	v_fma_f32 v40, -v11, v40, v3
	v_mov_b32_e32 v44, s6
	v_fma_f32 v36, v2, s15, -v36
	ds_load_2addr_b32 v[2:3], v38 offset1:1
	s_sub_i32 s6, s2, 27
	v_fma_f32 v40, -v10, v42, v40
	s_add_i32 s5, s5, s6
	v_fma_f32 v42, -v28, v58, v36
	s_lshl_b32 s5, s5, 2
	v_fma_f32 v22, -v24, v23, v22
	v_fma_f32 v40, -v9, v37, v40
	ds_load_2addr_b32 v[36:37], v44 offset1:1
	ds_load_2addr_b32 v[38:39], v39 offset1:1
	s_add_i32 s7, s5, 0xffffff90
	v_fma_f32 v42, -v27, v60, v42
	v_mov_b32_e32 v46, s7
	s_waitcnt lgkmcnt(3)
	v_fma_f32 v17, -v19, v17, v41
	v_fma_f32 v44, -v8, v52, v40
	s_add_i32 s7, s5, 0xffffff20
	v_fma_f32 v42, -v26, v62, v42
	ds_load_2addr_b32 v[40:41], v46 offset1:1
	v_mov_b32_e32 v46, s7
	s_add_i32 s7, s5, 0xfffffeb0
	s_waitcnt lgkmcnt(3)
	v_fma_f32 v3, -v18, v3, v17
	s_add_i32 s9, s3, 0xfffff4ac
	v_fma_f32 v17, -v15, v54, v44
	v_fma_f32 v42, -v7, v64, v42
	ds_load_2addr_b32 v[49:50], v46 offset1:1
	v_dual_mul_f32 v23, v74, v22 :: v_dual_mov_b32 v22, s7
	s_add_i32 s7, s5, 0xfffffe40
	v_fma_f32 v17, -v14, v56, v17
	s_waitcnt lgkmcnt(2)
	v_fma_f32 v3, -v25, v39, v3
	v_fma_f32 v39, -v6, v68, v42
	ds_load_2addr_b32 v[51:52], v22 offset1:1
	v_fma_f32 v17, -v13, v43, v17
	v_fma_f32 v3, -v24, v37, v3
	v_mov_b32_e32 v37, s9
	s_waitcnt lgkmcnt(2)
	v_fma_f32 v39, -v5, v41, v39
	v_fma_f32 v17, -v12, v66, v17
	;; [unrolled: 1-line block ×3, first 2 shown]
	ds_load_b32 v48, v37
	v_mov_b32_e32 v22, s7
	s_add_i32 s7, s5, 0xfffffdd0
	v_fma_f32 v17, -v21, v70, v17
	v_mov_b32_e32 v43, s7
	s_add_i32 s7, s5, 0xfffffd60
	ds_load_2addr_b32 v[41:42], v22 offset1:1
	v_fma_f32 v17, -v20, v45, v17
	ds_load_2addr_b32 v[43:44], v43 offset1:1
	v_mov_b32_e32 v22, s7
	s_add_i32 s7, s5, 0xfffffcf0
	ds_load_2addr_b32 v[53:54], v22 offset1:1
	v_mov_b32_e32 v46, s7
	s_add_i32 s7, s4, 0xfffffd44
	s_sub_i32 s4, s2, 28
	s_waitcnt lgkmcnt(5)
	v_fma_f32 v39, -v4, v50, v39
	s_add_i32 s4, s7, s4
	ds_load_2addr_b32 v[55:56], v46 offset1:1
	s_lshl_b32 s4, s4, 2
	s_add_i32 s6, s6, s7
	s_waitcnt lgkmcnt(5)
	v_fma_f32 v22, -v11, v52, v39
	s_add_i32 s10, s4, 0xaf0
	s_add_i32 s9, s4, 0xa80
	v_mov_b32_e32 v39, s10
	s_add_i32 s10, s5, 0xfffffba0
	s_waitcnt lgkmcnt(3)
	v_fma_f32 v22, -v10, v42, v22
	ds_load_2addr_b32 v[57:58], v39 offset1:1
	v_fma_f32 v39, -v19, v16, v17
	s_waitcnt lgkmcnt(3)
	v_fma_f32 v37, -v9, v44, v22
	v_dual_mul_f32 v22, v73, v3 :: v_dual_mov_b32 v3, s9
	s_add_i32 s9, s4, 0xa10
	s_waitcnt lgkmcnt(2)
	s_delay_alu instid0(VALU_DEP_2)
	v_fma_f32 v37, -v8, v54, v37
	v_mov_b32_e32 v42, s9
	ds_load_2addr_b32 v[16:17], v3 offset1:1
	s_add_i32 s9, s5, 0xfffffc80
	v_add_nc_u32_e64 v54, 0x400, s4
	ds_load_2addr_b32 v[44:45], v42 offset1:1
	s_waitcnt lgkmcnt(3)
	v_fma_f32 v3, -v15, v56, v37
	v_mov_b32_e32 v37, s9
	s_add_i32 s9, s4, 0x9a0
	s_delay_alu instid0(SALU_CYCLE_1)
	v_mov_b32_e32 v42, s9
	s_add_i32 s9, s4, 0x930
	s_waitcnt lgkmcnt(2)
	v_mul_f32_e32 v46, v35, v58
	v_mov_b32_e32 v50, s9
	s_add_i32 s9, s5, 0xfffffc10
	ds_load_2addr_b32 v[58:59], v42 offset1:1
	v_fma_f32 v1, v1, s15, -v46
	ds_load_2addr_b32 v[60:61], v50 offset1:1
	v_mov_b32_e32 v42, s9
	s_add_i32 s9, s4, 0x8c0
	v_mul_f32_e32 v46, v35, v57
	v_mov_b32_e32 v50, s9
	ds_load_2addr_b32 v[56:57], v37 offset1:1
	ds_load_2addr_b32 v[62:63], v42 offset1:1
	s_waitcnt lgkmcnt(5)
	v_fma_f32 v17, -v28, v17, v1
	s_add_i32 s9, s3, 0xfffff3c4
	v_fma_f32 v37, v0, s15, -v46
	ds_load_2addr_b32 v[0:1], v50 offset1:1
	v_mov_b32_e32 v42, s9
	s_waitcnt lgkmcnt(5)
	v_fma_f32 v17, -v27, v45, v17
	v_add_nc_u32_e64 v45, 0x600, s4
	v_fma_f32 v16, -v28, v16, v37
	s_add_i32 s9, s5, 0xfffffb30
	ds_load_b32 v50, v42
	v_dual_mov_b32 v37, s10 :: v_dual_mov_b32 v46, s9
	s_waitcnt lgkmcnt(5)
	v_fma_f32 v42, -v26, v59, v17
	v_fma_f32 v44, -v27, v44, v16
	ds_load_2addr_b32 v[16:17], v45 offset0:120 offset1:148
	s_add_i32 s9, s5, 0xfffffac0
	s_add_i32 s10, s5, 0xfffffa50
	s_waitcnt lgkmcnt(5)
	v_fma_f32 v42, -v7, v61, v42
	v_fma_f32 v52, -v26, v58, v44
	ds_load_2addr_b32 v[44:45], v37 offset1:1
	ds_load_2addr_b32 v[58:59], v46 offset1:1
	s_waitcnt lgkmcnt(6)
	v_fma_f32 v3, -v14, v57, v3
	v_fma_f32 v46, -v18, v2, v39
	v_mov_b32_e32 v2, s9
	s_waitcnt lgkmcnt(4)
	v_fma_f32 v1, -v6, v1, v42
	v_fma_f32 v37, -v7, v60, v52
	ds_load_2addr_b32 v[60:61], v54 offset0:192 offset1:220
	v_fma_f32 v39, -v13, v63, v3
	s_add_i32 s9, s5, 0xfffff9e0
	v_fma_f32 v1, -v5, v40, v1
	v_fma_f32 v0, -v6, v0, v37
	v_mov_b32_e32 v37, s10
	ds_load_2addr_b32 v[2:3], v2 offset1:1
	v_fma_f32 v52, -v25, v38, v46
	v_fma_f32 v40, -v4, v49, v1
	s_waitcnt lgkmcnt(4)
	v_fma_f32 v17, -v5, v17, v0
	ds_load_2addr_b32 v[0:1], v54 offset0:136 offset1:164
	v_mov_b32_e32 v49, s9
	s_add_i32 s9, s5, 0xfffff970
	v_fma_f32 v40, -v11, v51, v40
	v_fma_f32 v42, -v4, v16, v17
	ds_load_2addr_b32 v[16:17], v37 offset1:1
	s_waitcnt lgkmcnt(5)
	v_fma_f32 v45, -v12, v45, v39
	v_fma_f32 v36, -v24, v36, v52
	;; [unrolled: 1-line block ×3, first 2 shown]
	ds_load_2addr_b32 v[39:40], v54 offset0:80 offset1:108
	s_waitcnt lgkmcnt(4)
	v_fma_f32 v51, -v11, v61, v42
	ds_load_2addr_b32 v[41:42], v49 offset1:1
	v_fma_f32 v57, -v21, v59, v45
	v_fma_f32 v43, -v9, v43, v37
	ds_load_2addr_b32 v[45:46], v54 offset0:24 offset1:52
	v_fma_f32 v51, -v10, v60, v51
	v_mov_b32_e32 v49, s9
	s_waitcnt lgkmcnt(5)
	v_fma_f32 v3, -v20, v3, v57
	v_fma_f32 v43, -v8, v53, v43
	s_add_i32 s9, s5, 0xfffff900
	s_waitcnt lgkmcnt(4)
	v_fma_f32 v1, -v9, v1, v51
	s_add_i32 s10, s5, 0xfffff890
	v_fma_f32 v36, -v23, v47, v36
	v_fma_f32 v43, -v15, v55, v43
	s_addk_i32 s3, 0xf350
	v_fma_f32 v0, -v8, v0, v1
	s_waitcnt lgkmcnt(3)
	v_fma_f32 v3, -v19, v17, v3
	v_mov_b32_e32 v47, s10
	v_fma_f32 v17, -v14, v56, v43
	v_fma_f32 v36, -v22, v72, v36
	s_waitcnt lgkmcnt(2)
	v_fma_f32 v40, -v15, v40, v0
	s_waitcnt lgkmcnt(1)
	v_fma_f32 v51, -v18, v42, v3
	v_mov_b32_e32 v42, s9
	v_fma_f32 v3, -v13, v62, v17
	s_add_i32 s9, s5, 0xfffff820
	v_fma_f32 v17, -v14, v39, v40
	s_addk_i32 s5, 0xf7b0
	ds_load_2addr_b32 v[42:43], v42 offset1:1
	v_fma_f32 v3, -v12, v44, v3
	s_waitcnt lgkmcnt(1)
	v_fma_f32 v17, -v13, v46, v17
	v_mov_b32_e32 v46, s9
	ds_load_2addr_b32 v[37:38], v49 offset1:1
	v_fma_f32 v3, -v21, v58, v3
	v_fma_f32 v17, -v12, v45, v17
	s_delay_alu instid0(VALU_DEP_2)
	v_fma_f32 v52, -v20, v2, v3
	ds_load_2addr_b32 v[2:3], v47 offset1:1
	ds_load_2addr_b32 v[46:47], v46 offset1:1
	v_mov_b32_e32 v49, s4
	s_addk_i32 s4, 0xff90
	v_fma_f32 v16, -v19, v16, v52
	ds_load_2addr_b32 v[0:1], v49 offset0:224 offset1:252
	v_fma_f32 v53, -v18, v41, v16
	s_waitcnt lgkmcnt(3)
	v_fma_f32 v38, -v25, v38, v51
	s_delay_alu instid0(VALU_DEP_2) | instskip(SKIP_4) | instid1(SALU_CYCLE_1)
	v_fma_f32 v37, -v25, v37, v53
	s_waitcnt lgkmcnt(0)
	v_fma_f32 v1, -v21, v1, v17
	v_mov_b32_e32 v17, s5
	s_lshl_b32 s5, s6, 2
	v_mov_b32_e32 v51, s5
	s_delay_alu instid0(VALU_DEP_3) | instskip(SKIP_3) | instid1(VALU_DEP_2)
	v_fma_f32 v52, -v20, v0, v1
	ds_load_2addr_b32 v[0:1], v17 offset1:1
	v_fma_f32 v42, -v24, v42, v37
	v_fma_f32 v38, -v24, v43, v38
	;; [unrolled: 1-line block ×3, first 2 shown]
	v_mov_b32_e32 v42, s4
	ds_load_2addr_b32 v[39:40], v49 offset0:168 offset1:196
	ds_load_2addr_b32 v[44:45], v49 offset0:112 offset1:140
	v_fma_f32 v38, -v23, v3, v38
	v_mul_f32_e32 v3, v48, v36
	s_delay_alu instid0(VALU_DEP_2) | instskip(SKIP_1) | instid1(VALU_DEP_1)
	v_fma_f32 v38, -v22, v47, v38
	s_waitcnt lgkmcnt(2)
	v_fma_f32 v1, -v3, v1, v38
	v_fma_f32 v38, -v22, v46, v2
	s_delay_alu instid0(VALU_DEP_1)
	v_fma_f32 v0, -v3, v0, v38
	s_waitcnt lgkmcnt(1)
	v_fma_f32 v52, -v19, v40, v52
	ds_load_2addr_b32 v[16:17], v49 offset0:56 offset1:84
	ds_load_2addr_b32 v[40:41], v51 offset1:1
	ds_load_2addr_b32 v[36:37], v49 offset1:28
	v_fma_f32 v39, -v18, v39, v52
	s_waitcnt lgkmcnt(3)
	s_delay_alu instid0(VALU_DEP_1) | instskip(NEXT) | instid1(VALU_DEP_1)
	v_fma_f32 v39, -v25, v45, v39
	v_fma_f32 v39, -v24, v44, v39
	s_waitcnt lgkmcnt(2)
	s_delay_alu instid0(VALU_DEP_1)
	v_fma_f32 v17, -v23, v17, v39
	ds_load_b32 v39, v42
	v_mov_b32_e32 v42, s3
	s_waitcnt lgkmcnt(2)
	v_mul_f32_e32 v2, v41, v1
	s_ashr_i32 s3, s2, 31
	v_fma_f32 v1, -v22, v16, v17
	s_lshl_b64 s[4:5], s[2:3], 2
	ds_load_b32 v38, v42
	v_fma_f32 v0, -v2, v40, v0
	s_waitcnt lgkmcnt(2)
	v_fma_f32 v16, -v3, v37, v1
	s_delay_alu instid0(VALU_DEP_2) | instskip(NEXT) | instid1(VALU_DEP_2)
	v_mul_f32_e32 v1, v50, v0
	v_fma_f32 v0, -v2, v36, v16
	v_add_co_u32 v16, vcc_lo, v29, s4
	v_add_co_ci_u32_e32 v17, vcc_lo, s5, v30, vcc_lo
	s_sub_i32 s4, s2, 29
	s_waitcnt lgkmcnt(1)
	v_fma_f32 v0, -v1, v39, v0
	s_clause 0x5
	global_store_b32 v[33:34], v35, off
	global_store_b96 v[16:17], v[26:28], off offset:-16
	global_store_b128 v[16:17], v[4:7], off offset:-32
	global_store_b128 v[16:17], v[8:11], off offset:-48
	;; [unrolled: 1-line block ×4, first 2 shown]
	s_waitcnt lgkmcnt(0)
	v_mul_f32_e32 v0, v38, v0
	s_clause 0x1
	global_store_b128 v[16:17], v[22:25], off offset:-96
	global_store_b128 v[16:17], v[0:3], off offset:-112
.LBB32_35:
	s_cmp_gt_i32 s4, -1
	s_cbranch_scc0 .LBB32_54
; %bb.36:
	s_cmp_lt_u32 s4, 23
	s_cbranch_scc1 .LBB32_41
; %bb.37:
	s_mov_b32 s5, 0
	s_delay_alu instid0(SALU_CYCLE_1)
	s_lshl_b64 s[6:7], s[4:5], 2
	s_cmp_le_i32 s8, s4
	v_add_co_u32 v19, vcc_lo, v29, s6
	v_add_co_ci_u32_e32 v20, vcc_lo, s7, v30, vcc_lo
	s_clause 0x5
	global_load_b128 v[0:3], v[19:20], off offset:-12
	global_load_b128 v[4:7], v[19:20], off offset:-28
	;; [unrolled: 1-line block ×6, first 2 shown]
	s_waitcnt vmcnt(5)
	v_dual_mul_f32 v23, s15, v3 :: v_dual_mul_f32 v18, s15, v2
	v_dual_mul_f32 v17, s15, v1 :: v_dual_mul_f32 v16, s15, v0
	s_waitcnt vmcnt(4)
	v_dual_mul_f32 v27, s15, v7 :: v_dual_mul_f32 v26, s15, v6
	s_waitcnt vmcnt(3)
	v_dual_mul_f32 v3, s15, v5 :: v_dual_mul_f32 v2, s15, v11
	v_dual_mul_f32 v25, s15, v4 :: v_dual_mul_f32 v24, s15, v10
	;; [unrolled: 1-line block ×3, first 2 shown]
	s_waitcnt vmcnt(2)
	v_dual_mul_f32 v5, s15, v15 :: v_dual_mul_f32 v4, s15, v13
	v_dual_mul_f32 v11, s15, v14 :: v_dual_mul_f32 v10, s15, v12
	s_waitcnt vmcnt(1)
	v_dual_mul_f32 v9, s15, v36 :: v_dual_mul_f32 v8, s15, v35
	v_dual_mul_f32 v15, s15, v34 :: v_dual_mul_f32 v14, s15, v33
	;; [unrolled: 3-line block ×3, first 2 shown]
	s_cbranch_scc1 .LBB32_40
; %bb.38:
	s_mul_i32 s3, s2, 0x70
	s_lshl_b32 s5, s4, 2
	s_ashr_i32 s9, s8, 31
	s_add_i32 s3, s3, s5
	s_lshl_b64 s[6:7], s[8:9], 2
	s_addk_i32 s3, 0xff34
	s_add_u32 s5, s12, s6
	s_addc_u32 s6, s13, s7
	s_add_u32 s5, s5, s0
	s_addc_u32 s6, s6, s1
	v_add_co_u32 v0, vcc_lo, s5, v31
	v_add_co_ci_u32_e32 v1, vcc_lo, s6, v32, vcc_lo
	s_mov_b32 s5, s8
.LBB32_39:                              ; =>This Inner Loop Header: Depth=1
	global_load_b32 v28, v[0:1], off
	v_mov_b32_e32 v55, s3
	v_add_co_u32 v0, vcc_lo, v0, -4
	v_add_co_ci_u32_e32 v1, vcc_lo, -1, v1, vcc_lo
	ds_load_2addr_b32 v[33:34], v55 offset0:22 offset1:23
	ds_load_2addr_b32 v[35:36], v55 offset0:20 offset1:21
	;; [unrolled: 1-line block ×11, first 2 shown]
	ds_load_2addr_b32 v[55:56], v55 offset1:1
	s_add_i32 s5, s5, -1
	s_addk_i32 s3, 0xff90
	s_cmp_gt_i32 s5, s4
	s_waitcnt vmcnt(0) lgkmcnt(11)
	v_fma_f32 v23, -v28, v34, v23
	v_fma_f32 v18, -v28, v33, v18
	s_waitcnt lgkmcnt(10)
	v_fma_f32 v17, -v28, v36, v17
	v_fma_f32 v16, -v28, v35, v16
	s_waitcnt lgkmcnt(9)
	;; [unrolled: 3-line block ×11, first 2 shown]
	v_fma_f32 v22, -v28, v56, v22
	v_fma_f32 v21, -v28, v55, v21
	s_cbranch_scc1 .LBB32_39
.LBB32_40:
	s_mul_i32 s3, s4, 0x74
	s_add_i32 s9, s4, -3
	s_add_i32 s5, s3, -4
	s_add_i32 s6, s3, 0xffffff8c
	v_mov_b32_e32 v0, s5
	s_mul_i32 s5, s4, 28
	s_add_i32 s11, s4, -5
	s_add_i32 s10, s9, s5
	s_sub_i32 s7, s5, 28
	s_lshl_b32 s10, s10, 2
	s_add_i32 s14, s3, 0xfffffea4
	v_mov_b32_e32 v33, s10
	s_add_i32 s10, s9, s7
	ds_load_2addr_b32 v[0:1], v0 offset1:1
	s_lshl_b32 s10, s10, 2
	s_delay_alu instid0(SALU_CYCLE_1)
	v_dual_mov_b32 v28, s6 :: v_dual_mov_b32 v35, s10
	ds_load_b32 v28, v28
	ds_load_2addr_b32 v[33:34], v33 offset1:1
	s_sub_i32 s6, s5, 56
	s_add_i32 s17, s11, s5
	s_add_i32 s9, s9, s6
	ds_load_2addr_b32 v[35:36], v35 offset1:1
	s_lshl_b32 s9, s9, 2
	s_add_i32 s10, s5, 0xffffffac
	s_add_i32 s16, s4, -7
	s_add_i32 s20, s4, -11
	s_add_i32 s18, s16, s5
	s_add_i32 s19, s20, s5
	s_lshl_b32 s18, s18, 2
	s_lshl_b32 s19, s19, 2
	s_waitcnt lgkmcnt(3)
	v_mul_f32_e32 v23, v1, v23
	v_mov_b32_e32 v1, s14
	s_lshl_b32 s14, s17, 2
	s_add_i32 s17, s11, s7
	v_mov_b32_e32 v39, s14
	s_lshl_b32 s14, s17, 2
	s_add_i32 s17, s11, s10
	s_waitcnt lgkmcnt(1)
	v_fma_f32 v17, -v23, v34, v17
	v_mov_b32_e32 v34, s14
	v_fma_f32 v0, -v23, v0, v18
	v_mov_b32_e32 v37, s9
	s_add_i32 s9, s5, 0xffffff90
	v_fma_f32 v16, -v23, v33, v16
	s_add_i32 s14, s11, s6
	v_mul_f32_e32 v18, v28, v0
	ds_load_2addr_b32 v[37:38], v37 offset1:1
	ds_load_b32 v28, v1
	ds_load_2addr_b32 v[33:34], v34 offset1:1
	s_add_i32 s11, s11, s9
	s_waitcnt lgkmcnt(3)
	v_fma_f32 v17, -v18, v36, v17
	s_lshl_b32 s11, s11, 2
	v_fma_f32 v16, -v18, v35, v16
	s_lshl_b32 s14, s14, 2
	s_lshl_b32 s17, s17, 2
	v_mov_b32_e32 v35, s14
	s_add_i32 s14, s3, 0xfffffdbc
	s_add_i32 s21, s20, s6
	v_mov_b32_e32 v43, s14
	s_add_i32 s14, s16, s9
	s_add_i32 s22, s4, -13
	s_lshl_b32 s14, s14, 2
	s_add_i32 s23, s22, s10
	s_add_i32 s24, s4, -15
	s_add_i32 s27, s3, 0xfffff934
	s_add_i32 s25, s24, s10
	s_waitcnt lgkmcnt(2)
	v_dual_mul_f32 v17, v38, v17 :: v_dual_mov_b32 v38, s11
	s_add_i32 s11, s16, s7
	s_sub_i32 s26, s4, 17
	s_lshl_b32 s11, s11, 2
	s_sub_i32 s30, s4, 21
	v_mov_b32_e32 v41, s11
	s_add_i32 s11, s16, s6
	ds_load_2addr_b32 v[35:36], v35 offset1:1
	s_lshl_b32 s11, s11, 2
	s_sub_i32 s28, s4, 19
	v_mov_b32_e32 v44, s11
	v_fma_f32 v16, -v17, v37, v16
	v_mov_b32_e32 v37, s17
	s_add_i32 s11, s16, s10
	s_add_i32 s31, s30, s7
	s_lshl_b32 s11, s11, 2
	s_waitcnt lgkmcnt(2)
	v_mul_f32_e32 v16, v28, v16
	ds_load_2addr_b32 v[0:1], v39 offset1:1
	v_mov_b32_e32 v39, s18
	s_add_i32 s18, s4, -9
	s_lshl_b32 s31, s31, 2
	s_add_i32 s33, s30, s6
	s_waitcnt lgkmcnt(0)
	v_fma_f32 v1, -v23, v1, v27
	ds_load_2addr_b32 v[27:28], v37 offset1:1
	ds_load_2addr_b32 v[37:38], v38 offset1:1
	;; [unrolled: 1-line block ×4, first 2 shown]
	ds_load_b32 v46, v43
	v_fma_f32 v34, -v18, v34, v1
	v_fma_f32 v26, -v23, v0, v26
	ds_load_2addr_b32 v[0:1], v44 offset1:1
	v_fma_f32 v34, -v17, v36, v34
	v_fma_f32 v26, -v18, v33, v26
	v_mov_b32_e32 v33, s11
	s_add_i32 s11, s5, 0xffffff74
	s_delay_alu instid0(SALU_CYCLE_1) | instskip(NEXT) | instid1(VALU_DEP_2)
	s_add_i32 s17, s16, s11
	v_fma_f32 v26, -v17, v35, v26
	s_lshl_b32 s17, s17, 2
	s_waitcnt lgkmcnt(5)
	v_fma_f32 v28, -v16, v28, v34
	ds_load_2addr_b32 v[33:34], v33 offset1:1
	s_waitcnt lgkmcnt(4)
	v_fma_f32 v35, -v23, v40, v3
	v_fma_f32 v26, -v16, v27, v26
	;; [unrolled: 1-line block ×3, first 2 shown]
	v_mul_f32_e32 v3, v38, v28
	s_waitcnt lgkmcnt(3)
	v_fma_f32 v27, -v18, v42, v35
	s_delay_alu instid0(VALU_DEP_3) | instskip(NEXT) | instid1(VALU_DEP_3)
	v_fma_f32 v25, -v18, v41, v25
	v_fma_f32 v28, -v3, v37, v26
	v_mov_b32_e32 v26, s14
	s_add_i32 s14, s5, 0xffffff58
	v_mov_b32_e32 v35, s17
	s_add_i32 s16, s16, s14
	s_add_i32 s17, s18, s5
	s_lshl_b32 s16, s16, 2
	s_waitcnt lgkmcnt(1)
	v_fma_f32 v1, -v17, v1, v27
	v_mov_b32_e32 v36, s16
	s_add_i32 s16, s3, 0xfffffcd4
	v_fma_f32 v0, -v17, v0, v25
	v_mov_b32_e32 v37, s16
	s_lshl_b32 s16, s17, 2
	s_waitcnt lgkmcnt(0)
	v_fma_f32 v1, -v16, v34, v1
	v_mov_b32_e32 v38, s16
	ds_load_2addr_b32 v[26:27], v26 offset1:1
	ds_load_2addr_b32 v[34:35], v35 offset1:1
	ds_load_b32 v47, v36
	ds_load_b32 v48, v37
	ds_load_2addr_b32 v[36:37], v38 offset1:1
	s_add_i32 s17, s18, s7
	v_fma_f32 v0, -v16, v33, v0
	s_lshl_b32 s16, s17, 2
	s_add_i32 s17, s3, 0xfffffd48
	v_mov_b32_e32 v40, s16
	v_mov_b32_e32 v42, s17
	s_add_i32 s16, s18, s6
	s_add_i32 s17, s18, s10
	s_lshl_b32 s16, s16, 2
	ds_load_2addr_b32 v[38:39], v40 offset1:1
	ds_load_b32 v49, v42
	v_mov_b32_e32 v40, s16
	s_lshl_b32 s16, s17, 2
	v_mov_b32_e32 v33, s19
	v_mov_b32_e32 v43, s16
	s_add_i32 s16, s18, s9
	ds_load_2addr_b32 v[40:41], v40 offset1:1
	s_lshl_b32 s16, s16, 2
	s_add_i32 s19, s20, s7
	v_mov_b32_e32 v44, s16
	s_waitcnt lgkmcnt(3)
	v_fma_f32 v25, -v23, v37, v2
	v_mul_f32_e32 v2, v46, v28
	v_fma_f32 v1, -v3, v27, v1
	v_fma_f32 v0, -v3, v26, v0
	s_add_i32 s16, s18, s11
	ds_load_2addr_b32 v[44:45], v44 offset1:1
	s_lshl_b32 s16, s16, 2
	v_fma_f32 v1, -v2, v35, v1
	v_fma_f32 v0, -v2, v34, v0
	v_mov_b32_e32 v37, s16
	s_waitcnt lgkmcnt(3)
	v_fma_f32 v25, -v18, v39, v25
	s_add_i32 s16, s18, s14
	s_waitcnt lgkmcnt(2)
	v_mul_f32_e32 v1, v49, v1
	s_lshl_b32 s16, s16, 2
	ds_load_2addr_b32 v[27:28], v37 offset1:1
	v_mov_b32_e32 v26, s16
	s_waitcnt lgkmcnt(2)
	v_fma_f32 v25, -v17, v41, v25
	v_fma_f32 v0, -v1, v47, v0
	s_add_i32 s16, s5, 0xffffff3c
	s_lshl_b32 s19, s19, 2
	s_add_i32 s17, s18, s16
	s_delay_alu instid0(VALU_DEP_1)
	v_dual_mov_b32 v35, s19 :: v_dual_mul_f32 v0, v48, v0
	ds_load_2addr_b32 v[42:43], v43 offset1:1
	s_lshl_b32 s17, s17, 2
	s_lshl_b32 s19, s21, 2
	v_mov_b32_e32 v41, s17
	s_add_i32 s17, s5, 0xffffff20
	v_fma_f32 v24, -v23, v36, v24
	s_add_i32 s18, s18, s17
	v_mov_b32_e32 v37, s19
	s_lshl_b32 s18, s18, 2
	s_add_i32 s19, s20, s10
	ds_load_2addr_b32 v[33:34], v33 offset1:1
	ds_load_2addr_b32 v[35:36], v35 offset1:1
	v_fma_f32 v24, -v18, v38, v24
	ds_load_2addr_b32 v[37:38], v37 offset1:1
	s_add_i32 s21, s22, s5
	v_fma_f32 v24, -v17, v40, v24
	s_waitcnt lgkmcnt(3)
	v_fma_f32 v25, -v16, v43, v25
	v_mov_b32_e32 v43, s18
	s_lshl_b32 s18, s19, 2
	s_add_i32 s19, s20, s9
	v_mov_b32_e32 v39, s18
	v_fma_f32 v25, -v3, v45, v25
	s_add_i32 s18, s3, 0xfffffbec
	ds_load_2addr_b32 v[45:46], v41 offset1:1
	v_mov_b32_e32 v51, s18
	s_lshl_b32 s18, s19, 2
	v_fma_f32 v28, -v2, v28, v25
	ds_load_2addr_b32 v[25:26], v26 offset1:1
	ds_load_2addr_b32 v[39:40], v39 offset1:1
	v_mov_b32_e32 v47, s18
	s_add_i32 s18, s20, s11
	s_waitcnt lgkmcnt(5)
	v_fma_f32 v7, -v23, v34, v7
	s_lshl_b32 s18, s18, 2
	v_fma_f32 v24, -v16, v42, v24
	ds_load_2addr_b32 v[47:48], v47 offset1:1
	v_mov_b32_e32 v34, s18
	ds_load_2addr_b32 v[49:50], v43 offset1:1
	ds_load_b32 v56, v51
	s_waitcnt lgkmcnt(7)
	v_fma_f32 v7, -v18, v36, v7
	s_add_i32 s18, s20, s14
	v_fma_f32 v24, -v3, v44, v24
	ds_load_2addr_b32 v[51:52], v34 offset1:1
	s_lshl_b32 s18, s18, 2
	s_waitcnt lgkmcnt(7)
	v_fma_f32 v7, -v17, v38, v7
	s_add_i32 s19, s20, s16
	v_fma_f32 v24, -v2, v27, v24
	v_fma_f32 v6, -v23, v33, v6
	s_waitcnt lgkmcnt(5)
	v_fma_f32 v26, -v1, v26, v28
	v_mov_b32_e32 v28, s18
	s_waitcnt lgkmcnt(4)
	v_fma_f32 v7, -v16, v40, v7
	s_lshl_b32 s18, s19, 2
	s_add_i32 s19, s5, 0xffffff04
	v_fma_f32 v24, -v1, v25, v24
	ds_load_2addr_b32 v[40:41], v28 offset1:1
	s_waitcnt lgkmcnt(4)
	v_fma_f32 v28, -v3, v48, v7
	v_mov_b32_e32 v34, s18
	s_add_i32 s18, s20, s17
	v_fma_f32 v36, -v0, v46, v26
	s_lshl_b32 s18, s18, 2
	v_fma_f32 v48, -v0, v45, v24
	s_waitcnt lgkmcnt(1)
	v_fma_f32 v25, -v2, v52, v28
	v_mov_b32_e32 v28, s18
	s_add_i32 s18, s20, s19
	ds_load_2addr_b32 v[26:27], v34 offset1:1
	s_lshl_b32 s18, s18, 2
	s_delay_alu instid0(SALU_CYCLE_1)
	v_dual_mul_f32 v7, v50, v36 :: v_dual_mov_b32 v34, s18
	s_lshl_b32 s18, s21, 2
	s_add_i32 s21, s22, s7
	v_mov_b32_e32 v36, s18
	s_lshl_b32 s21, s21, 2
	s_add_i32 s18, s5, 0xfffffee8
	v_fma_f32 v6, -v18, v35, v6
	s_waitcnt lgkmcnt(1)
	v_fma_f32 v50, -v1, v41, v25
	ds_load_2addr_b32 v[24:25], v28 offset1:1
	ds_load_2addr_b32 v[41:42], v34 offset1:1
	;; [unrolled: 1-line block ×3, first 2 shown]
	v_mov_b32_e32 v28, s21
	s_add_i32 s21, s22, s6
	s_add_i32 s20, s20, s18
	s_lshl_b32 s21, s21, 2
	s_lshl_b32 s20, s20, 2
	ds_load_2addr_b32 v[33:34], v28 offset1:1
	v_mov_b32_e32 v28, s21
	s_lshl_b32 s21, s23, 2
	v_fma_f32 v6, -v17, v37, v6
	v_mov_b32_e32 v38, s21
	s_add_i32 s21, s22, s11
	ds_load_2addr_b32 v[35:36], v28 offset1:1
	s_waitcnt lgkmcnt(5)
	v_fma_f32 v27, -v0, v27, v50
	v_fma_f32 v6, -v16, v39, v6
	ds_load_2addr_b32 v[37:38], v38 offset1:1
	v_mov_b32_e32 v28, s20
	s_add_i32 s20, s22, s9
	s_delay_alu instid0(SALU_CYCLE_1)
	s_lshl_b32 s20, s20, 2
	s_waitcnt lgkmcnt(3)
	v_fma_f32 v5, -v23, v44, v5
	v_mov_b32_e32 v44, s20
	s_lshl_b32 s20, s21, 2
	v_fma_f32 v6, -v3, v47, v6
	v_mov_b32_e32 v39, s20
	s_add_i32 s20, s22, s14
	ds_load_2addr_b32 v[44:45], v44 offset1:1
	s_lshl_b32 s20, s20, 2
	s_waitcnt lgkmcnt(3)
	v_fma_f32 v5, -v18, v34, v5
	v_mov_b32_e32 v34, s20
	ds_load_2addr_b32 v[46:47], v39 offset1:1
	ds_load_2addr_b32 v[54:55], v28 offset1:1
	v_fma_f32 v6, -v2, v51, v6
	v_fma_f32 v28, -v7, v49, v48
	ds_load_2addr_b32 v[52:53], v34 offset1:1
	s_waitcnt lgkmcnt(5)
	v_fma_f32 v5, -v17, v36, v5
	v_fma_f32 v25, -v7, v25, v27
	;; [unrolled: 1-line block ×3, first 2 shown]
	v_mul_f32_e32 v6, v56, v28
	s_add_i32 s20, s22, s16
	s_waitcnt lgkmcnt(4)
	v_fma_f32 v5, -v16, v38, v5
	s_lshl_b32 s20, s20, 2
	v_fma_f32 v26, -v0, v26, v36
	v_fma_f32 v25, -v6, v42, v25
	v_mov_b32_e32 v34, s20
	s_add_i32 s20, s3, 0xfffffb04
	v_fma_f32 v11, -v23, v43, v11
	v_fma_f32 v24, -v7, v24, v26
	s_add_i32 s21, s22, s19
	ds_load_2addr_b32 v[38:39], v34 offset1:1
	s_waitcnt lgkmcnt(4)
	v_fma_f32 v5, -v3, v45, v5
	v_mov_b32_e32 v34, s20
	s_add_i32 s20, s22, s17
	v_fma_f32 v11, -v18, v33, v11
	s_lshl_b32 s20, s20, 2
	s_waitcnt lgkmcnt(3)
	v_fma_f32 v5, -v2, v47, v5
	s_lshl_b32 s21, s21, 2
	v_fma_f32 v11, -v17, v35, v11
	s_waitcnt lgkmcnt(1)
	s_delay_alu instid0(VALU_DEP_2)
	v_fma_f32 v26, -v1, v53, v5
	v_fma_f32 v53, -v6, v41, v24
	v_mov_b32_e32 v24, s20
	s_add_i32 s20, s5, 0xfffffecc
	v_mul_f32_e32 v5, v55, v25
	s_add_i32 s23, s22, s20
	v_fma_f32 v11, -v16, v37, v11
	s_lshl_b32 s23, s23, 2
	s_delay_alu instid0(SALU_CYCLE_1)
	v_mov_b32_e32 v41, s23
	s_add_i32 s23, s24, s5
	ds_load_b32 v28, v34
	s_lshl_b32 s23, s23, 2
	s_waitcnt lgkmcnt(1)
	v_fma_f32 v36, -v0, v39, v26
	v_mov_b32_e32 v33, s23
	s_add_i32 s23, s24, s7
	v_fma_f32 v11, -v3, v44, v11
	s_lshl_b32 s23, s23, 2
	s_delay_alu instid0(SALU_CYCLE_1) | instskip(SKIP_4) | instid1(SALU_CYCLE_1)
	v_mov_b32_e32 v35, s23
	ds_load_2addr_b32 v[24:25], v24 offset1:1
	s_add_i32 s23, s24, s6
	v_fma_f32 v11, -v2, v46, v11
	s_lshl_b32 s23, s23, 2
	v_dual_mov_b32 v26, s21 :: v_dual_mov_b32 v37, s23
	s_add_i32 s21, s22, s18
	s_lshl_b32 s23, s25, 2
	s_lshl_b32 s21, s21, 2
	s_delay_alu instid0(SALU_CYCLE_1)
	v_dual_mov_b32 v45, s23 :: v_dual_mov_b32 v34, s21
	ds_load_2addr_b32 v[26:27], v26 offset1:1
	ds_load_2addr_b32 v[39:40], v34 offset1:1
	;; [unrolled: 1-line block ×4, first 2 shown]
	s_add_i32 s21, s5, 0xfffffeb0
	s_add_i32 s23, s24, s9
	;; [unrolled: 1-line block ×3, first 2 shown]
	ds_load_2addr_b32 v[43:44], v37 offset1:1
	s_waitcnt lgkmcnt(5)
	v_fma_f32 v25, -v7, v25, v36
	ds_load_2addr_b32 v[35:36], v35 offset1:1
	s_lshl_b32 s22, s22, 2
	ds_load_2addr_b32 v[45:46], v45 offset1:1
	v_mov_b32_e32 v37, s22
	s_lshl_b32 s22, s23, 2
	s_add_i32 s23, s24, s16
	v_mov_b32_e32 v49, s22
	s_add_i32 s22, s24, s11
	v_fma_f32 v11, -v1, v52, v11
	s_lshl_b32 s22, s22, 2
	s_waitcnt lgkmcnt(6)
	v_fma_f32 v27, -v6, v27, v25
	s_delay_alu instid0(VALU_DEP_2)
	v_fma_f32 v11, -v0, v38, v11
	s_waitcnt lgkmcnt(3)
	v_fma_f32 v4, -v23, v34, v4
	v_mov_b32_e32 v34, s22
	s_add_i32 s22, s24, s14
	ds_load_2addr_b32 v[47:48], v37 offset1:1
	s_lshl_b32 s22, s22, 2
	v_fma_f32 v11, -v7, v24, v11
	s_waitcnt lgkmcnt(2)
	v_fma_f32 v4, -v18, v36, v4
	ds_load_2addr_b32 v[36:37], v34 offset1:1
	v_mov_b32_e32 v34, s22
	ds_load_2addr_b32 v[49:50], v49 offset1:1
	s_lshl_b32 s22, s23, 2
	v_fma_f32 v4, -v17, v44, v4
	v_mov_b32_e32 v44, s22
	s_add_i32 s22, s24, s17
	ds_load_2addr_b32 v[51:52], v34 offset1:1
	s_lshl_b32 s22, s22, 2
	s_waitcnt lgkmcnt(4)
	v_fma_f32 v4, -v16, v46, v4
	ds_load_2addr_b32 v[55:56], v44 offset1:1
	v_mov_b32_e32 v34, s22
	s_add_i32 s22, s24, s19
	v_fma_f32 v27, -v5, v40, v27
	s_lshl_b32 s22, s22, 2
	v_fma_f32 v11, -v6, v26, v11
	ds_load_2addr_b32 v[57:58], v34 offset1:1
	v_fma_f32 v34, -v5, v54, v53
	v_mov_b32_e32 v38, s22
	s_add_i32 s22, s3, 0xfffffa1c
	s_add_i32 s23, s24, s21
	v_fma_f32 v10, -v23, v33, v10
	s_waitcnt lgkmcnt(3)
	v_fma_f32 v4, -v3, v50, v4
	s_lshl_b32 s23, s23, 2
	s_delay_alu instid0(VALU_DEP_2) | instskip(NEXT) | instid1(VALU_DEP_2)
	v_fma_f32 v10, -v18, v35, v10
	v_fma_f32 v37, -v2, v37, v4
	v_mul_f32_e32 v4, v28, v34
	v_mov_b32_e32 v28, s22
	s_add_i32 s22, s24, s18
	v_fma_f32 v34, -v5, v39, v11
	s_lshl_b32 s22, s22, 2
	v_fma_f32 v27, -v4, v42, v27
	s_waitcnt lgkmcnt(2)
	v_fma_f32 v26, -v1, v52, v37
	v_mov_b32_e32 v37, s22
	s_add_i32 s22, s24, s20
	v_fma_f32 v10, -v17, v43, v10
	s_lshl_b32 s22, s22, 2
	v_mul_f32_e32 v11, v48, v27
	v_fma_f32 v27, -v4, v41, v34
	v_mov_b32_e32 v41, s22
	ds_load_2addr_b32 v[24:25], v38 offset1:1
	s_waitcnt lgkmcnt(2)
	v_fma_f32 v26, -v0, v56, v26
	s_add_i32 s22, s5, 0xfffffe78
	v_fma_f32 v62, -v11, v47, v27
	s_add_i32 s25, s24, s22
	v_mov_b32_e32 v27, s27
	ds_load_b32 v61, v28
	s_waitcnt lgkmcnt(2)
	v_fma_f32 v26, -v7, v58, v26
	s_lshl_b32 s25, s25, 2
	s_add_i32 s27, s26, s6
	v_fma_f32 v10, -v16, v45, v10
	s_delay_alu instid0(VALU_DEP_1)
	v_fma_f32 v10, -v3, v49, v10
	s_waitcnt lgkmcnt(1)
	v_fma_f32 v50, -v6, v25, v26
	v_mov_b32_e32 v25, s25
	s_add_i32 s25, s26, s5
	v_fma_f32 v10, -v2, v36, v10
	s_lshl_b32 s25, s25, 2
	s_delay_alu instid0(SALU_CYCLE_1) | instskip(SKIP_1) | instid1(VALU_DEP_2)
	v_mov_b32_e32 v28, s25
	s_add_i32 s25, s26, s7
	v_fma_f32 v10, -v1, v51, v10
	s_lshl_b32 s25, s25, 2
	s_delay_alu instid0(SALU_CYCLE_1)
	v_dual_mov_b32 v44, s23 :: v_dual_mov_b32 v33, s25
	s_lshl_b32 s25, s27, 2
	s_add_i32 s23, s5, 0xfffffe94
	v_mov_b32_e32 v35, s25
	ds_load_2addr_b32 v[25:26], v25 offset1:1
	ds_load_b32 v63, v27
	ds_load_2addr_b32 v[27:28], v28 offset1:1
	ds_load_2addr_b32 v[33:34], v33 offset1:1
	s_add_i32 s24, s24, s23
	ds_load_2addr_b32 v[37:38], v37 offset1:1
	ds_load_2addr_b32 v[39:40], v35 offset1:1
	s_lshl_b32 s24, s24, 2
	s_add_i32 s25, s26, s11
	v_mov_b32_e32 v46, s24
	s_add_i32 s24, s26, s10
	v_fma_f32 v10, -v0, v55, v10
	s_lshl_b32 s24, s24, 2
	s_add_i32 s27, s28, s6
	v_mov_b32_e32 v35, s24
	s_add_i32 s24, s26, s9
	ds_load_2addr_b32 v[41:42], v41 offset1:1
	ds_load_2addr_b32 v[43:44], v44 offset1:1
	;; [unrolled: 1-line block ×3, first 2 shown]
	s_lshl_b32 s24, s24, 2
	v_fma_f32 v10, -v7, v57, v10
	ds_load_2addr_b32 v[47:48], v35 offset1:1
	s_add_i32 s29, s28, s23
	s_waitcnt lgkmcnt(7)
	v_fma_f32 v9, -v23, v28, v9
	v_mov_b32_e32 v28, s24
	s_lshl_b32 s24, s25, 2
	s_add_i32 s25, s26, s16
	v_mov_b32_e32 v36, s24
	s_waitcnt lgkmcnt(6)
	v_fma_f32 v9, -v18, v34, v9
	ds_load_2addr_b32 v[34:35], v28 offset1:1
	s_add_i32 s24, s26, s14
	s_waitcnt lgkmcnt(6)
	v_fma_f32 v28, -v5, v38, v50
	s_lshl_b32 s24, s24, 2
	ds_load_2addr_b32 v[49:50], v36 offset1:1
	v_mov_b32_e32 v36, s24
	s_lshl_b32 s24, s25, 2
	s_waitcnt lgkmcnt(6)
	v_fma_f32 v9, -v17, v40, v9
	v_mov_b32_e32 v38, s24
	s_add_i32 s24, s26, s17
	ds_load_2addr_b32 v[51:52], v36 offset1:1
	s_lshl_b32 s24, s24, 2
	s_waitcnt lgkmcnt(3)
	v_fma_f32 v9, -v16, v48, v9
	ds_load_2addr_b32 v[53:54], v38 offset1:1
	v_mov_b32_e32 v36, s24
	s_add_i32 s24, s26, s19
	v_fma_f32 v10, -v6, v24, v10
	s_lshl_b32 s24, s24, 2
	s_add_i32 s25, s26, s20
	v_mov_b32_e32 v38, s24
	s_waitcnt lgkmcnt(3)
	v_fma_f32 v9, -v3, v35, v9
	ds_load_2addr_b32 v[35:36], v36 offset1:1
	s_add_i32 s24, s26, s18
	v_fma_f32 v28, -v4, v42, v28
	ds_load_2addr_b32 v[55:56], v38 offset1:1
	s_lshl_b32 s24, s24, 2
	s_waitcnt lgkmcnt(4)
	v_fma_f32 v9, -v2, v50, v9
	v_mov_b32_e32 v24, s24
	s_lshl_b32 s24, s25, 2
	v_fma_f32 v8, -v23, v27, v8
	v_mov_b32_e32 v38, s24
	s_waitcnt lgkmcnt(3)
	v_fma_f32 v9, -v1, v52, v9
	ds_load_2addr_b32 v[57:58], v24 offset1:1
	s_add_i32 s24, s26, s21
	s_delay_alu instid0(SALU_CYCLE_1)
	s_lshl_b32 s24, s24, 2
	s_waitcnt lgkmcnt(3)
	v_fma_f32 v9, -v0, v54, v9
	v_mov_b32_e32 v24, s24
	ds_load_2addr_b32 v[59:60], v38 offset1:1
	v_fma_f32 v38, -v5, v37, v10
	s_add_i32 s24, s26, s23
	s_waitcnt lgkmcnt(3)
	v_fma_f32 v9, -v7, v36, v9
	ds_load_2addr_b32 v[36:37], v24 offset1:1
	s_lshl_b32 s24, s24, 2
	v_mul_f32_e32 v10, v61, v62
	v_mov_b32_e32 v40, s24
	v_fma_f32 v24, -v11, v44, v28
	v_fma_f32 v28, -v4, v41, v38
	s_waitcnt lgkmcnt(3)
	v_fma_f32 v9, -v6, v56, v9
	s_add_i32 s24, s26, s22
	ds_load_2addr_b32 v[40:41], v40 offset1:1
	v_fma_f32 v24, -v10, v46, v24
	v_fma_f32 v28, -v11, v43, v28
	s_waitcnt lgkmcnt(3)
	v_fma_f32 v38, -v5, v58, v9
	s_lshl_b32 s24, s24, 2
	v_mul_f32_e32 v9, v26, v24
	v_fma_f32 v24, -v10, v45, v28
	s_waitcnt lgkmcnt(2)
	v_fma_f32 v26, -v4, v60, v38
	v_mov_b32_e32 v46, s24
	s_add_i32 s24, s28, s5
	v_fma_f32 v24, -v9, v25, v24
	s_waitcnt lgkmcnt(1)
	v_fma_f32 v25, -v11, v37, v26
	v_fma_f32 v26, -v18, v33, v8
	s_lshl_b32 s25, s24, 2
	s_add_i32 s24, s5, 0xfffffe5c
	v_mul_f32_e32 v8, v63, v24
	s_delay_alu instid0(VALU_DEP_2)
	v_fma_f32 v24, -v17, v39, v26
	s_waitcnt lgkmcnt(0)
	v_fma_f32 v60, -v10, v41, v25
	v_mov_b32_e32 v25, s25
	s_add_i32 s25, s28, s7
	v_fma_f32 v24, -v16, v47, v24
	s_lshl_b32 s25, s25, 2
	s_delay_alu instid0(SALU_CYCLE_1) | instskip(SKIP_1) | instid1(VALU_DEP_2)
	v_mov_b32_e32 v26, s25
	s_lshl_b32 s25, s27, 2
	v_fma_f32 v28, -v3, v34, v24
	ds_load_2addr_b32 v[24:25], v25 offset1:1
	v_mov_b32_e32 v33, s25
	ds_load_2addr_b32 v[26:27], v26 offset1:1
	s_add_i32 s25, s28, s10
	s_add_i32 s27, s26, s24
	s_lshl_b32 s25, s25, 2
	ds_load_2addr_b32 v[33:34], v33 offset1:1
	v_mov_b32_e32 v37, s25
	s_add_i32 s25, s28, s9
	s_lshl_b32 s27, s27, 2
	s_lshl_b32 s25, s25, 2
	v_fma_f32 v28, -v2, v49, v28
	ds_load_2addr_b32 v[37:38], v37 offset1:1
	v_dual_mov_b32 v39, s25 :: v_dual_mov_b32 v48, s27
	s_add_i32 s27, s28, s11
	v_fma_f32 v28, -v1, v51, v28
	s_lshl_b32 s25, s27, 2
	ds_load_2addr_b32 v[41:42], v39 offset1:1
	s_add_i32 s27, s28, s16
	s_waitcnt lgkmcnt(4)
	v_fma_f32 v15, -v23, v25, v15
	v_mov_b32_e32 v25, s25
	v_fma_f32 v39, -v0, v53, v28
	s_add_i32 s25, s28, s14
	s_lshl_b32 s27, s27, 2
	s_waitcnt lgkmcnt(3)
	v_fma_f32 v15, -v18, v27, v15
	ds_load_2addr_b32 v[27:28], v25 offset1:1
	s_lshl_b32 s25, s25, 2
	v_fma_f32 v25, -v7, v35, v39
	v_mov_b32_e32 v43, s25
	s_waitcnt lgkmcnt(3)
	v_fma_f32 v15, -v17, v34, v15
	v_mov_b32_e32 v39, s27
	s_add_i32 s27, s28, s17
	s_add_i32 s25, s5, 0xfffffe40
	ds_load_2addr_b32 v[34:35], v43 offset1:1
	s_waitcnt lgkmcnt(3)
	v_fma_f32 v15, -v16, v38, v15
	s_lshl_b32 s27, s27, 2
	v_fma_f32 v25, -v6, v55, v25
	ds_load_2addr_b32 v[38:39], v39 offset1:1
	s_add_i32 s26, s26, s25
	s_waitcnt lgkmcnt(3)
	v_fma_f32 v15, -v3, v42, v15
	v_mov_b32_e32 v42, s27
	s_add_i32 s27, s28, s19
	s_lshl_b32 s26, s26, 2
	s_lshl_b32 s27, s27, 2
	v_fma_f32 v25, -v5, v57, v25
	s_waitcnt lgkmcnt(2)
	v_fma_f32 v15, -v2, v28, v15
	v_mov_b32_e32 v28, s27
	ds_load_2addr_b32 v[42:43], v42 offset1:1
	v_mov_b32_e32 v50, s26
	s_add_i32 s26, s28, s18
	v_fma_f32 v25, -v4, v59, v25
	s_lshl_b32 s26, s26, 2
	ds_load_2addr_b32 v[44:45], v28 offset1:1
	v_mov_b32_e32 v28, s26
	s_add_i32 s27, s28, s20
	s_waitcnt lgkmcnt(3)
	v_fma_f32 v15, -v1, v35, v15
	s_lshl_b32 s26, s27, 2
	ds_load_2addr_b32 v[46:47], v46 offset1:1
	ds_load_2addr_b32 v[48:49], v48 offset1:1
	ds_load_2addr_b32 v[50:51], v50 offset1:1
	v_mov_b32_e32 v52, s26
	v_fma_f32 v25, -v11, v36, v25
	ds_load_2addr_b32 v[35:36], v28 offset1:1
	s_add_i32 s27, s28, s21
	s_waitcnt lgkmcnt(6)
	v_fma_f32 v15, -v0, v39, v15
	ds_load_2addr_b32 v[52:53], v52 offset1:1
	s_lshl_b32 s27, s27, 2
	s_add_i32 s26, s3, 0xfffff84c
	v_mov_b32_e32 v28, s27
	s_lshl_b32 s27, s29, 2
	s_waitcnt lgkmcnt(6)
	v_fma_f32 v15, -v7, v43, v15
	v_mov_b32_e32 v39, s26
	v_mov_b32_e32 v43, s27
	ds_load_2addr_b32 v[54:55], v28 offset1:1
	s_add_i32 s26, s28, s22
	s_waitcnt lgkmcnt(6)
	v_fma_f32 v15, -v6, v45, v15
	s_lshl_b32 s26, s26, 2
	ds_load_2addr_b32 v[56:57], v43 offset1:1
	ds_load_b32 v43, v39
	v_mov_b32_e32 v28, s26
	s_add_i32 s26, s28, s24
	v_fma_f32 v25, -v10, v40, v25
	s_lshl_b32 s26, s26, 2
	s_waitcnt lgkmcnt(4)
	v_fma_f32 v15, -v5, v36, v15
	v_mov_b32_e32 v36, s26
	ds_load_2addr_b32 v[58:59], v28 offset1:1
	v_fma_f32 v14, -v23, v24, v14
	v_fma_f32 v24, -v9, v46, v25
	s_waitcnt lgkmcnt(4)
	v_fma_f32 v15, -v4, v53, v15
	ds_load_2addr_b32 v[39:40], v36 offset1:1
	v_fma_f32 v28, -v9, v47, v60
	v_fma_f32 v14, -v18, v26, v14
	s_add_i32 s27, s30, s5
	s_waitcnt lgkmcnt(4)
	v_fma_f32 v25, -v11, v55, v15
	s_lshl_b32 s27, s27, 2
	v_fma_f32 v28, -v8, v49, v28
	v_fma_f32 v14, -v17, v33, v14
	s_add_i32 s26, s28, s25
	s_delay_alu instid0(SALU_CYCLE_1) | instskip(NEXT) | instid1(VALU_DEP_2)
	s_lshl_b32 s26, s26, 2
	v_mul_f32_e32 v15, v51, v28
	s_waitcnt lgkmcnt(3)
	v_fma_f32 v25, -v10, v57, v25
	v_fma_f32 v26, -v16, v37, v14
	v_mov_b32_e32 v28, s26
	s_add_i32 s26, s5, 0xfffffe24
	s_waitcnt lgkmcnt(1)
	v_fma_f32 v25, -v9, v59, v25
	s_add_i32 s29, s28, s26
	s_delay_alu instid0(SALU_CYCLE_1) | instskip(SKIP_1) | instid1(VALU_DEP_1)
	s_lshl_b32 s29, s29, 2
	s_waitcnt lgkmcnt(0)
	v_fma_f32 v60, -v8, v40, v25
	v_mov_b32_e32 v25, s27
	v_fma_f32 v24, -v8, v48, v24
	s_add_i32 s27, s5, 0xfffffe08
	s_delay_alu instid0(SALU_CYCLE_1) | instskip(NEXT) | instid1(VALU_DEP_1)
	s_add_i32 s28, s28, s27
	v_fma_f32 v24, -v15, v50, v24
	s_lshl_b32 s28, s28, 2
	s_delay_alu instid0(SALU_CYCLE_1) | instskip(SKIP_1) | instid1(VALU_DEP_2)
	v_mov_b32_e32 v45, s28
	s_add_i32 s28, s30, s9
	v_mul_f32_e32 v14, v43, v24
	v_fma_f32 v24, -v3, v41, v26
	s_lshl_b32 s28, s28, 2
	s_delay_alu instid0(VALU_DEP_1) | instskip(SKIP_2) | instid1(VALU_DEP_2)
	v_fma_f32 v24, -v2, v27, v24
	v_mov_b32_e32 v27, s31
	s_lshl_b32 s31, s33, 2
	v_fma_f32 v26, -v1, v34, v24
	ds_load_2addr_b32 v[24:25], v25 offset1:1
	v_mov_b32_e32 v34, s31
	s_add_i32 s31, s30, s10
	v_fma_f32 v33, -v0, v38, v26
	ds_load_2addr_b32 v[26:27], v27 offset1:1
	s_lshl_b32 s31, s31, 2
	s_delay_alu instid0(SALU_CYCLE_1)
	v_dual_mov_b32 v38, s29 :: v_dual_mov_b32 v37, s31
	v_fma_f32 v36, -v7, v42, v33
	ds_load_2addr_b32 v[33:34], v34 offset1:1
	s_add_i32 s29, s30, s16
	v_fma_f32 v46, -v6, v44, v36
	ds_load_2addr_b32 v[36:37], v37 offset1:1
	ds_load_2addr_b32 v[40:41], v28 offset1:1
	;; [unrolled: 1-line block ×4, first 2 shown]
	v_fma_f32 v38, -v5, v35, v46
	s_waitcnt lgkmcnt(6)
	v_fma_f32 v13, -v23, v25, v13
	v_mov_b32_e32 v25, s28
	s_add_i32 s28, s30, s11
	v_fma_f32 v12, -v23, v24, v12
	s_lshl_b32 s28, s28, 2
	s_waitcnt lgkmcnt(5)
	v_fma_f32 v13, -v18, v27, v13
	ds_load_2addr_b32 v[27:28], v25 offset1:1
	v_mov_b32_e32 v25, s28
	s_add_i32 s28, s30, s14
	v_fma_f32 v48, -v4, v52, v38
	s_waitcnt lgkmcnt(5)
	v_fma_f32 v13, -v17, v34, v13
	s_lshl_b32 s28, s28, 2
	ds_load_2addr_b32 v[34:35], v25 offset1:1
	v_mov_b32_e32 v25, s28
	s_lshl_b32 s28, s29, 2
	s_waitcnt lgkmcnt(5)
	v_fma_f32 v13, -v16, v37, v13
	v_mov_b32_e32 v38, s28
	s_add_i32 s28, s30, s17
	ds_load_2addr_b32 v[46:47], v25 offset1:1
	s_lshl_b32 s28, s28, 2
	v_fma_f32 v50, -v11, v54, v48
	ds_load_2addr_b32 v[37:38], v38 offset1:1
	v_mov_b32_e32 v25, s28
	s_add_i32 s28, s30, s19
	s_add_i32 s29, s30, s21
	s_lshl_b32 s28, s28, 2
	s_waitcnt lgkmcnt(3)
	v_fma_f32 v13, -v3, v28, v13
	v_mov_b32_e32 v28, s28
	s_add_i32 s28, s30, s18
	ds_load_2addr_b32 v[48:49], v25 offset1:1
	s_lshl_b32 s28, s28, 2
	s_lshl_b32 s29, s29, 2
	s_waitcnt lgkmcnt(3)
	v_fma_f32 v13, -v2, v35, v13
	v_mov_b32_e32 v35, s28
	s_add_i32 s28, s30, s20
	v_fma_f32 v12, -v18, v26, v12
	s_lshl_b32 s28, s28, 2
	ds_load_2addr_b32 v[52:53], v35 offset1:1
	v_fma_f32 v25, -v10, v56, v50
	ds_load_2addr_b32 v[50:51], v28 offset1:1
	s_waitcnt lgkmcnt(4)
	v_fma_f32 v13, -v1, v47, v13
	v_mov_b32_e32 v28, s28
	s_add_i32 s28, s3, 0xfffff764
	v_fma_f32 v25, -v9, v58, v25
	v_mov_b32_e32 v35, s28
	s_waitcnt lgkmcnt(3)
	v_fma_f32 v13, -v0, v38, v13
	ds_load_2addr_b32 v[54:55], v28 offset1:1
	v_mov_b32_e32 v28, s29
	s_add_i32 s29, s30, s23
	s_add_i32 s28, s30, s22
	s_lshl_b32 s29, s29, 2
	s_waitcnt lgkmcnt(3)
	v_fma_f32 v13, -v7, v49, v13
	v_mov_b32_e32 v38, s29
	ds_load_2addr_b32 v[56:57], v28 offset1:1
	s_lshl_b32 s28, s28, 2
	v_fma_f32 v25, -v8, v39, v25
	ds_load_b32 v35, v35
	ds_load_2addr_b32 v[58:59], v38 offset1:1
	v_mov_b32_e32 v28, s28
	s_waitcnt lgkmcnt(4)
	v_fma_f32 v13, -v6, v51, v13
	s_add_i32 s28, s30, s24
	v_fma_f32 v38, -v15, v41, v60
	s_lshl_b32 s28, s28, 2
	ds_load_2addr_b32 v[60:61], v28 offset1:1
	v_fma_f32 v13, -v5, v53, v13
	v_mov_b32_e32 v24, s28
	v_fma_f32 v28, -v14, v43, v38
	v_fma_f32 v38, -v15, v40, v25
	;; [unrolled: 1-line block ×3, first 2 shown]
	s_waitcnt lgkmcnt(4)
	v_fma_f32 v13, -v4, v55, v13
	ds_load_2addr_b32 v[24:25], v24 offset1:1
	s_add_i32 s28, s30, s25
	s_add_i32 s29, s30, s26
	v_fma_f32 v12, -v16, v36, v12
	s_waitcnt lgkmcnt(4)
	v_fma_f32 v26, -v11, v57, v13
	v_mul_f32_e32 v13, v45, v28
	v_fma_f32 v28, -v14, v42, v38
	s_lshl_b32 s28, s28, 2
	v_fma_f32 v27, -v3, v27, v12
	s_waitcnt lgkmcnt(2)
	v_fma_f32 v26, -v10, v59, v26
	s_lshl_b32 s29, s29, 2
	v_fma_f32 v28, -v13, v44, v28
	v_mov_b32_e32 v33, s28
	v_fma_f32 v34, -v2, v34, v27
	s_waitcnt lgkmcnt(1)
	v_fma_f32 v26, -v9, v61, v26
	v_mov_b32_e32 v36, s29
	v_mul_f32_e32 v12, v35, v28
	s_add_i32 s28, s30, s27
	s_add_i32 s29, s5, 0xfffffdec
	s_lshl_b32 s31, s28, 2
	s_waitcnt lgkmcnt(0)
	v_fma_f32 v43, -v8, v25, v26
	ds_load_2addr_b32 v[25:26], v33 offset1:1
	ds_load_2addr_b32 v[27:28], v36 offset1:1
	v_fma_f32 v33, -v1, v46, v34
	s_add_i32 s28, s5, 0xfffffdd0
	s_add_i32 s34, s30, s29
	;; [unrolled: 1-line block ×3, first 2 shown]
	s_sub_i32 s30, s4, 23
	v_fma_f32 v33, -v0, v37, v33
	s_lshl_b32 s33, s33, 2
	s_add_i32 s5, s30, s5
	v_mov_b32_e32 v34, s33
	s_add_i32 s33, s3, 0xfffff67c
	v_fma_f32 v33, -v7, v48, v33
	s_lshl_b32 s5, s5, 2
	s_delay_alu instid0(SALU_CYCLE_1) | instskip(SKIP_1) | instid1(VALU_DEP_2)
	v_dual_mov_b32 v35, s33 :: v_dual_mov_b32 v36, s5
	s_add_i32 s5, s30, s7
	v_fma_f32 v37, -v6, v50, v33
	ds_load_2addr_b32 v[33:34], v34 offset1:1
	ds_load_b32 v57, v35
	ds_load_2addr_b32 v[35:36], v36 offset1:1
	s_lshl_b32 s5, s5, 2
	s_lshl_b32 s7, s34, 2
	v_mov_b32_e32 v38, s5
	s_add_i32 s5, s30, s6
	v_mov_b32_e32 v39, s31
	s_lshl_b32 s5, s5, 2
	v_fma_f32 v44, -v5, v52, v37
	ds_load_2addr_b32 v[37:38], v38 offset1:1
	v_mov_b32_e32 v45, s5
	v_mov_b32_e32 v41, s7
	s_add_i32 s5, s30, s10
	ds_load_2addr_b32 v[39:40], v39 offset1:1
	ds_load_2addr_b32 v[41:42], v41 offset1:1
	s_lshl_b32 s5, s5, 2
	s_waitcnt lgkmcnt(7)
	v_fma_f32 v26, -v15, v26, v43
	v_fma_f32 v47, -v4, v54, v44
	ds_load_2addr_b32 v[43:44], v45 offset1:1
	v_mov_b32_e32 v45, s5
	s_add_i32 s5, s30, s9
	s_waitcnt lgkmcnt(4)
	v_fma_f32 v22, -v23, v36, v22
	s_lshl_b32 s5, s5, 2
	s_add_i32 s6, s30, s11
	ds_load_2addr_b32 v[45:46], v45 offset1:1
	v_mov_b32_e32 v36, s5
	s_lshl_b32 s5, s6, 2
	v_fma_f32 v26, -v14, v28, v26
	v_mov_b32_e32 v28, s5
	v_fma_f32 v53, -v11, v56, v47
	ds_load_2addr_b32 v[47:48], v36 offset1:1
	s_add_i32 s5, s30, s14
	s_add_i32 s6, s30, s16
	ds_load_2addr_b32 v[49:50], v28 offset1:1
	s_lshl_b32 s5, s5, 2
	s_waitcnt lgkmcnt(6)
	v_fma_f32 v22, -v18, v38, v22
	v_mov_b32_e32 v28, s5
	s_lshl_b32 s5, s6, 2
	v_fma_f32 v35, -v23, v35, v21
	v_mov_b32_e32 v36, s5
	s_add_i32 s5, s30, s17
	s_waitcnt lgkmcnt(3)
	v_fma_f32 v22, -v17, v44, v22
	s_lshl_b32 s5, s5, 2
	ds_load_2addr_b32 v[51:52], v28 offset1:1
	v_mov_b32_e32 v38, s5
	s_add_i32 s5, s30, s19
	s_waitcnt lgkmcnt(3)
	v_fma_f32 v22, -v16, v46, v22
	s_lshl_b32 s5, s5, 2
	v_fma_f32 v35, -v18, v37, v35
	ds_load_2addr_b32 v[55:56], v38 offset1:1
	v_fma_f32 v28, -v10, v58, v53
	ds_load_2addr_b32 v[53:54], v36 offset1:1
	s_waitcnt lgkmcnt(4)
	v_fma_f32 v22, -v3, v48, v22
	v_mov_b32_e32 v36, s5
	s_add_i32 s5, s30, s18
	v_fma_f32 v28, -v9, v60, v28
	s_lshl_b32 s5, s5, 2
	v_fma_f32 v37, -v17, v43, v35
	v_fma_f32 v26, -v13, v40, v26
	s_add_i32 s6, s30, s23
	v_fma_f32 v24, -v8, v24, v28
	s_waitcnt lgkmcnt(3)
	v_fma_f32 v28, -v2, v50, v22
	ds_load_2addr_b32 v[21:22], v36 offset1:1
	v_mov_b32_e32 v36, s5
	s_add_i32 s5, s30, s20
	v_fma_f32 v37, -v16, v45, v37
	s_lshl_b32 s5, s5, 2
	s_waitcnt lgkmcnt(3)
	v_fma_f32 v28, -v1, v52, v28
	v_mov_b32_e32 v38, s5
	ds_load_2addr_b32 v[35:36], v36 offset1:1
	v_fma_f32 v44, -v12, v42, v26
	v_fma_f32 v26, -v15, v25, v24
	s_waitcnt lgkmcnt(2)
	v_fma_f32 v28, -v0, v54, v28
	ds_load_2addr_b32 v[24:25], v38 offset1:1
	v_fma_f32 v37, -v3, v47, v37
	s_add_i32 s5, s30, s21
	s_lshl_b32 s6, s6, 2
	s_lshl_b32 s5, s5, 2
	v_fma_f32 v28, -v7, v56, v28
	v_fma_f32 v37, -v2, v49, v37
	v_mov_b32_e32 v38, s5
	v_mov_b32_e32 v40, s6
	v_fma_f32 v45, -v14, v27, v26
	s_waitcnt lgkmcnt(2)
	v_fma_f32 v22, -v6, v22, v28
	v_fma_f32 v28, -v1, v51, v37
	ds_load_2addr_b32 v[26:27], v38 offset1:1
	ds_load_2addr_b32 v[37:38], v40 offset1:1
	s_add_i32 s5, s30, s22
	s_add_i32 s6, s30, s25
	s_lshl_b32 s5, s5, 2
	s_waitcnt lgkmcnt(3)
	v_fma_f32 v22, -v5, v36, v22
	v_fma_f32 v28, -v0, v53, v28
	v_mov_b32_e32 v36, s5
	s_add_i32 s5, s30, s24
	s_addk_i32 s3, 0xf594
	s_waitcnt lgkmcnt(2)
	v_fma_f32 v25, -v4, v25, v22
	v_fma_f32 v22, -v7, v55, v28
	s_lshl_b32 s5, s5, 2
	ds_load_2addr_b32 v[42:43], v36 offset1:1
	v_mov_b32_e32 v28, s5
	s_lshl_b32 s5, s6, 2
	v_fma_f32 v36, -v6, v21, v22
	s_add_i32 s6, s30, s26
	v_mov_b32_e32 v40, s5
	s_lshl_b32 s5, s6, 2
	ds_load_2addr_b32 v[21:22], v28 offset1:1
	v_fma_f32 v35, -v5, v35, v36
	s_waitcnt lgkmcnt(3)
	v_fma_f32 v25, -v11, v27, v25
	v_mov_b32_e32 v36, s5
	s_add_i32 s5, s30, s27
	v_fma_f32 v35, -v4, v24, v35
	s_waitcnt lgkmcnt(2)
	v_fma_f32 v38, -v10, v38, v25
	ds_load_2addr_b32 v[24:25], v36 offset1:1
	ds_load_2addr_b32 v[27:28], v40 offset1:1
	s_lshl_b32 s5, s5, 2
	v_fma_f32 v26, -v11, v26, v35
	v_mov_b32_e32 v36, s5
	s_add_i32 s5, s30, s29
	s_waitcnt lgkmcnt(3)
	v_fma_f32 v38, -v9, v43, v38
	s_lshl_b32 s5, s5, 2
	v_fma_f32 v26, -v10, v37, v26
	ds_load_2addr_b32 v[35:36], v36 offset1:1
	v_mov_b32_e32 v37, s5
	s_add_i32 s30, s30, s28
	s_waitcnt lgkmcnt(3)
	v_fma_f32 v22, -v8, v22, v38
	s_lshl_b32 s5, s30, 2
	v_fma_f32 v26, -v9, v42, v26
	v_mov_b32_e32 v40, s5
	ds_load_2addr_b32 v[37:38], v37 offset1:1
	s_add_i32 s6, s5, 0xffffff90
	s_addk_i32 s5, 0xff20
	v_mov_b32_e32 v42, s6
	v_fma_f32 v26, -v8, v21, v26
	s_waitcnt lgkmcnt(2)
	v_fma_f32 v28, -v15, v28, v22
	ds_load_2addr_b32 v[21:22], v40 offset1:1
	v_fma_f32 v43, -v13, v39, v45
	ds_load_2addr_b32 v[39:40], v42 offset1:1
	v_fma_f32 v26, -v15, v27, v26
	v_fma_f32 v25, -v14, v25, v28
	v_dual_mov_b32 v28, s5 :: v_dual_mul_f32 v27, v34, v44
	v_fma_f32 v34, -v12, v41, v43
	s_delay_alu instid0(VALU_DEP_4)
	v_fma_f32 v26, -v14, v24, v26
	s_waitcnt lgkmcnt(3)
	v_fma_f32 v36, -v13, v36, v25
	ds_load_2addr_b32 v[24:25], v28 offset1:1
	s_ashr_i32 s5, s4, 31
	v_fma_f32 v28, -v27, v33, v34
	v_fma_f32 v34, -v13, v35, v26
	s_waitcnt lgkmcnt(3)
	v_fma_f32 v33, -v12, v38, v36
	v_mov_b32_e32 v35, s3
	s_lshl_b64 s[6:7], s[4:5], 2
	v_mul_f32_e32 v26, v57, v28
	v_fma_f32 v28, -v12, v37, v34
	s_sub_i32 s4, s4, 24
	s_waitcnt lgkmcnt(2)
	v_fma_f32 v22, -v27, v22, v33
	ds_load_b32 v33, v35
	v_fma_f32 v21, -v27, v21, v28
	s_waitcnt lgkmcnt(2)
	v_fma_f32 v22, -v26, v40, v22
	s_delay_alu instid0(VALU_DEP_2) | instskip(SKIP_2) | instid1(VALU_DEP_3)
	v_fma_f32 v28, -v26, v39, v21
	v_add_co_u32 v21, vcc_lo, v29, s6
	s_waitcnt lgkmcnt(1)
	v_mul_f32_e32 v25, v25, v22
	v_add_co_ci_u32_e32 v22, vcc_lo, s7, v30, vcc_lo
	s_clause 0x2
	global_store_b96 v[21:22], v[16:18], off offset:-12
	global_store_b128 v[21:22], v[0:3], off offset:-28
	global_store_b128 v[21:22], v[4:7], off offset:-44
	v_fma_f32 v24, -v25, v24, v28
	s_clause 0x1
	global_store_b128 v[21:22], v[8:11], off offset:-60
	global_store_b128 v[21:22], v[12:15], off offset:-76
	s_waitcnt lgkmcnt(0)
	v_mul_f32_e32 v24, v33, v24
	s_clause 0x1
	global_store_b32 v[19:20], v23, off
	global_store_b128 v[21:22], v[24:27], off offset:-92
.LBB32_41:
	s_cmp_lt_i32 s4, 0
	s_cbranch_scc1 .LBB32_54
; %bb.42:
	s_bitcmp1_b32 s4, 0
	s_mov_b32 s6, s4
	s_cselect_b32 s3, -1, 0
	s_delay_alu instid0(SALU_CYCLE_1)
	s_and_b32 vcc_lo, exec_lo, s3
	s_cbranch_vccnz .LBB32_47
; %bb.43:
	s_mov_b32 s5, 0
	s_delay_alu instid0(SALU_CYCLE_1)
	s_lshl_b64 s[6:7], s[4:5], 2
	s_cmp_le_i32 s8, s4
	v_add_co_u32 v0, vcc_lo, v29, s6
	v_add_co_ci_u32_e32 v1, vcc_lo, s7, v30, vcc_lo
	global_load_b32 v2, v[0:1], off
	s_waitcnt vmcnt(0)
	v_mul_f32_e32 v4, s15, v2
	s_cbranch_scc1 .LBB32_46
; %bb.44:
	s_mul_i32 s3, s2, 0x70
	s_lshl_b32 s5, s4, 2
	s_ashr_i32 s9, s8, 31
	s_add_i32 s3, s3, s5
	s_lshl_b64 s[6:7], s[8:9], 2
	s_addk_i32 s3, 0xff90
	s_add_u32 s5, s12, s6
	s_addc_u32 s6, s13, s7
	s_add_u32 s5, s5, s0
	s_addc_u32 s6, s6, s1
	v_add_co_u32 v2, vcc_lo, s5, v31
	v_add_co_ci_u32_e32 v3, vcc_lo, s6, v32, vcc_lo
	s_mov_b32 s5, s8
.LBB32_45:                              ; =>This Inner Loop Header: Depth=1
	global_load_b32 v5, v[2:3], off
	v_mov_b32_e32 v6, s3
	v_add_co_u32 v2, vcc_lo, v2, -4
	v_add_co_ci_u32_e32 v3, vcc_lo, -1, v3, vcc_lo
	ds_load_b32 v6, v6
	s_add_i32 s5, s5, -1
	s_addk_i32 s3, 0xff90
	s_cmp_gt_i32 s5, s4
	s_waitcnt vmcnt(0) lgkmcnt(0)
	v_fma_f32 v4, -v5, v6, v4
	s_cbranch_scc1 .LBB32_45
.LBB32_46:
	s_mul_i32 s3, s4, 0x74
	s_add_i32 s6, s4, -1
	v_mov_b32_e32 v2, s3
	ds_load_b32 v2, v2
	s_waitcnt lgkmcnt(0)
	v_mul_f32_e32 v2, v2, v4
	global_store_b32 v[0:1], v2, off
.LBB32_47:
	s_cmp_eq_u32 s4, 0
	s_mov_b32 s7, 0
	s_cbranch_scc1 .LBB32_54
; %bb.48:
	s_mul_i32 s3, s2, 0x70
	s_lshl_b32 s4, s6, 2
	s_ashr_i32 s9, s8, 31
	s_add_i32 s10, s3, s4
	s_lshl_b64 s[4:5], s[8:9], 2
	s_add_i32 s3, s10, 0xffffff90
	s_add_u32 s4, s12, s4
	s_addc_u32 s5, s13, s5
	s_add_u32 s0, s4, s0
	s_addc_u32 s1, s5, s1
	v_add_co_u32 v0, vcc_lo, s0, v31
	v_add_co_ci_u32_e32 v1, vcc_lo, s1, v32, vcc_lo
	s_add_i32 s0, s10, 0xffffff8c
	s_branch .LBB32_50
.LBB32_49:                              ;   in Loop: Header=BB32_50 Depth=1
	s_addk_i32 s1, 0xff8c
	s_add_i32 s3, s3, -8
	v_mov_b32_e32 v4, s1
	s_add_i32 s1, s6, -2
	s_add_i32 s0, s0, -8
	s_cmp_lt_i32 s6, 2
	s_mov_b32 s6, s1
	ds_load_b32 v4, v4
	s_waitcnt lgkmcnt(0)
	v_mul_f32_e32 v4, v4, v6
	global_store_b32 v[2:3], v4, off offset:-4
	s_cbranch_scc1 .LBB32_54
.LBB32_50:                              ; =>This Loop Header: Depth=1
                                        ;     Child Loop BB32_51 Depth 2
                                        ;     Child Loop BB32_53 Depth 2
	s_lshl_b64 s[4:5], s[6:7], 2
	s_cmp_le_i32 s8, s6
	v_add_co_u32 v2, vcc_lo, v29, s4
	v_add_co_ci_u32_e32 v3, vcc_lo, s5, v30, vcc_lo
	s_mov_b32 s1, s3
	s_mov_b32 s4, s8
	global_load_b32 v2, v[2:3], off
	s_waitcnt vmcnt(0)
	v_dual_mul_f32 v4, s15, v2 :: v_dual_mov_b32 v3, v1
	v_mov_b32_e32 v2, v0
	s_cbranch_scc1 .LBB32_52
.LBB32_51:                              ;   Parent Loop BB32_50 Depth=1
                                        ; =>  This Inner Loop Header: Depth=2
	global_load_b32 v5, v[2:3], off
	v_mov_b32_e32 v6, s1
	v_add_co_u32 v2, vcc_lo, v2, -4
	v_add_co_ci_u32_e32 v3, vcc_lo, -1, v3, vcc_lo
	ds_load_b32 v6, v6
	s_add_i32 s4, s4, -1
	s_addk_i32 s1, 0xff90
	s_cmp_gt_i32 s4, s6
	s_waitcnt vmcnt(0) lgkmcnt(0)
	v_fma_f32 v4, -v5, v6, v4
	s_cbranch_scc1 .LBB32_51
.LBB32_52:                              ;   in Loop: Header=BB32_50 Depth=1
	s_add_i32 s4, s6, -1
	s_mov_b32 s5, s7
	s_mul_i32 s1, s6, 0x74
	s_lshl_b64 s[4:5], s[4:5], 2
	s_delay_alu instid0(SALU_CYCLE_1)
	v_add_co_u32 v2, vcc_lo, v29, s4
	v_add_co_ci_u32_e32 v3, vcc_lo, s5, v30, vcc_lo
	s_ashr_i32 s5, s6, 31
	s_mov_b32 s4, s6
	global_load_b32 v5, v[2:3], off
	v_mov_b32_e32 v2, s1
	s_lshl_b64 s[4:5], s[4:5], 2
	s_cmp_lt_i32 s8, s6
	ds_load_b32 v6, v2
	v_add_co_u32 v2, vcc_lo, v29, s4
	v_add_co_ci_u32_e32 v3, vcc_lo, s5, v30, vcc_lo
	s_mov_b32 s4, s0
	s_mov_b32 s5, s2
	s_waitcnt lgkmcnt(0)
	v_mul_f32_e32 v7, v6, v4
	global_store_b32 v[2:3], v7, off
	s_waitcnt vmcnt(0)
	v_dual_mul_f32 v6, s15, v5 :: v_dual_mov_b32 v5, v1
	v_mov_b32_e32 v4, v0
	s_cbranch_scc1 .LBB32_49
.LBB32_53:                              ;   Parent Loop BB32_50 Depth=1
                                        ; =>  This Inner Loop Header: Depth=2
	global_load_b32 v7, v[4:5], off
	v_mov_b32_e32 v8, s4
	v_add_co_u32 v4, vcc_lo, v4, -4
	v_add_co_ci_u32_e32 v5, vcc_lo, -1, v5, vcc_lo
	ds_load_b32 v8, v8
	s_add_i32 s5, s5, -1
	s_addk_i32 s4, 0xff90
	s_cmp_gt_i32 s5, s6
	s_waitcnt vmcnt(0) lgkmcnt(0)
	v_fma_f32 v6, -v7, v8, v6
	s_cbranch_scc1 .LBB32_53
	s_branch .LBB32_49
.LBB32_54:
	s_nop 0
	s_sendmsg sendmsg(MSG_DEALLOC_VGPRS)
	s_endpgm
	.section	.rodata,"a",@progbits
	.p2align	6, 0x0
	.amdhsa_kernel _ZL30rocblas_trsm_small_left_deviceILi28ELi28ELb0EffPKPKfPKPfEv13rocblas_fill_18rocblas_operation_17rocblas_diagonal_iiT3_T4_lilT5_lili
		.amdhsa_group_segment_fixed_size 3136
		.amdhsa_private_segment_fixed_size 0
		.amdhsa_kernarg_size 352
		.amdhsa_user_sgpr_count 14
		.amdhsa_user_sgpr_dispatch_ptr 0
		.amdhsa_user_sgpr_queue_ptr 0
		.amdhsa_user_sgpr_kernarg_segment_ptr 1
		.amdhsa_user_sgpr_dispatch_id 0
		.amdhsa_user_sgpr_private_segment_size 0
		.amdhsa_wavefront_size32 1
		.amdhsa_uses_dynamic_stack 0
		.amdhsa_enable_private_segment 0
		.amdhsa_system_sgpr_workgroup_id_x 1
		.amdhsa_system_sgpr_workgroup_id_y 0
		.amdhsa_system_sgpr_workgroup_id_z 1
		.amdhsa_system_sgpr_workgroup_info 0
		.amdhsa_system_vgpr_workitem_id 0
		.amdhsa_next_free_vgpr 127
		.amdhsa_next_free_sgpr 55
		.amdhsa_reserve_vcc 1
		.amdhsa_float_round_mode_32 0
		.amdhsa_float_round_mode_16_64 0
		.amdhsa_float_denorm_mode_32 3
		.amdhsa_float_denorm_mode_16_64 3
		.amdhsa_dx10_clamp 1
		.amdhsa_ieee_mode 1
		.amdhsa_fp16_overflow 0
		.amdhsa_workgroup_processor_mode 1
		.amdhsa_memory_ordered 1
		.amdhsa_forward_progress 0
		.amdhsa_shared_vgpr_count 0
		.amdhsa_exception_fp_ieee_invalid_op 0
		.amdhsa_exception_fp_denorm_src 0
		.amdhsa_exception_fp_ieee_div_zero 0
		.amdhsa_exception_fp_ieee_overflow 0
		.amdhsa_exception_fp_ieee_underflow 0
		.amdhsa_exception_fp_ieee_inexact 0
		.amdhsa_exception_int_div_zero 0
	.end_amdhsa_kernel
	.section	.text._ZL30rocblas_trsm_small_left_deviceILi28ELi28ELb0EffPKPKfPKPfEv13rocblas_fill_18rocblas_operation_17rocblas_diagonal_iiT3_T4_lilT5_lili,"axG",@progbits,_ZL30rocblas_trsm_small_left_deviceILi28ELi28ELb0EffPKPKfPKPfEv13rocblas_fill_18rocblas_operation_17rocblas_diagonal_iiT3_T4_lilT5_lili,comdat
.Lfunc_end32:
	.size	_ZL30rocblas_trsm_small_left_deviceILi28ELi28ELb0EffPKPKfPKPfEv13rocblas_fill_18rocblas_operation_17rocblas_diagonal_iiT3_T4_lilT5_lili, .Lfunc_end32-_ZL30rocblas_trsm_small_left_deviceILi28ELi28ELb0EffPKPKfPKPfEv13rocblas_fill_18rocblas_operation_17rocblas_diagonal_iiT3_T4_lilT5_lili
                                        ; -- End function
	.section	.AMDGPU.csdata,"",@progbits
; Kernel info:
; codeLenInByte = 26424
; NumSgprs: 57
; NumVgprs: 127
; ScratchSize: 0
; MemoryBound: 0
; FloatMode: 240
; IeeeMode: 1
; LDSByteSize: 3136 bytes/workgroup (compile time only)
; SGPRBlocks: 7
; VGPRBlocks: 15
; NumSGPRsForWavesPerEU: 57
; NumVGPRsForWavesPerEU: 127
; Occupancy: 10
; WaveLimiterHint : 1
; COMPUTE_PGM_RSRC2:SCRATCH_EN: 0
; COMPUTE_PGM_RSRC2:USER_SGPR: 14
; COMPUTE_PGM_RSRC2:TRAP_HANDLER: 0
; COMPUTE_PGM_RSRC2:TGID_X_EN: 1
; COMPUTE_PGM_RSRC2:TGID_Y_EN: 0
; COMPUTE_PGM_RSRC2:TGID_Z_EN: 1
; COMPUTE_PGM_RSRC2:TIDIG_COMP_CNT: 0
	.section	.text._ZL38rocblas_trsm_small_left_device_sharedBILi28ELi28ELb1EffPKPKfPKPfEv13rocblas_fill_18rocblas_operation_17rocblas_diagonal_iiT3_T4_lilT5_lili,"axG",@progbits,_ZL38rocblas_trsm_small_left_device_sharedBILi28ELi28ELb1EffPKPKfPKPfEv13rocblas_fill_18rocblas_operation_17rocblas_diagonal_iiT3_T4_lilT5_lili,comdat
	.globl	_ZL38rocblas_trsm_small_left_device_sharedBILi28ELi28ELb1EffPKPKfPKPfEv13rocblas_fill_18rocblas_operation_17rocblas_diagonal_iiT3_T4_lilT5_lili ; -- Begin function _ZL38rocblas_trsm_small_left_device_sharedBILi28ELi28ELb1EffPKPKfPKPfEv13rocblas_fill_18rocblas_operation_17rocblas_diagonal_iiT3_T4_lilT5_lili
	.p2align	8
	.type	_ZL38rocblas_trsm_small_left_device_sharedBILi28ELi28ELb1EffPKPKfPKPfEv13rocblas_fill_18rocblas_operation_17rocblas_diagonal_iiT3_T4_lilT5_lili,@function
_ZL38rocblas_trsm_small_left_device_sharedBILi28ELi28ELb1EffPKPKfPKPfEv13rocblas_fill_18rocblas_operation_17rocblas_diagonal_iiT3_T4_lilT5_lili: ; @_ZL38rocblas_trsm_small_left_device_sharedBILi28ELi28ELb1EffPKPKfPKPfEv13rocblas_fill_18rocblas_operation_17rocblas_diagonal_iiT3_T4_lilT5_lili
; %bb.0:
	s_clause 0x1
	s_load_b128 s[8:11], s[0:1], 0x38
	s_load_b128 s[4:7], s[0:1], 0x4
	s_mov_b32 s12, s15
	s_mov_b32 s13, 0
	s_delay_alu instid0(SALU_CYCLE_1)
	s_lshl_b64 s[20:21], s[12:13], 3
	s_mov_b32 s12, exec_lo
	s_waitcnt lgkmcnt(0)
	s_add_u32 s2, s8, s20
	s_addc_u32 s3, s9, s21
	s_load_b32 s27, s[0:1], 0x14
	s_load_b64 s[2:3], s[2:3], 0x0
	s_min_i32 s15, s6, 28
	s_delay_alu instid0(SALU_CYCLE_1)
	s_add_i32 s26, s15, -1
	v_cmpx_gt_i32_e64 s15, v0
	s_cbranch_execz .LBB33_10
; %bb.1:
	s_clause 0x1
	s_load_b32 s8, s[0:1], 0x28
	s_load_b128 s[16:19], s[0:1], 0x18
	s_waitcnt lgkmcnt(0)
	s_ashr_i32 s9, s8, 31
	s_add_u32 s16, s16, s20
	s_addc_u32 s17, s17, s21
	s_cmp_lt_u32 s26, 3
	s_load_b64 s[16:17], s[16:17], 0x0
	s_cbranch_scc1 .LBB33_4
; %bb.2:
	v_lshlrev_b32_e32 v3, 2, v0
	s_lshl_b64 s[20:21], s[18:19], 2
	s_mul_hi_i32 s28, s8, 12
	s_waitcnt lgkmcnt(0)
	s_add_u32 s13, s16, s20
	s_addc_u32 s20, s17, s21
	v_add_co_u32 v1, s13, s13, v3
	s_delay_alu instid0(VALU_DEP_1)
	v_add_co_ci_u32_e64 v2, null, s20, 0, s13
	s_and_b32 s13, s15, -4
	s_mul_i32 s29, s8, 12
	s_lshl_b64 s[20:21], s[8:9], 4
	s_lshl_b64 s[22:23], s[8:9], 3
	;; [unrolled: 1-line block ×3, first 2 shown]
	s_mov_b32 s30, 0
	.p2align	6
.LBB33_3:                               ; =>This Inner Loop Header: Depth=1
	v_add_co_u32 v4, vcc_lo, v1, s24
	v_add_co_ci_u32_e32 v5, vcc_lo, s25, v2, vcc_lo
	v_add_co_u32 v6, vcc_lo, v1, s22
	v_add_co_ci_u32_e32 v7, vcc_lo, s23, v2, vcc_lo
	;; [unrolled: 2-line block ×3, first 2 shown]
	s_clause 0x3
	global_load_b32 v10, v[1:2], off
	global_load_b32 v4, v[4:5], off
	global_load_b32 v5, v[6:7], off
	global_load_b32 v6, v[8:9], off
	v_add_co_u32 v1, vcc_lo, v1, s20
	v_add_co_ci_u32_e32 v2, vcc_lo, s21, v2, vcc_lo
	s_add_i32 s30, s30, 4
	s_waitcnt vmcnt(2)
	ds_store_2addr_b32 v3, v10, v4 offset1:28
	s_waitcnt vmcnt(0)
	ds_store_2addr_b32 v3, v5, v6 offset0:56 offset1:84
	v_add_nc_u32_e32 v3, 0x1c0, v3
	s_cmp_eq_u32 s13, s30
	s_cbranch_scc0 .LBB33_3
.LBB33_4:
	s_and_b32 s20, s15, 3
	s_delay_alu instid0(SALU_CYCLE_1)
	s_cmp_eq_u32 s20, 0
	s_cbranch_scc1 .LBB33_7
; %bb.5:
	s_mul_i32 s21, s9, s13
	s_mul_hi_u32 s22, s8, s13
	s_lshl_b64 s[18:19], s[18:19], 2
	s_add_i32 s23, s22, s21
	s_mul_i32 s22, s8, s13
	s_mulk_i32 s13, 0x70
	s_lshl_b64 s[22:23], s[22:23], 2
	v_lshlrev_b32_e32 v1, 2, v0
	v_lshl_add_u32 v3, v0, 2, s13
	s_add_u32 s13, s22, s18
	s_addc_u32 s18, s23, s19
	s_waitcnt lgkmcnt(0)
	s_add_u32 s13, s16, s13
	s_addc_u32 s16, s17, s18
	v_add_co_u32 v1, s13, s13, v1
	s_delay_alu instid0(VALU_DEP_1)
	v_add_co_ci_u32_e64 v2, null, s16, 0, s13
	s_lshl_b64 s[8:9], s[8:9], 2
.LBB33_6:                               ; =>This Inner Loop Header: Depth=1
	global_load_b32 v4, v[1:2], off
	v_add_co_u32 v1, vcc_lo, v1, s8
	v_add_co_ci_u32_e32 v2, vcc_lo, s9, v2, vcc_lo
	s_add_i32 s20, s20, -1
	s_delay_alu instid0(SALU_CYCLE_1)
	s_cmp_lg_u32 s20, 0
	s_waitcnt vmcnt(0)
	ds_store_b32 v3, v4
	v_add_nc_u32_e32 v3, 0x70, v3
	s_cbranch_scc1 .LBB33_6
.LBB33_7:
	v_mul_u32_u24_e32 v1, 29, v0
	s_cmpk_lg_i32 s5, 0x84
	s_delay_alu instid0(VALU_DEP_1)
	v_dual_mov_b32 v2, 1.0 :: v_dual_lshlrev_b32 v1, 2, v1
	s_cbranch_scc0 .LBB33_9
; %bb.8:
	ds_load_b32 v2, v1
	s_waitcnt lgkmcnt(0)
	v_div_scale_f32 v3, null, v2, v2, 1.0
	s_delay_alu instid0(VALU_DEP_1) | instskip(SKIP_2) | instid1(VALU_DEP_1)
	v_rcp_f32_e32 v4, v3
	s_waitcnt_depctr 0xfff
	v_fma_f32 v5, -v3, v4, 1.0
	v_fmac_f32_e32 v4, v5, v4
	v_div_scale_f32 v5, vcc_lo, 1.0, v2, 1.0
	s_delay_alu instid0(VALU_DEP_1) | instskip(NEXT) | instid1(VALU_DEP_1)
	v_mul_f32_e32 v6, v5, v4
	v_fma_f32 v7, -v3, v6, v5
	s_delay_alu instid0(VALU_DEP_1) | instskip(NEXT) | instid1(VALU_DEP_1)
	v_fmac_f32_e32 v6, v7, v4
	v_fma_f32 v3, -v3, v6, v5
	s_delay_alu instid0(VALU_DEP_1) | instskip(NEXT) | instid1(VALU_DEP_1)
	v_div_fmas_f32 v3, v3, v4, v6
	v_div_fixup_f32 v2, v3, v2, 1.0
.LBB33_9:
	ds_store_b32 v1, v2
.LBB33_10:
	s_or_b32 exec_lo, exec_lo, s12
	s_load_b32 s5, s[0:1], 0x60
	s_waitcnt lgkmcnt(0)
	s_load_b32 s16, s[0:1], 0x48
	s_lshl_b64 s[0:1], s[10:11], 2
	s_mul_i32 s9, s14, 0xffffffe4
	s_mul_i32 s8, s14, 28
	s_waitcnt lgkmcnt(0)
	s_ashr_i32 s17, s16, 31
	s_add_u32 s12, s2, s0
	s_addc_u32 s13, s3, s1
	s_add_i32 s5, s5, -1
	s_add_i32 s9, s9, s7
	s_mul_hi_i32 s11, s16, s8
	s_cmp_ge_u32 s14, s5
	s_mul_i32 s10, s16, s8
	s_cselect_b32 s14, s9, 28
	s_lshl_b64 s[10:11], s[10:11], 2
	s_ashr_i32 s9, s8, 31
	s_add_u32 s5, s12, s10
	s_addc_u32 s7, s13, s11
	v_cmp_gt_i32_e32 vcc_lo, s14, v0
	s_cmp_gt_i32 s6, 0
	s_mov_b32 s10, 0
	s_cselect_b32 s11, -1, 0
	s_delay_alu instid0(SALU_CYCLE_1) | instskip(NEXT) | instid1(SALU_CYCLE_1)
	s_and_b32 s14, vcc_lo, s11
	s_and_saveexec_b32 s18, s14
	s_cbranch_execz .LBB33_17
; %bb.11:
	s_cmp_lt_i32 s6, 8
	s_cbranch_scc1 .LBB33_14
; %bb.12:
	v_mad_i64_i32 v[1:2], null, s16, v0, 0
	v_lshl_add_u32 v3, v0, 2, 0xc40
	s_lshl_b32 s10, s15, 2
	s_mov_b64 s[12:13], 0
	s_and_b32 s11, s10, 0x60
	s_mov_b32 s10, 0
	s_delay_alu instid0(VALU_DEP_2) | instskip(NEXT) | instid1(VALU_DEP_1)
	v_lshlrev_b64 v[1:2], 2, v[1:2]
	v_add_co_u32 v1, vcc_lo, s5, v1
	s_delay_alu instid0(VALU_DEP_2)
	v_add_co_ci_u32_e32 v2, vcc_lo, s7, v2, vcc_lo
	.p2align	6
.LBB33_13:                              ; =>This Inner Loop Header: Depth=1
	s_delay_alu instid0(VALU_DEP_2) | instskip(NEXT) | instid1(VALU_DEP_2)
	v_add_co_u32 v8, vcc_lo, v1, s12
	v_add_co_ci_u32_e32 v9, vcc_lo, s13, v2, vcc_lo
	s_add_i32 s10, s10, 8
	s_add_u32 s12, s12, 32
	s_addc_u32 s13, s13, 0
	s_clause 0x1
	global_load_b128 v[4:7], v[8:9], off
	global_load_b128 v[8:11], v[8:9], off offset:16
	s_cmp_lg_u32 s11, s12
	s_waitcnt vmcnt(1)
	v_dual_mul_f32 v4, s27, v4 :: v_dual_mul_f32 v5, s27, v5
	v_dual_mul_f32 v6, s27, v6 :: v_dual_mul_f32 v7, s27, v7
	s_waitcnt vmcnt(0)
	v_dual_mul_f32 v8, s27, v8 :: v_dual_mul_f32 v9, s27, v9
	v_dual_mul_f32 v10, s27, v10 :: v_dual_mul_f32 v11, s27, v11
	ds_store_2addr_b32 v3, v4, v5 offset1:28
	ds_store_2addr_b32 v3, v6, v7 offset0:56 offset1:84
	ds_store_2addr_b32 v3, v8, v9 offset0:112 offset1:140
	;; [unrolled: 1-line block ×3, first 2 shown]
	v_add_nc_u32_e32 v3, 0x380, v3
	s_cbranch_scc1 .LBB33_13
.LBB33_14:
	s_and_b32 s12, s15, 7
	s_mov_b32 s11, 0
	s_cmp_eq_u32 s12, 0
	s_cbranch_scc1 .LBB33_17
; %bb.15:
	v_lshlrev_b32_e32 v3, 2, v0
	s_lshl_b64 s[20:21], s[8:9], 2
	s_lshl_b64 s[22:23], s[10:11], 2
	s_mulk_i32 s10, 0x70
	s_delay_alu instid0(VALU_DEP_1) | instskip(NEXT) | instid1(VALU_DEP_1)
	v_add_co_u32 v4, s11, s20, v3
	v_add_co_ci_u32_e64 v5, null, s21, 0, s11
	s_add_u32 s11, s2, s22
	s_addc_u32 s13, s3, s23
	s_add_u32 s20, s11, s0
	s_addc_u32 s21, s13, s1
	v_mul_lo_u32 v5, v5, s16
	v_mad_u64_u32 v[1:2], null, v4, s16, s[20:21]
	v_mul_lo_u32 v4, v4, s17
	v_add3_u32 v3, s10, v3, 0xc40
	s_delay_alu instid0(VALU_DEP_2)
	v_add3_u32 v2, v5, v2, v4
.LBB33_16:                              ; =>This Inner Loop Header: Depth=1
	global_load_b32 v4, v[1:2], off
	v_add_co_u32 v1, vcc_lo, v1, 4
	v_add_co_ci_u32_e32 v2, vcc_lo, 0, v2, vcc_lo
	s_add_i32 s12, s12, -1
	s_delay_alu instid0(SALU_CYCLE_1)
	s_cmp_lg_u32 s12, 0
	s_waitcnt vmcnt(0)
	v_mul_f32_e32 v4, s27, v4
	ds_store_b32 v3, v4
	v_add_nc_u32_e32 v3, 0x70, v3
	s_cbranch_scc1 .LBB33_16
.LBB33_17:
	s_or_b32 exec_lo, exec_lo, s18
	s_cmpk_eq_i32 s4, 0x6f
	s_mov_b32 s4, -1
	s_waitcnt vmcnt(0) lgkmcnt(0)
	s_waitcnt_vscnt null, 0x0
	; wave barrier
	s_waitcnt lgkmcnt(0)
	buffer_gl0_inv
	s_cbranch_scc1 .LBB33_40
; %bb.18:
	s_cmp_gt_i32 s6, 27
	s_mov_b32 s4, s26
	s_cbranch_scc0 .LBB33_20
; %bb.19:
	s_mul_i32 s4, s15, 28
	s_mul_i32 s10, s26, 28
	s_add_i32 s18, s4, 0xfffffd44
	v_add_lshl_u32 v12, s10, v0, 2
	s_sub_i32 s10, s4, 56
	s_add_i32 s19, s4, 0xffffffac
	s_add_i32 s13, s4, 0xfffffd28
	v_add_lshl_u32 v7, s18, v0, 2
	s_add_i32 s11, s4, 0xfffffd0c
	v_add_lshl_u32 v1, s10, v0, 2
	v_add_lshl_u32 v2, s19, v0, 2
	;; [unrolled: 1-line block ×3, first 2 shown]
	s_add_i32 s10, s4, 0xfffffcf0
	s_add_i32 s19, s19, s26
	v_add_lshl_u32 v9, s11, v0, 2
	s_mul_i32 s12, s26, 0x74
	v_add_lshl_u32 v10, s10, v0, 2
	s_lshl_b32 s19, s19, 2
	s_add_i32 s23, s4, 0xffffff90
	v_dual_mov_b32 v13, s12 :: v_dual_mov_b32 v14, s19
	ds_load_b32 v41, v7 offset:3136
	ds_load_b32 v38, v8 offset:3136
	ds_load_b32 v29, v9 offset:3136
	ds_load_b32 v25, v10 offset:3136
	ds_load_b32 v15, v13
	v_add_lshl_u32 v3, s23, v0, 2
	s_add_i32 s23, s23, s26
	s_add_i32 s24, s4, 0xffffff74
	s_add_i32 s25, s4, 0xffffff58
	s_add_i32 s27, s4, 0xffffff3c
	s_add_i32 s21, s4, 0xffffff20
	s_add_i32 s20, s12, 0xffffff8c
	s_add_i32 s19, s12, 0xffffff18
	s_lshl_b32 s23, s23, 2
	v_add_lshl_u32 v4, s24, v0, 2
	v_add_lshl_u32 v5, s25, v0, 2
	;; [unrolled: 1-line block ×4, first 2 shown]
	ds_load_b32 v16, v12 offset:3136
	ds_load_b32 v17, v1 offset:3136
	;; [unrolled: 1-line block ×8, first 2 shown]
	v_mov_b32_e32 v23, s19
	s_add_i32 s19, s23, -4
	s_delay_alu instid0(SALU_CYCLE_1)
	v_dual_mov_b32 v13, s20 :: v_dual_mov_b32 v26, s19
	ds_load_b32 v30, v14
	s_add_i32 s23, s12, 0xfffffea4
	s_add_i32 s24, s24, s26
	ds_load_2addr_b32 v[19:20], v13 offset1:1
	ds_load_2addr_b32 v[26:27], v26 offset1:1
	s_lshl_b32 s24, s24, 2
	v_mov_b32_e32 v31, s23
	s_add_i32 s25, s25, s26
	s_waitcnt lgkmcnt(10)
	v_mul_f32_e32 v18, v15, v16
	ds_load_2addr_b32 v[23:24], v23 offset1:1
	s_add_i32 s33, s4, 0xffffff04
	s_add_i32 s22, s4, 0xfffffee8
	v_add_lshl_u32 v12, s33, v0, 2
	s_add_i32 s20, s4, 0xfffffecc
	v_add_lshl_u32 v13, s22, v0, 2
	;; [unrolled: 2-line block ×4, first 2 shown]
	s_add_i32 s30, s4, 0xfffffe78
	s_waitcnt lgkmcnt(3)
	v_fma_f32 v21, -v18, v30, v21
	s_add_i32 s29, s4, 0xfffffe5c
	s_add_i32 s28, s4, 0xfffffe40
	s_waitcnt lgkmcnt(2)
	v_fma_f32 v20, -v18, v20, v17
	s_waitcnt lgkmcnt(1)
	v_fma_f32 v27, -v18, v27, v22
	s_add_i32 s23, s4, 0xfffffe24
	v_add_lshl_u32 v16, s31, v0, 2
	v_add_lshl_u32 v17, s30, v0, 2
	v_mul_f32_e32 v20, v19, v20
	v_add_lshl_u32 v19, s29, v0, 2
	v_add_lshl_u32 v22, s23, v0, 2
	s_add_i32 s27, s27, s26
	s_add_i32 s21, s21, s26
	s_waitcnt lgkmcnt(0)
	v_fma_f32 v24, -v20, v24, v21
	v_mov_b32_e32 v32, s24
	s_add_i32 s24, s24, -8
	v_add_lshl_u32 v21, s28, v0, 2
	s_lshl_b32 s21, s21, 2
	v_mul_f32_e32 v23, v23, v24
	ds_load_2addr_b32 v[30:31], v31 offset1:1
	ds_load_b32 v32, v32
	v_fma_f32 v24, -v20, v26, v27
	v_mov_b32_e32 v26, s24
	s_lshl_b32 s24, s25, 2
	s_add_i32 s25, s12, 0xfffffe30
	s_add_i32 s34, s24, -4
	ds_load_b32 v50, v12 offset:3136
	ds_load_b32 v51, v13 offset:3136
	;; [unrolled: 1-line block ×9, first 2 shown]
	s_add_i32 s24, s24, -12
	v_mov_b32_e32 v46, s21
	v_mov_b32_e32 v34, s24
	s_lshl_b32 s24, s27, 2
	s_add_i32 s33, s33, s26
	s_add_i32 s27, s24, -4
	s_add_i32 s22, s22, s26
	v_mov_b32_e32 v37, s27
	s_add_i32 s20, s20, s26
	s_add_i32 s29, s29, s26
	s_lshl_b32 s20, s20, 2
	s_lshl_b32 s29, s29, 2
	s_waitcnt lgkmcnt(10)
	v_fma_f32 v24, -v23, v31, v24
	v_mov_b32_e32 v31, s25
	v_mov_b32_e32 v33, s34
	ds_load_2addr_b32 v[26:27], v26 offset1:1
	s_waitcnt lgkmcnt(10)
	v_fma_f32 v28, -v18, v32, v28
	v_mul_f32_e32 v24, v30, v24
	ds_load_2addr_b32 v[30:31], v31 offset1:1
	ds_load_2addr_b32 v[32:33], v33 offset1:1
	;; [unrolled: 1-line block ×3, first 2 shown]
	s_add_i32 s25, s12, 0xfffffdbc
	s_add_i32 s19, s19, s26
	v_mov_b32_e32 v36, s25
	s_add_i32 s25, s24, -12
	s_sub_i32 s24, s24, 20
	s_add_i32 s31, s31, s26
	v_mov_b32_e32 v48, s24
	s_lshl_b32 s31, s31, 2
	s_add_i32 s30, s30, s26
	s_add_i32 s35, s31, -8
	s_lshl_b32 s30, s30, 2
	s_add_i32 s28, s28, s26
	s_add_i32 s23, s23, s26
	s_lshl_b32 s28, s28, 2
	s_lshl_b32 s23, s23, 2
	s_waitcnt lgkmcnt(3)
	v_fma_f32 v40, -v20, v27, v28
	ds_load_2addr_b32 v[27:28], v36 offset1:1
	ds_load_2addr_b32 v[36:37], v37 offset1:1
	ds_load_b32 v53, v46
	s_waitcnt lgkmcnt(4)
	v_fma_f32 v33, -v18, v33, v39
	s_add_i32 s24, s4, 0xfffffe08
	v_fma_f32 v26, -v23, v26, v40
	s_add_i32 s27, s4, 0xfffffdec
	s_add_i32 s18, s18, s26
	v_fma_f32 v33, -v20, v32, v33
	s_lshl_b32 s18, s18, 2
	v_fma_f32 v26, -v24, v31, v26
	ds_load_2addr_b32 v[31:32], v48 offset1:1
	s_add_i32 s10, s10, s26
	s_waitcnt lgkmcnt(4)
	v_fma_f32 v33, -v23, v35, v33
	s_lshl_b32 s10, s10, 2
	v_mul_f32_e32 v26, v30, v26
	s_add_i32 s13, s13, s26
	s_add_i32 s11, s11, s26
	v_fma_f32 v33, -v24, v34, v33
	s_lshl_b32 s13, s13, 2
	s_lshl_b32 s11, s11, 2
	s_waitcnt lgkmcnt(2)
	v_fma_f32 v37, -v18, v37, v42
	v_mov_b32_e32 v75, s29
	v_fma_f32 v28, -v26, v28, v33
	v_mov_b32_e32 v40, s25
	s_add_i32 s25, s21, -8
	v_fma_f32 v30, -v20, v36, v37
	s_delay_alu instid0(VALU_DEP_3)
	v_dual_mov_b32 v46, s25 :: v_dual_mul_f32 v27, v27, v28
	ds_load_2addr_b32 v[39:40], v40 offset1:1
	s_add_i32 s25, s21, -16
	s_sub_i32 s21, s21, 24
	ds_load_2addr_b32 v[46:47], v46 offset1:1
	v_mov_b32_e32 v48, s25
	v_mov_b32_e32 v42, s21
	s_lshl_b32 s21, s33, 2
	s_waitcnt lgkmcnt(3)
	v_fma_f32 v37, -v18, v53, v44
	s_add_i32 s25, s21, -4
	ds_load_2addr_b32 v[48:49], v48 offset1:1
	ds_load_2addr_b32 v[35:36], v42 offset1:1
	v_mov_b32_e32 v33, s25
	s_add_i32 s25, s12, 0xfffffd48
	s_sub_i32 s33, s20, 24
	s_waitcnt lgkmcnt(3)
	v_fma_f32 v30, -v23, v40, v30
	s_waitcnt lgkmcnt(2)
	v_fma_f32 v34, -v20, v47, v37
	s_delay_alu instid0(VALU_DEP_2) | instskip(SKIP_2) | instid1(VALU_DEP_3)
	v_fma_f32 v30, -v24, v39, v30
	v_mov_b32_e32 v39, s25
	s_add_i32 s25, s21, -12
	v_fma_f32 v37, -v23, v46, v34
	ds_load_2addr_b32 v[33:34], v33 offset1:1
	v_fma_f32 v28, -v26, v32, v30
	ds_load_b32 v32, v39
	s_waitcnt lgkmcnt(3)
	v_fma_f32 v30, -v24, v49, v37
	v_mov_b32_e32 v37, s25
	v_fma_f32 v28, -v27, v31, v28
	s_sub_i32 s25, s21, 20
	s_sub_i32 s21, s21, 28
	v_fma_f32 v42, -v26, v48, v30
	ds_load_2addr_b32 v[30:31], v37 offset1:1
	v_mov_b32_e32 v37, s21
	s_lshl_b32 s21, s22, 2
	v_mov_b32_e32 v39, s25
	s_waitcnt lgkmcnt(3)
	v_fma_f32 v42, -v27, v36, v42
	s_add_i32 s25, s21, -8
	s_add_i32 s22, s12, 0xfffffcd4
	ds_load_2addr_b32 v[39:40], v39 offset1:1
	ds_load_2addr_b32 v[46:47], v37 offset1:1
	v_mov_b32_e32 v37, s25
	s_waitcnt lgkmcnt(4)
	v_fma_f32 v34, -v18, v34, v50
	v_mov_b32_e32 v48, s22
	s_waitcnt lgkmcnt(3)
	v_mul_f32_e32 v28, v32, v28
	s_add_i32 s22, s21, -16
	s_add_i32 s25, s20, -16
	v_fma_f32 v34, -v20, v33, v34
	s_delay_alu instid0(VALU_DEP_2) | instskip(SKIP_2) | instid1(VALU_DEP_3)
	v_fma_f32 v35, -v28, v35, v42
	v_mov_b32_e32 v44, s21
	s_waitcnt lgkmcnt(2)
	v_fma_f32 v31, -v23, v31, v34
	v_mov_b32_e32 v34, s22
	s_sub_i32 s22, s21, 24
	ds_load_b32 v44, v44
	ds_load_2addr_b32 v[32:33], v37 offset1:1
	ds_load_b32 v50, v48
	v_fma_f32 v31, -v24, v30, v31
	v_mov_b32_e32 v30, s20
	v_mov_b32_e32 v48, s22
	s_add_i32 s22, s20, -8
	ds_load_2addr_b32 v[36:37], v34 offset1:1
	ds_load_2addr_b32 v[48:49], v48 offset1:1
	ds_load_b32 v53, v30
	s_waitcnt lgkmcnt(7)
	v_fma_f32 v40, -v26, v40, v31
	s_sub_i32 s21, s21, 32
	s_waitcnt lgkmcnt(5)
	v_fma_f32 v34, -v18, v44, v51
	s_waitcnt lgkmcnt(3)
	v_dual_mov_b32 v44, s22 :: v_dual_mul_f32 v31, v50, v35
	v_fma_f32 v35, -v27, v39, v40
	v_mov_b32_e32 v39, s25
	v_fma_f32 v42, -v20, v33, v34
	ds_load_2addr_b32 v[33:34], v44 offset1:1
	s_add_i32 s22, s12, 0xfffffc60
	s_addk_i32 s12, 0xfbec
	v_mov_b32_e32 v44, s22
	v_fma_f32 v32, -v23, v32, v42
	v_mov_b32_e32 v42, s33
	ds_load_2addr_b32 v[39:40], v39 offset1:1
	ds_load_2addr_b32 v[50:51], v42 offset1:1
	s_waitcnt lgkmcnt(5)
	v_fma_f32 v32, -v24, v37, v32
	s_waitcnt lgkmcnt(3)
	v_fma_f32 v37, -v18, v53, v52
	s_lshl_b32 s33, s19, 2
	ds_load_b32 v44, v44
	s_sub_i32 s34, s33, 20
	v_fma_f32 v32, -v26, v36, v32
	v_add_lshl_u32 v30, s24, v0, 2
	s_add_i32 s25, s4, 0xfffffdd0
	s_add_i32 s22, s4, 0xfffffdb4
	;; [unrolled: 1-line block ×3, first 2 shown]
	s_waitcnt lgkmcnt(3)
	v_fma_f32 v36, -v20, v34, v37
	v_mov_b32_e32 v37, s12
	s_sub_i32 s12, s20, 32
	s_add_i32 s20, s33, -4
	v_fma_f32 v42, -v28, v47, v35
	v_fma_f32 v33, -v23, v33, v36
	v_mov_b32_e32 v36, s12
	s_mul_i32 s12, s15, 0x74
	v_mov_b32_e32 v35, s21
	s_add_i32 s19, s12, 0xfffffb04
	s_delay_alu instid0(SALU_CYCLE_1)
	v_dual_mov_b32 v56, s20 :: v_dual_mov_b32 v47, s19
	s_waitcnt lgkmcnt(2)
	v_fma_f32 v33, -v24, v40, v33
	ds_load_2addr_b32 v[34:35], v35 offset1:1
	ds_load_2addr_b32 v[52:53], v36 offset1:1
	;; [unrolled: 1-line block ×4, first 2 shown]
	ds_load_b32 v37, v37
	s_add_i32 s19, s33, -12
	v_fma_f32 v33, -v26, v39, v33
	v_mov_b32_e32 v39, s19
	v_fma_f32 v36, -v31, v46, v42
	v_fma_f32 v32, -v27, v49, v32
	s_add_i32 s21, s4, 0xfffffd98
	s_waitcnt lgkmcnt(6)
	v_fma_f32 v33, -v27, v51, v33
	ds_load_2addr_b32 v[46:47], v39 offset1:1
	s_waitcnt lgkmcnt(6)
	v_mul_f32_e32 v36, v44, v36
	v_mov_b32_e32 v44, s31
	v_fma_f32 v32, -v28, v48, v32
	v_mov_b32_e32 v48, s34
	s_sub_i32 s34, s33, 28
	s_sub_i32 s33, s33, 36
	ds_load_b32 v44, v44
	v_fma_f32 v39, -v28, v50, v33
	s_waitcnt lgkmcnt(6)
	v_fma_f32 v35, -v31, v35, v32
	v_add_lshl_u32 v33, s27, v0, 2
	s_waitcnt lgkmcnt(3)
	v_fma_f32 v42, -v18, v57, v58
	v_add_lshl_u32 v32, s25, v0, 2
	v_fma_f32 v40, -v31, v53, v39
	v_fma_f32 v35, -v36, v34, v35
	s_add_i32 s20, s4, 0xfffffd7c
	v_fma_f32 v42, -v20, v56, v42
	s_add_i32 s19, s4, 0xfffffd60
	v_fma_f32 v40, -v36, v52, v40
	s_waitcnt lgkmcnt(2)
	v_dual_mul_f32 v39, v37, v35 :: v_dual_mov_b32 v52, s33
	s_waitcnt lgkmcnt(1)
	v_fma_f32 v42, -v23, v47, v42
	s_add_i32 s33, s31, -16
	v_add_lshl_u32 v34, s22, v0, 2
	v_mov_b32_e32 v56, s33
	s_sub_i32 s33, s31, 32
	v_fma_f32 v42, -v24, v46, v42
	v_mov_b32_e32 v46, s35
	s_waitcnt lgkmcnt(0)
	v_fma_f32 v44, -v18, v44, v60
	v_mov_b32_e32 v60, s33
	s_add_i32 s33, s30, -4
	v_fma_f32 v40, -v39, v55, v40
	ds_load_2addr_b32 v[46:47], v46 offset1:1
	v_mov_b32_e32 v66, s33
	s_sub_i32 s33, s30, 44
	v_add_lshl_u32 v35, s21, v0, 2
	v_mov_b32_e32 v70, s33
	s_add_i32 s33, s28, -4
	v_mov_b32_e32 v50, s34
	s_add_i32 s34, s12, 0xfffffa90
	v_mul_f32_e32 v40, v54, v40
	v_mov_b32_e32 v54, s34
	s_sub_i32 s34, s31, 24
	s_sub_i32 s31, s31, 40
	v_mov_b32_e32 v58, s34
	v_mov_b32_e32 v62, s31
	s_add_i32 s31, s12, 0xfffffa1c
	ds_load_2addr_b32 v[48:49], v48 offset1:1
	ds_load_2addr_b32 v[50:51], v50 offset1:1
	;; [unrolled: 1-line block ×6, first 2 shown]
	v_mov_b32_e32 v64, s31
	ds_load_2addr_b32 v[60:61], v60 offset1:1
	ds_load_2addr_b32 v[62:63], v62 offset1:1
	;; [unrolled: 1-line block ×4, first 2 shown]
	s_add_i32 s31, s30, -12
	s_waitcnt lgkmcnt(10)
	v_fma_f32 v44, -v20, v47, v44
	v_mov_b32_e32 v47, s31
	s_add_i32 s31, s12, 0xfffff9a8
	v_add_lshl_u32 v37, s20, v0, 2
	v_mov_b32_e32 v72, s31
	s_add_i32 s31, s29, -8
	ds_load_2addr_b32 v[68:69], v47 offset1:1
	v_mov_b32_e32 v47, s31
	s_sub_i32 s31, s30, 20
	s_waitcnt lgkmcnt(10)
	v_fma_f32 v42, -v26, v49, v42
	v_mov_b32_e32 v49, s31
	ds_load_2addr_b32 v[70:71], v70 offset1:1
	ds_load_2addr_b32 v[72:73], v72 offset1:1
	ds_load_b32 v77, v75
	v_fma_f32 v44, -v23, v46, v44
	ds_load_2addr_b32 v[46:47], v47 offset1:1
	s_sub_i32 s31, s30, 28
	s_sub_i32 s30, s30, 36
	v_fma_f32 v42, -v27, v48, v42
	s_waitcnt lgkmcnt(10)
	v_fma_f32 v44, -v24, v57, v44
	s_waitcnt lgkmcnt(5)
	v_fma_f32 v67, -v18, v67, v74
	ds_load_2addr_b32 v[74:75], v49 offset1:1
	v_mov_b32_e32 v78, s30
	s_add_i32 s30, s29, -16
	v_mov_b32_e32 v49, s31
	v_fma_f32 v79, -v20, v66, v67
	v_fma_f32 v44, -v26, v56, v44
	ds_load_2addr_b32 v[48:49], v49 offset1:1
	ds_load_2addr_b32 v[66:67], v78 offset1:1
	s_waitcnt lgkmcnt(7)
	v_fma_f32 v57, -v23, v69, v79
	v_fma_f32 v42, -v28, v51, v42
	;; [unrolled: 1-line block ×3, first 2 shown]
	s_waitcnt lgkmcnt(4)
	v_fma_f32 v51, -v18, v77, v76
	s_sub_i32 s31, s29, 40
	v_fma_f32 v56, -v24, v68, v57
	v_mov_b32_e32 v57, s30
	s_sub_i32 s30, s29, 24
	s_waitcnt lgkmcnt(3)
	v_fma_f32 v47, -v20, v47, v51
	v_mov_b32_e32 v51, s30
	s_sub_i32 s30, s29, 32
	s_waitcnt lgkmcnt(2)
	v_fma_f32 v59, -v26, v75, v56
	ds_load_2addr_b32 v[56:57], v57 offset1:1
	s_sub_i32 s29, s29, 48
	v_fma_f32 v83, -v23, v46, v47
	ds_load_2addr_b32 v[46:47], v51 offset1:1
	v_mov_b32_e32 v51, s29
	s_add_i32 s29, s12, 0xfffff934
	v_mov_b32_e32 v77, s33
	v_mov_b32_e32 v75, s29
	;; [unrolled: 1-line block ×4, first 2 shown]
	ds_load_2addr_b32 v[68:69], v51 offset1:1
	ds_load_2addr_b32 v[75:76], v75 offset1:1
	;; [unrolled: 1-line block ×5, first 2 shown]
	s_add_i32 s29, s28, -12
	v_fma_f32 v42, -v31, v50, v42
	v_mov_b32_e32 v50, s29
	v_fma_f32 v44, -v28, v58, v44
	s_sub_i32 s29, s28, 20
	s_sub_i32 s30, s28, 36
	v_fma_f32 v42, -v36, v53, v42
	s_lshl_b32 s24, s24, 2
	s_waitcnt lgkmcnt(6)
	v_fma_f32 v51, -v24, v57, v83
	v_fma_f32 v57, -v27, v74, v59
	;; [unrolled: 1-line block ×4, first 2 shown]
	v_add_lshl_u32 v42, s19, v0, 2
	v_fma_f32 v56, -v26, v56, v51
	ds_load_2addr_b32 v[50:51], v50 offset1:1
	v_fma_f32 v49, -v28, v49, v57
	v_fma_f32 v44, -v36, v60, v44
	v_mov_b32_e32 v57, s30
	s_waitcnt lgkmcnt(6)
	v_fma_f32 v47, -v27, v47, v56
	v_mov_b32_e32 v56, s23
	v_fma_f32 v48, -v31, v48, v49
	s_waitcnt lgkmcnt(3)
	v_fma_f32 v49, -v18, v78, v43
	v_fma_f32 v44, -v39, v63, v44
	;; [unrolled: 1-line block ×5, first 2 shown]
	s_add_i32 s27, s27, s26
	v_fma_f32 v44, -v40, v62, v44
	s_waitcnt lgkmcnt(2)
	v_fma_f32 v46, -v31, v80, v46
	v_mul_f32_e32 v43, v54, v47
	v_fma_f32 v47, -v20, v77, v49
	v_mov_b32_e32 v49, s29
	v_fma_f32 v48, -v39, v66, v48
	v_fma_f32 v46, -v36, v79, v46
	s_sub_i32 s29, s28, 28
	s_waitcnt lgkmcnt(0)
	v_fma_f32 v47, -v23, v51, v47
	v_mov_b32_e32 v55, s29
	s_sub_i32 s29, s28, 52
	v_fma_f32 v52, -v39, v82, v46
	v_fma_f32 v51, -v40, v71, v48
	;; [unrolled: 1-line block ×3, first 2 shown]
	ds_load_2addr_b32 v[46:47], v49 offset1:1
	v_mov_b32_e32 v48, s29
	s_add_i32 s29, s12, 0xfffff8c0
	s_sub_i32 s28, s28, 44
	v_mov_b32_e32 v53, s29
	s_add_i32 s29, s23, -8
	v_mov_b32_e32 v59, s28
	v_mov_b32_e32 v61, s29
	ds_load_2addr_b32 v[48:49], v48 offset1:1
	ds_load_2addr_b32 v[53:54], v53 offset1:1
	ds_load_b32 v63, v56
	ds_load_2addr_b32 v[55:56], v55 offset1:1
	ds_load_2addr_b32 v[57:58], v57 offset1:1
	ds_load_2addr_b32 v[59:60], v59 offset1:1
	ds_load_2addr_b32 v[61:62], v61 offset1:1
	s_add_i32 s28, s23, -16
	v_fma_f32 v44, -v43, v65, v44
	v_fma_f32 v65, -v40, v81, v52
	s_sub_i32 s29, s23, 40
	s_add_i32 s25, s25, s26
	s_add_i32 s22, s22, s26
	v_mul_f32_e32 v44, v64, v44
	v_fma_f32 v64, -v43, v70, v51
	v_fma_f32 v69, -v43, v69, v65
	v_mov_b32_e32 v65, s29
	s_lshl_b32 s25, s25, 2
	s_waitcnt lgkmcnt(7)
	v_fma_f32 v47, -v26, v47, v50
	v_mov_b32_e32 v50, s28
	s_sub_i32 s28, s23, 24
	v_fma_f32 v67, -v44, v73, v64
	s_waitcnt lgkmcnt(4)
	v_fma_f32 v45, -v18, v63, v45
	v_fma_f32 v66, -v27, v46, v47
	ds_load_2addr_b32 v[46:47], v50 offset1:1
	ds_load_b32 v50, v30 offset:3136
	ds_load_b32 v74, v33 offset:3136
	;; [unrolled: 1-line block ×7, first 2 shown]
	v_fma_f32 v73, -v44, v68, v69
	s_lshl_b32 s22, s22, 2
	s_waitcnt lgkmcnt(8)
	v_fma_f32 v45, -v20, v62, v45
	v_mov_b32_e32 v62, s28
	s_sub_i32 s28, s23, 32
	v_fma_f32 v56, -v28, v56, v66
	v_mov_b32_e32 v63, s28
	v_fma_f32 v45, -v23, v61, v45
	ds_load_2addr_b32 v[61:62], v62 offset1:1
	ds_load_2addr_b32 v[63:64], v63 offset1:1
	;; [unrolled: 1-line block ×3, first 2 shown]
	s_add_i32 s28, s24, -4
	s_waitcnt lgkmcnt(10)
	v_fma_f32 v47, -v24, v47, v45
	v_mul_f32_e32 v45, v72, v67
	v_mov_b32_e32 v67, s28
	v_fma_f32 v79, -v31, v55, v56
	s_sub_i32 s28, s23, 48
	v_fma_f32 v55, -v26, v46, v47
	s_sub_i32 s23, s23, 56
	ds_load_2addr_b32 v[46:47], v67 offset1:1
	v_mov_b32_e32 v67, s28
	s_add_i32 s28, s24, -12
	s_delay_alu instid0(SALU_CYCLE_1)
	v_dual_mov_b32 v69, s23 :: v_dual_mov_b32 v56, s28
	s_add_i32 s28, s12, 0xfffff84c
	s_sub_i32 s23, s24, 20
	v_mov_b32_e32 v71, s28
	v_fma_f32 v58, -v36, v58, v79
	s_waitcnt lgkmcnt(3)
	v_fma_f32 v62, -v27, v62, v55
	ds_load_2addr_b32 v[55:56], v56 offset1:1
	ds_load_2addr_b32 v[67:68], v67 offset1:1
	;; [unrolled: 1-line block ×4, first 2 shown]
	v_fma_f32 v73, -v45, v76, v73
	s_sub_i32 s28, s24, 36
	v_fma_f32 v76, -v39, v57, v58
	v_fma_f32 v61, -v28, v61, v62
	v_mov_b32_e32 v62, s23
	s_sub_i32 s23, s24, 28
	s_add_i32 s20, s20, s26
	s_add_i32 s21, s21, s26
	s_waitcnt lgkmcnt(6)
	v_fma_f32 v61, -v31, v64, v61
	s_waitcnt lgkmcnt(4)
	v_fma_f32 v47, -v18, v47, v50
	ds_load_2addr_b32 v[57:58], v62 offset1:1
	v_mov_b32_e32 v50, s23
	v_mov_b32_e32 v62, s28
	v_fma_f32 v64, -v36, v63, v61
	v_fma_f32 v46, -v20, v46, v47
	s_lshl_b32 s23, s27, 2
	v_fma_f32 v47, -v40, v60, v76
	ds_load_2addr_b32 v[60:61], v50 offset1:1
	ds_load_2addr_b32 v[62:63], v62 offset1:1
	v_fma_f32 v50, -v39, v66, v64
	s_waitcnt lgkmcnt(6)
	v_fma_f32 v46, -v23, v56, v46
	v_mov_b32_e32 v56, s23
	s_add_i32 s27, s23, -8
	v_fma_f32 v47, -v43, v59, v47
	v_fma_f32 v50, -v40, v65, v50
	;; [unrolled: 1-line block ×3, first 2 shown]
	v_mov_b32_e32 v55, s27
	ds_load_b32 v59, v56
	v_fma_f32 v47, -v44, v49, v47
	s_add_i32 s27, s23, -16
	s_lshl_b32 s20, s20, 2
	s_waitcnt lgkmcnt(3)
	v_fma_f32 v56, -v26, v58, v46
	v_fma_f32 v58, -v43, v68, v50
	ds_load_2addr_b32 v[49:50], v55 offset1:1
	v_mul_f32_e32 v46, v75, v73
	v_fma_f32 v47, -v45, v48, v47
	v_fma_f32 v55, -v27, v57, v56
	v_mov_b32_e32 v56, s27
	s_sub_i32 s27, s23, 24
	v_fma_f32 v48, -v44, v67, v58
	v_fma_f32 v47, -v46, v54, v47
	s_waitcnt lgkmcnt(3)
	v_fma_f32 v57, -v28, v61, v55
	v_mov_b32_e32 v58, s27
	ds_load_2addr_b32 v[54:55], v56 offset1:1
	v_fma_f32 v48, -v45, v70, v48
	s_sub_i32 s27, s24, 44
	v_fma_f32 v60, -v31, v60, v57
	ds_load_2addr_b32 v[56:57], v58 offset1:1
	s_waitcnt lgkmcnt(3)
	v_fma_f32 v58, -v18, v59, v74
	v_fma_f32 v66, -v46, v69, v48
	v_mov_b32_e32 v59, s27
	v_mul_f32_e32 v47, v53, v47
	v_fma_f32 v53, -v36, v63, v60
	s_waitcnt lgkmcnt(2)
	v_fma_f32 v48, -v20, v50, v58
	s_sub_i32 s27, s24, 52
	ds_load_2addr_b32 v[58:59], v59 offset1:1
	s_sub_i32 s24, s24, 60
	v_fma_f32 v50, -v39, v62, v53
	v_fma_f32 v48, -v23, v49, v48
	v_mov_b32_e32 v60, s24
	s_sub_i32 s24, s23, 32
	s_delay_alu instid0(SALU_CYCLE_1)
	v_dual_mov_b32 v53, s27 :: v_dual_mov_b32 v64, s24
	s_waitcnt lgkmcnt(2)
	v_fma_f32 v55, -v24, v55, v48
	s_add_i32 s24, s25, -4
	s_add_i32 s27, s12, 0xfffff7d8
	v_mov_b32_e32 v65, s24
	s_sub_i32 s24, s23, 40
	v_fma_f32 v55, -v26, v54, v55
	v_mov_b32_e32 v62, s27
	ds_load_2addr_b32 v[48:49], v53 offset1:1
	ds_load_2addr_b32 v[60:61], v60 offset1:1
	;; [unrolled: 1-line block ×3, first 2 shown]
	s_waitcnt lgkmcnt(4)
	v_fma_f32 v55, -v27, v57, v55
	v_mov_b32_e32 v57, s24
	ds_load_2addr_b32 v[53:54], v64 offset1:1
	s_add_i32 s24, s25, -12
	s_waitcnt lgkmcnt(4)
	v_fma_f32 v50, -v40, v59, v50
	v_fma_f32 v68, -v28, v56, v55
	ds_load_2addr_b32 v[55:56], v57 offset1:1
	ds_load_2addr_b32 v[64:65], v65 offset1:1
	v_fma_f32 v59, -v47, v72, v66
	v_mov_b32_e32 v66, s24
	v_fma_f32 v50, -v43, v58, v50
	s_sub_i32 s24, s23, 48
	s_sub_i32 s27, s23, 56
	;; [unrolled: 1-line block ×3, first 2 shown]
	ds_load_2addr_b32 v[57:58], v66 offset1:1
	v_mov_b32_e32 v66, s24
	s_sub_i32 s24, s25, 20
	s_waitcnt lgkmcnt(6)
	v_fma_f32 v69, -v44, v49, v50
	v_dual_mov_b32 v70, s24 :: v_dual_mov_b32 v67, s27
	ds_load_2addr_b32 v[49:50], v66 offset1:1
	ds_load_2addr_b32 v[66:67], v67 offset1:1
	s_waitcnt lgkmcnt(5)
	v_fma_f32 v54, -v31, v54, v68
	v_fma_f32 v72, -v45, v48, v69
	ds_load_2addr_b32 v[68:69], v70 offset1:1
	s_waitcnt lgkmcnt(4)
	v_fma_f32 v65, -v18, v65, v77
	s_sub_i32 s24, s25, 28
	v_mul_f32_e32 v48, v71, v59
	v_fma_f32 v53, -v36, v53, v54
	v_mov_b32_e32 v59, s24
	v_fma_f32 v54, -v20, v64, v65
	s_sub_i32 s24, s25, 36
	s_sub_i32 s27, s25, 44
	v_fma_f32 v64, -v39, v56, v53
	v_fma_f32 v61, -v46, v61, v72
	s_waitcnt lgkmcnt(3)
	v_fma_f32 v56, -v23, v58, v54
	ds_load_2addr_b32 v[53:54], v59 offset1:1
	v_dual_mov_b32 v58, s24 :: v_dual_mov_b32 v59, s27
	s_add_i32 s24, s22, -8
	v_fma_f32 v65, -v24, v57, v56
	ds_load_2addr_b32 v[56:57], v58 offset1:1
	ds_load_2addr_b32 v[58:59], v59 offset1:1
	v_mov_b32_e32 v70, s22
	v_fma_f32 v55, -v40, v55, v64
	s_waitcnt lgkmcnt(3)
	v_fma_f32 v65, -v26, v69, v65
	v_mov_b32_e32 v64, s24
	v_fma_f32 v71, -v47, v60, v61
	ds_load_b32 v70, v70
	v_fma_f32 v50, -v43, v50, v55
	v_fma_f32 v65, -v27, v68, v65
	ds_load_2addr_b32 v[60:61], v64 offset1:1
	v_mov_b32_e32 v68, s23
	s_add_i32 s23, s22, -16
	s_sub_i32 s24, s22, 24
	v_fma_f32 v49, -v44, v49, v50
	s_waitcnt lgkmcnt(4)
	v_fma_f32 v64, -v28, v54, v65
	v_mov_b32_e32 v65, s23
	ds_load_2addr_b32 v[54:55], v68 offset1:1
	s_add_i32 s23, s12, 0xfffff764
	v_fma_f32 v67, -v45, v67, v49
	v_fma_f32 v53, -v31, v53, v64
	ds_load_2addr_b32 v[64:65], v65 offset1:1
	v_mov_b32_e32 v50, s23
	s_sub_i32 s23, s25, 52
	v_mov_b32_e32 v68, s24
	s_waitcnt lgkmcnt(5)
	v_fma_f32 v53, -v36, v57, v53
	s_sub_i32 s24, s22, 32
	s_waitcnt lgkmcnt(3)
	v_fma_f32 v70, -v18, v70, v78
	v_fma_f32 v63, -v48, v63, v71
	ds_load_2addr_b32 v[68:69], v68 offset1:1
	v_fma_f32 v53, -v39, v56, v53
	ds_load_2addr_b32 v[56:57], v50 offset1:1
	s_lshl_b32 s21, s21, 2
	v_mul_f32_e32 v49, v62, v63
	s_add_i32 s19, s19, s26
	v_fma_f32 v53, -v40, v59, v53
	v_mov_b32_e32 v59, s23
	s_sub_i32 s23, s25, 60
	s_lshl_b32 s19, s19, 2
	v_mov_b32_e32 v79, s23
	v_fma_f32 v53, -v43, v58, v53
	ds_load_2addr_b32 v[58:59], v59 offset1:1
	s_waitcnt lgkmcnt(5)
	v_fma_f32 v50, -v20, v61, v70
	s_add_i32 s23, s25, 0xffffffbc
	v_fma_f32 v61, -v46, v66, v67
	v_mov_b32_e32 v81, s23
	s_sub_i32 s23, s22, 40
	v_fma_f32 v50, -v23, v60, v50
	v_mov_b32_e32 v60, s24
	s_add_i32 s24, s12, 0xfffff6f0
	v_mov_b32_e32 v71, s23
	v_mov_b32_e32 v83, s24
	s_waitcnt lgkmcnt(3)
	v_fma_f32 v50, -v24, v65, v50
	s_sub_i32 s24, s22, 64
	s_add_i32 s23, s22, 0xffffffb8
	v_fma_f32 v55, -v47, v55, v61
	ds_load_2addr_b32 v[60:61], v60 offset1:1
	v_fma_f32 v50, -v26, v64, v50
	v_mov_b32_e32 v62, s24
	v_mov_b32_e32 v64, s23
	s_add_i32 s23, s12, 0xfffff67c
	s_add_i32 s24, s21, -4
	v_mov_b32_e32 v66, s23
	s_waitcnt lgkmcnt(3)
	v_fma_f32 v50, -v27, v69, v50
	v_mov_b32_e32 v69, s24
	ds_load_2addr_b32 v[62:63], v62 offset1:1
	ds_load_2addr_b32 v[64:65], v64 offset1:1
	;; [unrolled: 1-line block ×4, first 2 shown]
	s_sub_i32 s23, s22, 48
	s_sub_i32 s22, s22, 56
	v_mov_b32_e32 v73, s23
	s_add_i32 s23, s21, -12
	v_mov_b32_e32 v75, s22
	v_mov_b32_e32 v77, s23
	v_fma_f32 v50, -v28, v68, v50
	ds_load_2addr_b32 v[71:72], v71 offset1:1
	ds_load_2addr_b32 v[73:74], v73 offset1:1
	ds_load_2addr_b32 v[75:76], v75 offset1:1
	ds_load_2addr_b32 v[77:78], v77 offset1:1
	s_sub_i32 s22, s21, 20
	s_waitcnt lgkmcnt(9)
	v_fma_f32 v53, -v44, v59, v53
	v_mov_b32_e32 v59, s22
	s_waitcnt lgkmcnt(8)
	v_fma_f32 v50, -v31, v61, v50
	ds_load_2addr_b32 v[79:80], v79 offset1:1
	ds_load_2addr_b32 v[81:82], v81 offset1:1
	;; [unrolled: 1-line block ×3, first 2 shown]
	s_sub_i32 s22, s21, 28
	v_fma_f32 v53, -v45, v58, v53
	v_mov_b32_e32 v68, s22
	v_fma_f32 v50, -v36, v60, v50
	ds_load_2addr_b32 v[59:60], v59 offset1:1
	s_sub_i32 s22, s21, 36
	s_waitcnt lgkmcnt(8)
	v_fma_f32 v61, -v18, v70, v85
	v_mov_b32_e32 v70, s22
	v_fma_f32 v55, -v48, v54, v55
	s_add_i32 s22, s21, 0xffffffb4
	s_sub_i32 s23, s20, 40
	v_fma_f32 v61, -v20, v69, v61
	ds_load_2addr_b32 v[68:69], v68 offset1:1
	ds_load_2addr_b32 v[85:86], v70 offset1:1
	s_waitcnt lgkmcnt(9)
	v_fma_f32 v50, -v39, v72, v50
	v_fma_f32 v55, -v49, v57, v55
	s_add_i32 s24, s19, -4
	s_waitcnt lgkmcnt(6)
	v_fma_f32 v58, -v23, v78, v61
	s_waitcnt lgkmcnt(5)
	v_fma_f32 v70, -v46, v80, v53
	v_fma_f32 v50, -v40, v71, v50
	v_mov_b32_e32 v71, s20
	s_sub_i32 s4, s4, 28
	v_fma_f32 v53, -v24, v77, v58
	v_fma_f32 v70, -v47, v79, v70
	;; [unrolled: 1-line block ×3, first 2 shown]
	s_waitcnt lgkmcnt(2)
	s_delay_alu instid0(VALU_DEP_3) | instskip(NEXT) | instid1(VALU_DEP_3)
	v_fma_f32 v72, -v26, v60, v53
	v_fma_f32 v70, -v48, v82, v70
	s_delay_alu instid0(VALU_DEP_2) | instskip(SKIP_3) | instid1(VALU_DEP_2)
	v_fma_f32 v59, -v27, v59, v72
	v_mov_b32_e32 v72, s23
	s_add_i32 s23, s20, 0xffffffb0
	s_waitcnt lgkmcnt(1)
	v_fma_f32 v59, -v28, v69, v59
	v_fma_f32 v69, -v44, v73, v50
	v_mul_f32_e32 v50, v56, v55
	s_delay_alu instid0(VALU_DEP_3) | instskip(SKIP_1) | instid1(VALU_DEP_4)
	v_fma_f32 v59, -v31, v68, v59
	v_fma_f32 v68, -v49, v81, v70
	;; [unrolled: 1-line block ×3, first 2 shown]
	v_mov_b32_e32 v76, s24
	s_waitcnt lgkmcnt(0)
	v_fma_f32 v59, -v36, v86, v59
	v_fma_f32 v82, -v50, v84, v68
	v_mov_b32_e32 v54, s22
	s_add_i32 s22, s12, 0xfffff608
	v_fma_f32 v90, -v46, v75, v69
	v_mov_b32_e32 v58, s22
	s_add_i32 s22, s20, -8
	ds_load_2addr_b32 v[53:54], v54 offset1:1
	ds_load_2addr_b32 v[60:61], v58 offset1:1
	ds_load_b32 v71, v71
	v_mov_b32_e32 v77, s22
	s_add_i32 s22, s20, -16
	v_fma_f32 v59, -v39, v85, v59
	v_mov_b32_e32 v55, s22
	s_sub_i32 s22, s21, 44
	ds_load_2addr_b32 v[57:58], v77 offset1:1
	v_mov_b32_e32 v70, s22
	s_sub_i32 s22, s20, 24
	ds_load_2addr_b32 v[55:56], v55 offset1:1
	ds_load_2addr_b32 v[68:69], v70 offset1:1
	s_waitcnt lgkmcnt(3)
	v_fma_f32 v52, -v18, v71, v52
	s_waitcnt lgkmcnt(2)
	s_delay_alu instid0(VALU_DEP_1) | instskip(SKIP_2) | instid1(VALU_DEP_2)
	v_fma_f32 v52, -v20, v58, v52
	v_mov_b32_e32 v58, s22
	s_sub_i32 s22, s20, 32
	v_fma_f32 v52, -v23, v57, v52
	ds_load_2addr_b32 v[57:58], v58 offset1:1
	v_mov_b32_e32 v70, s22
	ds_load_2addr_b32 v[70:71], v70 offset1:1
	ds_load_2addr_b32 v[72:73], v72 offset1:1
	s_waitcnt lgkmcnt(4)
	v_fma_f32 v52, -v24, v56, v52
	v_mov_b32_e32 v56, s23
	s_add_i32 s23, s12, 0xfffff594
	s_sub_i32 s22, s21, 52
	v_mov_b32_e32 v74, s23
	v_fma_f32 v52, -v26, v55, v52
	ds_load_2addr_b32 v[55:56], v56 offset1:1
	ds_load_2addr_b32 v[74:75], v74 offset1:1
	;; [unrolled: 1-line block ×3, first 2 shown]
	s_add_i32 s23, s19, -12
	v_mov_b32_e32 v78, s22
	s_sub_i32 s22, s21, 60
	s_addk_i32 s21, 0xffbc
	s_waitcnt lgkmcnt(5)
	v_fma_f32 v52, -v27, v58, v52
	v_mov_b32_e32 v58, s23
	v_mov_b32_e32 v80, s22
	;; [unrolled: 1-line block ×3, first 2 shown]
	s_sub_i32 s21, s19, 20
	v_fma_f32 v52, -v28, v57, v52
	ds_load_2addr_b32 v[57:58], v58 offset1:1
	ds_load_2addr_b32 v[78:79], v78 offset1:1
	;; [unrolled: 1-line block ×4, first 2 shown]
	v_fma_f32 v59, -v40, v69, v59
	v_mov_b32_e32 v69, s21
	s_sub_i32 s22, s20, 48
	s_waitcnt lgkmcnt(8)
	v_fma_f32 v52, -v31, v71, v52
	s_sub_i32 s21, s19, 28
	v_mov_b32_e32 v71, s22
	v_fma_f32 v88, -v43, v68, v59
	s_sub_i32 s22, s20, 56
	v_fma_f32 v70, -v36, v70, v52
	s_waitcnt lgkmcnt(4)
	v_fma_f32 v77, -v18, v77, v51
	ds_load_2addr_b32 v[51:52], v69 offset1:1
	ds_load_2addr_b32 v[68:69], v71 offset1:1
	v_mov_b32_e32 v86, s22
	v_fma_f32 v73, -v39, v73, v70
	v_fma_f32 v59, -v20, v76, v77
	v_mov_b32_e32 v70, s21
	s_sub_i32 s21, s19, 36
	s_sub_i32 s22, s19, 44
	s_waitcnt lgkmcnt(4)
	v_fma_f32 v79, -v44, v79, v88
	v_fma_f32 v71, -v23, v58, v59
	ds_load_2addr_b32 v[58:59], v70 offset1:1
	v_mov_b32_e32 v70, s21
	s_sub_i32 s21, s20, 64
	v_mov_b32_e32 v76, s22
	v_fma_f32 v57, -v24, v57, v71
	s_addk_i32 s20, 0xffb8
	ds_load_2addr_b32 v[70:71], v70 offset1:1
	ds_load_2addr_b32 v[76:77], v76 offset1:1
	;; [unrolled: 1-line block ×3, first 2 shown]
	v_mov_b32_e32 v89, s20
	v_fma_f32 v91, -v40, v72, v73
	s_waitcnt lgkmcnt(5)
	v_fma_f32 v52, -v26, v52, v57
	v_mov_b32_e32 v57, s21
	ds_load_2addr_b32 v[72:73], v57 offset1:1
	ds_load_2addr_b32 v[88:89], v89 offset1:1
	v_fma_f32 v51, -v27, v51, v52
	v_fma_f32 v57, -v47, v63, v90
	;; [unrolled: 1-line block ×3, first 2 shown]
	s_waitcnt lgkmcnt(6)
	v_fma_f32 v52, -v43, v69, v91
	s_add_i32 s20, s18, -8
	s_waitcnt lgkmcnt(5)
	v_fma_f32 v51, -v28, v59, v51
	v_fma_f32 v62, -v48, v62, v57
	;; [unrolled: 1-line block ×3, first 2 shown]
	v_mov_b32_e32 v63, s18
	v_fma_f32 v52, -v44, v68, v52
	v_fma_f32 v51, -v31, v58, v51
	v_mov_b32_e32 v58, s20
	s_sub_i32 s20, s19, 52
	ds_load_b32 v68, v63
	s_waitcnt lgkmcnt(3)
	v_fma_f32 v52, -v45, v87, v52
	v_fma_f32 v63, -v36, v71, v51
	ds_load_2addr_b32 v[57:58], v58 offset1:1
	v_fma_f32 v65, -v49, v65, v62
	v_mov_b32_e32 v62, s20
	s_add_i32 s20, s18, -16
	v_fma_f32 v63, -v39, v70, v63
	s_sub_i32 s21, s19, 60
	v_fma_f32 v52, -v46, v86, v52
	v_dual_mov_b32 v70, s20 :: v_dual_mov_b32 v71, s21
	s_delay_alu instid0(VALU_DEP_3)
	v_fma_f32 v69, -v40, v77, v63
	ds_load_2addr_b32 v[62:63], v62 offset1:1
	s_waitcnt lgkmcnt(4)
	v_fma_f32 v52, -v47, v73, v52
	s_sub_i32 s21, s18, 24
	s_add_i32 s20, s19, 0xffffffbc
	v_fma_f32 v73, -v43, v76, v69
	v_mul_f32_e32 v51, v83, v82
	v_fma_f32 v59, -v47, v80, v59
	s_waitcnt lgkmcnt(2)
	v_fma_f32 v41, -v18, v68, v41
	ds_load_2addr_b32 v[68:69], v70 offset1:1
	ds_load_2addr_b32 v[70:71], v71 offset1:1
	v_fma_f32 v52, -v48, v72, v52
	v_fma_f32 v59, -v48, v85, v59
	s_waitcnt lgkmcnt(3)
	v_fma_f32 v41, -v20, v58, v41
	v_mov_b32_e32 v58, s21
	s_add_i32 s21, s19, 0xffffffb4
	v_fma_f32 v52, -v49, v89, v52
	v_mov_b32_e32 v78, s21
	v_fma_f32 v41, -v23, v57, v41
	ds_load_2addr_b32 v[57:58], v58 offset1:1
	s_sub_i32 s21, s18, 40
	s_waitcnt lgkmcnt(3)
	v_fma_f32 v63, -v44, v63, v73
	v_mov_b32_e32 v82, s21
	s_add_i32 s21, s10, 0xffffffb4
	v_mov_b32_e32 v76, s20
	s_sub_i32 s20, s18, 32
	ds_load_2addr_b32 v[76:77], v76 offset1:1
	ds_load_2addr_b32 v[78:79], v78 offset1:1
	s_waitcnt lgkmcnt(4)
	v_fma_f32 v41, -v24, v69, v41
	v_mov_b32_e32 v80, s20
	ds_load_2addr_b32 v[80:81], v80 offset1:1
	ds_load_2addr_b32 v[82:83], v82 offset1:1
	v_fma_f32 v41, -v26, v68, v41
	s_sub_i32 s20, s18, 48
	v_fma_f32 v59, -v49, v84, v59
	v_fma_f32 v62, -v45, v62, v63
	s_addk_i32 s19, 0xffac
	s_waitcnt lgkmcnt(4)
	v_fma_f32 v41, -v27, v58, v41
	s_delay_alu instid0(VALU_DEP_2) | instskip(NEXT) | instid1(VALU_DEP_2)
	v_fma_f32 v62, -v46, v71, v62
	v_fma_f32 v41, -v28, v57, v41
	v_mov_b32_e32 v57, s20
	v_fma_f32 v64, -v50, v64, v65
	v_fma_f32 v54, -v50, v54, v59
	;; [unrolled: 1-line block ×4, first 2 shown]
	s_sub_i32 s20, s18, 56
	v_fma_f32 v63, -v51, v67, v64
	v_fma_f32 v53, -v51, v53, v54
	s_waitcnt lgkmcnt(1)
	v_fma_f32 v41, -v31, v81, v41
	v_fma_f32 v54, -v48, v77, v58
	v_mul_f32_e32 v84, v66, v63
	v_fma_f32 v66, -v51, v56, v52
	s_delay_alu instid0(VALU_DEP_4)
	v_fma_f32 v41, -v36, v80, v41
	v_mov_b32_e32 v56, s20
	v_fma_f32 v67, -v49, v76, v54
	v_fma_f32 v65, -v84, v61, v53
	ds_load_2addr_b32 v[52:53], v57 offset1:1
	s_waitcnt lgkmcnt(1)
	v_fma_f32 v41, -v39, v83, v41
	v_mov_b32_e32 v54, s19
	s_sub_i32 s19, s18, 64
	ds_load_2addr_b32 v[56:57], v56 offset1:1
	v_mov_b32_e32 v61, s19
	s_add_i32 s19, s18, 0xffffffb8
	v_fma_f32 v41, -v40, v82, v41
	v_mov_b32_e32 v63, s19
	s_add_i32 s19, s13, -4
	ds_load_2addr_b32 v[58:59], v54 offset1:1
	ds_load_2addr_b32 v[61:62], v61 offset1:1
	;; [unrolled: 1-line block ×3, first 2 shown]
	v_mov_b32_e32 v68, s19
	s_add_i32 s19, s13, -12
	s_add_i32 s20, s12, 0xfffff520
	v_mul_f32_e32 v85, v60, v65
	v_fma_f32 v60, -v50, v79, v67
	v_mov_b32_e32 v67, s20
	v_fma_f32 v55, -v84, v55, v66
	s_sub_i32 s20, s13, 36
	s_waitcnt lgkmcnt(4)
	v_fma_f32 v41, -v43, v53, v41
	ds_load_2addr_b32 v[53:54], v68 offset1:1
	v_fma_f32 v55, -v85, v75, v55
	v_fma_f32 v41, -v44, v52, v41
	v_mov_b32_e32 v52, s19
	ds_load_2addr_b32 v[65:66], v52 offset1:1
	ds_load_2addr_b32 v[67:68], v67 offset1:1
	s_waitcnt lgkmcnt(6)
	v_fma_f32 v41, -v45, v57, v41
	v_fma_f32 v57, -v51, v78, v60
	s_sub_i32 s19, s13, 20
	s_delay_alu instid0(SALU_CYCLE_1) | instskip(NEXT) | instid1(VALU_DEP_3)
	v_dual_mul_f32 v86, v74, v55 :: v_dual_mov_b32 v55, s19
	v_fma_f32 v41, -v46, v56, v41
	s_waitcnt lgkmcnt(5)
	v_fma_f32 v52, -v84, v59, v57
	s_sub_i32 s19, s13, 28
	v_mov_b32_e32 v57, s20
	s_waitcnt lgkmcnt(2)
	v_fma_f32 v38, -v18, v54, v38
	ds_load_2addr_b32 v[54:55], v55 offset1:1
	v_fma_f32 v58, -v85, v58, v52
	v_mov_b32_e32 v56, s19
	v_fma_f32 v41, -v47, v62, v41
	v_fma_f32 v38, -v20, v53, v38
	ds_load_2addr_b32 v[52:53], v56 offset1:1
	ds_load_2addr_b32 v[56:57], v57 offset1:1
	s_add_i32 s20, s11, -8
	s_waitcnt lgkmcnt(3)
	v_fma_f32 v62, -v86, v68, v58
	v_mov_b32_e32 v58, s11
	v_fma_f32 v38, -v23, v66, v38
	s_add_i32 s19, s18, 0xffffffb0
	v_fma_f32 v41, -v48, v61, v41
	s_addk_i32 s18, 0xffa8
	ds_load_b32 v66, v58
	v_mov_b32_e32 v58, s20
	v_fma_f32 v38, -v24, v65, v38
	s_sub_i32 s20, s13, 44
	v_fma_f32 v41, -v49, v64, v41
	v_mov_b32_e32 v60, s20
	ds_load_2addr_b32 v[58:59], v58 offset1:1
	s_waitcnt lgkmcnt(4)
	v_fma_f32 v38, -v26, v55, v38
	v_mov_b32_e32 v55, s19
	s_add_i32 s19, s11, -16
	v_mov_b32_e32 v70, s18
	s_add_i32 s18, s12, 0xfffff4ac
	v_fma_f32 v38, -v27, v54, v38
	v_mov_b32_e32 v54, s19
	s_sub_i32 s19, s11, 24
	v_mov_b32_e32 v72, s18
	v_mov_b32_e32 v64, s19
	s_waitcnt lgkmcnt(3)
	v_fma_f32 v38, -v28, v53, v38
	ds_load_2addr_b32 v[53:54], v54 offset1:1
	ds_load_2addr_b32 v[60:61], v60 offset1:1
	;; [unrolled: 1-line block ×3, first 2 shown]
	s_waitcnt lgkmcnt(4)
	v_fma_f32 v29, -v18, v66, v29
	s_sub_i32 s18, s13, 52
	v_fma_f32 v38, -v31, v52, v38
	v_mov_b32_e32 v52, s18
	s_sub_i32 s18, s13, 60
	s_add_i32 s19, s13, 0xffffffbc
	s_waitcnt lgkmcnt(3)
	v_fma_f32 v29, -v20, v59, v29
	v_fma_f32 v38, -v36, v57, v38
	v_mov_b32_e32 v57, s18
	s_sub_i32 s18, s11, 32
	ds_load_2addr_b32 v[68:69], v55 offset1:1
	ds_load_2addr_b32 v[70:71], v70 offset1:1
	;; [unrolled: 1-line block ×3, first 2 shown]
	v_fma_f32 v29, -v23, v58, v29
	v_mov_b32_e32 v58, s19
	v_fma_f32 v38, -v39, v56, v38
	s_add_i32 s19, s10, -4
	v_fma_f32 v41, -v50, v63, v41
	v_mov_b32_e32 v74, s19
	s_waitcnt lgkmcnt(5)
	v_fma_f32 v29, -v24, v54, v29
	ds_load_2addr_b32 v[54:55], v52 offset1:1
	ds_load_2addr_b32 v[56:57], v57 offset1:1
	;; [unrolled: 1-line block ×3, first 2 shown]
	v_mov_b32_e32 v52, s18
	s_add_i32 s18, s11, 0xffffffa0
	s_waitcnt lgkmcnt(7)
	v_fma_f32 v38, -v40, v61, v38
	v_mov_b32_e32 v61, s18
	s_add_i32 s18, s12, 0xfffff3c4
	v_mul_f32_e32 v87, v67, v62
	v_mov_b32_e32 v63, s18
	v_fma_f32 v29, -v26, v53, v29
	ds_load_2addr_b32 v[52:53], v52 offset1:1
	ds_load_2addr_b32 v[61:62], v61 offset1:1
	;; [unrolled: 1-line block ×4, first 2 shown]
	s_sub_i32 s18, s11, 40
	s_waitcnt lgkmcnt(10)
	v_fma_f32 v29, -v27, v65, v29
	v_mov_b32_e32 v63, s18
	s_add_i32 s18, s10, -12
	v_fma_f32 v38, -v43, v60, v38
	v_mov_b32_e32 v60, s18
	v_fma_f32 v29, -v28, v64, v29
	ds_load_2addr_b32 v[63:64], v63 offset1:1
	s_sub_i32 s18, s11, 48
	s_sub_i32 s19, s11, 56
	ds_load_2addr_b32 v[76:77], v60 offset1:1
	v_mov_b32_e32 v60, s18
	s_sub_i32 s18, s10, 20
	s_waitcnt lgkmcnt(8)
	v_fma_f32 v38, -v44, v55, v38
	v_mov_b32_e32 v55, s18
	v_mov_b32_e32 v65, s19
	ds_load_2addr_b32 v[78:79], v60 offset1:1
	ds_load_2addr_b32 v[80:81], v65 offset1:1
	s_waitcnt lgkmcnt(7)
	v_fma_f32 v29, -v31, v53, v29
	s_waitcnt lgkmcnt(4)
	v_fma_f32 v25, -v18, v75, v25
	ds_load_2addr_b32 v[82:83], v55 offset1:1
	s_sub_i32 s18, s10, 28
	v_fma_f32 v38, -v45, v54, v38
	v_fma_f32 v29, -v36, v52, v29
	;; [unrolled: 1-line block ×3, first 2 shown]
	v_mov_b32_e32 v52, s18
	s_sub_i32 s18, s10, 36
	s_sub_i32 s19, s10, 44
	v_fma_f32 v38, -v46, v57, v38
	s_waitcnt lgkmcnt(3)
	v_fma_f32 v25, -v23, v77, v25
	ds_load_2addr_b32 v[52:53], v52 offset1:1
	v_dual_mov_b32 v54, s18 :: v_dual_mov_b32 v57, s19
	v_fma_f32 v38, -v47, v56, v38
	v_fma_f32 v25, -v24, v76, v25
	ds_load_2addr_b32 v[54:55], v54 offset1:1
	ds_load_2addr_b32 v[56:57], v57 offset1:1
	s_sub_i32 s19, s10, 52
	v_fma_f32 v29, -v39, v64, v29
	v_fma_f32 v41, -v51, v69, v41
	s_waitcnt lgkmcnt(3)
	v_fma_f32 v25, -v26, v83, v25
	s_add_i32 s18, s13, 0xffffffb4
	v_fma_f32 v38, -v48, v59, v38
	v_fma_f32 v29, -v40, v63, v29
	;; [unrolled: 1-line block ×4, first 2 shown]
	v_mov_b32_e32 v60, s18
	s_add_i32 s20, s10, 0xffffffbc
	v_fma_f32 v29, -v43, v79, v29
	v_fma_f32 v41, -v85, v71, v41
	s_waitcnt lgkmcnt(2)
	v_fma_f32 v25, -v28, v53, v25
	ds_load_2addr_b32 v[59:60], v60 offset1:1
	v_mov_b32_e32 v71, s21
	v_fma_f32 v29, -v44, v78, v29
	s_add_i32 s18, s13, 0xffffffac
	v_fma_f32 v25, -v31, v52, v25
	v_mov_b32_e32 v52, s19
	s_sub_i32 s19, s11, 64
	v_fma_f32 v29, -v45, v81, v29
	v_mov_b32_e32 v65, s18
	s_waitcnt lgkmcnt(2)
	v_fma_f32 v25, -v36, v55, v25
	ds_load_2addr_b32 v[52:53], v52 offset1:1
	v_mov_b32_e32 v55, s19
	s_add_i32 s19, s11, 0xffffffb8
	v_fma_f32 v29, -v46, v80, v29
	v_mov_b32_e32 v63, s19
	s_sub_i32 s19, s10, 60
	v_fma_f32 v25, -v39, v54, v25
	v_mov_b32_e32 v68, s19
	s_add_i32 s19, s11, 0xffffffb0
	ds_load_2addr_b32 v[63:64], v63 offset1:1
	ds_load_2addr_b32 v[54:55], v55 offset1:1
	s_waitcnt lgkmcnt(4)
	v_fma_f32 v25, -v40, v57, v25
	ds_load_2addr_b32 v[68:69], v68 offset1:1
	v_mov_b32_e32 v57, s20
	s_addk_i32 s11, 0xffa8
	v_mov_b32_e32 v76, s19
	v_fma_f32 v25, -v43, v56, v25
	ds_load_2addr_b32 v[56:57], v57 offset1:1
	ds_load_2addr_b32 v[74:75], v71 offset1:1
	v_mov_b32_e32 v78, s11
	ds_load_2addr_b32 v[76:77], v76 offset1:1
	ds_load_2addr_b32 v[78:79], v78 offset1:1
	;; [unrolled: 1-line block ×3, first 2 shown]
	s_waitcnt lgkmcnt(8)
	v_fma_f32 v25, -v44, v53, v25
	s_addk_i32 s13, 0xffa4
	s_add_i32 s11, s10, 0xffffffac
	s_add_i32 s18, s12, 0xfffff438
	v_fma_f32 v38, -v49, v58, v38
	v_fma_f32 v25, -v45, v52, v25
	s_waitcnt lgkmcnt(6)
	v_fma_f32 v29, -v47, v55, v29
	v_mov_b32_e32 v52, s13
	v_dual_mov_b32 v58, s11 :: v_dual_mov_b32 v55, s18
	s_waitcnt lgkmcnt(5)
	v_fma_f32 v25, -v46, v69, v25
	v_fma_f32 v29, -v48, v54, v29
	ds_load_2addr_b32 v[52:53], v52 offset1:1
	ds_load_2addr_b32 v[54:55], v55 offset1:1
	v_fma_f32 v38, -v50, v60, v38
	v_fma_f32 v25, -v47, v68, v25
	v_fma_f32 v29, -v49, v64, v29
	s_add_i32 s11, s10, 0xffffffa4
	s_addk_i32 s10, 0xff9c
	v_fma_f32 v38, -v51, v59, v38
	s_waitcnt lgkmcnt(6)
	v_fma_f32 v25, -v48, v57, v25
	ds_load_2addr_b32 v[57:58], v58 offset1:1
	v_fma_f32 v29, -v50, v63, v29
	v_fma_f32 v41, -v86, v70, v41
	s_waitcnt lgkmcnt(3)
	v_fma_f32 v38, -v84, v81, v38
	v_fma_f32 v25, -v49, v56, v25
	v_mov_b32_e32 v56, s11
	v_fma_f32 v29, -v51, v77, v29
	s_add_i32 s11, s12, 0xfffff350
	v_fma_f32 v38, -v85, v80, v38
	v_fma_f32 v25, -v50, v75, v25
	ds_load_2addr_b32 v[59:60], v56 offset1:1
	v_fma_f32 v29, -v84, v76, v29
	v_dual_mov_b32 v56, s10 :: v_dual_mov_b32 v65, s11
	v_fma_f32 v25, -v51, v74, v25
	v_fma_f32 v41, -v87, v73, v41
	s_waitcnt lgkmcnt(3)
	v_fma_f32 v38, -v86, v53, v38
	v_fma_f32 v29, -v85, v79, v29
	ds_load_2addr_b32 v[63:64], v56 offset1:1
	ds_load_2addr_b32 v[68:69], v65 offset1:1
	s_waitcnt lgkmcnt(3)
	v_fma_f32 v25, -v84, v58, v25
	v_mul_f32_e32 v41, v72, v41
	v_fma_f32 v38, -v87, v52, v38
	v_fma_f32 v29, -v86, v78, v29
	v_add_lshl_u32 v52, s4, v0, 2
	v_fma_f32 v25, -v85, v57, v25
	s_sub_i32 s4, s15, 29
	v_fma_f32 v38, -v41, v55, v38
	v_fma_f32 v29, -v87, v62, v29
	ds_store_b32 v52, v18 offset:3136
	s_waitcnt lgkmcnt(3)
	v_fma_f32 v25, -v86, v60, v25
	ds_store_b32 v1, v20 offset:3136
	ds_store_b32 v2, v23 offset:3136
	;; [unrolled: 1-line block ×6, first 2 shown]
	v_mul_f32_e32 v38, v54, v38
	v_fma_f32 v29, -v41, v61, v29
	ds_store_b32 v11, v31 offset:3136
	ds_store_b32 v12, v36 offset:3136
	;; [unrolled: 1-line block ×4, first 2 shown]
	v_fma_f32 v25, -v87, v59, v25
	ds_store_b32 v15, v43 offset:3136
	ds_store_b32 v16, v44 offset:3136
	;; [unrolled: 1-line block ×8, first 2 shown]
	v_fma_f32 v18, -v38, v67, v29
	s_waitcnt lgkmcnt(20)
	v_fma_f32 v25, -v41, v64, v25
	s_delay_alu instid0(VALU_DEP_2)
	v_mul_f32_e32 v1, v66, v18
	ds_store_b32 v32, v51 offset:3136
	ds_store_b32 v34, v84 offset:3136
	ds_store_b32 v35, v85 offset:3136
	ds_store_b32 v37, v86 offset:3136
	ds_store_b32 v42, v87 offset:3136
	ds_store_b32 v7, v41 offset:3136
	ds_store_b32 v8, v38 offset:3136
	ds_store_b32 v9, v1 offset:3136
	v_fma_f32 v2, -v38, v63, v25
	s_waitcnt lgkmcnt(27)
	s_delay_alu instid0(VALU_DEP_1) | instskip(NEXT) | instid1(VALU_DEP_1)
	v_fma_f32 v2, -v1, v69, v2
	v_mul_f32_e32 v2, v68, v2
	ds_store_b32 v10, v2 offset:3136
.LBB33_20:
	s_cmp_gt_i32 s4, -1
	s_cbranch_scc0 .LBB33_39
; %bb.21:
	s_cmp_lt_u32 s4, 23
	s_cbranch_scc1 .LBB33_26
; %bb.22:
	s_mul_i32 s10, s4, 28
	s_delay_alu instid0(SALU_CYCLE_1)
	s_sub_i32 s11, s10, 56
	s_add_i32 s12, s10, 0xffffffac
	s_sub_i32 s29, s10, 28
	v_add_lshl_u32 v1, s11, v0, 2
	s_add_i32 s11, s10, 0xffffff90
	v_add_lshl_u32 v16, s10, v0, 2
	v_add_lshl_u32 v2, s12, v0, 2
	s_add_i32 s12, s10, 0xffffff74
	v_add_lshl_u32 v17, s29, v0, 2
	;; [unrolled: 3-line block ×3, first 2 shown]
	s_add_i32 s12, s10, 0xffffff3c
	v_add_lshl_u32 v5, s11, v0, 2
	s_add_i32 s11, s10, 0xffffff20
	v_add_lshl_u32 v6, s12, v0, 2
	s_add_i32 s12, s10, 0xffffff04
	ds_load_b32 v19, v16 offset:3136
	ds_load_b32 v39, v17 offset:3136
	;; [unrolled: 1-line block ×8, first 2 shown]
	v_add_lshl_u32 v6, s11, v0, 2
	s_add_i32 s11, s10, 0xfffffee8
	v_add_lshl_u32 v7, s12, v0, 2
	s_add_i32 s38, s10, 0xfffffecc
	;; [unrolled: 2-line block ×4, first 2 shown]
	s_add_i32 s35, s10, 0xfffffe78
	s_add_i32 s34, s10, 0xfffffe5c
	;; [unrolled: 1-line block ×3, first 2 shown]
	v_add_lshl_u32 v2, s37, v0, 2
	s_add_i32 s31, s10, 0xfffffe24
	v_add_lshl_u32 v3, s36, v0, 2
	v_add_lshl_u32 v4, s35, v0, 2
	;; [unrolled: 1-line block ×3, first 2 shown]
	ds_load_b32 v26, v6 offset:3136
	ds_load_b32 v28, v7 offset:3136
	;; [unrolled: 1-line block ×8, first 2 shown]
	v_add_lshl_u32 v6, s33, v0, 2
	s_add_i32 s30, s10, 0xfffffe08
	v_add_lshl_u32 v7, s31, v0, 2
	s_add_i32 s28, s10, 0xfffffdec
	v_add_lshl_u32 v9, s30, v0, 2
	s_add_i32 s23, s10, 0xfffffdd0
	v_add_lshl_u32 v8, s28, v0, 2
	s_add_i32 s18, s10, 0xfffffdb4
	s_add_i32 s11, s10, 0xfffffd98
	s_addk_i32 s10, 0xfd7c
	v_add_lshl_u32 v10, s23, v0, 2
	v_add_lshl_u32 v11, s18, v0, 2
	;; [unrolled: 1-line block ×4, first 2 shown]
	ds_load_b32 v34, v6 offset:3136
	ds_load_b32 v31, v7 offset:3136
	;; [unrolled: 1-line block ×8, first 2 shown]
	s_cmp_le_i32 s26, s4
	s_cbranch_scc1 .LBB33_25
; %bb.23:
	v_lshlrev_b32_e32 v40, 2, v0
	s_mul_i32 s19, s15, 0x70
	s_mul_i32 s12, s4, 0x70
	s_lshl_b32 s13, s15, 2
	s_delay_alu instid0(SALU_CYCLE_1)
	s_add_i32 s12, s12, s13
	v_add3_u32 v40, s19, v40, 0xbd0
	s_addk_i32 s12, 0xf5ec
	s_mov_b32 s13, s26
.LBB33_24:                              ; =>This Inner Loop Header: Depth=1
	v_add_nc_u32_e64 v43, 0x800, s12
	v_add_nc_u32_e64 v45, 0x600, s12
	;; [unrolled: 1-line block ×3, first 2 shown]
	v_mov_b32_e32 v63, s12
	ds_load_b32 v65, v40
	v_add_nc_u32_e32 v40, 0xffffff90, v40
	ds_load_2addr_b32 v[41:42], v43 offset0:104 offset1:132
	ds_load_2addr_b32 v[43:44], v43 offset0:48 offset1:76
	;; [unrolled: 1-line block ×11, first 2 shown]
	ds_load_2addr_b32 v[63:64], v63 offset1:28
	s_add_i32 s13, s13, -1
	s_add_i32 s12, s12, -4
	s_cmp_gt_i32 s13, s4
	s_waitcnt lgkmcnt(11)
	v_fma_f32 v19, -v65, v42, v19
	v_fma_f32 v39, -v65, v41, v39
	s_waitcnt lgkmcnt(10)
	v_fma_f32 v20, -v65, v44, v20
	v_fma_f32 v21, -v65, v43, v21
	;; [unrolled: 3-line block ×12, first 2 shown]
	s_cbranch_scc1 .LBB33_24
.LBB33_25:
	s_mul_i32 s12, s4, 0x74
	s_sub_i32 s27, s29, 28
	v_dual_mov_b32 v40, s12 :: v_dual_add_nc_u32 v17, 0xc40, v17
	s_add_i32 s20, s27, s4
	s_add_i32 s13, s12, 0xffffff8c
	s_lshl_b32 s20, s20, 2
	v_dual_mov_b32 v41, s13 :: v_dual_add_nc_u32 v16, 0xc40, v16
	ds_load_b32 v44, v40
	v_mov_b32_e32 v42, s20
	s_sub_i32 s13, s29, 56
	s_add_i32 s21, s12, 0xffffff18
	s_add_i32 s22, s13, s4
	;; [unrolled: 1-line block ×3, first 2 shown]
	ds_load_b32 v48, v42
	ds_load_2addr_b32 v[40:41], v41 offset1:1
	s_lshl_b32 s22, s22, 2
	v_mov_b32_e32 v42, s21
	s_add_i32 s21, s22, -4
	s_add_i32 s22, s19, s4
	s_add_i32 s24, s12, 0xfffffea4
	v_mov_b32_e32 v45, s21
	s_lshl_b32 s21, s22, 2
	s_delay_alu instid0(SALU_CYCLE_1)
	v_dual_mov_b32 v46, s24 :: v_dual_mov_b32 v49, s21
	s_add_i32 s20, s29, 0xffffff90
	s_add_i32 s21, s21, -8
	s_add_i32 s22, s20, s4
	s_waitcnt lgkmcnt(2)
	v_mul_f32_e32 v19, v44, v19
	ds_load_2addr_b32 v[42:43], v42 offset1:1
	ds_load_2addr_b32 v[44:45], v45 offset1:1
	s_lshl_b32 s22, s22, 2
	s_add_i32 s40, s12, 0xfffffcd4
	s_add_i32 s37, s37, s4
	s_waitcnt lgkmcnt(3)
	v_fma_f32 v50, -v19, v48, v20
	s_waitcnt lgkmcnt(2)
	v_fma_f32 v39, -v19, v41, v39
	ds_load_2addr_b32 v[46:47], v46 offset1:1
	ds_load_b32 v41, v49
	v_mov_b32_e32 v49, s21
	s_add_i32 s21, s22, -4
	s_lshl_b32 s37, s37, 2
	v_mul_f32_e32 v20, v40, v39
	v_mov_b32_e32 v48, s21
	s_add_i32 s21, s12, 0xfffffe30
	ds_load_2addr_b32 v[39:40], v49 offset1:1
	v_mov_b32_e32 v51, s21
	s_add_i32 s21, s22, -12
	ds_load_2addr_b32 v[48:49], v48 offset1:1
	s_add_i32 s38, s38, s4
	s_add_i32 s36, s36, s4
	s_waitcnt lgkmcnt(5)
	v_fma_f32 v43, -v20, v43, v50
	v_mov_b32_e32 v52, s21
	s_waitcnt lgkmcnt(4)
	v_fma_f32 v45, -v19, v45, v21
	s_add_i32 s21, s12, 0xfffffdbc
	ds_load_2addr_b32 v[50:51], v51 offset1:1
	v_mul_f32_e32 v21, v42, v43
	s_lshl_b32 s38, s38, 2
	s_waitcnt lgkmcnt(3)
	v_fma_f32 v24, -v19, v41, v24
	ds_load_2addr_b32 v[41:42], v52 offset1:1
	v_fma_f32 v43, -v20, v44, v45
	v_mov_b32_e32 v44, s21
	s_add_i32 s21, s29, 0xffffff74
	s_lshl_b32 s36, s36, 2
	s_add_i32 s22, s21, s4
	v_fma_f32 v45, -v21, v47, v43
	s_lshl_b32 s24, s22, 2
	s_waitcnt lgkmcnt(3)
	v_fma_f32 v24, -v20, v40, v24
	s_add_i32 s22, s24, -4
	s_waitcnt lgkmcnt(2)
	v_fma_f32 v40, -v19, v49, v22
	v_mov_b32_e32 v47, s22
	s_add_i32 s22, s29, 0xffffff58
	v_fma_f32 v24, -v21, v39, v24
	s_add_i32 s25, s22, s4
	s_add_i32 s39, s24, -12
	s_lshl_b32 s25, s25, 2
	v_mul_f32_e32 v22, v46, v45
	v_fma_f32 v45, -v20, v48, v40
	s_sub_i32 s24, s24, 20
	ds_load_2addr_b32 v[43:44], v44 offset1:1
	ds_load_2addr_b32 v[39:40], v47 offset1:1
	s_add_i32 s33, s33, s4
	s_waitcnt lgkmcnt(2)
	v_fma_f32 v42, -v21, v42, v45
	v_mov_b32_e32 v45, s25
	v_fma_f32 v24, -v22, v51, v24
	s_lshl_b32 s33, s33, 2
	s_add_i32 s35, s35, s4
	v_fma_f32 v53, -v22, v41, v42
	ds_load_b32 v51, v45
	v_dual_mov_b32 v46, s39 :: v_dual_mov_b32 v47, s24
	s_add_i32 s24, s25, -8
	s_add_i32 s39, s25, -16
	s_sub_i32 s25, s25, 24
	s_delay_alu instid0(SALU_CYCLE_1)
	v_dual_mov_b32 v48, s24 :: v_dual_mov_b32 v49, s25
	ds_load_2addr_b32 v[41:42], v46 offset1:1
	ds_load_2addr_b32 v[45:46], v47 offset1:1
	;; [unrolled: 1-line block ×3, first 2 shown]
	v_mul_f32_e32 v24, v50, v24
	s_add_i32 s24, s29, 0xffffff3c
	s_waitcnt lgkmcnt(4)
	v_fma_f32 v38, -v19, v40, v38
	s_lshl_b32 s35, s35, 2
	s_add_i32 s34, s34, s4
	v_fma_f32 v44, -v24, v44, v53
	v_mov_b32_e32 v40, s39
	s_add_i32 s39, s24, s4
	v_fma_f32 v54, -v20, v39, v38
	s_lshl_b32 s39, s39, 2
	s_waitcnt lgkmcnt(3)
	v_fma_f32 v25, -v19, v51, v25
	s_add_i32 s25, s39, -4
	s_lshl_b32 s34, s34, 2
	v_mov_b32_e32 v52, s25
	s_add_i32 s25, s12, 0xfffffd48
	s_add_i32 s31, s31, s4
	;; [unrolled: 1-line block ×3, first 2 shown]
	s_waitcnt lgkmcnt(2)
	v_fma_f32 v42, -v21, v42, v54
	s_lshl_b32 s31, s31, 2
	s_waitcnt lgkmcnt(0)
	v_fma_f32 v25, -v20, v48, v25
	s_lshl_b32 s30, s30, 2
	s_add_i32 s28, s28, s4
	v_fma_f32 v42, -v22, v41, v42
	s_lshl_b32 s28, s28, 2
	v_fma_f32 v47, -v21, v47, v25
	v_mul_f32_e32 v25, v43, v44
	ds_load_2addr_b32 v[38:39], v40 offset1:1
	ds_load_2addr_b32 v[49:50], v49 offset1:1
	ds_load_2addr_b32 v[51:52], v52 offset1:1
	v_mov_b32_e32 v40, s25
	s_add_i32 s25, s39, -12
	s_add_i32 s23, s23, s4
	v_mov_b32_e32 v48, s25
	s_sub_i32 s25, s39, 20
	ds_load_b32 v54, v40
	s_sub_i32 s39, s39, 28
	s_lshl_b32 s23, s23, 2
	ds_load_2addr_b32 v[40:41], v48 offset1:1
	v_dual_mov_b32 v48, s25 :: v_dual_mov_b32 v53, s39
	v_fma_f32 v44, -v24, v46, v42
	s_add_i32 s25, s29, 0xffffff20
	s_addk_i32 s29, 0xff04
	s_add_i32 s39, s25, s4
	s_add_i32 s11, s11, s4
	v_fma_f32 v44, -v25, v45, v44
	s_waitcnt lgkmcnt(4)
	v_fma_f32 v39, -v22, v39, v47
	ds_load_2addr_b32 v[42:43], v48 offset1:1
	ds_load_2addr_b32 v[46:47], v53 offset1:1
	s_waitcnt lgkmcnt(4)
	v_fma_f32 v26, -v19, v52, v26
	s_lshl_b32 s39, s39, 2
	s_lshl_b32 s11, s11, 2
	v_fma_f32 v38, -v24, v38, v39
	s_add_i32 s41, s39, -16
	v_fma_f32 v39, -v20, v51, v26
	s_waitcnt lgkmcnt(3)
	v_mul_f32_e32 v26, v54, v44
	s_sub_i32 s42, s39, 24
	v_fma_f32 v44, -v25, v50, v38
	s_add_i32 s18, s18, s4
	s_waitcnt lgkmcnt(2)
	v_fma_f32 v38, -v21, v41, v39
	v_mov_b32_e32 v39, s39
	v_mov_b32_e32 v41, s40
	s_add_i32 s40, s39, -8
	ds_load_b32 v45, v39
	ds_load_b32 v48, v41
	v_fma_f32 v38, -v22, v40, v38
	v_mov_b32_e32 v40, s40
	s_add_i32 s40, s29, s4
	v_fma_f32 v44, -v26, v49, v44
	s_lshl_b32 s40, s40, 2
	s_waitcnt lgkmcnt(3)
	v_fma_f32 v41, -v24, v43, v38
	s_sub_i32 s43, s40, 24
	s_sub_i32 s39, s39, 32
	s_lshl_b32 s18, s18, 2
	v_add_lshl_u32 v76, s27, v0, 2
	v_fma_f32 v49, -v25, v42, v41
	v_mov_b32_e32 v41, s41
	s_add_i32 s41, s40, -8
	s_delay_alu instid0(SALU_CYCLE_1)
	v_dual_mov_b32 v42, s42 :: v_dual_mov_b32 v51, s41
	s_add_i32 s41, s12, 0xfffffc60
	s_waitcnt lgkmcnt(2)
	v_fma_f32 v53, -v26, v47, v49
	v_mov_b32_e32 v49, s41
	ds_load_2addr_b32 v[38:39], v40 offset1:1
	v_mov_b32_e32 v40, s40
	s_waitcnt lgkmcnt(2)
	v_fma_f32 v52, -v19, v45, v28
	s_waitcnt lgkmcnt(1)
	v_mul_f32_e32 v28, v48, v44
	s_add_i32 s42, s40, -16
	v_mov_b32_e32 v48, s43
	ds_load_b32 v50, v40
	ds_load_2addr_b32 v[40:41], v41 offset1:1
	ds_load_2addr_b32 v[42:43], v42 offset1:1
	;; [unrolled: 1-line block ×3, first 2 shown]
	v_mov_b32_e32 v47, s42
	v_fma_f32 v46, -v28, v46, v53
	s_add_i32 s27, s11, -16
	s_add_i32 s10, s10, s4
	s_sub_i32 s4, s4, 24
	s_lshl_b32 s10, s10, 2
	s_waitcnt lgkmcnt(4)
	v_fma_f32 v39, -v20, v39, v52
	s_delay_alu instid0(VALU_DEP_1)
	v_fma_f32 v51, -v21, v38, v39
	s_waitcnt lgkmcnt(3)
	v_fma_f32 v30, -v19, v50, v30
	v_mov_b32_e32 v50, s39
	ds_load_2addr_b32 v[38:39], v47 offset1:1
	ds_load_2addr_b32 v[47:48], v48 offset1:1
	s_add_i32 s39, s38, -4
	ds_load_b32 v54, v49
	v_mov_b32_e32 v52, s39
	s_waitcnt lgkmcnt(5)
	v_fma_f32 v41, -v22, v41, v51
	ds_load_2addr_b32 v[49:50], v50 offset1:1
	s_waitcnt lgkmcnt(4)
	v_fma_f32 v30, -v20, v45, v30
	s_sub_i32 s39, s40, 32
	ds_load_2addr_b32 v[51:52], v52 offset1:1
	v_fma_f32 v41, -v24, v40, v41
	s_add_i32 s40, s12, 0xfffffb78
	v_fma_f32 v30, -v21, v44, v30
	v_mov_b32_e32 v44, s39
	s_add_i32 s39, s38, -12
	v_fma_f32 v41, -v25, v43, v41
	v_mov_b32_e32 v45, s39
	s_add_i32 s39, s12, 0xfffffbec
	s_waitcnt lgkmcnt(4)
	v_fma_f32 v30, -v22, v39, v30
	ds_load_2addr_b32 v[39:40], v44 offset1:1
	ds_load_2addr_b32 v[43:44], v45 offset1:1
	v_fma_f32 v41, -v26, v42, v41
	v_mov_b32_e32 v42, s40
	v_fma_f32 v38, -v24, v38, v30
	s_waitcnt lgkmcnt(4)
	v_mul_f32_e32 v30, v54, v46
	v_mov_b32_e32 v46, s39
	s_waitcnt lgkmcnt(3)
	v_fma_f32 v41, -v28, v50, v41
	s_waitcnt lgkmcnt(2)
	v_fma_f32 v45, -v19, v52, v37
	v_fma_f32 v38, -v25, v48, v38
	s_sub_i32 s39, s38, 20
	ds_load_b32 v55, v46
	v_fma_f32 v54, -v30, v49, v41
	v_mov_b32_e32 v41, s37
	v_fma_f32 v47, -v26, v47, v38
	ds_load_2addr_b32 v[37:38], v42 offset1:1
	ds_load_b32 v58, v41
	v_fma_f32 v42, -v20, v51, v45
	s_waitcnt lgkmcnt(4)
	v_fma_f32 v56, -v28, v40, v47
	s_waitcnt lgkmcnt(3)
	s_delay_alu instid0(VALU_DEP_2) | instskip(SKIP_2) | instid1(VALU_DEP_2)
	v_fma_f32 v40, -v21, v44, v42
	v_mov_b32_e32 v42, s39
	s_add_i32 s39, s37, -8
	v_fma_f32 v57, -v22, v43, v40
	v_mov_b32_e32 v43, s39
	ds_load_2addr_b32 v[40:41], v42 offset1:1
	s_sub_i32 s39, s38, 28
	s_sub_i32 s38, s38, 36
	v_mov_b32_e32 v44, s39
	ds_load_2addr_b32 v[42:43], v43 offset1:1
	s_add_i32 s39, s12, 0xfffffb04
	v_mov_b32_e32 v46, s38
	v_mov_b32_e32 v48, s39
	s_add_i32 s38, s37, -16
	s_sub_i32 s39, s37, 24
	v_mov_b32_e32 v50, s38
	v_mov_b32_e32 v52, s39
	ds_load_2addr_b32 v[44:45], v44 offset1:1
	ds_load_2addr_b32 v[46:47], v46 offset1:1
	;; [unrolled: 1-line block ×3, first 2 shown]
	s_add_i32 s38, s36, -4
	s_waitcnt lgkmcnt(5)
	v_fma_f32 v58, -v19, v58, v32
	ds_load_2addr_b32 v[50:51], v50 offset1:1
	ds_load_2addr_b32 v[52:53], v52 offset1:1
	v_mul_f32_e32 v32, v55, v54
	s_waitcnt lgkmcnt(6)
	v_fma_f32 v41, -v24, v41, v57
	v_mov_b32_e32 v57, s38
	s_sub_i32 s38, s37, 32
	s_sub_i32 s37, s37, 40
	s_waitcnt lgkmcnt(5)
	v_fma_f32 v43, -v20, v43, v58
	v_fma_f32 v58, -v30, v39, v56
	;; [unrolled: 1-line block ×3, first 2 shown]
	ds_load_2addr_b32 v[39:40], v57 offset1:1
	v_mov_b32_e32 v54, s37
	v_fma_f32 v42, -v21, v42, v43
	v_mov_b32_e32 v43, s38
	s_add_i32 s38, s12, 0xfffffa90
	s_waitcnt lgkmcnt(5)
	v_fma_f32 v45, -v26, v45, v41
	v_mov_b32_e32 v56, s38
	s_add_i32 s37, s36, -12
	s_waitcnt lgkmcnt(2)
	v_fma_f32 v51, -v22, v51, v42
	ds_load_2addr_b32 v[41:42], v43 offset1:1
	ds_load_2addr_b32 v[54:55], v54 offset1:1
	;; [unrolled: 1-line block ×3, first 2 shown]
	v_fma_f32 v43, -v28, v44, v45
	v_fma_f32 v38, -v32, v38, v58
	v_mov_b32_e32 v45, s37
	v_fma_f32 v44, -v24, v50, v51
	s_sub_i32 s37, s36, 20
	v_fma_f32 v43, -v30, v47, v43
	s_sub_i32 s38, s36, 36
	s_waitcnt lgkmcnt(4)
	v_fma_f32 v44, -v25, v53, v44
	s_waitcnt lgkmcnt(3)
	v_fma_f32 v40, -v19, v40, v33
	v_mul_f32_e32 v33, v37, v38
	ds_load_2addr_b32 v[37:38], v45 offset1:1
	v_fma_f32 v53, -v32, v46, v43
	v_fma_f32 v43, -v26, v52, v44
	;; [unrolled: 1-line block ×3, first 2 shown]
	v_dual_mov_b32 v40, s35 :: v_dual_mov_b32 v39, s37
	s_sub_i32 s37, s36, 28
	ds_load_b32 v52, v40
	ds_load_2addr_b32 v[39:40], v39 offset1:1
	v_mov_b32_e32 v44, s37
	s_add_i32 s37, s35, -8
	v_mov_b32_e32 v45, s38
	v_mov_b32_e32 v47, s37
	s_waitcnt lgkmcnt(5)
	v_fma_f32 v50, -v28, v42, v43
	ds_load_2addr_b32 v[42:43], v44 offset1:1
	ds_load_2addr_b32 v[44:45], v45 offset1:1
	s_sub_i32 s36, s36, 44
	s_add_i32 s37, s12, 0xfffffa1c
	v_mov_b32_e32 v51, s36
	s_waitcnt lgkmcnt(4)
	v_fma_f32 v38, -v21, v38, v46
	ds_load_2addr_b32 v[46:47], v47 offset1:1
	v_mov_b32_e32 v58, s37
	s_add_i32 s36, s35, -16
	v_fma_f32 v41, -v30, v41, v50
	v_fma_f32 v59, -v22, v37, v38
	ds_load_2addr_b32 v[37:38], v51 offset1:1
	ds_load_2addr_b32 v[50:51], v58 offset1:1
	v_mov_b32_e32 v58, s36
	s_waitcnt lgkmcnt(6)
	v_fma_f32 v36, -v19, v52, v36
	v_fma_f32 v55, -v32, v55, v41
	s_waitcnt lgkmcnt(5)
	v_fma_f32 v60, -v24, v40, v59
	s_sub_i32 s36, s35, 24
	ds_load_2addr_b32 v[40:41], v58 offset1:1
	v_mov_b32_e32 v52, s36
	s_add_i32 s36, s34, -4
	v_fma_f32 v49, -v33, v49, v53
	v_fma_f32 v39, -v25, v39, v60
	;; [unrolled: 1-line block ×3, first 2 shown]
	ds_load_2addr_b32 v[52:53], v52 offset1:1
	s_waitcnt lgkmcnt(4)
	v_fma_f32 v36, -v20, v47, v36
	v_mov_b32_e32 v47, s36
	s_sub_i32 s36, s35, 32
	v_fma_f32 v39, -v26, v43, v39
	v_mov_b32_e32 v61, s36
	s_sub_i32 s36, s35, 40
	ds_load_2addr_b32 v[58:59], v47 offset1:1
	v_mov_b32_e32 v62, s36
	s_add_i32 s36, s34, -12
	v_fma_f32 v36, -v21, v46, v36
	ds_load_2addr_b32 v[46:47], v61 offset1:1
	ds_load_2addr_b32 v[60:61], v62 offset1:1
	v_mov_b32_e32 v62, s36
	s_sub_i32 s35, s35, 48
	s_waitcnt lgkmcnt(4)
	v_fma_f32 v41, -v22, v41, v36
	v_mul_f32_e32 v36, v48, v49
	s_add_i32 s36, s12, 0xfffff9a8
	ds_load_2addr_b32 v[48:49], v62 offset1:1
	v_fma_f32 v55, -v28, v42, v39
	v_fma_f32 v40, -v24, v40, v41
	v_mov_b32_e32 v41, s35
	v_mov_b32_e32 v43, s36
	s_sub_i32 s35, s34, 20
	v_fma_f32 v45, -v30, v45, v55
	s_waitcnt lgkmcnt(4)
	v_fma_f32 v53, -v25, v53, v40
	ds_load_2addr_b32 v[39:40], v41 offset1:1
	ds_load_2addr_b32 v[41:42], v43 offset1:1
	s_waitcnt lgkmcnt(5)
	v_fma_f32 v35, -v19, v59, v35
	v_fma_f32 v43, -v36, v57, v54
	s_sub_i32 s36, s34, 44
	v_fma_f32 v52, -v26, v52, v53
	v_mov_b32_e32 v55, s36
	v_fma_f32 v53, -v20, v58, v35
	v_mul_f32_e32 v35, v56, v43
	v_mov_b32_e32 v43, s35
	v_fma_f32 v54, -v32, v44, v45
	s_waitcnt lgkmcnt(4)
	v_fma_f32 v45, -v28, v47, v52
	s_sub_i32 s35, s34, 28
	s_waitcnt lgkmcnt(2)
	v_fma_f32 v47, -v21, v49, v53
	v_mov_b32_e32 v49, s35
	s_add_i32 s35, s33, -8
	v_mov_b32_e32 v53, s33
	ds_load_2addr_b32 v[43:44], v43 offset1:1
	v_fma_f32 v56, -v22, v48, v47
	v_mov_b32_e32 v47, s35
	v_fma_f32 v52, -v30, v46, v45
	ds_load_2addr_b32 v[45:46], v49 offset1:1
	v_fma_f32 v38, -v33, v38, v54
	s_sub_i32 s35, s34, 36
	ds_load_2addr_b32 v[47:48], v47 offset1:1
	ds_load_b32 v49, v53
	v_fma_f32 v57, -v32, v61, v52
	v_fma_f32 v59, -v36, v37, v38
	s_sub_i32 s34, s34, 52
	v_mov_b32_e32 v53, s35
	s_add_i32 s35, s12, 0xfffff934
	v_fma_f32 v57, -v33, v60, v57
	v_mov_b32_e32 v58, s35
	ds_load_2addr_b32 v[52:53], v53 offset1:1
	ds_load_2addr_b32 v[54:55], v55 offset1:1
	s_sub_i32 s35, s33, 32
	s_waitcnt lgkmcnt(7)
	v_fma_f32 v40, -v36, v40, v57
	s_waitcnt lgkmcnt(5)
	v_fma_f32 v44, -v24, v44, v56
	v_mov_b32_e32 v56, s34
	s_add_i32 s34, s33, -16
	v_fma_f32 v66, -v35, v39, v40
	s_delay_alu instid0(VALU_DEP_3)
	v_fma_f32 v60, -v25, v43, v44
	ds_load_2addr_b32 v[37:38], v56 offset1:1
	ds_load_2addr_b32 v[43:44], v58 offset1:1
	s_waitcnt lgkmcnt(4)
	v_fma_f32 v34, -v19, v49, v34
	v_fma_f32 v49, -v35, v51, v59
	v_mov_b32_e32 v51, s34
	v_fma_f32 v46, -v26, v46, v60
	s_sub_i32 s34, s33, 24
	v_fma_f32 v48, -v20, v48, v34
	v_mul_f32_e32 v34, v50, v49
	ds_load_2addr_b32 v[39:40], v51 offset1:1
	v_fma_f32 v67, -v28, v45, v46
	v_mov_b32_e32 v49, s35
	v_fma_f32 v58, -v21, v47, v48
	v_mov_b32_e32 v47, s34
	s_add_i32 s34, s31, -4
	s_delay_alu instid0(SALU_CYCLE_1) | instskip(SKIP_1) | instid1(SALU_CYCLE_1)
	v_mov_b32_e32 v45, s34
	s_sub_i32 s34, s33, 40
	v_mov_b32_e32 v51, s34
	ds_load_2addr_b32 v[45:46], v45 offset1:1
	ds_load_2addr_b32 v[47:48], v47 offset1:1
	;; [unrolled: 1-line block ×4, first 2 shown]
	s_sub_i32 s34, s33, 48
	s_sub_i32 s33, s33, 56
	v_mov_b32_e32 v51, s34
	s_add_i32 s34, s31, -12
	s_delay_alu instid0(SALU_CYCLE_1)
	v_dual_mov_b32 v62, s33 :: v_dual_mov_b32 v59, s34
	s_add_i32 s34, s12, 0xfffff8c0
	s_waitcnt lgkmcnt(4)
	v_fma_f32 v40, -v22, v40, v58
	v_mov_b32_e32 v64, s34
	ds_load_2addr_b32 v[58:59], v59 offset1:1
	ds_load_2addr_b32 v[60:61], v51 offset1:1
	;; [unrolled: 1-line block ×4, first 2 shown]
	s_sub_i32 s33, s31, 20
	v_fma_f32 v39, -v24, v39, v40
	v_fma_f32 v51, -v30, v53, v67
	v_mov_b32_e32 v40, s33
	s_sub_i32 s34, s31, 36
	s_waitcnt lgkmcnt(7)
	v_fma_f32 v31, -v19, v46, v31
	s_waitcnt lgkmcnt(6)
	v_fma_f32 v48, -v25, v48, v39
	v_fma_f32 v51, -v32, v52, v51
	ds_load_2addr_b32 v[39:40], v40 offset1:1
	v_mov_b32_e32 v53, s34
	v_fma_f32 v31, -v20, v45, v31
	v_fma_f32 v52, -v26, v47, v48
	;; [unrolled: 1-line block ×4, first 2 shown]
	s_sub_i32 s33, s31, 28
	s_sub_i32 s34, s30, 56
	s_waitcnt lgkmcnt(4)
	v_fma_f32 v31, -v21, v59, v31
	v_fma_f32 v50, -v28, v50, v52
	;; [unrolled: 1-line block ×3, first 2 shown]
	s_delay_alu instid0(VALU_DEP_3) | instskip(NEXT) | instid1(VALU_DEP_3)
	v_fma_f32 v31, -v22, v58, v31
	v_fma_f32 v49, -v30, v49, v50
	s_delay_alu instid0(VALU_DEP_3) | instskip(SKIP_1) | instid1(VALU_DEP_3)
	v_fma_f32 v38, -v35, v38, v51
	s_waitcnt lgkmcnt(0)
	v_fma_f32 v50, -v24, v40, v31
	v_mul_f32_e32 v31, v41, v42
	v_fma_f32 v42, -v32, v57, v49
	v_fma_f32 v49, -v34, v37, v38
	s_delay_alu instid0(VALU_DEP_4) | instskip(NEXT) | instid1(VALU_DEP_3)
	v_fma_f32 v39, -v25, v39, v50
	v_fma_f32 v42, -v33, v56, v42
	s_delay_alu instid0(VALU_DEP_3)
	v_fma_f32 v49, -v31, v44, v49
	v_mov_b32_e32 v46, s33
	ds_load_2addr_b32 v[45:46], v46 offset1:1
	ds_load_2addr_b32 v[47:48], v53 offset1:1
	s_add_i32 s33, s30, -8
	v_fma_f32 v42, -v36, v61, v42
	v_mov_b32_e32 v53, s33
	s_add_i32 s33, s30, -16
	s_delay_alu instid0(SALU_CYCLE_1)
	v_dual_mov_b32 v56, s34 :: v_dual_mov_b32 v37, s33
	s_sub_i32 s33, s30, 24
	ds_load_2addr_b32 v[40:41], v53 offset1:1
	v_fma_f32 v42, -v35, v60, v42
	ds_load_2addr_b32 v[37:38], v37 offset1:1
	v_fma_f32 v58, -v34, v63, v42
	s_waitcnt lgkmcnt(3)
	v_fma_f32 v39, -v26, v46, v39
	v_mov_b32_e32 v46, s33
	s_sub_i32 s33, s31, 44
	v_mov_b32_e32 v52, s30
	s_delay_alu instid0(VALU_DEP_3)
	v_fma_f32 v39, -v28, v45, v39
	ds_load_2addr_b32 v[44:45], v46 offset1:1
	ds_load_b32 v52, v52
	s_waitcnt lgkmcnt(4)
	v_fma_f32 v39, -v30, v48, v39
	s_waitcnt lgkmcnt(0)
	v_fma_f32 v46, -v19, v52, v29
	v_mul_f32_e32 v29, v43, v49
	s_delay_alu instid0(VALU_DEP_3) | instskip(SKIP_4) | instid1(VALU_DEP_1)
	v_fma_f32 v43, -v32, v47, v39
	v_mov_b32_e32 v39, s33
	s_sub_i32 s33, s31, 52
	v_fma_f32 v41, -v20, v41, v46
	s_sub_i32 s31, s31, 60
	v_fma_f32 v40, -v21, v40, v41
	v_mov_b32_e32 v41, s33
	s_sub_i32 s33, s30, 32
	s_delay_alu instid0(VALU_DEP_2) | instskip(SKIP_2) | instid1(SALU_CYCLE_1)
	v_fma_f32 v38, -v22, v38, v40
	v_mov_b32_e32 v40, s33
	s_sub_i32 s33, s30, 40
	v_dual_mov_b32 v46, s31 :: v_dual_mov_b32 v53, s33
	s_delay_alu instid0(VALU_DEP_3)
	v_fma_f32 v52, -v24, v37, v38
	ds_load_2addr_b32 v[37:38], v39 offset1:1
	s_add_i32 s31, s12, 0xfffff84c
	ds_load_2addr_b32 v[39:40], v40 offset1:1
	v_mov_b32_e32 v48, s31
	s_add_i32 s31, s28, -4
	v_fma_f32 v45, -v25, v45, v52
	v_mov_b32_e32 v50, s31
	s_sub_i32 s31, s30, 48
	s_add_i32 s33, s28, -12
	v_mov_b32_e32 v55, s31
	ds_load_2addr_b32 v[41:42], v41 offset1:1
	ds_load_2addr_b32 v[46:47], v46 offset1:1
	;; [unrolled: 1-line block ×5, first 2 shown]
	v_fma_f32 v45, -v26, v44, v45
	s_sub_i32 s30, s30, 64
	v_mov_b32_e32 v54, s33
	s_sub_i32 s31, s28, 20
	s_sub_i32 s33, s28, 44
	s_waitcnt lgkmcnt(6)
	v_fma_f32 v38, -v33, v38, v43
	ds_load_2addr_b32 v[43:44], v54 offset1:1
	ds_load_2addr_b32 v[54:55], v55 offset1:1
	ds_load_2addr_b32 v[56:57], v56 offset1:1
	s_waitcnt lgkmcnt(8)
	v_fma_f32 v40, -v28, v40, v45
	v_fma_f32 v45, -v31, v62, v58
	v_mov_b32_e32 v58, s31
	v_fma_f32 v59, -v36, v37, v38
	s_sub_i32 s31, s28, 28
	v_fma_f32 v39, -v30, v39, v40
	v_fma_f32 v40, -v29, v65, v45
	ds_load_2addr_b32 v[37:38], v58 offset1:1
	s_waitcnt lgkmcnt(8)
	v_fma_f32 v42, -v35, v42, v59
	s_waitcnt lgkmcnt(5)
	v_fma_f32 v27, -v19, v51, v27
	;; [unrolled: 2-line block ×3, first 2 shown]
	v_dual_mul_f32 v74, v64, v40 :: v_dual_mov_b32 v45, s33
	v_fma_f32 v41, -v34, v41, v42
	v_fma_f32 v27, -v20, v50, v27
	s_delay_alu instid0(VALU_DEP_4) | instskip(SKIP_1) | instid1(VALU_DEP_3)
	v_fma_f32 v42, -v33, v52, v39
	s_sub_i32 s33, s28, 52
	v_fma_f32 v47, -v31, v47, v41
	s_waitcnt lgkmcnt(3)
	v_fma_f32 v27, -v21, v44, v27
	s_waitcnt lgkmcnt(2)
	v_fma_f32 v50, -v36, v55, v42
	v_fma_f32 v47, -v29, v46, v47
	s_delay_alu instid0(VALU_DEP_3) | instskip(NEXT) | instid1(VALU_DEP_2)
	v_fma_f32 v27, -v22, v43, v27
	v_fma_f32 v47, -v74, v49, v47
	v_mov_b32_e32 v40, s31
	s_sub_i32 s31, s28, 36
	s_delay_alu instid0(VALU_DEP_2) | instid1(SALU_CYCLE_1)
	v_dual_mov_b32 v44, s31 :: v_dual_mul_f32 v75, v48, v47
	ds_load_2addr_b32 v[39:40], v40 offset1:1
	ds_load_2addr_b32 v[41:42], v44 offset1:1
	;; [unrolled: 1-line block ×3, first 2 shown]
	s_waitcnt lgkmcnt(3)
	v_fma_f32 v27, -v24, v38, v27
	v_mov_b32_e32 v45, s23
	s_add_i32 s31, s23, -8
	v_fma_f32 v38, -v35, v54, v50
	v_mov_b32_e32 v50, s31
	v_fma_f32 v27, -v25, v37, v27
	v_mov_b32_e32 v37, s30
	ds_load_b32 v51, v45
	s_add_i32 s30, s23, -16
	s_add_i32 s31, s12, 0xfffff7d8
	s_delay_alu instid0(SALU_CYCLE_1)
	v_mov_b32_e32 v52, s31
	s_sub_i32 s31, s18, 36
	s_waitcnt lgkmcnt(3)
	v_fma_f32 v27, -v26, v40, v27
	v_fma_f32 v40, -v34, v57, v38
	ds_load_2addr_b32 v[37:38], v37 offset1:1
	ds_load_2addr_b32 v[45:46], v50 offset1:1
	v_mov_b32_e32 v50, s33
	v_fma_f32 v27, -v28, v39, v27
	v_mov_b32_e32 v39, s30
	v_fma_f32 v54, -v31, v56, v40
	s_sub_i32 s30, s23, 24
	s_waitcnt lgkmcnt(4)
	v_fma_f32 v27, -v30, v42, v27
	ds_load_2addr_b32 v[39:40], v39 offset1:1
	s_waitcnt lgkmcnt(3)
	v_fma_f32 v23, -v19, v51, v23
	v_mov_b32_e32 v42, s30
	s_sub_i32 s30, s28, 60
	v_fma_f32 v27, -v32, v41, v27
	s_addk_i32 s28, 0xffbc
	ds_load_2addr_b32 v[41:42], v42 offset1:1
	ds_load_2addr_b32 v[50:51], v50 offset1:1
	;; [unrolled: 1-line block ×3, first 2 shown]
	v_fma_f32 v27, -v33, v44, v27
	s_waitcnt lgkmcnt(5)
	v_fma_f32 v49, -v29, v38, v54
	s_waitcnt lgkmcnt(4)
	v_fma_f32 v23, -v20, v46, v23
	v_mov_b32_e32 v38, s30
	s_add_i32 s30, s12, 0xfffff764
	v_fma_f32 v27, -v36, v43, v27
	v_mov_b32_e32 v54, s30
	v_fma_f32 v23, -v21, v45, v23
	v_mov_b32_e32 v45, s28
	s_sub_i32 s28, s23, 32
	ds_load_2addr_b32 v[43:44], v38 offset1:1
	ds_load_2addr_b32 v[45:46], v45 offset1:1
	;; [unrolled: 1-line block ×3, first 2 shown]
	v_mov_b32_e32 v38, s28
	s_add_i32 s28, s18, -4
	s_waitcnt lgkmcnt(6)
	v_fma_f32 v23, -v22, v40, v23
	v_mov_b32_e32 v40, s28
	s_sub_i32 s28, s23, 40
	s_waitcnt lgkmcnt(4)
	v_fma_f32 v27, -v35, v51, v27
	v_fma_f32 v51, -v74, v37, v49
	;; [unrolled: 1-line block ×3, first 2 shown]
	ds_load_2addr_b32 v[38:39], v38 offset1:1
	ds_load_2addr_b32 v[47:48], v40 offset1:1
	v_mov_b32_e32 v37, s28
	s_add_i32 s28, s18, -12
	v_fma_f32 v23, -v25, v42, v23
	s_sub_i32 s30, s23, 48
	v_mov_b32_e32 v40, s28
	s_sub_i32 s28, s23, 56
	v_mov_b32_e32 v42, s30
	v_mov_b32_e32 v58, s28
	v_fma_f32 v27, -v34, v50, v27
	v_fma_f32 v23, -v26, v41, v23
	ds_load_2addr_b32 v[40:41], v40 offset1:1
	ds_load_2addr_b32 v[49:50], v37 offset1:1
	;; [unrolled: 1-line block ×4, first 2 shown]
	s_sub_i32 s28, s18, 20
	s_sub_i32 s30, s23, 64
	v_mov_b32_e32 v37, s28
	s_addk_i32 s23, 0xffb8
	s_add_i32 s28, s12, 0xfffff6f0
	v_mov_b32_e32 v42, s31
	v_mov_b32_e32 v64, s23
	s_waitcnt lgkmcnt(5)
	v_fma_f32 v23, -v28, v39, v23
	s_waitcnt lgkmcnt(4)
	v_fma_f32 v18, -v19, v48, v18
	v_mov_b32_e32 v39, s30
	s_sub_i32 s30, s18, 28
	ds_load_2addr_b32 v[60:61], v37 offset1:1
	v_mov_b32_e32 v37, s30
	v_fma_f32 v18, -v20, v47, v18
	v_mov_b32_e32 v65, s28
	ds_load_2addr_b32 v[47:48], v37 offset1:1
	ds_load_2addr_b32 v[62:63], v42 offset1:1
	s_waitcnt lgkmcnt(6)
	v_fma_f32 v18, -v21, v41, v18
	v_fma_f32 v23, -v30, v38, v23
	ds_load_2addr_b32 v[37:38], v39 offset1:1
	ds_load_2addr_b32 v[41:42], v64 offset1:1
	;; [unrolled: 1-line block ×3, first 2 shown]
	v_fma_f32 v39, -v75, v53, v51
	s_add_i32 s23, s11, -8
	v_fma_f32 v18, -v22, v40, v18
	s_waitcnt lgkmcnt(8)
	v_fma_f32 v23, -v32, v50, v23
	v_fma_f32 v27, -v31, v44, v27
	v_mul_f32_e32 v53, v52, v39
	v_mov_b32_e32 v39, s11
	s_add_i32 s28, s12, 0xfffff67c
	v_fma_f32 v23, -v33, v49, v23
	v_fma_f32 v27, -v29, v43, v27
	s_waitcnt lgkmcnt(5)
	v_fma_f32 v18, -v24, v61, v18
	ds_load_b32 v49, v39
	v_mov_b32_e32 v39, s23
	s_add_i32 s23, s18, 0xffffffb4
	v_fma_f32 v27, -v74, v46, v27
	v_fma_f32 v18, -v25, v60, v18
	v_mov_b32_e32 v43, s23
	ds_load_2addr_b32 v[39:40], v39 offset1:1
	v_fma_f32 v23, -v36, v57, v23
	v_fma_f32 v27, -v75, v45, v27
	s_waitcnt lgkmcnt(6)
	v_fma_f32 v18, -v26, v48, v18
	s_sub_i32 s23, s18, 44
	v_fma_f32 v23, -v35, v56, v23
	v_fma_f32 v27, -v53, v55, v27
	s_delay_alu instid0(VALU_DEP_3)
	v_fma_f32 v18, -v28, v47, v18
	v_mov_b32_e32 v47, s27
	s_add_i32 s27, s11, 0xffffffb0
	v_fma_f32 v23, -v34, v59, v23
	v_mov_b32_e32 v57, s23
	s_waitcnt lgkmcnt(5)
	v_fma_f32 v18, -v30, v63, v18
	s_waitcnt lgkmcnt(1)
	v_fma_f32 v15, -v19, v49, v15
	s_sub_i32 s23, s11, 32
	v_fma_f32 v23, -v31, v58, v23
	v_mov_b32_e32 v61, s23
	s_sub_i32 s23, s11, 40
	v_fma_f32 v18, -v32, v62, v18
	s_waitcnt lgkmcnt(0)
	v_fma_f32 v15, -v20, v40, v15
	v_mov_b32_e32 v40, s27
	s_add_i32 s27, s12, 0xfffff608
	s_delay_alu instid0(SALU_CYCLE_1) | instskip(SKIP_1) | instid1(SALU_CYCLE_1)
	v_dual_mov_b32 v62, s23 :: v_dual_mov_b32 v55, s27
	s_add_i32 s27, s10, -12
	v_dual_mov_b32 v46, s28 :: v_dual_mov_b32 v63, s27
	s_sub_i32 s28, s11, 24
	ds_load_2addr_b32 v[43:44], v43 offset1:1
	ds_load_2addr_b32 v[45:46], v46 offset1:1
	v_mov_b32_e32 v49, s28
	ds_load_2addr_b32 v[47:48], v47 offset1:1
	ds_load_2addr_b32 v[49:50], v49 offset1:1
	v_fma_f32 v15, -v21, v39, v15
	s_add_i32 s28, s10, -4
	s_sub_i32 s27, s10, 20
	v_mov_b32_e32 v59, s28
	s_sub_i32 s23, s18, 52
	v_fma_f32 v23, -v29, v38, v23
	v_mul_f32_e32 v27, v54, v27
	s_delay_alu instid0(VALU_DEP_2) | instskip(NEXT) | instid1(VALU_DEP_1)
	v_fma_f32 v23, -v74, v37, v23
	v_fma_f32 v23, -v75, v42, v23
	v_add_lshl_u32 v42, s19, v0, 2
	s_waitcnt lgkmcnt(1)
	v_fma_f32 v15, -v22, v48, v15
	v_mov_b32_e32 v48, s23
	s_sub_i32 s23, s18, 60
	s_addk_i32 s18, 0xffbc
	v_fma_f32 v23, -v53, v41, v23
	v_fma_f32 v15, -v24, v47, v15
	v_mov_b32_e32 v47, s27
	ds_load_2addr_b32 v[51:52], v40 offset1:1
	ds_load_2addr_b32 v[55:56], v55 offset1:1
	;; [unrolled: 1-line block ×7, first 2 shown]
	v_mov_b32_e32 v57, s23
	s_waitcnt lgkmcnt(7)
	v_fma_f32 v50, -v25, v50, v15
	v_mov_b32_e32 v63, s18
	s_sub_i32 s18, s10, 28
	s_sub_i32 s27, s10, 44
	;; [unrolled: 1-line block ×3, first 2 shown]
	v_fma_f32 v49, -v26, v49, v50
	v_fma_f32 v23, -v27, v65, v23
	v_add_lshl_u32 v41, s13, v0, 2
	s_delay_alu instid0(VALU_DEP_2)
	v_mul_f32_e32 v23, v64, v23
	s_waitcnt lgkmcnt(4)
	v_fma_f32 v60, -v19, v60, v14
	ds_load_2addr_b32 v[14:15], v47 offset1:1
	ds_load_2addr_b32 v[47:48], v48 offset1:1
	;; [unrolled: 1-line block ×4, first 2 shown]
	v_mov_b32_e32 v57, s18
	s_waitcnt lgkmcnt(7)
	v_fma_f32 v40, -v28, v40, v49
	s_sub_i32 s18, s11, 48
	v_fma_f32 v50, -v20, v59, v60
	v_mov_b32_e32 v60, s27
	s_waitcnt lgkmcnt(5)
	v_fma_f32 v18, -v33, v67, v18
	v_fma_f32 v67, -v30, v39, v40
	s_waitcnt lgkmcnt(4)
	v_fma_f32 v59, -v21, v69, v50
	ds_load_2addr_b32 v[49:50], v57 offset1:1
	v_mov_b32_e32 v57, s23
	v_fma_f32 v18, -v36, v66, v18
	v_fma_f32 v62, -v32, v62, v67
	;; [unrolled: 1-line block ×3, first 2 shown]
	v_mov_b32_e32 v68, s18
	ds_load_2addr_b32 v[39:40], v57 offset1:1
	ds_load_2addr_b32 v[59:60], v60 offset1:1
	s_sub_i32 s18, s11, 56
	s_waitcnt lgkmcnt(5)
	v_fma_f32 v18, -v35, v48, v18
	v_fma_f32 v15, -v24, v15, v63
	ds_load_2addr_b32 v[57:58], v68 offset1:1
	s_sub_i32 s23, s10, 52
	v_fma_f32 v38, -v33, v61, v62
	v_fma_f32 v18, -v34, v47, v18
	v_fma_f32 v14, -v25, v14, v15
	v_mov_b32_e32 v15, s18
	s_sub_i32 s18, s11, 64
	s_addk_i32 s11, 0xffb8
	s_waitcnt lgkmcnt(5)
	v_fma_f32 v18, -v31, v71, v18
	v_mov_b32_e32 v63, s11
	s_waitcnt lgkmcnt(3)
	v_fma_f32 v14, -v26, v50, v14
	s_sub_i32 s11, s10, 60
	v_mov_b32_e32 v50, s18
	s_add_i32 s18, s10, 0xffffffb4
	v_fma_f32 v18, -v29, v70, v18
	v_fma_f32 v48, -v28, v49, v14
	v_mov_b32_e32 v49, s23
	ds_load_2addr_b32 v[14:15], v15 offset1:1
	v_fma_f32 v18, -v74, v73, v18
	s_waitcnt lgkmcnt(3)
	v_fma_f32 v40, -v30, v40, v48
	s_waitcnt lgkmcnt(1)
	v_fma_f32 v38, -v36, v58, v38
	v_fma_f32 v18, -v75, v72, v18
	s_delay_alu instid0(VALU_DEP_3)
	v_fma_f32 v39, -v32, v39, v40
	v_mov_b32_e32 v40, s11
	ds_load_2addr_b32 v[48:49], v49 offset1:1
	ds_load_2addr_b32 v[61:62], v50 offset1:1
	;; [unrolled: 1-line block ×3, first 2 shown]
	v_fma_f32 v47, -v35, v57, v38
	s_add_i32 s11, s10, 0xffffffbc
	v_fma_f32 v39, -v33, v60, v39
	ds_load_2addr_b32 v[37:38], v40 offset1:1
	v_mov_b32_e32 v40, s11
	v_mov_b32_e32 v50, s18
	s_addk_i32 s10, 0xffac
	v_fma_f32 v59, -v36, v59, v39
	ds_load_2addr_b32 v[39:40], v40 offset1:1
	ds_load_2addr_b32 v[57:58], v50 offset1:1
	s_waitcnt lgkmcnt(6)
	v_fma_f32 v15, -v34, v15, v47
	v_fma_f32 v18, -v53, v44, v18
	s_delay_alu instid0(VALU_DEP_2) | instskip(NEXT) | instid1(VALU_DEP_2)
	v_fma_f32 v14, -v31, v14, v15
	v_fma_f32 v18, -v27, v43, v18
	s_waitcnt lgkmcnt(5)
	v_fma_f32 v47, -v35, v49, v59
	v_add_lshl_u32 v43, s21, v0, 2
	s_waitcnt lgkmcnt(4)
	v_fma_f32 v14, -v29, v62, v14
	v_fma_f32 v18, -v23, v46, v18
	;; [unrolled: 1-line block ×3, first 2 shown]
	s_delay_alu instid0(VALU_DEP_3) | instskip(NEXT) | instid1(VALU_DEP_3)
	v_fma_f32 v14, -v74, v61, v14
	v_mul_f32_e32 v18, v45, v18
	s_waitcnt lgkmcnt(2)
	s_delay_alu instid0(VALU_DEP_3) | instskip(NEXT) | instid1(VALU_DEP_3)
	v_fma_f32 v15, -v31, v38, v15
	v_fma_f32 v14, -v75, v67, v14
	s_delay_alu instid0(VALU_DEP_2) | instskip(SKIP_2) | instid1(VALU_DEP_3)
	v_fma_f32 v15, -v29, v37, v15
	v_mov_b32_e32 v37, s10
	s_add_i32 s10, s12, 0xfffff594
	v_fma_f32 v38, -v53, v66, v14
	s_waitcnt lgkmcnt(1)
	v_fma_f32 v15, -v74, v40, v15
	v_add_lshl_u32 v40, s20, v0, 2
	s_delay_alu instid0(VALU_DEP_2)
	v_fma_f32 v39, -v75, v39, v15
	ds_load_2addr_b32 v[14:15], v37 offset1:1
	v_fma_f32 v37, -v27, v52, v38
	s_waitcnt lgkmcnt(1)
	v_fma_f32 v38, -v53, v58, v39
	v_mov_b32_e32 v39, s10
	s_delay_alu instid0(VALU_DEP_3) | instskip(NEXT) | instid1(VALU_DEP_3)
	v_fma_f32 v44, -v23, v51, v37
	v_fma_f32 v45, -v27, v57, v38
	ds_load_2addr_b32 v[37:38], v39 offset1:1
	ds_store_b32 v16, v19
	ds_store_b32 v17, v20
	ds_store_b32 v76, v21 offset:3136
	ds_store_b32 v41, v22 offset:3136
	;; [unrolled: 1-line block ×5, first 2 shown]
	v_fma_f32 v17, -v18, v56, v44
	v_add_lshl_u32 v16, s22, v0, 2
	v_add_lshl_u32 v19, s24, v0, 2
	;; [unrolled: 1-line block ×4, first 2 shown]
	v_mul_f32_e32 v17, v55, v17
	ds_store_b32 v16, v28 offset:3136
	ds_store_b32 v19, v30 offset:3136
	;; [unrolled: 1-line block ×12, first 2 shown]
	s_waitcnt lgkmcnt(20)
	v_fma_f32 v15, -v23, v15, v45
	s_delay_alu instid0(VALU_DEP_1) | instskip(SKIP_1) | instid1(VALU_DEP_1)
	v_fma_f32 v14, -v18, v14, v15
	s_waitcnt lgkmcnt(19)
	v_fma_f32 v14, -v17, v38, v14
	s_delay_alu instid0(VALU_DEP_1)
	v_mul_f32_e32 v1, v37, v14
	ds_store_b32 v8, v27 offset:3136
	ds_store_b32 v10, v23 offset:3136
	ds_store_b32 v11, v18 offset:3136
	ds_store_b32 v12, v17 offset:3136
	ds_store_b32 v13, v1 offset:3136
.LBB33_26:
	s_cmp_lt_i32 s4, 0
	s_cbranch_scc1 .LBB33_39
; %bb.27:
	s_bitcmp1_b32 s4, 0
	s_cselect_b32 s10, -1, 0
	s_delay_alu instid0(SALU_CYCLE_1)
	s_and_b32 vcc_lo, exec_lo, s10
	s_mov_b32 s10, s4
	s_cbranch_vccnz .LBB33_32
; %bb.28:
	s_mul_i32 s10, s4, 28
	s_cmp_le_i32 s26, s4
	v_add_lshl_u32 v2, s10, v0, 2
	ds_load_b32 v1, v2 offset:3136
	s_cbranch_scc1 .LBB33_31
; %bb.29:
	v_lshlrev_b32_e32 v3, 2, v0
	s_mul_i32 s12, s15, 0x70
	s_mul_i32 s10, s4, 0x70
	s_lshl_b32 s11, s15, 2
	s_delay_alu instid0(SALU_CYCLE_1)
	s_add_i32 s10, s10, s11
	v_add3_u32 v3, s12, v3, 0xbd0
	s_add_i32 s10, s10, -4
	s_mov_b32 s11, s26
.LBB33_30:                              ; =>This Inner Loop Header: Depth=1
	v_mov_b32_e32 v4, s10
	s_add_i32 s11, s11, -1
	s_add_i32 s10, s10, -4
	s_cmp_gt_i32 s11, s4
	ds_load_b32 v5, v3
	ds_load_b32 v4, v4
	v_add_nc_u32_e32 v3, 0xffffff90, v3
	s_waitcnt lgkmcnt(0)
	v_fma_f32 v1, -v5, v4, v1
	s_cbranch_scc1 .LBB33_30
.LBB33_31:
	s_mul_i32 s10, s4, 0x74
	s_delay_alu instid0(SALU_CYCLE_1)
	v_dual_mov_b32 v3, s10 :: v_dual_add_nc_u32 v2, 0xc40, v2
	s_add_i32 s10, s4, -1
	ds_load_b32 v3, v3
	s_waitcnt lgkmcnt(0)
	v_mul_f32_e32 v1, v3, v1
	ds_store_b32 v2, v1
.LBB33_32:
	s_cmp_eq_u32 s4, 0
	s_cbranch_scc1 .LBB33_39
; %bb.33:
	v_lshlrev_b32_e32 v1, 2, v0
	s_mul_i32 s12, s15, 0x70
	s_mul_i32 s4, s10, 0x70
	s_lshl_b32 s11, s15, 2
	s_delay_alu instid0(SALU_CYCLE_1)
	s_add_i32 s11, s4, s11
	v_add3_u32 v1, s12, v1, 0xbd0
	s_add_i32 s4, s11, -4
	s_addk_i32 s11, 0xff8c
	s_branch .LBB33_35
.LBB33_34:                              ;   in Loop: Header=BB33_35 Depth=1
	s_addk_i32 s12, 0xff8c
	v_add_nc_u32_e32 v2, 0xc40, v4
	v_mov_b32_e32 v4, s12
	s_add_i32 s12, s10, -2
	s_addk_i32 s4, 0xff20
	s_addk_i32 s11, 0xff20
	s_cmp_lt_i32 s10, 2
	ds_load_b32 v4, v4
	s_mov_b32 s10, s12
	s_waitcnt lgkmcnt(0)
	v_mul_f32_e32 v3, v4, v3
	ds_store_b32 v2, v3
	s_cbranch_scc1 .LBB33_39
.LBB33_35:                              ; =>This Loop Header: Depth=1
                                        ;     Child Loop BB33_36 Depth 2
                                        ;     Child Loop BB33_38 Depth 2
	s_mul_i32 s13, s10, 28
	v_mov_b32_e32 v4, v1
	v_add_lshl_u32 v3, s13, v0, 2
	s_cmp_le_i32 s26, s10
	s_mov_b32 s12, s4
	s_mov_b32 s18, s26
	ds_load_b32 v2, v3 offset:3136
	s_cbranch_scc1 .LBB33_37
.LBB33_36:                              ;   Parent Loop BB33_35 Depth=1
                                        ; =>  This Inner Loop Header: Depth=2
	v_mov_b32_e32 v5, s12
	s_add_i32 s18, s18, -1
	s_add_i32 s12, s12, -4
	s_cmp_gt_i32 s18, s10
	ds_load_b32 v6, v4
	ds_load_b32 v5, v5
	v_add_nc_u32_e32 v4, 0xffffff90, v4
	s_waitcnt lgkmcnt(0)
	v_fma_f32 v2, -v6, v5, v2
	s_cbranch_scc1 .LBB33_36
.LBB33_37:                              ;   in Loop: Header=BB33_35 Depth=1
	s_mul_i32 s12, s10, 0x74
	v_add_nc_u32_e32 v5, 0xc40, v3
	v_mov_b32_e32 v3, s12
	s_sub_i32 s13, s13, 28
	s_cmp_lt_i32 s26, s10
	v_add_lshl_u32 v4, s13, v0, 2
	s_mov_b32 s13, s11
	ds_load_b32 v6, v3
	s_mov_b32 s18, s15
	ds_load_b32 v3, v4 offset:3136
	s_waitcnt lgkmcnt(1)
	v_mul_f32_e32 v6, v6, v2
	v_mov_b32_e32 v2, v1
	ds_store_b32 v5, v6
	s_cbranch_scc1 .LBB33_34
.LBB33_38:                              ;   Parent Loop BB33_35 Depth=1
                                        ; =>  This Inner Loop Header: Depth=2
	v_mov_b32_e32 v5, s13
	s_add_i32 s18, s18, -1
	s_add_i32 s13, s13, -4
	s_cmp_gt_i32 s18, s10
	ds_load_b32 v6, v2
	ds_load_b32 v5, v5
	v_add_nc_u32_e32 v2, 0xffffff90, v2
	s_waitcnt lgkmcnt(0)
	v_fma_f32 v3, -v6, v5, v3
	s_cbranch_scc1 .LBB33_38
	s_branch .LBB33_34
.LBB33_39:
	s_mov_b32 s4, 0
.LBB33_40:
	s_delay_alu instid0(SALU_CYCLE_1)
	s_and_b32 vcc_lo, exec_lo, s4
	s_cbranch_vccz .LBB33_60
; %bb.41:
	s_cmp_gt_i32 s6, 27
	s_mov_b32 s4, 0
	s_cselect_b32 s12, -1, 0
	s_delay_alu instid0(SALU_CYCLE_1)
	s_and_b32 vcc_lo, exec_lo, s12
	s_cbranch_vccz .LBB33_43
; %bb.42:
	v_lshlrev_b32_e32 v64, 2, v0
	s_mov_b32 s4, 28
	s_delay_alu instid0(VALU_DEP_1)
	v_dual_mov_b32 v60, 0 :: v_dual_add_nc_u32 v59, 0xc00, v64
	ds_load_2addr_b32 v[1:2], v59 offset0:16 offset1:44
	ds_load_b128 v[67:70], v60
	ds_load_2addr_b32 v[71:72], v60 offset0:29 offset1:30
	ds_load_2addr_b64 v[33:36], v60 offset0:29 offset1:30
	ds_load_b128 v[37:40], v60 offset:16
	ds_load_2addr_b32 v[73:74], v59 offset0:72 offset1:100
	ds_load_b128 v[17:20], v60 offset:32
	ds_load_b128 v[25:28], v60 offset:464
	;; [unrolled: 1-line block ×3, first 2 shown]
	ds_load_2addr_b32 v[55:56], v60 offset0:31 offset1:32
	ds_load_2addr_b32 v[51:52], v60 offset0:33 offset1:34
	;; [unrolled: 1-line block ×9, first 2 shown]
	ds_load_2addr_b64 v[29:32], v60 offset0:31 offset1:32
	ds_load_2addr_b64 v[5:8], v60 offset0:33 offset1:34
	s_waitcnt lgkmcnt(18)
	v_mul_f32_e32 v63, v67, v1
	s_delay_alu instid0(VALU_DEP_1)
	v_fma_f32 v65, -v63, v68, v2
	v_mov_b32_e32 v66, 0x414
	s_waitcnt lgkmcnt(14)
	v_fma_f32 v67, -v63, v69, v73
	ds_load_2addr_b64 v[21:24], v60 offset0:87 offset1:88
	ds_load_2addr_b64 v[1:4], v60 offset0:89 offset1:90
	ds_load_b128 v[9:12], v60 offset:96
	ds_load_2addr_b32 v[76:77], v59 offset0:184 offset1:212
	ds_load_2addr_b32 v[78:79], v60 offset0:39 offset1:40
	;; [unrolled: 1-line block ×3, first 2 shown]
	v_mul_f32_e32 v65, v71, v65
	v_fma_f32 v68, -v63, v70, v74
	s_waitcnt lgkmcnt(12)
	v_fma_f32 v37, -v63, v37, v57
	v_fma_f32 v38, -v63, v38, v58
	;; [unrolled: 1-line block ×3, first 2 shown]
	v_add_nc_u32_e32 v62, 0xe00, v64
	v_fma_f32 v55, -v65, v55, v68
	v_fma_f32 v37, -v65, v56, v37
	;; [unrolled: 1-line block ×3, first 2 shown]
	v_mul_f32_e32 v33, v33, v69
	ds_load_b32 v67, v60 offset:220
	ds_load_2addr_b32 v[82:83], v62 offset0:112 offset1:140
	ds_load_2addr_b32 v[84:85], v60 offset0:145 offset1:146
	;; [unrolled: 1-line block ×5, first 2 shown]
	ds_load_b128 v[68:71], v60 offset:48
	v_fma_f32 v34, -v33, v34, v55
	v_add_nc_u32_e32 v61, 0x1000, v64
	s_waitcnt lgkmcnt(9)
	v_fma_f32 v39, -v63, v39, v76
	v_fma_f32 v35, -v33, v35, v37
	;; [unrolled: 1-line block ×3, first 2 shown]
	v_mul_f32_e32 v34, v53, v34
	v_fma_f32 v36, -v33, v36, v51
	v_fma_f32 v39, -v65, v52, v39
	ds_load_b128 v[55:58], v60 offset:928
	ds_load_b128 v[72:75], v60 offset:944
	ds_load_2addr_b32 v[37:38], v61 offset0:40 offset1:68
	v_fma_f32 v35, -v34, v54, v35
	v_fma_f32 v40, -v65, v47, v40
	;; [unrolled: 1-line block ×4, first 2 shown]
	s_delay_alu instid0(VALU_DEP_3)
	v_fma_f32 v30, -v33, v30, v40
	s_waitcnt lgkmcnt(8)
	v_fma_f32 v51, -v63, v17, v82
	v_mul_f32_e32 v17, v25, v35
	v_fma_f32 v29, -v34, v50, v29
	ds_load_2addr_b32 v[35:36], v61 offset0:96 offset1:124
	v_fma_f32 v30, -v34, v45, v30
	v_fma_f32 v25, -v65, v48, v51
	;; [unrolled: 1-line block ×4, first 2 shown]
	v_mov_b32_e32 v51, 0x5e4
	s_delay_alu instid0(VALU_DEP_4)
	v_fma_f32 v31, -v33, v31, v25
	s_waitcnt lgkmcnt(8)
	v_mul_f32_e32 v18, v84, v26
	v_fma_f32 v27, -v17, v27, v29
	ds_load_2addr_b32 v[25:26], v60 offset0:203 offset1:204
	v_fma_f32 v29, -v65, v43, v39
	v_fma_f32 v31, -v34, v46, v31
	;; [unrolled: 1-line block ×4, first 2 shown]
	s_waitcnt lgkmcnt(2)
	v_fma_f32 v19, -v63, v19, v37
	v_fma_f32 v29, -v33, v32, v29
	;; [unrolled: 1-line block ×4, first 2 shown]
	v_mul_f32_e32 v13, v21, v27
	v_fma_f32 v19, -v65, v44, v19
	v_fma_f32 v21, -v34, v41, v29
	;; [unrolled: 1-line block ×3, first 2 shown]
	ds_load_2addr_b32 v[27:28], v60 offset0:205 offset1:206
	ds_load_2addr_b32 v[31:32], v60 offset0:207 offset1:208
	;; [unrolled: 1-line block ×3, first 2 shown]
	v_fma_f32 v22, -v13, v22, v37
	v_fma_f32 v20, -v63, v20, v38
	;; [unrolled: 1-line block ×5, first 2 shown]
	ds_load_2addr_b32 v[46:47], v60 offset0:41 offset1:42
	ds_load_2addr_b32 v[85:86], v60 offset0:43 offset1:44
	;; [unrolled: 1-line block ×3, first 2 shown]
	s_waitcnt lgkmcnt(6)
	v_mul_f32_e32 v5, v25, v22
	v_fma_f32 v20, -v65, v78, v20
	v_fma_f32 v19, -v34, v42, v19
	;; [unrolled: 1-line block ×7, first 2 shown]
	s_delay_alu instid0(VALU_DEP_4) | instskip(NEXT) | instid1(VALU_DEP_4)
	v_fma_f32 v23, -v65, v79, v23
	v_mul_f32_e32 v6, v55, v21
	v_fma_f32 v24, -v13, v24, v14
	ds_load_b128 v[19:22], v60 offset:496
	ds_load_2addr_b32 v[14:15], v60 offset0:97 offset1:98
	ds_load_2addr_b32 v[87:88], v60 offset0:99 offset1:100
	;; [unrolled: 1-line block ×3, first 2 shown]
	ds_load_2addr_b32 v[37:38], v66 offset1:1
	v_fma_f32 v25, -v34, v80, v25
	v_fma_f32 v26, -v18, v89, v26
	;; [unrolled: 1-line block ×3, first 2 shown]
	s_waitcnt lgkmcnt(10)
	v_fma_f32 v24, -v5, v27, v24
	ds_load_2addr_b32 v[54:55], v61 offset0:152 offset1:180
	v_fma_f32 v16, -v17, v16, v25
	v_fma_f32 v1, -v13, v1, v26
	;; [unrolled: 1-line block ×4, first 2 shown]
	ds_load_2addr_b64 v[23:26], v60 offset0:145 offset1:146
	v_mov_b32_e32 v27, 0x41c
	v_fma_f32 v1, -v5, v28, v1
	v_fma_f32 v16, -v18, v90, v16
	ds_load_2addr_b32 v[89:90], v61 offset0:208 offset1:236
	s_waitcnt lgkmcnt(7)
	v_fma_f32 v7, -v17, v19, v7
	v_fma_f32 v1, -v6, v57, v1
	v_fma_f32 v2, -v13, v2, v16
	v_fma_f32 v19, -v63, v69, v36
	s_waitcnt lgkmcnt(3)
	v_mul_f32_e32 v66, v37, v35
	ds_load_2addr_b32 v[42:43], v27 offset1:1
	v_fma_f32 v7, -v18, v91, v7
	ds_load_b128 v[27:30], v60 offset:512
	ds_load_b32 v16, v60 offset:3132
	v_fma_f32 v1, -v66, v38, v1
	ds_load_2addr_b32 v[56:57], v60 offset0:153 offset1:154
	ds_load_b128 v[35:38], v60 offset:992
	v_fma_f32 v3, -v13, v3, v7
	v_fma_f32 v7, -v65, v46, v19
	s_waitcnt lgkmcnt(6)
	v_mul_f32_e32 v108, v23, v1
	v_fma_f32 v2, -v5, v31, v2
	v_fma_f32 v1, -v5, v32, v3
	;; [unrolled: 1-line block ×3, first 2 shown]
	v_mov_b32_e32 v7, 0x4fc
	s_delay_alu instid0(VALU_DEP_4) | instskip(NEXT) | instid1(VALU_DEP_4)
	v_fma_f32 v2, -v6, v58, v2
	v_fma_f32 v1, -v6, v72, v1
	s_delay_alu instid0(VALU_DEP_4)
	v_fma_f32 v3, -v34, v14, v3
	ds_load_2addr_b32 v[7:8], v7 offset1:1
	s_waitcnt lgkmcnt(5)
	v_fma_f32 v2, -v66, v42, v2
	ds_load_2addr_b64 v[39:42], v60 offset0:35 offset1:36
	v_fma_f32 v23, -v66, v43, v1
	ds_load_b128 v[43:46], v60 offset:1392
	v_fma_f32 v1, -v17, v20, v3
	v_fma_f32 v14, -v108, v24, v2
	;; [unrolled: 1-line block ×3, first 2 shown]
	v_mov_b32_e32 v3, 0x424
	v_add_nc_u32_e32 v109, 0x1400, v64
	ds_load_2addr_b32 v[31:32], v60 offset0:155 offset1:156
	ds_load_2addr_b32 v[96:97], v60 offset0:157 offset1:158
	;; [unrolled: 1-line block ×3, first 2 shown]
	s_waitcnt lgkmcnt(7)
	v_fma_f32 v1, -v18, v56, v1
	v_fma_f32 v2, -v65, v47, v2
	ds_load_2addr_b64 v[47:50], v60 offset0:37 offset1:38
	ds_load_2addr_b32 v[19:20], v3 offset1:1
	v_add_nc_u32_e32 v64, 0x1600, v64
	v_fma_f32 v56, -v13, v4, v1
	s_waitcnt lgkmcnt(7)
	v_mul_f32_e32 v110, v7, v14
	v_fma_f32 v7, -v108, v25, v23
	s_delay_alu instid0(VALU_DEP_3) | instskip(SKIP_2) | instid1(VALU_DEP_3)
	v_fma_f32 v23, -v5, v83, v56
	s_waitcnt lgkmcnt(6)
	v_fma_f32 v39, -v33, v39, v2
	v_fma_f32 v7, -v110, v8, v7
	v_mov_b32_e32 v24, 0x504
	s_delay_alu instid0(VALU_DEP_3)
	v_fma_f32 v15, -v34, v15, v39
	v_fma_f32 v8, -v63, v71, v55
	;; [unrolled: 1-line block ×3, first 2 shown]
	s_waitcnt lgkmcnt(5)
	v_mul_f32_e32 v111, v43, v7
	ds_load_2addr_b64 v[1:4], v60 offset0:91 offset1:92
	ds_load_2addr_b32 v[100:101], v24 offset1:1
	ds_load_2addr_b32 v[102:103], v51 offset1:1
	ds_load_b128 v[51:54], v60 offset:64
	v_fma_f32 v21, -v17, v21, v15
	v_fma_f32 v7, -v65, v85, v8
	s_waitcnt lgkmcnt(4)
	v_fma_f32 v8, -v66, v19, v23
	ds_load_2addr_b64 v[76:79], v60 offset0:147 offset1:148
	ds_load_2addr_b32 v[14:15], v109 offset0:8 offset1:36
	v_fma_f32 v21, -v18, v57, v21
	v_fma_f32 v7, -v33, v40, v7
	ds_load_b128 v[55:58], v60 offset:1408
	ds_load_2addr_b64 v[68:71], v60 offset0:93 offset1:94
	ds_load_b128 v[80:83], v60 offset:80
	v_mov_b32_e32 v40, 0x6cc
	v_fma_f32 v23, -v34, v87, v7
	s_waitcnt lgkmcnt(8)
	v_fma_f32 v1, -v13, v1, v21
	v_fma_f32 v21, -v108, v26, v8
	s_delay_alu instid0(VALU_DEP_3)
	v_fma_f32 v22, -v17, v22, v23
	v_mov_b32_e32 v23, 0x42c
	ds_load_2addr_b32 v[7:8], v60 offset0:211 offset1:212
	v_fma_f32 v1, -v5, v84, v1
	s_waitcnt lgkmcnt(8)
	v_fma_f32 v21, -v110, v100, v21
	v_fma_f32 v24, -v18, v31, v22
	s_delay_alu instid0(VALU_DEP_3) | instskip(NEXT) | instid1(VALU_DEP_3)
	v_fma_f32 v1, -v6, v74, v1
	v_fma_f32 v91, -v111, v44, v21
	ds_load_2addr_b32 v[43:44], v23 offset1:1
	s_waitcnt lgkmcnt(7)
	v_fma_f32 v19, -v63, v51, v89
	v_fma_f32 v31, -v63, v52, v90
	;; [unrolled: 1-line block ×3, first 2 shown]
	v_mul_f32_e32 v112, v102, v91
	s_delay_alu instid0(VALU_DEP_4) | instskip(SKIP_1) | instid1(VALU_DEP_3)
	v_fma_f32 v19, -v65, v86, v19
	s_waitcnt lgkmcnt(6)
	v_fma_f32 v39, -v108, v76, v1
	v_fma_f32 v1, -v13, v2, v24
	s_delay_alu instid0(VALU_DEP_3) | instskip(SKIP_1) | instid1(VALU_DEP_2)
	v_fma_f32 v19, -v33, v41, v19
	s_waitcnt lgkmcnt(1)
	v_fma_f32 v7, -v5, v7, v1
	s_delay_alu instid0(VALU_DEP_2)
	v_fma_f32 v23, -v34, v88, v19
	ds_load_2addr_b64 v[19:22], v60 offset0:149 offset1:150
	v_fma_f32 v7, -v6, v75, v7
	v_fma_f32 v27, -v17, v27, v23
	ds_load_b128 v[23:26], v60 offset:960
	ds_load_2addr_b32 v[84:85], v60 offset0:213 offset1:214
	ds_load_2addr_b32 v[86:87], v60 offset0:215 offset1:216
	;; [unrolled: 1-line block ×3, first 2 shown]
	s_waitcnt lgkmcnt(5)
	v_fma_f32 v7, -v66, v43, v7
	v_fma_f32 v27, -v18, v32, v27
	v_mov_b32_e32 v32, 0x5ec
	s_delay_alu instid0(VALU_DEP_3) | instskip(NEXT) | instid1(VALU_DEP_3)
	v_fma_f32 v7, -v108, v77, v7
	v_fma_f32 v3, -v13, v3, v27
	;; [unrolled: 1-line block ×3, first 2 shown]
	s_delay_alu instid0(VALU_DEP_2) | instskip(NEXT) | instid1(VALU_DEP_2)
	v_fma_f32 v3, -v5, v8, v3
	v_fma_f32 v8, -v33, v42, v27
	;; [unrolled: 1-line block ×3, first 2 shown]
	s_waitcnt lgkmcnt(3)
	s_delay_alu instid0(VALU_DEP_3) | instskip(NEXT) | instid1(VALU_DEP_3)
	v_fma_f32 v3, -v6, v23, v3
	v_fma_f32 v8, -v34, v94, v8
	s_delay_alu instid0(VALU_DEP_3) | instskip(NEXT) | instid1(VALU_DEP_3)
	v_fma_f32 v23, -v111, v45, v27
	v_fma_f32 v3, -v66, v44, v3
	s_delay_alu instid0(VALU_DEP_2) | instskip(SKIP_1) | instid1(VALU_DEP_3)
	v_fma_f32 v23, -v112, v103, v23
	v_mov_b32_e32 v2, 0x50c
	v_fma_f32 v3, -v108, v78, v3
	ds_load_2addr_b32 v[1:2], v2 offset1:1
	ds_load_2addr_b32 v[31:32], v32 offset1:1
	;; [unrolled: 1-line block ×3, first 2 shown]
	ds_load_2addr_b64 v[72:75], v60 offset0:203 offset1:204
	ds_load_b128 v[39:42], v60 offset:976
	s_waitcnt lgkmcnt(4)
	v_fma_f32 v1, -v110, v1, v7
	v_fma_f32 v7, -v17, v28, v8
	v_mov_b32_e32 v8, 0x434
	v_fma_f32 v2, -v110, v2, v3
	v_fma_f32 v3, -v63, v53, v14
	;; [unrolled: 1-line block ×4, first 2 shown]
	ds_load_2addr_b32 v[7:8], v8 offset1:1
	ds_load_2addr_b64 v[43:46], v60 offset0:205 offset1:206
	s_waitcnt lgkmcnt(3)
	v_mul_f32_e32 v113, v72, v23
	v_mov_b32_e32 v23, 0x514
	v_fma_f32 v1, -v112, v31, v1
	v_fma_f32 v4, -v13, v4, v27
	;; [unrolled: 1-line block ×4, first 2 shown]
	v_mov_b32_e32 v14, 0x5f4
	v_fma_f32 v1, -v113, v73, v1
	v_fma_f32 v4, -v5, v84, v4
	ds_load_2addr_b32 v[72:73], v23 offset1:1
	v_fma_f32 v3, -v33, v47, v3
	v_mov_b32_e32 v27, 0x6d4
	v_fma_f32 v2, -v112, v32, v2
	v_fma_f32 v4, -v6, v24, v4
	ds_load_2addr_b32 v[23:24], v60 offset0:47 offset1:48
	v_fma_f32 v3, -v34, v95, v3
	ds_load_2addr_b32 v[76:77], v14 offset1:1
	ds_load_2addr_b32 v[90:91], v27 offset1:1
	ds_load_2addr_b32 v[31:32], v60 offset0:103 offset1:104
	s_waitcnt lgkmcnt(6)
	v_fma_f32 v4, -v66, v7, v4
	v_mul_f32_e32 v114, v51, v1
	v_fma_f32 v14, -v17, v29, v3
	v_fma_f32 v27, -v113, v74, v2
	;; [unrolled: 1-line block ×4, first 2 shown]
	ds_load_b128 v[1:4], v60 offset:1856
	v_fma_f32 v29, -v18, v97, v14
	ds_load_2addr_b32 v[92:93], v109 offset0:64 offset1:92
	v_fma_f32 v27, -v114, v52, v27
	ds_load_2addr_b32 v[14:15], v60 offset0:49 offset1:50
	ds_load_2addr_b32 v[94:95], v60 offset0:51 offset1:52
	;; [unrolled: 1-line block ×3, first 2 shown]
	s_waitcnt lgkmcnt(9)
	v_fma_f32 v7, -v110, v72, v7
	v_mov_b32_e32 v55, 0x6dc
	s_waitcnt lgkmcnt(8)
	v_fma_f32 v23, -v65, v23, v28
	v_fma_f32 v28, -v13, v68, v29
	;; [unrolled: 1-line block ×3, first 2 shown]
	s_delay_alu instid0(VALU_DEP_3) | instskip(NEXT) | instid1(VALU_DEP_3)
	v_fma_f32 v23, -v33, v48, v23
	v_fma_f32 v28, -v5, v85, v28
	ds_load_2addr_b32 v[84:85], v60 offset0:105 offset1:106
	ds_load_2addr_b32 v[100:101], v60 offset0:107 offset1:108
	;; [unrolled: 1-line block ×3, first 2 shown]
	ds_load_b128 v[51:54], v60 offset:1872
	s_waitcnt lgkmcnt(9)
	v_fma_f32 v23, -v34, v31, v23
	v_fma_f32 v25, -v6, v25, v28
	s_waitcnt lgkmcnt(8)
	v_mul_f32_e32 v115, v1, v27
	v_fma_f32 v1, -v112, v76, v7
	v_fma_f32 v7, -v17, v30, v23
	;; [unrolled: 1-line block ×3, first 2 shown]
	v_mov_b32_e32 v23, 0x43c
	s_waitcnt lgkmcnt(7)
	v_fma_f32 v25, -v63, v80, v92
	ds_load_b128 v[27:30], v60 offset:528
	v_fma_f32 v31, -v18, v98, v7
	v_fma_f32 v19, -v108, v19, v8
	ds_load_2addr_b32 v[7:8], v23 offset1:1
	v_fma_f32 v23, -v65, v24, v25
	v_mov_b32_e32 v25, 0x7b4
	v_fma_f32 v24, -v13, v69, v31
	v_mov_b32_e32 v31, 0x51c
	v_fma_f32 v19, -v110, v73, v19
	v_fma_f32 v23, -v33, v49, v23
	ds_load_2addr_b32 v[47:48], v25 offset1:1
	v_fma_f32 v24, -v5, v86, v24
	ds_load_2addr_b32 v[68:69], v31 offset1:1
	v_fma_f32 v19, -v111, v57, v19
	v_fma_f32 v31, -v34, v32, v23
	v_mov_b32_e32 v32, 0x5fc
	v_fma_f32 v49, -v6, v26, v24
	v_fma_f32 v1, -v113, v75, v1
	;; [unrolled: 1-line block ×3, first 2 shown]
	ds_load_b128 v[23:26], v60 offset:544
	s_waitcnt lgkmcnt(4)
	v_fma_f32 v27, -v17, v27, v31
	ds_load_2addr_b32 v[31:32], v32 offset1:1
	ds_load_2addr_b32 v[79:80], v55 offset1:1
	v_fma_f32 v1, -v114, v90, v1
	s_waitcnt lgkmcnt(5)
	v_fma_f32 v7, -v66, v7, v49
	v_mov_b32_e32 v49, 0x828
	v_fma_f32 v27, -v18, v99, v27
	v_fma_f32 v19, -v113, v43, v19
	;; [unrolled: 1-line block ×4, first 2 shown]
	ds_load_2addr_b64 v[72:75], v49 offset1:1
	v_fma_f32 v20, -v13, v70, v27
	v_fma_f32 v2, -v114, v91, v19
	s_waitcnt lgkmcnt(5)
	v_mul_f32_e32 v116, v47, v1
	s_waitcnt lgkmcnt(4)
	v_fma_f32 v7, -v110, v68, v7
	v_fma_f32 v27, -v5, v87, v20
	;; [unrolled: 1-line block ×3, first 2 shown]
	ds_load_2addr_b32 v[19:20], v109 offset0:120 offset1:148
	v_fma_f32 v2, -v111, v58, v7
	v_fma_f32 v7, -v63, v81, v93
	v_fma_f32 v3, -v6, v39, v27
	ds_load_b128 v[55:58], v60 offset:1424
	ds_load_2addr_b32 v[86:87], v109 offset0:176 offset1:204
	v_fma_f32 v27, -v116, v48, v1
	s_waitcnt lgkmcnt(5)
	v_fma_f32 v31, -v112, v31, v2
	v_fma_f32 v7, -v65, v14, v7
	ds_load_2addr_b32 v[1:2], v60 offset0:161 offset1:162
	v_fma_f32 v3, -v66, v8, v3
	v_mov_b32_e32 v14, 0x7bc
	v_fma_f32 v8, -v113, v44, v31
	v_fma_f32 v7, -v33, v50, v7
	ds_load_2addr_b64 v[47:50], v60 offset0:39 offset1:40
	s_waitcnt lgkmcnt(5)
	v_mul_f32_e32 v117, v72, v27
	v_fma_f32 v3, -v108, v21, v3
	v_fma_f32 v21, -v114, v79, v8
	;; [unrolled: 1-line block ×3, first 2 shown]
	ds_load_2addr_b32 v[7:8], v14 offset1:1
	v_mov_b32_e32 v14, 0x89c
	v_fma_f32 v3, -v110, v69, v3
	v_mov_b32_e32 v31, 0x444
	v_fma_f32 v27, -v17, v28, v27
	s_waitcnt lgkmcnt(5)
	v_fma_f32 v19, -v63, v82, v19
	ds_load_b128 v[76:79], v60 offset:1440
	s_waitcnt lgkmcnt(5)
	v_fma_f32 v3, -v111, v55, v3
	ds_load_2addr_b32 v[90:91], v60 offset0:163 offset1:164
	ds_load_2addr_b32 v[92:93], v60 offset0:165 offset1:166
	v_fma_f32 v4, -v115, v4, v21
	s_waitcnt lgkmcnt(5)
	v_fma_f32 v1, -v18, v1, v27
	ds_load_2addr_b32 v[27:28], v14 offset1:1
	ds_load_2addr_b32 v[43:44], v31 offset1:1
	v_fma_f32 v19, -v65, v15, v19
	v_fma_f32 v3, -v112, v32, v3
	v_mov_b32_e32 v31, 0x524
	v_fma_f32 v1, -v13, v71, v1
	ds_load_2addr_b64 v[68:71], v60 offset0:95 offset1:96
	s_waitcnt lgkmcnt(7)
	v_fma_f32 v19, -v33, v47, v19
	v_fma_f32 v3, -v113, v45, v3
	ds_load_2addr_b32 v[31:32], v31 offset1:1
	v_fma_f32 v1, -v5, v88, v1
	s_waitcnt lgkmcnt(7)
	v_fma_f32 v4, -v116, v7, v4
	v_fma_f32 v19, -v34, v85, v19
	;; [unrolled: 1-line block ×3, first 2 shown]
	v_mov_b32_e32 v7, 0x604
	v_fma_f32 v1, -v6, v40, v1
	v_fma_f32 v4, -v117, v73, v4
	;; [unrolled: 1-line block ×4, first 2 shown]
	ds_load_2addr_b32 v[39:40], v7 offset1:1
	v_mov_b32_e32 v21, 0x6e4
	s_waitcnt lgkmcnt(3)
	v_fma_f32 v1, -v66, v43, v1
	v_fma_f32 v2, -v18, v2, v19
	;; [unrolled: 1-line block ×3, first 2 shown]
	v_mul_f32_e32 v118, v27, v4
	ds_load_b64 v[72:73], v60 offset:776
	v_fma_f32 v8, -v108, v22, v1
	s_waitcnt lgkmcnt(3)
	v_fma_f32 v19, -v13, v68, v2
	ds_load_2addr_b64 v[1:4], v60 offset0:151 offset1:152
	ds_load_b64 v[14:15], v60 offset:328
	v_fma_f32 v22, -v117, v74, v7
	s_waitcnt lgkmcnt(4)
	v_fma_f32 v27, -v110, v31, v8
	ds_load_2addr_b32 v[7:8], v21 offset1:1
	v_fma_f32 v20, -v63, v83, v20
	v_fma_f32 v19, -v5, v89, v19
	v_mov_b32_e32 v21, 0x7c4
	v_fma_f32 v27, -v111, v56, v27
	v_mov_b32_e32 v29, 0x8a4
	v_fma_f32 v20, -v65, v94, v20
	v_fma_f32 v19, -v6, v41, v19
	ds_load_2addr_b32 v[55:56], v21 offset1:1
	ds_load_2addr_b32 v[84:85], v29 offset1:1
	s_waitcnt lgkmcnt(6)
	v_fma_f32 v21, -v112, v39, v27
	v_fma_f32 v20, -v33, v48, v20
	;; [unrolled: 1-line block ×4, first 2 shown]
	ds_load_2addr_b32 v[88:89], v64 offset0:104 offset1:132
	v_fma_f32 v27, -v113, v46, v21
	v_fma_f32 v28, -v34, v100, v20
	ds_load_b64 v[47:48], v60 offset:1224
	s_waitcnt lgkmcnt(6)
	v_fma_f32 v1, -v108, v1, v19
	ds_load_2addr_b32 v[98:99], v60 offset0:219 offset1:220
	ds_load_b128 v[19:22], v60 offset:2320
	s_waitcnt lgkmcnt(6)
	v_fma_f32 v7, -v114, v7, v27
	ds_load_2addr_b64 v[43:46], v60 offset0:207 offset1:208
	v_fma_f32 v27, -v17, v30, v28
	v_mov_b32_e32 v28, 0x9f8
	v_mov_b32_e32 v31, 0x44c
	v_fma_f32 v1, -v110, v32, v1
	v_fma_f32 v7, -v115, v52, v7
	;; [unrolled: 1-line block ×3, first 2 shown]
	ds_load_2addr_b64 v[27:30], v28 offset1:1
	ds_load_2addr_b32 v[31:32], v31 offset1:1
	v_mov_b32_e32 v41, 0x984
	v_fma_f32 v1, -v111, v57, v1
	s_waitcnt lgkmcnt(8)
	v_fma_f32 v7, -v116, v55, v7
	v_fma_f32 v39, -v13, v69, v39
	v_mov_b32_e32 v55, 0x52c
	ds_load_2addr_b32 v[51:52], v60 offset0:221 offset1:222
	ds_load_b64 v[104:105], v60 offset:1672
	v_fma_f32 v1, -v112, v40, v1
	v_fma_f32 v9, -v63, v9, v86
	s_waitcnt lgkmcnt(6)
	v_fma_f32 v39, -v5, v98, v39
	ds_load_2addr_b32 v[68:69], v55 offset1:1
	v_mov_b32_e32 v40, 0x838
	s_waitcnt lgkmcnt(5)
	v_fma_f32 v1, -v113, v43, v1
	ds_load_2addr_b32 v[106:107], v41 offset1:1
	ds_load_2addr_b64 v[80:83], v40 offset1:1
	v_fma_f32 v39, -v6, v42, v39
	v_fma_f32 v9, -v65, v95, v9
	v_mov_b32_e32 v40, 0x60c
	v_fma_f32 v1, -v114, v8, v1
	v_fma_f32 v43, -v117, v75, v7
	s_waitcnt lgkmcnt(5)
	v_fma_f32 v31, -v66, v31, v39
	v_fma_f32 v9, -v33, v49, v9
	ds_load_2addr_b32 v[7:8], v40 offset1:1
	v_fma_f32 v1, -v115, v53, v1
	v_mov_b32_e32 v39, 0x6ec
	v_fma_f32 v31, -v108, v2, v31
	v_fma_f32 v9, -v34, v101, v9
	v_mov_b32_e32 v40, 0x7cc
	v_fma_f32 v49, -v116, v56, v1
	ds_load_2addr_b32 v[1:2], v39 offset1:1
	ds_load_2addr_b32 v[55:56], v40 offset1:1
	s_waitcnt lgkmcnt(5)
	v_fma_f32 v31, -v110, v68, v31
	v_fma_f32 v9, -v17, v23, v9
	;; [unrolled: 1-line block ×3, first 2 shown]
	v_mul_f32_e32 v53, v19, v74
	v_fma_f32 v19, -v118, v84, v43
	v_fma_f32 v31, -v111, v58, v31
	v_fma_f32 v9, -v18, v91, v9
	s_waitcnt lgkmcnt(3)
	v_fma_f32 v23, -v117, v80, v49
	v_fma_f32 v10, -v65, v96, v10
	;; [unrolled: 1-line block ×3, first 2 shown]
	s_waitcnt lgkmcnt(2)
	v_fma_f32 v7, -v112, v7, v31
	v_fma_f32 v9, -v13, v70, v9
	;; [unrolled: 1-line block ×4, first 2 shown]
	v_mul_f32_e32 v57, v106, v19
	v_fma_f32 v7, -v113, v44, v7
	v_fma_f32 v9, -v5, v99, v9
	;; [unrolled: 1-line block ×3, first 2 shown]
	v_mov_b32_e32 v21, 0x98c
	v_mov_b32_e32 v31, 0xa6c
	s_waitcnt lgkmcnt(1)
	v_fma_f32 v1, -v114, v1, v7
	v_fma_f32 v7, -v6, v35, v9
	v_fma_f32 v9, -v34, v102, v10
	v_fma_f32 v19, -v57, v107, v19
	v_fma_f32 v35, -v63, v11, v88
	ds_load_b128 v[39:42], v60 offset:2336
	v_fma_f32 v7, -v66, v32, v7
	v_fma_f32 v9, -v17, v24, v9
	v_mul_f32_e32 v27, v27, v19
	v_mov_b32_e32 v19, 0x8ac
	v_fma_f32 v12, -v63, v12, v89
	v_fma_f32 v3, -v108, v3, v7
	;; [unrolled: 1-line block ×3, first 2 shown]
	v_mov_b32_e32 v9, 0x454
	ds_load_2addr_b32 v[10:11], v60 offset0:111 offset1:167
	ds_load_2addr_b32 v[19:20], v19 offset1:1
	ds_load_2addr_b32 v[23:24], v21 offset1:1
	;; [unrolled: 1-line block ×4, first 2 shown]
	v_fma_f32 v9, -v65, v97, v35
	v_fma_f32 v3, -v110, v69, v3
	;; [unrolled: 1-line block ×4, first 2 shown]
	v_mov_b32_e32 v21, 0x534
	v_fma_f32 v9, -v33, v14, v9
	v_fma_f32 v3, -v111, v76, v3
	;; [unrolled: 1-line block ×4, first 2 shown]
	v_add_nc_u32_e64 v51, 0x400, 0
	s_delay_alu instid0(VALU_DEP_4)
	v_fma_f32 v3, -v112, v8, v3
	v_fma_f32 v8, -v34, v103, v9
	;; [unrolled: 1-line block ×3, first 2 shown]
	v_add_nc_u32_e64 v12, 0x200, 0
	v_fma_f32 v7, -v6, v36, v7
	ds_load_2addr_b32 v[35:36], v21 offset1:1
	v_fma_f32 v8, -v17, v25, v8
	s_waitcnt lgkmcnt(5)
	v_fma_f32 v9, -v34, v10, v9
	ds_load_2addr_b32 v[14:15], v12 offset0:95 offset1:151
	s_waitcnt lgkmcnt(2)
	v_fma_f32 v12, -v66, v43, v7
	v_fma_f32 v21, -v113, v45, v3
	;; [unrolled: 1-line block ×4, first 2 shown]
	ds_load_b128 v[7:10], v60 offset:1888
	v_fma_f32 v43, -v108, v4, v12
	v_mov_b32_e32 v4, 0x614
	v_fma_f32 v12, -v13, v72, v3
	v_fma_f32 v11, -v18, v11, v25
	;; [unrolled: 1-line block ×3, first 2 shown]
	v_mov_b32_e32 v25, 0x6f4
	ds_load_2addr_b32 v[3:4], v4 offset1:1
	v_fma_f32 v45, -v5, v52, v12
	v_fma_f32 v49, -v13, v73, v11
	v_mov_b32_e32 v26, 0x7d4
	v_fma_f32 v1, -v117, v81, v1
	ds_load_2addr_b32 v[11:12], v25 offset1:1
	ds_load_2addr_b32 v[25:26], v26 offset1:1
	v_fma_f32 v37, -v6, v37, v45
	s_waitcnt lgkmcnt(4)
	v_fma_f32 v14, -v5, v14, v49
	ds_load_2addr_b32 v[49:50], v51 offset0:79 offset1:135
	v_fma_f32 v35, -v110, v35, v43
	v_fma_f32 v1, -v118, v19, v1
	;; [unrolled: 1-line block ×7, first 2 shown]
	s_waitcnt lgkmcnt(4)
	v_fma_f32 v2, -v115, v7, v2
	v_fma_f32 v7, -v108, v47, v19
	;; [unrolled: 1-line block ×3, first 2 shown]
	s_waitcnt lgkmcnt(3)
	v_fma_f32 v3, -v112, v3, v21
	v_fma_f32 v23, -v57, v23, v1
	v_fma_f32 v2, -v116, v56, v2
	v_fma_f32 v7, -v110, v36, v7
	v_fma_f32 v14, -v108, v48, v14
	v_fma_f32 v1, -v113, v46, v3
	ds_load_b64 v[37:38], v60 offset:2120
	v_fma_f32 v2, -v117, v82, v2
	v_fma_f32 v3, -v111, v78, v7
	s_waitcnt lgkmcnt(1)
	v_fma_f32 v7, -v110, v49, v14
	ds_load_2addr_b32 v[14:15], v51 offset0:191 offset1:247
	v_fma_f32 v1, -v114, v11, v1
	v_mov_b32_e32 v11, 0x8b4
	v_fma_f32 v3, -v112, v4, v3
	v_fma_f32 v2, -v118, v20, v2
	;; [unrolled: 1-line block ×4, first 2 shown]
	ds_load_2addr_b32 v[7:8], v11 offset1:1
	v_fma_f32 v3, -v113, v104, v3
	v_fma_f32 v35, -v53, v39, v2
	v_fma_f32 v2, -v112, v50, v4
	v_mov_b32_e32 v4, 0x994
	v_add_nc_u32_e64 v36, 0x800, 0
	v_fma_f32 v3, -v114, v12, v3
	v_fma_f32 v1, -v116, v25, v1
	v_fma_f32 v2, -v113, v105, v2
	ds_load_2addr_b32 v[11:12], v4 offset1:1
	ds_load_2addr_b32 v[19:20], v36 offset0:47 offset1:103
	v_fma_f32 v3, -v115, v9, v3
	v_mov_b32_e32 v21, 0xa74
	s_waitcnt lgkmcnt(3)
	v_fma_f32 v2, -v114, v14, v2
	v_fma_f32 v1, -v117, v83, v1
	v_mov_b32_e32 v25, 0xb54
	v_fma_f32 v3, -v116, v26, v3
	ds_load_2addr_b32 v[21:22], v21 offset1:1
	ds_load_2addr_b32 v[25:26], v25 offset1:1
	v_fma_f32 v14, -v115, v10, v2
	s_waitcnt lgkmcnt(4)
	v_fma_f32 v7, -v118, v7, v1
	v_fma_f32 v37, -v117, v37, v3
	ds_load_b128 v[1:4], v60 offset:2784
	ds_load_b64 v[9:10], v60 offset:2568
	v_fma_f32 v14, -v116, v15, v14
	v_fma_f32 v15, -v27, v28, v23
	;; [unrolled: 1-line block ×6, first 2 shown]
	v_mul_f32_e32 v15, v31, v15
	v_fma_f32 v23, -v27, v29, v23
	s_waitcnt lgkmcnt(5)
	v_fma_f32 v11, -v57, v11, v7
	v_fma_f32 v24, -v53, v41, v8
	s_waitcnt lgkmcnt(4)
	v_fma_f32 v14, -v118, v19, v14
	ds_load_2addr_b32 v[7:8], v36 offset0:159 offset1:215
	v_fma_f32 v19, -v15, v32, v23
	v_fma_f32 v23, -v27, v30, v11
	;; [unrolled: 1-line block ×4, first 2 shown]
	ds_load_b64 v[11:12], v60 offset:3016
	s_waitcnt lgkmcnt(3)
	v_mul_f32_e32 v1, v1, v19
	v_fma_f32 v19, -v15, v21, v23
	s_waitcnt lgkmcnt(2)
	v_fma_f32 v9, -v27, v9, v24
	v_fma_f32 v14, -v57, v20, v14
	ds_store_2addr_b32 v59, v63, v65 offset0:16 offset1:44
	ds_store_2addr_b32 v59, v33, v34 offset0:72 offset1:100
	;; [unrolled: 1-line block ×6, first 2 shown]
	v_fma_f32 v2, -v1, v2, v19
	v_fma_f32 v9, -v15, v22, v9
	;; [unrolled: 1-line block ×3, first 2 shown]
	ds_store_2addr_b32 v61, v111, v112 offset0:96 offset1:124
	ds_store_2addr_b32 v61, v113, v114 offset0:152 offset1:180
	;; [unrolled: 1-line block ×4, first 2 shown]
	v_mul_f32_e32 v2, v25, v2
	v_fma_f32 v3, -v1, v3, v9
	ds_store_2addr_b32 v109, v53, v57 offset0:64 offset1:92
	ds_store_2addr_b32 v109, v27, v15 offset0:120 offset1:148
	;; [unrolled: 1-line block ×3, first 2 shown]
	s_waitcnt lgkmcnt(14)
	v_fma_f32 v7, -v15, v7, v10
	v_fma_f32 v3, -v2, v26, v3
	s_delay_alu instid0(VALU_DEP_2) | instskip(SKIP_1) | instid1(VALU_DEP_2)
	v_fma_f32 v4, -v1, v4, v7
	s_waitcnt lgkmcnt(13)
	v_mul_f32_e32 v3, v11, v3
	s_delay_alu instid0(VALU_DEP_2) | instskip(NEXT) | instid1(VALU_DEP_1)
	v_fma_f32 v4, -v2, v8, v4
	v_fma_f32 v4, -v3, v12, v4
	s_delay_alu instid0(VALU_DEP_1)
	v_mul_f32_e32 v4, v16, v4
	ds_store_2addr_b32 v64, v3, v4 offset0:104 offset1:132
.LBB33_43:
	s_cmp_lt_i32 s4, s15
	s_cbranch_scc0 .LBB33_60
; %bb.44:
	s_add_i32 s10, s4, 23
	s_delay_alu instid0(SALU_CYCLE_1)
	s_cmp_ge_u32 s10, s15
	s_cbranch_scc1 .LBB33_49
; %bb.45:
	s_mul_i32 s11, s4, 28
	s_and_not1_b32 vcc_lo, exec_lo, s12
	v_add_lshl_u32 v3, s11, v0, 2
	s_delay_alu instid0(VALU_DEP_1)
	v_add_nc_u32_e32 v4, 0xc00, v3
	v_add_nc_u32_e32 v5, 0xe00, v3
	;; [unrolled: 1-line block ×4, first 2 shown]
	ds_load_2addr_b32 v[1:2], v4 offset0:16 offset1:44
	ds_load_2addr_b32 v[29:30], v4 offset0:72 offset1:100
	;; [unrolled: 1-line block ×12, first 2 shown]
	s_cbranch_vccnz .LBB33_48
; %bb.46:
	v_lshl_add_u32 v4, v0, 2, 0xc40
	s_lshl_b32 s12, s4, 2
	s_mov_b32 s13, 0
.LBB33_47:                              ; =>This Inner Loop Header: Depth=1
	v_mov_b32_e32 v47, s12
	ds_load_b32 v51, v4
	v_add_nc_u32_e32 v4, 0x70, v4
	s_add_i32 s13, s13, 1
	s_addk_i32 s12, 0x70
	ds_load_b128 v[5:8], v47
	ds_load_b128 v[31:34], v47 offset:16
	ds_load_b128 v[35:38], v47 offset:32
	;; [unrolled: 1-line block ×5, first 2 shown]
	s_cmp_lt_u32 s13, s4
	s_waitcnt lgkmcnt(5)
	v_fma_f32 v1, -v51, v5, v1
	v_fma_f32 v2, -v51, v6, v2
	v_fma_f32 v29, -v51, v7, v29
	v_fma_f32 v30, -v51, v8, v30
	s_waitcnt lgkmcnt(4)
	v_fma_f32 v27, -v51, v31, v27
	v_fma_f32 v28, -v51, v32, v28
	v_fma_f32 v25, -v51, v33, v25
	v_fma_f32 v26, -v51, v34, v26
	;; [unrolled: 5-line block ×6, first 2 shown]
	s_cbranch_scc1 .LBB33_47
.LBB33_48:
	s_add_i32 s21, s11, 56
	s_mul_i32 s13, s4, 0x74
	v_add_lshl_u32 v39, s21, v0, 2
	s_add_i32 s21, s4, s21
	s_add_i32 s20, s11, 28
	s_lshl_b32 s21, s21, 2
	s_delay_alu instid0(SALU_CYCLE_1)
	v_dual_mov_b32 v31, s13 :: v_dual_mov_b32 v36, s21
	s_add_i32 s22, s11, 0x54
	v_add_lshl_u32 v38, s20, v0, 2
	s_add_i32 s20, s4, s20
	ds_load_b128 v[42:45], v31
	ds_load_2addr_b32 v[54:55], v31 offset0:29 offset1:30
	s_lshl_b32 s20, s20, 2
	v_add_lshl_u32 v40, s22, v0, 2
	s_add_i32 s22, s4, s22
	v_add_nc_u32_e32 v37, 0xc40, v3
	s_lshl_b32 s22, s22, 2
	s_delay_alu instid0(SALU_CYCLE_1)
	v_dual_mov_b32 v35, s20 :: v_dual_mov_b32 v34, s22
	ds_load_b128 v[46:49], v31 offset:16
	ds_load_2addr_b32 v[56:57], v35 offset0:3 offset1:4
	ds_load_2addr_b64 v[50:53], v31 offset0:29 offset1:30
	s_add_i32 s18, s11, 0x8c
	s_add_i32 s19, s11, 0xa8
	;; [unrolled: 1-line block ×4, first 2 shown]
	s_lshl_b32 s21, s21, 2
	s_lshl_b32 s22, s22, 2
	s_add_i32 s23, s11, 0x70
	s_waitcnt lgkmcnt(4)
	v_mul_f32_e32 v32, v42, v1
	s_add_i32 s20, s4, s23
	v_add_lshl_u32 v41, s23, v0, 2
	s_add_i32 s23, s13, 0x5e4
	s_add_i32 s27, s13, 0x828
	v_fma_f32 v5, -v32, v43, v2
	ds_load_2addr_b32 v[58:59], v31 offset0:87 offset1:88
	ds_load_b128 v[1:4], v31 offset:32
	ds_load_2addr_b32 v[60:61], v35 offset0:5 offset1:6
	v_fma_f32 v29, -v32, v44, v29
	v_fma_f32 v42, -v32, v45, v30
	s_waitcnt lgkmcnt(6)
	v_dual_mov_b32 v72, s21 :: v_dual_mul_f32 v33, v54, v5
	ds_load_2addr_b64 v[5:8], v36 offset0:3 offset1:4
	s_waitcnt lgkmcnt(6)
	v_fma_f32 v27, -v32, v46, v27
	v_fma_f32 v47, -v32, v47, v28
	;; [unrolled: 1-line block ×4, first 2 shown]
	ds_load_2addr_b32 v[62:63], v35 offset0:7 offset1:8
	ds_load_b64 v[29:30], v31 offset:2552
	s_waitcnt lgkmcnt(7)
	v_fma_f32 v46, -v33, v56, v42
	v_fma_f32 v26, -v32, v49, v26
	s_add_i32 s21, s13, 0x414
	s_waitcnt lgkmcnt(6)
	v_mul_f32_e32 v99, v50, v43
	ds_load_2addr_b32 v[64:65], v34 offset0:5 offset1:6
	ds_load_b128 v[42:45], v31 offset:464
	v_fma_f32 v50, -v33, v57, v27
	ds_load_2addr_b32 v[27:28], v31 offset0:145 offset1:146
	s_add_i32 s29, s13, 0x89c
	v_fma_f32 v46, -v99, v51, v46
	s_waitcnt lgkmcnt(6)
	v_fma_f32 v48, -v33, v60, v47
	v_fma_f32 v50, -v99, v52, v50
	;; [unrolled: 1-line block ×3, first 2 shown]
	v_dual_mov_b32 v103, s22 :: v_dual_mul_f32 v100, v58, v46
	s_delay_alu instid0(VALU_DEP_4)
	v_fma_f32 v48, -v99, v53, v48
	ds_load_2addr_b32 v[46:47], v31 offset0:174 offset1:203
	ds_load_2addr_b64 v[54:57], v36 offset0:5 offset1:6
	s_waitcnt lgkmcnt(7)
	v_fma_f32 v5, -v99, v5, v25
	v_fma_f32 v1, -v32, v1, v23
	;; [unrolled: 1-line block ×3, first 2 shown]
	ds_load_2addr_b32 v[50:51], v34 offset0:7 offset1:8
	ds_load_2addr_b32 v[52:53], v34 offset0:9 offset1:10
	;; [unrolled: 1-line block ×3, first 2 shown]
	s_waitcnt lgkmcnt(9)
	v_fma_f32 v26, -v33, v62, v26
	v_fma_f32 v4, -v32, v4, v22
	;; [unrolled: 1-line block ×3, first 2 shown]
	s_waitcnt lgkmcnt(7)
	v_fma_f32 v25, -v100, v64, v48
	s_waitcnt lgkmcnt(6)
	v_mul_f32_e32 v101, v42, v60
	v_fma_f32 v5, -v100, v65, v5
	ds_load_2addr_b32 v[48:49], v72 offset0:7 offset1:8
	ds_load_2addr_b32 v[60:61], v103 offset0:7 offset1:8
	v_fma_f32 v3, -v32, v3, v21
	v_fma_f32 v25, -v101, v43, v25
	s_add_i32 s12, s4, 24
	s_waitcnt lgkmcnt(7)
	s_delay_alu instid0(VALU_DEP_1)
	v_mul_f32_e32 v102, v27, v25
	v_add_lshl_u32 v25, s18, v0, 2
	s_lshl_b32 s18, s20, 2
	v_fma_f32 v6, -v99, v6, v26
	v_mov_b32_e32 v95, s18
	s_add_i32 s18, s11, 0xc4
	v_add_lshl_u32 v26, s19, v0, 2
	s_add_i32 s19, s4, s18
	s_waitcnt lgkmcnt(4)
	v_fma_f32 v6, -v100, v50, v6
	s_lshl_b32 s19, s19, 2
	s_delay_alu instid0(SALU_CYCLE_1) | instskip(SKIP_3) | instid1(VALU_DEP_2)
	v_mov_b32_e32 v96, s19
	v_fma_f32 v5, -v101, v44, v5
	s_add_i32 s19, s13, 0x4fc
	v_fma_f32 v6, -v101, v45, v6
	v_fma_f32 v5, -v102, v28, v5
	s_delay_alu instid0(VALU_DEP_1)
	v_mul_f32_e32 v104, v46, v5
	ds_store_b32 v37, v32
	ds_store_b32 v38, v33 offset:3136
	ds_store_b32 v39, v99 offset:3136
	;; [unrolled: 1-line block ×6, first 2 shown]
	ds_load_2addr_b32 v[44:45], v35 offset0:9 offset1:10
	ds_load_2addr_b32 v[64:65], v72 offset0:9 offset1:10
	;; [unrolled: 1-line block ×3, first 2 shown]
	ds_load_b64 v[73:74], v36 offset:88
	ds_load_b128 v[25:28], v95 offset:32
	ds_load_2addr_b32 v[62:63], v103 offset0:9 offset1:10
	ds_load_2addr_b32 v[75:76], v72 offset0:21 offset1:22
	ds_load_b32 v105, v72 offset:92
	s_waitcnt lgkmcnt(16)
	v_fma_f32 v5, -v102, v48, v6
	v_fma_f32 v6, -v99, v7, v1
	;; [unrolled: 1-line block ×3, first 2 shown]
	ds_load_2addr_b32 v[1:2], v35 offset0:11 offset1:12
	ds_load_2addr_b32 v[68:69], v35 offset0:13 offset1:14
	;; [unrolled: 1-line block ×3, first 2 shown]
	v_add_lshl_u32 v24, s18, v0, 2
	s_add_i32 s18, s4, s11
	v_fma_f32 v23, -v100, v51, v6
	s_lshl_b32 s18, s18, 2
	ds_load_b128 v[37:40], v96 offset:32
	v_mov_b32_e32 v97, s18
	s_waitcnt lgkmcnt(11)
	v_fma_f32 v7, -v33, v44, v7
	s_waitcnt lgkmcnt(7)
	v_fma_f32 v23, -v101, v25, v23
	v_mov_b32_e32 v25, s19
	v_fma_f32 v5, -v104, v60, v5
	ds_load_b128 v[41:44], v31 offset:928
	v_fma_f32 v46, -v99, v8, v7
	v_fma_f32 v23, -v102, v49, v23
	s_waitcnt lgkmcnt(4)
	v_fma_f32 v1, -v33, v1, v4
	v_mov_b32_e32 v4, s21
	v_mul_f32_e32 v106, v47, v5
	ds_load_b128 v[5:8], v95 offset:48
	v_fma_f32 v21, -v104, v61, v23
	v_fma_f32 v3, -v33, v45, v3
	s_add_i32 s19, s11, 0xe0
	ds_store_b32 v24, v106 offset:3136
	v_fma_f32 v24, -v100, v52, v46
	s_add_i32 s18, s4, s19
	s_waitcnt lgkmcnt(3)
	v_fma_f32 v21, -v106, v37, v21
	v_fma_f32 v3, -v99, v54, v3
	s_lshl_b32 s20, s18, 2
	v_fma_f32 v24, -v101, v26, v24
	s_add_i32 s18, s11, 0xfc
	v_fma_f32 v1, -v99, v55, v1
	s_add_i32 s21, s4, s18
	v_fma_f32 v3, -v100, v53, v3
	v_fma_f32 v49, -v102, v64, v24
	ds_load_2addr_b32 v[60:61], v25 offset1:1
	ds_load_b128 v[23:26], v97 offset:48
	ds_load_b128 v[45:48], v96 offset:48
	s_lshl_b32 s21, s21, 2
	s_waitcnt lgkmcnt(5)
	v_dual_mul_f32 v107, v41, v21 :: v_dual_mov_b32 v108, s21
	v_fma_f32 v37, -v104, v62, v49
	ds_load_2addr_b64 v[49:52], v31 offset0:145 offset1:146
	ds_load_2addr_b32 v[21:22], v103 offset0:11 offset1:12
	v_fma_f32 v3, -v101, v27, v3
	v_fma_f32 v1, -v100, v58, v1
	;; [unrolled: 1-line block ×3, first 2 shown]
	ds_load_2addr_b32 v[37:38], v4 offset1:1
	v_add_lshl_u32 v110, s19, v0, 2
	v_fma_f32 v3, -v102, v65, v3
	v_fma_f32 v1, -v101, v28, v1
	ds_load_2addr_b32 v[27:28], v108 offset0:11 offset1:12
	s_add_i32 s19, s11, 0x118
	v_fma_f32 v3, -v104, v63, v3
	v_fma_f32 v1, -v102, v66, v1
	s_waitcnt lgkmcnt(5)
	v_fma_f32 v19, -v32, v23, v19
	ds_load_2addr_b32 v[62:63], v103 offset0:13 offset1:14
	ds_load_2addr_b32 v[77:78], v103 offset0:15 offset1:16
	;; [unrolled: 1-line block ×3, first 2 shown]
	v_fma_f32 v20, -v32, v24, v20
	v_fma_f32 v23, -v106, v39, v3
	s_add_i32 s21, s4, s19
	v_fma_f32 v2, -v33, v2, v19
	v_fma_f32 v19, -v107, v42, v41
	v_mov_b32_e32 v66, s20
	s_waitcnt lgkmcnt(5)
	v_fma_f32 v21, -v104, v21, v1
	s_add_i32 s20, s11, 0x134
	v_fma_f32 v2, -v99, v56, v2
	s_waitcnt lgkmcnt(4)
	v_mul_f32_e32 v109, v37, v19
	v_fma_f32 v19, -v107, v43, v23
	v_fma_f32 v21, -v106, v40, v21
	;; [unrolled: 1-line block ×4, first 2 shown]
	s_add_i32 s22, s4, s20
	v_fma_f32 v19, -v109, v38, v19
	v_fma_f32 v21, -v107, v44, v21
	s_lshl_b32 s22, s22, 2
	v_fma_f32 v5, -v101, v5, v2
	ds_load_2addr_b32 v[81:82], v108 offset0:13 offset1:14
	ds_load_2addr_b32 v[83:84], v108 offset0:15 offset1:16
	ds_load_b128 v[1:4], v66 offset:48
	ds_load_2addr_b32 v[58:59], v34 offset0:13 offset1:14
	ds_load_2addr_b32 v[64:65], v72 offset0:13 offset1:14
	v_mul_f32_e32 v111, v49, v19
	v_fma_f32 v5, -v102, v67, v5
	s_waitcnt lgkmcnt(8)
	v_fma_f32 v19, -v109, v27, v21
	s_delay_alu instid0(VALU_DEP_2) | instskip(NEXT) | instid1(VALU_DEP_2)
	v_fma_f32 v5, -v104, v22, v5
	v_fma_f32 v24, -v111, v50, v19
	ds_load_b128 v[19:22], v66 offset:64
	ds_load_2addr_b64 v[37:40], v36 offset0:7 offset1:8
	ds_load_2addr_b32 v[85:86], v34 offset0:15 offset1:16
	ds_load_2addr_b32 v[87:88], v34 offset0:17 offset1:18
	;; [unrolled: 1-line block ×3, first 2 shown]
	ds_load_b128 v[41:44], v31 offset:1392
	v_fma_f32 v5, -v106, v45, v5
	v_mul_f32_e32 v112, v60, v24
	s_waitcnt lgkmcnt(8)
	s_delay_alu instid0(VALU_DEP_2) | instskip(SKIP_1) | instid1(VALU_DEP_2)
	v_fma_f32 v1, -v107, v1, v5
	v_fma_f32 v5, -v99, v57, v23
	;; [unrolled: 1-line block ×3, first 2 shown]
	s_waitcnt lgkmcnt(7)
	s_delay_alu instid0(VALU_DEP_2)
	v_fma_f32 v5, -v100, v58, v5
	ds_load_2addr_b32 v[27:28], v72 offset0:15 offset1:16
	ds_load_2addr_b32 v[91:92], v72 offset0:17 offset1:18
	;; [unrolled: 1-line block ×3, first 2 shown]
	ds_load_2addr_b64 v[53:56], v36 offset0:9 offset1:10
	v_fma_f32 v1, -v111, v51, v1
	v_fma_f32 v5, -v101, v6, v5
	v_fma_f32 v6, -v32, v25, v17
	s_delay_alu instid0(VALU_DEP_3) | instskip(SKIP_1) | instid1(VALU_DEP_3)
	v_fma_f32 v1, -v112, v61, v1
	s_waitcnt lgkmcnt(10)
	v_fma_f32 v5, -v102, v64, v5
	s_delay_alu instid0(VALU_DEP_3)
	v_fma_f32 v6, -v33, v69, v6
	v_mov_b32_e32 v69, s22
	s_lshl_b32 s22, s21, 2
	s_waitcnt lgkmcnt(4)
	v_mul_f32_e32 v113, v41, v1
	v_fma_f32 v5, -v104, v62, v5
	v_fma_f32 v6, -v99, v37, v6
	v_mov_b32_e32 v98, s22
	s_add_i32 s21, s11, 0x150
	s_delay_alu instid0(VALU_DEP_3) | instskip(NEXT) | instid1(VALU_DEP_3)
	v_fma_f32 v5, -v106, v46, v5
	v_fma_f32 v6, -v100, v59, v6
	ds_load_2addr_b32 v[45:46], v69 offset0:13 offset1:14
	s_add_i32 s22, s4, s21
	v_fma_f32 v2, -v107, v2, v5
	v_fma_f32 v5, -v32, v26, v18
	;; [unrolled: 1-line block ×3, first 2 shown]
	ds_load_b128 v[23:26], v97 offset:64
	ds_load_2addr_b64 v[57:60], v31 offset0:203 offset1:204
	s_lshl_b32 s24, s22, 2
	v_fma_f32 v2, -v109, v81, v2
	v_fma_f32 v1, -v33, v70, v5
	v_fma_f32 v5, -v102, v65, v6
	v_mov_b32_e32 v6, s23
	s_add_i32 s22, s11, 0x16c
	v_fma_f32 v2, -v111, v52, v2
	v_fma_f32 v1, -v99, v38, v1
	;; [unrolled: 1-line block ×3, first 2 shown]
	ds_load_2addr_b64 v[49:52], v98 offset0:7 offset1:8
	ds_load_b128 v[61:64], v66 offset:80
	ds_load_2addr_b32 v[17:18], v6 offset1:1
	v_fma_f32 v1, -v100, v85, v1
	v_fma_f32 v36, -v106, v47, v5
	ds_load_b128 v[65:68], v95 offset:64
	s_waitcnt lgkmcnt(6)
	v_fma_f32 v2, -v112, v45, v2
	s_add_i32 s23, s4, s22
	v_fma_f32 v1, -v101, v8, v1
	s_waitcnt lgkmcnt(5)
	v_fma_f32 v15, -v32, v23, v15
	v_fma_f32 v3, -v107, v3, v36
	;; [unrolled: 1-line block ×3, first 2 shown]
	ds_load_2addr_b32 v[41:42], v69 offset0:15 offset1:16
	v_fma_f32 v1, -v102, v27, v1
	v_fma_f32 v15, -v33, v71, v15
	;; [unrolled: 1-line block ×3, first 2 shown]
	ds_load_b128 v[5:8], v97 offset:80
	s_lshl_b32 s23, s23, 2
	v_fma_f32 v1, -v104, v77, v1
	v_fma_f32 v2, -v99, v39, v15
	s_waitcnt lgkmcnt(5)
	v_fma_f32 v3, -v111, v49, v3
	ds_load_2addr_b64 v[36:39], v98 offset0:9 offset1:10
	s_waitcnt lgkmcnt(4)
	v_dual_mul_f32 v115, v17, v23 :: v_dual_mov_b32 v116, s23
	v_fma_f32 v1, -v106, v48, v1
	v_fma_f32 v15, -v100, v86, v2
	;; [unrolled: 1-line block ×6, first 2 shown]
	ds_load_b128 v[1:4], v96 offset:64
	ds_load_b128 v[45:48], v95 offset:80
	s_waitcnt lgkmcnt(5)
	v_fma_f32 v15, -v101, v65, v15
	ds_load_b32 v114, v69 offset:92
	v_fma_f32 v17, -v113, v43, v27
	v_fma_f32 v23, -v109, v83, v49
	s_add_i32 s23, s11, 0x188
	v_fma_f32 v15, -v102, v28, v15
	ds_load_2addr_b32 v[27:28], v35 offset0:17 offset1:18
	v_fma_f32 v17, -v115, v18, v17
	v_fma_f32 v18, -v111, v50, v23
	s_waitcnt lgkmcnt(5)
	v_fma_f32 v5, -v32, v5, v11
	v_fma_f32 v15, -v104, v78, v15
	ds_load_2addr_b32 v[49:50], v69 offset0:17 offset1:18
	ds_load_2addr_b32 v[77:78], v69 offset0:19 offset1:20
	;; [unrolled: 1-line block ×3, first 2 shown]
	ds_load_b128 v[69:72], v96 offset:80
	v_fma_f32 v18, -v112, v41, v18
	v_fma_f32 v6, -v32, v6, v12
	;; [unrolled: 1-line block ×4, first 2 shown]
	s_waitcnt lgkmcnt(7)
	v_fma_f32 v1, -v106, v1, v15
	v_fma_f32 v41, -v113, v44, v18
	ds_load_2addr_b32 v[43:44], v116 offset0:15 offset1:16
	v_fma_f32 v15, -v32, v24, v16
	ds_load_2addr_b32 v[85:86], v35 offset0:19 offset1:20
	ds_load_2addr_b32 v[95:96], v35 offset0:21 offset1:22
	ds_load_b32 v118, v35 offset:92
	v_fma_f32 v1, -v107, v19, v1
	v_mov_b32_e32 v19, s24
	s_add_i32 s24, s13, 0x6cc
	s_delay_alu instid0(SALU_CYCLE_1)
	v_dual_mul_f32 v117, v57, v17 :: v_dual_mov_b32 v24, s24
	s_waitcnt lgkmcnt(8)
	v_fma_f32 v23, -v33, v27, v15
	ds_load_b128 v[15:18], v19 offset:64
	v_fma_f32 v1, -v109, v84, v1
	v_fma_f32 v13, -v33, v28, v13
	s_add_i32 s24, s4, s23
	v_fma_f32 v27, -v99, v40, v23
	ds_load_2addr_b32 v[23:24], v24 offset1:1
	v_fma_f32 v1, -v111, v51, v1
	v_fma_f32 v13, -v99, v53, v13
	s_lshl_b32 s25, s24, 2
	v_fma_f32 v25, -v100, v87, v27
	ds_load_2addr_b32 v[27:28], v116 offset0:17 offset1:18
	ds_load_2addr_b32 v[83:84], v116 offset0:19 offset1:20
	ds_load_b64 v[97:98], v98 offset:88
	s_waitcnt lgkmcnt(8)
	v_fma_f32 v35, -v115, v43, v41
	v_fma_f32 v1, -v112, v42, v1
	;; [unrolled: 1-line block ×4, first 2 shown]
	ds_load_b128 v[40:43], v19 offset:80
	v_fma_f32 v35, -v117, v58, v35
	ds_load_2addr_b32 v[57:58], v108 offset0:17 offset1:18
	v_fma_f32 v13, -v101, v67, v13
	s_waitcnt lgkmcnt(9)
	v_fma_f32 v14, -v33, v85, v14
	s_waitcnt lgkmcnt(6)
	v_fma_f32 v1, -v113, v15, v1
	v_fma_f32 v15, -v102, v91, v25
	s_add_i32 s24, s11, 0x1a4
	v_fma_f32 v13, -v102, v92, v13
	v_fma_f32 v14, -v99, v54, v14
	;; [unrolled: 1-line block ×4, first 2 shown]
	ds_load_2addr_b32 v[65:66], v116 offset0:21 offset1:22
	ds_load_b32 v44, v116 offset:92
	v_fma_f32 v13, -v104, v80, v13
	s_waitcnt lgkmcnt(7)
	v_mul_f32_e32 v67, v23, v35
	v_fma_f32 v1, -v117, v59, v1
	v_fma_f32 v2, -v106, v2, v15
	ds_load_2addr_b32 v[53:54], v103 offset0:19 offset1:20
	ds_load_2addr_b32 v[79:80], v108 offset0:19 offset1:20
	;; [unrolled: 1-line block ×3, first 2 shown]
	ds_load_b32 v59, v108 offset:92
	v_fma_f32 v14, -v100, v89, v14
	s_add_i32 s26, s4, s24
	v_fma_f32 v5, -v33, v86, v5
	v_fma_f32 v2, -v107, v20, v2
	s_lshl_b32 s26, s26, 2
	v_fma_f32 v6, -v33, v95, v6
	v_mov_b32_e32 v85, s26
	s_add_i32 s26, s13, 0x7b4
	s_waitcnt lgkmcnt(6)
	v_fma_f32 v2, -v109, v57, v2
	v_fma_f32 v57, -v67, v24, v1
	;; [unrolled: 1-line block ×4, first 2 shown]
	ds_load_b128 v[23:26], v31 offset:1856
	ds_load_2addr_b32 v[19:20], v85 offset0:17 offset1:18
	v_fma_f32 v2, -v111, v52, v2
	v_fma_f32 v1, -v107, v21, v1
	;; [unrolled: 1-line block ×3, first 2 shown]
	v_mov_b32_e32 v13, s26
	v_fma_f32 v5, -v99, v55, v5
	v_fma_f32 v2, -v112, v49, v2
	;; [unrolled: 1-line block ×3, first 2 shown]
	s_waitcnt lgkmcnt(5)
	v_fma_f32 v3, -v104, v53, v3
	v_mov_b32_e32 v53, s25
	ds_load_2addr_b32 v[51:52], v103 offset0:21 offset1:22
	ds_load_b32 v58, v103 offset:92
	v_fma_f32 v14, -v113, v16, v2
	v_fma_f32 v15, -v111, v36, v1
	;; [unrolled: 1-line block ×3, first 2 shown]
	ds_load_2addr_b32 v[35:36], v13 offset1:1
	ds_load_2addr_b64 v[1:4], v53 offset0:9 offset1:10
	v_fma_f32 v5, -v100, v90, v5
	v_fma_f32 v21, -v115, v27, v14
	;; [unrolled: 1-line block ×4, first 2 shown]
	ds_load_b128 v[13:16], v31 offset:2320
	s_waitcnt lgkmcnt(6)
	v_mul_f32_e32 v31, v23, v57
	v_fma_f32 v23, -v117, v60, v21
	v_fma_f32 v17, -v113, v17, v27
	v_fma_f32 v27, -v109, v79, v22
	ds_load_2addr_b32 v[21:22], v85 offset0:19 offset1:20
	ds_load_2addr_b32 v[49:50], v85 offset0:21 offset1:22
	ds_load_b32 v57, v85 offset:92
	v_fma_f32 v6, -v99, v56, v6
	s_waitcnt lgkmcnt(8)
	v_fma_f32 v19, -v67, v19, v23
	v_fma_f32 v17, -v115, v28, v17
	;; [unrolled: 1-line block ×6, first 2 shown]
	s_add_i32 s25, s11, 0x1c0
	v_fma_f32 v11, -v112, v77, v23
	s_waitcnt lgkmcnt(4)
	v_fma_f32 v1, -v117, v1, v17
	v_mov_b32_e32 v17, s27
	v_mul_f32_e32 v27, v35, v24
	ds_load_2addr_b32 v[23:24], v34 offset0:21 offset1:22
	v_fma_f32 v11, -v113, v18, v11
	v_fma_f32 v1, -v67, v20, v1
	ds_load_2addr_b64 v[17:20], v17 offset1:1
	s_add_i32 s27, s11, 0x1dc
	v_fma_f32 v7, -v99, v73, v7
	v_fma_f32 v11, -v115, v83, v11
	;; [unrolled: 1-line block ×3, first 2 shown]
	s_add_i32 s28, s4, s27
	v_fma_f32 v8, -v99, v74, v8
	s_lshl_b32 s28, s28, 2
	s_add_i32 s26, s4, s25
	v_fma_f32 v25, -v27, v36, v1
	v_fma_f32 v1, -v117, v2, v11
	ds_load_b64 v[11:12], v53 offset:88
	v_fma_f32 v2, -v101, v45, v5
	v_mov_b32_e32 v5, s28
	s_lshl_b32 s26, s26, 2
	s_waitcnt lgkmcnt(5)
	v_fma_f32 v21, -v67, v21, v1
	s_add_i32 s28, s11, 0x1f8
	v_fma_f32 v28, -v102, v94, v2
	ds_load_2addr_b32 v[1:2], v5 offset0:19 offset1:20
	s_addk_i32 s13, 0x984
	s_waitcnt lgkmcnt(2)
	v_mul_f32_e32 v35, v17, v25
	v_fma_f32 v21, -v31, v26, v21
	v_fma_f32 v17, -v104, v54, v28
	s_delay_alu instid0(VALU_DEP_1)
	v_fma_f32 v9, -v106, v69, v17
	ds_load_b32 v17, v34 offset:92
	v_fma_f32 v28, -v107, v61, v9
	ds_load_2addr_b32 v[9:10], v5 offset0:21 offset1:22
	v_fma_f32 v6, -v100, v23, v6
	v_mov_b32_e32 v23, s29
	ds_load_2addr_b32 v[25:26], v23 offset1:1
	ds_load_b32 v23, v5 offset:92
	v_fma_f32 v6, -v101, v46, v6
	v_fma_f32 v7, -v100, v24, v7
	s_waitcnt lgkmcnt(4)
	v_fma_f32 v1, -v27, v1, v21
	s_add_i32 s29, s4, s28
	v_fma_f32 v5, -v102, v75, v6
	v_fma_f32 v6, -v109, v80, v28
	;; [unrolled: 1-line block ×3, first 2 shown]
	s_waitcnt lgkmcnt(3)
	v_fma_f32 v8, -v100, v17, v8
	v_fma_f32 v1, -v35, v18, v1
	;; [unrolled: 1-line block ×6, first 2 shown]
	v_mov_b32_e32 v17, s26
	v_fma_f32 v5, -v106, v70, v5
	v_fma_f32 v6, -v112, v78, v6
	;; [unrolled: 1-line block ×4, first 2 shown]
	s_add_i32 s26, s11, 0x214
	v_fma_f32 v5, -v107, v62, v5
	v_fma_f32 v6, -v113, v40, v6
	;; [unrolled: 1-line block ×4, first 2 shown]
	s_add_i32 s30, s4, s26
	v_fma_f32 v18, -v109, v87, v5
	v_fma_f32 v21, -v115, v84, v6
	ds_load_b128 v[5:8], v17 offset:80
	s_lshl_b32 s30, s30, 2
	s_lshl_b32 s29, s29, 2
	v_fma_f32 v17, -v111, v39, v18
	v_fma_f32 v18, -v107, v63, v24
	;; [unrolled: 1-line block ×4, first 2 shown]
	s_delay_alu instid0(VALU_DEP_4) | instskip(NEXT) | instid1(VALU_DEP_4)
	v_fma_f32 v17, -v112, v81, v17
	v_fma_f32 v18, -v109, v88, v18
	s_delay_alu instid0(VALU_DEP_4) | instskip(NEXT) | instid1(VALU_DEP_4)
	v_fma_f32 v21, -v107, v64, v24
	v_fma_f32 v3, -v67, v22, v3
	v_mov_b32_e32 v24, s30
	v_fma_f32 v17, -v113, v41, v17
	v_fma_f32 v28, -v111, v97, v18
	;; [unrolled: 1-line block ×3, first 2 shown]
	s_delay_alu instid0(VALU_DEP_3) | instskip(NEXT) | instid1(VALU_DEP_3)
	v_fma_f32 v22, -v115, v65, v17
	v_fma_f32 v28, -v112, v82, v28
	s_delay_alu instid0(VALU_DEP_3)
	v_fma_f32 v21, -v111, v98, v21
	s_waitcnt lgkmcnt(0)
	v_fma_f32 v3, -v31, v5, v3
	v_mul_f32_e32 v5, v25, v1
	v_fma_f32 v4, -v117, v4, v22
	v_fma_f32 v1, -v113, v42, v28
	;; [unrolled: 1-line block ×4, first 2 shown]
	v_mov_b32_e32 v3, s13
	v_fma_f32 v25, -v67, v49, v4
	v_fma_f32 v1, -v115, v66, v1
	;; [unrolled: 1-line block ×3, first 2 shown]
	v_mov_b32_e32 v4, s29
	s_add_i32 s13, s11, 0x24c
	ds_load_2addr_b32 v[17:18], v24 offset0:21 offset1:22
	v_fma_f32 v11, -v117, v11, v1
	v_fma_f32 v21, -v115, v44, v2
	ds_load_2addr_b32 v[1:2], v3 offset1:1
	ds_load_b64 v[3:4], v4 offset:88
	s_add_i32 s4, s4, s13
	v_fma_f32 v6, -v31, v6, v25
	s_lshl_b32 s4, s4, 2
	v_fma_f32 v11, -v67, v50, v11
	v_fma_f32 v12, -v117, v12, v21
	v_mov_b32_e32 v21, s4
	v_fma_f32 v19, -v35, v19, v22
	v_fma_f32 v6, -v27, v9, v6
	;; [unrolled: 1-line block ×4, first 2 shown]
	ds_load_b32 v11, v21 offset:92
	ds_load_b32 v12, v24 offset:92
	v_fma_f32 v19, -v5, v26, v19
	v_fma_f32 v6, -v35, v20, v6
	;; [unrolled: 1-line block ×4, first 2 shown]
	s_mul_i32 s4, s10, 0x74
	v_mul_f32_e32 v9, v13, v19
	s_waitcnt lgkmcnt(4)
	v_fma_f32 v6, -v5, v17, v6
	v_add_lshl_u32 v10, s18, v0, 2
	s_waitcnt lgkmcnt(2)
	v_fma_f32 v3, -v35, v3, v7
	v_fma_f32 v8, -v27, v23, v8
	v_add_lshl_u32 v7, s19, v0, 2
	v_fma_f32 v6, -v9, v14, v6
	v_add_lshl_u32 v13, s20, v0, 2
	v_fma_f32 v3, -v5, v18, v3
	v_fma_f32 v4, -v35, v4, v8
	v_add_lshl_u32 v14, s21, v0, 2
	v_dual_mul_f32 v1, v1, v6 :: v_dual_mov_b32 v6, s4
	s_delay_alu instid0(VALU_DEP_4)
	v_fma_f32 v3, -v9, v15, v3
	s_waitcnt lgkmcnt(0)
	v_fma_f32 v4, -v5, v12, v4
	v_add_lshl_u32 v8, s22, v0, 2
	v_add_lshl_u32 v12, s23, v0, 2
	;; [unrolled: 1-line block ×3, first 2 shown]
	v_fma_f32 v2, -v1, v2, v3
	v_fma_f32 v3, -v9, v16, v4
	ds_load_b32 v4, v6
	v_add_lshl_u32 v6, s25, v0, 2
	ds_store_b32 v110, v107 offset:3136
	ds_store_b32 v10, v109 offset:3136
	;; [unrolled: 1-line block ×8, first 2 shown]
	v_mul_f32_e32 v2, v29, v2
	v_fma_f32 v3, -v1, v11, v3
	v_add_lshl_u32 v7, s27, v0, 2
	s_add_i32 s4, s11, 0x230
	v_add_lshl_u32 v8, s28, v0, 2
	v_add_lshl_u32 v10, s26, v0, 2
	v_fma_f32 v3, -v2, v30, v3
	v_add_lshl_u32 v11, s4, v0, 2
	s_addk_i32 s11, 0x268
	s_mul_i32 s10, s10, 28
	s_mov_b32 s4, s12
	v_add_lshl_u32 v12, s13, v0, 2
	v_add_lshl_u32 v13, s11, v0, 2
	s_waitcnt lgkmcnt(8)
	v_mul_f32_e32 v3, v4, v3
	v_add_lshl_u32 v4, s10, v0, 2
	ds_store_b32 v6, v31 offset:3136
	ds_store_b32 v7, v27 offset:3136
	;; [unrolled: 1-line block ×8, first 2 shown]
.LBB33_49:
	s_cmp_ge_i32 s4, s15
	s_cbranch_scc1 .LBB33_60
; %bb.50:
	v_lshl_add_u32 v1, v0, 2, 0xc40
	s_add_i32 s10, s4, -1
	s_lshl_b32 s11, s4, 2
	s_mov_b32 s12, 0
	s_mov_b32 s13, s4
	s_branch .LBB33_52
.LBB33_51:                              ;   in Loop: Header=BB33_52 Depth=1
	s_mul_i32 s18, s4, 0x74
	v_add_nc_u16 v5, s13, 1
	v_mov_b32_e32 v4, s18
	s_add_i32 s4, s4, 1
	s_add_i32 s12, s12, 1
	;; [unrolled: 1-line block ×3, first 2 shown]
	v_readfirstlane_b32 s13, v5
	ds_load_b32 v4, v4
	v_add_nc_u32_e32 v2, 0xc40, v2
	s_cmp_ge_i32 s4, s15
	s_waitcnt lgkmcnt(0)
	v_mul_f32_e32 v3, v4, v3
	ds_store_b32 v2, v3
	s_cbranch_scc1 .LBB33_60
.LBB33_52:                              ; =>This Loop Header: Depth=1
                                        ;     Child Loop BB33_55 Depth 2
                                        ;     Child Loop BB33_59 Depth 2
	s_mul_i32 s18, s4, 28
	s_cmp_eq_u32 s4, 0
	v_add_lshl_u32 v2, s18, v0, 2
	ds_load_b32 v3, v2 offset:3136
	s_cbranch_scc1 .LBB33_51
; %bb.53:                               ;   in Loop: Header=BB33_52 Depth=1
	s_add_i32 s18, s10, s12
	s_delay_alu instid0(SALU_CYCLE_1)
	s_cmp_lt_u32 s18, 7
	s_cbranch_scc1 .LBB33_57
; %bb.54:                               ;   in Loop: Header=BB33_52 Depth=1
	v_mov_b32_e32 v4, v1
	s_and_b32 s18, s4, -8
	s_mov_b32 s19, 0
	s_mov_b32 s20, s11
	s_set_inst_prefetch_distance 0x1
	.p2align	6
.LBB33_55:                              ;   Parent Loop BB33_52 Depth=1
                                        ; =>  This Inner Loop Header: Depth=2
	v_mov_b32_e32 v17, s20
	s_add_i32 s19, s19, 8
	s_addk_i32 s20, 0x380
	s_cmp_lg_u32 s18, s19
	ds_load_2addr_b32 v[5:6], v4 offset1:28
	ds_load_2addr_b32 v[7:8], v17 offset1:28
	ds_load_2addr_b32 v[9:10], v4 offset0:56 offset1:84
	ds_load_2addr_b32 v[11:12], v17 offset0:56 offset1:84
	ds_load_2addr_b32 v[13:14], v4 offset0:112 offset1:140
	ds_load_2addr_b32 v[15:16], v17 offset0:112 offset1:140
	s_waitcnt lgkmcnt(4)
	v_fma_f32 v3, -v5, v7, v3
	s_delay_alu instid0(VALU_DEP_1)
	v_fma_f32 v3, -v6, v8, v3
	ds_load_2addr_b32 v[5:6], v4 offset0:168 offset1:196
	ds_load_2addr_b32 v[7:8], v17 offset0:168 offset1:196
	v_add_nc_u32_e32 v4, 0x380, v4
	s_waitcnt lgkmcnt(4)
	v_fma_f32 v3, -v9, v11, v3
	s_delay_alu instid0(VALU_DEP_1) | instskip(SKIP_1) | instid1(VALU_DEP_1)
	v_fma_f32 v3, -v10, v12, v3
	s_waitcnt lgkmcnt(2)
	v_fma_f32 v3, -v13, v15, v3
	s_delay_alu instid0(VALU_DEP_1) | instskip(SKIP_1) | instid1(VALU_DEP_1)
	v_fma_f32 v3, -v14, v16, v3
	s_waitcnt lgkmcnt(0)
	v_fma_f32 v3, -v5, v7, v3
	s_delay_alu instid0(VALU_DEP_1)
	v_fma_f32 v3, -v6, v8, v3
	s_cbranch_scc1 .LBB33_55
; %bb.56:                               ;   in Loop: Header=BB33_52 Depth=1
	s_set_inst_prefetch_distance 0x2
	s_and_b32 s19, s4, 7
	s_delay_alu instid0(SALU_CYCLE_1)
	s_cmp_eq_u32 s19, 0
	s_cbranch_scc0 .LBB33_58
	s_branch .LBB33_51
.LBB33_57:                              ;   in Loop: Header=BB33_52 Depth=1
	s_mov_b32 s18, 0
	s_and_b32 s19, s4, 7
	s_delay_alu instid0(SALU_CYCLE_1)
	s_cmp_eq_u32 s19, 0
	s_cbranch_scc1 .LBB33_51
.LBB33_58:                              ;   in Loop: Header=BB33_52 Depth=1
	s_and_b32 s19, s13, 7
	s_mulk_i32 s18, 0x70
.LBB33_59:                              ;   Parent Loop BB33_52 Depth=1
                                        ; =>  This Inner Loop Header: Depth=2
	s_delay_alu instid0(SALU_CYCLE_1) | instskip(NEXT) | instid1(SALU_CYCLE_1)
	s_add_i32 s20, s11, s18
	v_dual_mov_b32 v5, s20 :: v_dual_add_nc_u32 v4, s18, v1
	s_add_i32 s19, s19, -1
	s_addk_i32 s18, 0x70
	s_cmp_lg_u32 s19, 0
	ds_load_b32 v4, v4
	ds_load_b32 v5, v5
	s_waitcnt lgkmcnt(0)
	v_fma_f32 v3, -v4, v5, v3
	s_cbranch_scc1 .LBB33_59
	s_branch .LBB33_51
.LBB33_60:
	s_waitcnt vmcnt(0) lgkmcnt(0)
	s_waitcnt_vscnt null, 0x0
	; wave barrier
	s_waitcnt lgkmcnt(0)
	buffer_gl0_inv
	s_and_saveexec_b32 s4, s14
	s_cbranch_execz .LBB33_67
; %bb.61:
	s_cmp_lt_i32 s6, 8
	s_mov_b32 s4, 0
	s_cbranch_scc1 .LBB33_64
; %bb.62:
	v_mad_i64_i32 v[1:2], null, s16, v0, 0
	v_lshl_add_u32 v3, v0, 2, 0xc40
	s_lshl_b32 s4, s15, 2
	s_delay_alu instid0(VALU_DEP_2) | instskip(NEXT) | instid1(VALU_DEP_1)
	v_lshlrev_b64 v[1:2], 2, v[1:2]
	v_add_co_u32 v1, vcc_lo, s5, v1
	s_delay_alu instid0(VALU_DEP_2)
	v_add_co_ci_u32_e32 v2, vcc_lo, s7, v2, vcc_lo
	s_and_b32 s5, s4, 0x60
	s_mov_b32 s4, 0
	s_mov_b64 s[6:7], 0
	.p2align	6
.LBB33_63:                              ; =>This Inner Loop Header: Depth=1
	ds_load_2addr_b32 v[4:5], v3 offset1:28
	ds_load_2addr_b32 v[6:7], v3 offset0:56 offset1:84
	ds_load_2addr_b32 v[8:9], v3 offset0:112 offset1:140
	;; [unrolled: 1-line block ×3, first 2 shown]
	v_add_co_u32 v12, vcc_lo, v1, s6
	v_add_co_ci_u32_e32 v13, vcc_lo, s7, v2, vcc_lo
	s_add_i32 s4, s4, 8
	v_add_nc_u32_e32 v3, 0x380, v3
	s_add_u32 s6, s6, 32
	s_addc_u32 s7, s7, 0
	s_cmp_lg_u32 s5, s6
	s_waitcnt lgkmcnt(2)
	global_store_b128 v[12:13], v[4:7], off
	s_waitcnt lgkmcnt(0)
	global_store_b128 v[12:13], v[8:11], off offset:16
	s_cbranch_scc1 .LBB33_63
.LBB33_64:
	s_and_b32 s6, s15, 7
	s_mov_b32 s5, 0
	s_cmp_eq_u32 s6, 0
	s_cbranch_scc1 .LBB33_67
; %bb.65:
	v_lshlrev_b32_e32 v2, 2, v0
	s_lshl_b64 s[8:9], s[8:9], 2
	s_lshl_b64 s[10:11], s[4:5], 2
	s_delay_alu instid0(SALU_CYCLE_1) | instskip(NEXT) | instid1(VALU_DEP_1)
	s_add_u32 s2, s2, s10
	v_add_co_u32 v3, s5, s8, v2
	s_delay_alu instid0(VALU_DEP_1) | instskip(SKIP_3) | instid1(VALU_DEP_1)
	v_add_co_ci_u32_e64 v4, null, s9, 0, s5
	s_addc_u32 s3, s3, s11
	s_add_u32 s0, s2, s0
	s_addc_u32 s1, s3, s1
	v_mul_lo_u32 v4, v4, s16
	v_mad_u64_u32 v[0:1], null, v3, s16, s[0:1]
	v_mul_lo_u32 v3, v3, s17
	s_mul_i32 s0, s4, 0x70
	s_delay_alu instid0(SALU_CYCLE_1) | instskip(NEXT) | instid1(VALU_DEP_2)
	v_add3_u32 v2, s0, v2, 0xc40
	v_add3_u32 v1, v4, v1, v3
.LBB33_66:                              ; =>This Inner Loop Header: Depth=1
	ds_load_b32 v3, v2
	v_add_nc_u32_e32 v2, 0x70, v2
	s_add_i32 s6, s6, -1
	s_delay_alu instid0(SALU_CYCLE_1)
	s_cmp_lg_u32 s6, 0
	s_waitcnt lgkmcnt(0)
	global_store_b32 v[0:1], v3, off
	v_add_co_u32 v0, vcc_lo, v0, 4
	v_add_co_ci_u32_e32 v1, vcc_lo, 0, v1, vcc_lo
	s_cbranch_scc1 .LBB33_66
.LBB33_67:
	s_nop 0
	s_sendmsg sendmsg(MSG_DEALLOC_VGPRS)
	s_endpgm
	.section	.rodata,"a",@progbits
	.p2align	6, 0x0
	.amdhsa_kernel _ZL38rocblas_trsm_small_left_device_sharedBILi28ELi28ELb1EffPKPKfPKPfEv13rocblas_fill_18rocblas_operation_17rocblas_diagonal_iiT3_T4_lilT5_lili
		.amdhsa_group_segment_fixed_size 6272
		.amdhsa_private_segment_fixed_size 0
		.amdhsa_kernarg_size 352
		.amdhsa_user_sgpr_count 14
		.amdhsa_user_sgpr_dispatch_ptr 0
		.amdhsa_user_sgpr_queue_ptr 0
		.amdhsa_user_sgpr_kernarg_segment_ptr 1
		.amdhsa_user_sgpr_dispatch_id 0
		.amdhsa_user_sgpr_private_segment_size 0
		.amdhsa_wavefront_size32 1
		.amdhsa_uses_dynamic_stack 0
		.amdhsa_enable_private_segment 0
		.amdhsa_system_sgpr_workgroup_id_x 1
		.amdhsa_system_sgpr_workgroup_id_y 0
		.amdhsa_system_sgpr_workgroup_id_z 1
		.amdhsa_system_sgpr_workgroup_info 0
		.amdhsa_system_vgpr_workitem_id 0
		.amdhsa_next_free_vgpr 119
		.amdhsa_next_free_sgpr 44
		.amdhsa_reserve_vcc 1
		.amdhsa_float_round_mode_32 0
		.amdhsa_float_round_mode_16_64 0
		.amdhsa_float_denorm_mode_32 3
		.amdhsa_float_denorm_mode_16_64 3
		.amdhsa_dx10_clamp 1
		.amdhsa_ieee_mode 1
		.amdhsa_fp16_overflow 0
		.amdhsa_workgroup_processor_mode 1
		.amdhsa_memory_ordered 1
		.amdhsa_forward_progress 0
		.amdhsa_shared_vgpr_count 0
		.amdhsa_exception_fp_ieee_invalid_op 0
		.amdhsa_exception_fp_denorm_src 0
		.amdhsa_exception_fp_ieee_div_zero 0
		.amdhsa_exception_fp_ieee_overflow 0
		.amdhsa_exception_fp_ieee_underflow 0
		.amdhsa_exception_fp_ieee_inexact 0
		.amdhsa_exception_int_div_zero 0
	.end_amdhsa_kernel
	.section	.text._ZL38rocblas_trsm_small_left_device_sharedBILi28ELi28ELb1EffPKPKfPKPfEv13rocblas_fill_18rocblas_operation_17rocblas_diagonal_iiT3_T4_lilT5_lili,"axG",@progbits,_ZL38rocblas_trsm_small_left_device_sharedBILi28ELi28ELb1EffPKPKfPKPfEv13rocblas_fill_18rocblas_operation_17rocblas_diagonal_iiT3_T4_lilT5_lili,comdat
.Lfunc_end33:
	.size	_ZL38rocblas_trsm_small_left_device_sharedBILi28ELi28ELb1EffPKPKfPKPfEv13rocblas_fill_18rocblas_operation_17rocblas_diagonal_iiT3_T4_lilT5_lili, .Lfunc_end33-_ZL38rocblas_trsm_small_left_device_sharedBILi28ELi28ELb1EffPKPKfPKPfEv13rocblas_fill_18rocblas_operation_17rocblas_diagonal_iiT3_T4_lilT5_lili
                                        ; -- End function
	.section	.AMDGPU.csdata,"",@progbits
; Kernel info:
; codeLenInByte = 28512
; NumSgprs: 46
; NumVgprs: 119
; ScratchSize: 0
; MemoryBound: 0
; FloatMode: 240
; IeeeMode: 1
; LDSByteSize: 6272 bytes/workgroup (compile time only)
; SGPRBlocks: 5
; VGPRBlocks: 14
; NumSGPRsForWavesPerEU: 46
; NumVGPRsForWavesPerEU: 119
; Occupancy: 5
; WaveLimiterHint : 1
; COMPUTE_PGM_RSRC2:SCRATCH_EN: 0
; COMPUTE_PGM_RSRC2:USER_SGPR: 14
; COMPUTE_PGM_RSRC2:TRAP_HANDLER: 0
; COMPUTE_PGM_RSRC2:TGID_X_EN: 1
; COMPUTE_PGM_RSRC2:TGID_Y_EN: 0
; COMPUTE_PGM_RSRC2:TGID_Z_EN: 1
; COMPUTE_PGM_RSRC2:TIDIG_COMP_CNT: 0
	.section	.text._ZL30rocblas_trsm_small_left_deviceILi28ELi28ELb1EffPKPKfPKPfEv13rocblas_fill_18rocblas_operation_17rocblas_diagonal_iiT3_T4_lilT5_lili,"axG",@progbits,_ZL30rocblas_trsm_small_left_deviceILi28ELi28ELb1EffPKPKfPKPfEv13rocblas_fill_18rocblas_operation_17rocblas_diagonal_iiT3_T4_lilT5_lili,comdat
	.globl	_ZL30rocblas_trsm_small_left_deviceILi28ELi28ELb1EffPKPKfPKPfEv13rocblas_fill_18rocblas_operation_17rocblas_diagonal_iiT3_T4_lilT5_lili ; -- Begin function _ZL30rocblas_trsm_small_left_deviceILi28ELi28ELb1EffPKPKfPKPfEv13rocblas_fill_18rocblas_operation_17rocblas_diagonal_iiT3_T4_lilT5_lili
	.p2align	8
	.type	_ZL30rocblas_trsm_small_left_deviceILi28ELi28ELb1EffPKPKfPKPfEv13rocblas_fill_18rocblas_operation_17rocblas_diagonal_iiT3_T4_lilT5_lili,@function
_ZL30rocblas_trsm_small_left_deviceILi28ELi28ELb1EffPKPKfPKPfEv13rocblas_fill_18rocblas_operation_17rocblas_diagonal_iiT3_T4_lilT5_lili: ; @_ZL30rocblas_trsm_small_left_deviceILi28ELi28ELb1EffPKPKfPKPfEv13rocblas_fill_18rocblas_operation_17rocblas_diagonal_iiT3_T4_lilT5_lili
; %bb.0:
	s_clause 0x1
	s_load_b128 s[8:11], s[0:1], 0x38
	s_load_b128 s[4:7], s[0:1], 0x4
	s_mov_b32 s2, s15
	s_mov_b32 s3, 0
	s_mov_b32 s13, exec_lo
	s_lshl_b64 s[22:23], s[2:3], 3
	s_waitcnt lgkmcnt(0)
	s_add_u32 s8, s8, s22
	s_addc_u32 s9, s9, s23
	s_load_b32 s15, s[0:1], 0x14
	s_load_b64 s[8:9], s[8:9], 0x0
	s_min_i32 s2, s6, 28
	s_delay_alu instid0(SALU_CYCLE_1)
	s_add_i32 s12, s2, -1
	v_cmpx_gt_i32_e64 s2, v0
	s_cbranch_execz .LBB34_10
; %bb.1:
	s_clause 0x1
	s_load_b32 s20, s[0:1], 0x28
	s_load_b128 s[16:19], s[0:1], 0x18
	v_lshlrev_b32_e32 v3, 2, v0
	s_waitcnt lgkmcnt(0)
	s_ashr_i32 s21, s20, 31
	s_add_u32 s16, s16, s22
	s_addc_u32 s17, s17, s23
	s_cmp_lt_u32 s12, 3
	s_load_b64 s[16:17], s[16:17], 0x0
	s_cbranch_scc1 .LBB34_4
; %bb.2:
	s_lshl_b64 s[22:23], s[18:19], 2
	v_mov_b32_e32 v4, v3
	s_waitcnt lgkmcnt(0)
	s_add_u32 s3, s16, s22
	s_addc_u32 s22, s17, s23
	v_add_co_u32 v1, s3, s3, v3
	s_delay_alu instid0(VALU_DEP_1)
	v_add_co_ci_u32_e64 v2, null, s22, 0, s3
	s_and_b32 s3, s2, -4
	s_mul_hi_i32 s28, s20, 12
	s_mul_i32 s29, s20, 12
	s_lshl_b64 s[22:23], s[20:21], 4
	s_lshl_b64 s[24:25], s[20:21], 3
	;; [unrolled: 1-line block ×3, first 2 shown]
	s_mov_b32 s30, 0
	.p2align	6
.LBB34_3:                               ; =>This Inner Loop Header: Depth=1
	v_add_co_u32 v5, vcc_lo, v1, s26
	v_add_co_ci_u32_e32 v6, vcc_lo, s27, v2, vcc_lo
	v_add_co_u32 v7, vcc_lo, v1, s24
	v_add_co_ci_u32_e32 v8, vcc_lo, s25, v2, vcc_lo
	;; [unrolled: 2-line block ×3, first 2 shown]
	s_clause 0x3
	global_load_b32 v11, v[1:2], off
	global_load_b32 v5, v[5:6], off
	;; [unrolled: 1-line block ×4, first 2 shown]
	v_add_co_u32 v1, vcc_lo, v1, s22
	v_add_co_ci_u32_e32 v2, vcc_lo, s23, v2, vcc_lo
	s_add_i32 s30, s30, 4
	s_waitcnt vmcnt(2)
	ds_store_2addr_b32 v4, v11, v5 offset1:28
	s_waitcnt vmcnt(0)
	ds_store_2addr_b32 v4, v6, v7 offset0:56 offset1:84
	v_add_nc_u32_e32 v4, 0x1c0, v4
	s_cmp_eq_u32 s3, s30
	s_cbranch_scc0 .LBB34_3
.LBB34_4:
	s_and_b32 s22, s2, 3
	s_delay_alu instid0(SALU_CYCLE_1)
	s_cmp_eq_u32 s22, 0
	s_cbranch_scc1 .LBB34_7
; %bb.5:
	s_mul_i32 s23, s21, s3
	s_mul_hi_u32 s24, s20, s3
	s_lshl_b64 s[18:19], s[18:19], 2
	s_add_i32 s25, s24, s23
	s_mul_i32 s24, s20, s3
	s_mulk_i32 s3, 0x70
	s_lshl_b64 s[24:25], s[24:25], 2
	v_lshl_add_u32 v4, v0, 2, s3
	s_add_u32 s3, s24, s18
	s_addc_u32 s18, s25, s19
	s_waitcnt lgkmcnt(0)
	s_add_u32 s3, s16, s3
	s_addc_u32 s16, s17, s18
	v_add_co_u32 v1, s3, s3, v3
	s_delay_alu instid0(VALU_DEP_1)
	v_add_co_ci_u32_e64 v2, null, s16, 0, s3
	s_lshl_b64 s[16:17], s[20:21], 2
.LBB34_6:                               ; =>This Inner Loop Header: Depth=1
	global_load_b32 v3, v[1:2], off
	v_add_co_u32 v1, vcc_lo, v1, s16
	v_add_co_ci_u32_e32 v2, vcc_lo, s17, v2, vcc_lo
	s_add_i32 s22, s22, -1
	s_delay_alu instid0(SALU_CYCLE_1)
	s_cmp_lg_u32 s22, 0
	s_waitcnt vmcnt(0)
	ds_store_b32 v4, v3
	v_add_nc_u32_e32 v4, 0x70, v4
	s_cbranch_scc1 .LBB34_6
.LBB34_7:
	v_mul_u32_u24_e32 v1, 29, v0
	s_cmpk_lg_i32 s5, 0x84
	s_delay_alu instid0(VALU_DEP_1)
	v_dual_mov_b32 v2, 1.0 :: v_dual_lshlrev_b32 v1, 2, v1
	s_cbranch_scc0 .LBB34_9
; %bb.8:
	ds_load_b32 v2, v1
	s_waitcnt lgkmcnt(0)
	v_div_scale_f32 v3, null, v2, v2, 1.0
	s_delay_alu instid0(VALU_DEP_1) | instskip(SKIP_2) | instid1(VALU_DEP_1)
	v_rcp_f32_e32 v4, v3
	s_waitcnt_depctr 0xfff
	v_fma_f32 v5, -v3, v4, 1.0
	v_fmac_f32_e32 v4, v5, v4
	v_div_scale_f32 v5, vcc_lo, 1.0, v2, 1.0
	s_delay_alu instid0(VALU_DEP_1) | instskip(NEXT) | instid1(VALU_DEP_1)
	v_mul_f32_e32 v6, v5, v4
	v_fma_f32 v7, -v3, v6, v5
	s_delay_alu instid0(VALU_DEP_1) | instskip(NEXT) | instid1(VALU_DEP_1)
	v_fmac_f32_e32 v6, v7, v4
	v_fma_f32 v3, -v3, v6, v5
	s_delay_alu instid0(VALU_DEP_1) | instskip(NEXT) | instid1(VALU_DEP_1)
	v_div_fmas_f32 v3, v3, v4, v6
	v_div_fixup_f32 v2, v3, v2, 1.0
.LBB34_9:
	ds_store_b32 v1, v2
.LBB34_10:
	s_or_b32 exec_lo, exec_lo, s13
	s_load_b32 s3, s[0:1], 0x60
	s_mul_i32 s5, s14, 0xffffffe4
	s_waitcnt lgkmcnt(0)
	s_add_i32 s5, s5, s7
	; wave barrier
	buffer_gl0_inv
	s_add_i32 s3, s3, -1
	s_delay_alu instid0(SALU_CYCLE_1) | instskip(SKIP_1) | instid1(SALU_CYCLE_1)
	s_cmp_ge_u32 s14, s3
	s_cselect_b32 s3, s5, 28
	v_cmp_gt_i32_e32 vcc_lo, s3, v0
	s_mov_b32 s3, -1
	s_and_saveexec_b32 s5, vcc_lo
	s_cbranch_execz .LBB34_54
; %bb.11:
	s_load_b32 s0, s[0:1], 0x48
	v_mad_u64_u32 v[1:2], null, s14, 28, v[0:1]
	s_waitcnt lgkmcnt(0)
	s_delay_alu instid0(VALU_DEP_1) | instskip(SKIP_1) | instid1(SALU_CYCLE_1)
	v_mad_i64_i32 v[2:3], null, s0, v1, 0
	s_lshl_b64 s[0:1], s[10:11], 2
	s_add_u32 s5, s8, s0
	s_addc_u32 s7, s9, s1
	s_cmpk_eq_i32 s4, 0x6f
	s_delay_alu instid0(VALU_DEP_1) | instskip(NEXT) | instid1(VALU_DEP_1)
	v_lshlrev_b64 v[30:31], 2, v[2:3]
	v_add_co_u32 v28, vcc_lo, s5, v30
	s_delay_alu instid0(VALU_DEP_2)
	v_add_co_ci_u32_e32 v29, vcc_lo, s7, v31, vcc_lo
	s_cbranch_scc1 .LBB34_34
; %bb.12:
	s_cmp_gt_i32 s6, 27
	s_mov_b32 s4, s12
	s_cbranch_scc0 .LBB34_14
; %bb.13:
	s_ashr_i32 s13, s12, 31
	s_mov_b32 s3, 0
	s_lshl_b64 s[4:5], s[12:13], 2
	s_mul_i32 s18, s12, 0x74
	v_add_co_u32 v32, vcc_lo, v28, s4
	v_add_co_ci_u32_e32 v33, vcc_lo, s5, v29, vcc_lo
	s_lshl_b64 s[4:5], s[2:3], 2
	s_mul_i32 s3, s2, 0x74
	v_add_co_u32 v0, vcc_lo, v28, s4
	global_load_b32 v19, v[32:33], off
	v_add_co_ci_u32_e32 v1, vcc_lo, s5, v29, vcc_lo
	s_clause 0x5
	global_load_b128 v[12:15], v[0:1], off offset:-32
	global_load_b128 v[8:11], v[0:1], off offset:-48
	global_load_b96 v[16:18], v[0:1], off offset:-16
	global_load_b128 v[4:7], v[0:1], off offset:-64
	global_load_b128 v[20:23], v[0:1], off offset:-96
	;; [unrolled: 1-line block ×3, first 2 shown]
	s_mul_i32 s5, s2, 28
	s_add_i32 s4, s18, 0xffffff8c
	s_add_i32 s5, s5, s12
	v_dual_mov_b32 v24, s18 :: v_dual_mov_b32 v25, s4
	s_lshl_b32 s4, s5, 2
	s_add_i32 s26, s3, 0xfffff7d8
	s_add_i32 s47, s4, 0xfffffb98
	;; [unrolled: 1-line block ×3, first 2 shown]
	s_delay_alu instid0(SALU_CYCLE_1)
	v_dual_mov_b32 v106, s26 :: v_dual_mov_b32 v97, s45
	s_add_i32 s26, s4, 0xfffffeb0
	v_mov_b32_e32 v98, s47
	s_add_i32 s7, s18, 0xffffff18
	s_add_i32 s36, s4, 0xfffffcdc
	;; [unrolled: 1-line block ×24, first 2 shown]
	v_dual_mov_b32 v38, s26 :: v_dual_mov_b32 v99, s48
	s_add_i32 s14, s18, 0xfffffd48
	s_add_i32 s16, s18, 0xfffffcd4
	s_addk_i32 s18, 0xfbec
	s_add_i32 s20, s3, 0xfffffa90
	v_dual_mov_b32 v26, s7 :: v_dual_mov_b32 v27, s10
	s_add_i32 s34, s4, 0xfffffcec
	s_add_i32 s49, s4, 0xfffffb88
	;; [unrolled: 1-line block ×10, first 2 shown]
	v_dual_mov_b32 v84, s36 :: v_dual_mov_b32 v63, s60
	v_dual_mov_b32 v92, s39 :: v_dual_mov_b32 v67, s67
	;; [unrolled: 1-line block ×7, first 2 shown]
	s_add_i32 s38, s4, 0xfffffc78
	s_delay_alu instid0(SALU_CYCLE_1)
	v_dual_mov_b32 v68, s21 :: v_dual_mov_b32 v85, s38
	s_add_i32 s62, s4, 0xfffffa50
	s_add_i32 s69, s4, 0xfffff9d4
	v_dual_mov_b32 v40, s27 :: v_dual_mov_b32 v101, s50
	v_dual_mov_b32 v44, s28 :: v_dual_mov_b32 v59, s51
	;; [unrolled: 1-line block ×6, first 2 shown]
	s_add_i32 s35, s4, 0xfffffce4
	s_delay_alu instid0(SALU_CYCLE_1)
	v_dual_mov_b32 v64, s20 :: v_dual_mov_b32 v83, s35
	s_add_i32 s81, s4, 0xfffff8fc
	v_dual_mov_b32 v82, s34 :: v_dual_mov_b32 v61, s58
	v_mov_b32_e32 v60, s57
	v_mov_b32_e32 v62, s59
	global_load_b128 v[0:3], v[0:1], off offset:-112
	ds_load_b32 v69, v24
	ds_load_2addr_b32 v[24:25], v25 offset1:1
	ds_load_b32 v110, v38
	ds_load_2addr_b32 v[38:39], v26 offset1:1
	ds_load_2addr_b32 v[40:41], v40 offset1:1
	;; [unrolled: 1-line block ×3, first 2 shown]
	ds_load_b32 v26, v44
	ds_load_2addr_b32 v[44:45], v45 offset1:1
	ds_load_2addr_b32 v[46:47], v46 offset1:1
	;; [unrolled: 1-line block ×5, first 2 shown]
	ds_load_b32 v79, v55
	ds_load_b32 v111, v56
	;; [unrolled: 1-line block ×6, first 2 shown]
	ds_load_2addr_b32 v[54:55], v60 offset1:1
	ds_load_2addr_b32 v[56:57], v61 offset1:1
	;; [unrolled: 1-line block ×3, first 2 shown]
	s_add_i32 s63, s4, 0xfffffa48
	v_mov_b32_e32 v76, s81
	s_add_i32 s22, s3, 0xfffff9a8
	s_add_i32 s74, s4, 0xfffff970
	;; [unrolled: 1-line block ×3, first 2 shown]
	s_delay_alu instid0(SALU_CYCLE_1)
	v_dual_mov_b32 v78, s22 :: v_dual_mov_b32 v93, s40
	s_add_i32 s52, s4, 0xfffffb2c
	s_add_i32 s54, s4, 0xfffffb1c
	;; [unrolled: 1-line block ×7, first 2 shown]
	v_dual_mov_b32 v94, s42 :: v_dual_mov_b32 v81, s75
	v_dual_mov_b32 v96, s44 :: v_dual_mov_b32 v107, s76
	s_add_i32 s70, s4, 0xfffff9cc
	s_add_i32 s72, s4, 0xfffff9bc
	;; [unrolled: 1-line block ×5, first 2 shown]
	v_mov_b32_e32 v108, s82
	s_add_i32 s79, s4, 0xfffff948
	s_add_i32 s85, s4, 0xfffff8dc
	;; [unrolled: 1-line block ×5, first 2 shown]
	s_delay_alu instid0(SALU_CYCLE_1)
	v_dual_mov_b32 v90, s24 :: v_dual_mov_b32 v95, s43
	s_add_i32 s66, s4, 0xfffffa30
	s_add_i32 s89, s4, 0xfffff888
	s_add_i32 s16, s4, 0xfffff80c
	s_add_i32 s84, s4, 0xfffff8e4
	s_add_i32 s25, s3, 0xfffff84c
	s_delay_alu instid0(SALU_CYCLE_1)
	v_dual_mov_b32 v86, s14 :: v_dual_mov_b32 v91, s25
	s_add_i32 s56, s4, 0xfffffb0c
	s_add_i32 s71, s4, 0xfffff9c4
	;; [unrolled: 1-line block ×8, first 2 shown]
	v_mov_b32_e32 v120, s77
	s_add_i32 s80, s4, 0xfffff940
	s_add_i32 s87, s4, 0xfffff8cc
	;; [unrolled: 1-line block ×6, first 2 shown]
	v_mov_b32_e32 v122, s80
	s_add_i32 s7, s4, 0xfffff7ec
	s_add_i32 s19, s4, 0xfffff814
	;; [unrolled: 1-line block ×9, first 2 shown]
	v_mov_b32_e32 v119, s73
	v_mov_b32_e32 v121, s79
	;; [unrolled: 1-line block ×5, first 2 shown]
	s_add_i32 s7, s4, 0xfffff790
	v_mov_b32_e32 v131, s14
	s_waitcnt vmcnt(7)
	v_dual_mul_f32 v19, s15, v19 :: v_dual_mov_b32 v100, s49
	s_waitcnt lgkmcnt(20)
	s_delay_alu instid0(VALU_DEP_1)
	v_dual_mul_f32 v27, v69, v19 :: v_dual_mov_b32 v70, s68
	v_mov_b32_e32 v66, s62
	v_mov_b32_e32 v72, s69
	ds_load_2addr_b32 v[60:61], v63 offset1:1
	ds_load_2addr_b32 v[62:63], v65 offset1:1
	;; [unrolled: 1-line block ×3, first 2 shown]
	ds_load_b32 v116, v66
	ds_load_2addr_b32 v[66:67], v67 offset1:1
	ds_load_2addr_b32 v[68:69], v68 offset1:1
	;; [unrolled: 1-line block ×6, first 2 shown]
	v_mov_b32_e32 v80, s74
	s_waitcnt lgkmcnt(24)
	v_dual_mov_b32 v102, s52 :: v_dual_mul_f32 v19, v27, v26
	v_mov_b32_e32 v104, s54
	s_waitcnt lgkmcnt(21)
	v_mul_f32_e32 v26, v27, v49
	s_waitcnt lgkmcnt(18)
	v_mul_f32_e32 v49, v27, v79
	;; [unrolled: 2-line block ×4, first 2 shown]
	s_waitcnt vmcnt(6)
	v_fma_f32 v19, v15, s15, -v19
	v_fma_f32 v118, v13, s15, -v49
	;; [unrolled: 1-line block ×3, first 2 shown]
	s_waitcnt lgkmcnt(3)
	v_mul_f32_e32 v71, v27, v71
	s_waitcnt lgkmcnt(0)
	v_mul_f32_e32 v77, v27, v77
	ds_load_2addr_b32 v[78:79], v78 offset1:1
	ds_load_b32 v117, v80
	v_mul_f32_e32 v80, v27, v113
	v_mul_f32_e32 v113, v27, v114
	v_fma_f32 v114, v14, s15, -v26
	v_mul_f32_e32 v26, v27, v55
	ds_load_2addr_b32 v[12:13], v81 offset1:1
	ds_load_2addr_b32 v[14:15], v107 offset1:1
	s_waitcnt vmcnt(5)
	v_fma_f32 v107, v11, s15, -v112
	v_mul_f32_e32 v11, v27, v25
	v_fma_f32 v111, v9, s15, -v113
	v_mul_f32_e32 v25, v27, v110
	v_mov_b32_e32 v113, s70
	v_fma_f32 v55, v10, s15, -v80
	v_fma_f32 v10, v8, s15, -v26
	v_mul_f32_e32 v26, v27, v116
	s_waitcnt vmcnt(4)
	v_fma_f32 v11, v18, s15, -v11
	v_fma_f32 v17, v17, s15, -v25
	s_waitcnt vmcnt(3)
	v_fma_f32 v18, v6, s15, -v71
	v_mov_b32_e32 v71, s64
	ds_load_2addr_b32 v[8:9], v108 offset1:1
	ds_load_2addr_b32 v[80:81], v109 offset1:1
	v_fma_f32 v109, v7, s15, -v26
	s_waitcnt lgkmcnt(4)
	v_mul_f32_e32 v108, v27, v117
	v_mul_f32_e32 v26, v24, v11
	v_fma_f32 v24, v4, s15, -v77
	v_dual_mul_f32 v4, v27, v41 :: v_dual_mov_b32 v11, s63
	s_delay_alu instid0(VALU_DEP_4) | instskip(NEXT) | instid1(VALU_DEP_4)
	v_fma_f32 v108, v5, s15, -v108
	v_fma_f32 v5, -v26, v39, v17
	v_fma_f32 v123, -v26, v70, v18
	s_delay_alu instid0(VALU_DEP_4) | instskip(SKIP_1) | instid1(VALU_DEP_4)
	v_fma_f32 v6, v16, s15, -v4
	v_dual_mov_b32 v77, s65 :: v_dual_mov_b32 v112, s66
	v_mul_f32_e32 v25, v38, v5
	ds_load_2addr_b32 v[4:5], v85 offset1:1
	v_fma_f32 v40, -v26, v40, v6
	ds_load_2addr_b32 v[6:7], v98 offset1:1
	v_fma_f32 v98, -v26, v54, v10
	;; [unrolled: 2-line block ×3, first 2 shown]
	v_fma_f32 v45, -v26, v76, v24
	ds_load_2addr_b32 v[16:17], v92 offset1:1
	ds_load_2addr_b32 v[18:19], v93 offset1:1
	v_fma_f32 v24, -v25, v43, v40
	v_fma_f32 v85, -v26, v48, v114
	;; [unrolled: 1-line block ×3, first 2 shown]
	ds_load_b32 v82, v82
	ds_load_2addr_b32 v[38:39], v83 offset1:1
	ds_load_b32 v93, v94
	s_waitcnt lgkmcnt(9)
	v_fma_f32 v9, -v25, v9, v45
	v_mul_f32_e32 v24, v42, v24
	v_fma_f32 v51, -v25, v51, v85
	v_mov_b32_e32 v110, s56
	v_dual_mov_b32 v116, s71 :: v_dual_mov_b32 v117, s72
	v_mov_b32_e32 v114, s78
	s_waitcnt lgkmcnt(7)
	v_fma_f32 v5, -v26, v5, v49
	s_waitcnt lgkmcnt(6)
	v_fma_f32 v7, -v26, v7, v55
	s_delay_alu instid0(VALU_DEP_2)
	v_fma_f32 v94, -v25, v4, v5
	ds_load_2addr_b32 v[4:5], v99 offset1:1
	ds_load_2addr_b32 v[40:41], v100 offset1:1
	;; [unrolled: 1-line block ×6, first 2 shown]
	ds_load_b32 v42, v102
	v_fma_f32 v99, -v25, v6, v7
	ds_load_2addr_b32 v[6:7], v95 offset1:1
	v_mov_b32_e32 v95, s85
	s_waitcnt lgkmcnt(13)
	v_fma_f32 v11, -v26, v11, v109
	s_waitcnt lgkmcnt(8)
	v_fma_f32 v93, -v26, v93, v107
	v_fma_f32 v13, -v26, v13, v108
	ds_load_2addr_b32 v[76:77], v84 offset1:1
	v_fma_f32 v84, -v26, v82, v118
	v_fma_f32 v100, -v25, v10, v11
	ds_load_2addr_b32 v[10:11], v103 offset1:1
	v_fma_f32 v102, -v25, v12, v13
	ds_load_2addr_b32 v[12:13], v96 offset1:1
	ds_load_2addr_b32 v[82:83], v97 offset1:1
	v_fma_f32 v39, -v25, v39, v84
	v_fma_f32 v97, -v24, v50, v51
	ds_load_2addr_b32 v[50:51], v104 offset1:1
	ds_load_2addr_b32 v[84:85], v105 offset1:1
	s_waitcnt lgkmcnt(13)
	v_fma_f32 v5, -v24, v5, v99
	v_mov_b32_e32 v103, s88
	v_fma_f32 v38, -v24, v38, v39
	v_mov_b32_e32 v105, s24
	s_waitcnt lgkmcnt(7)
	v_fma_f32 v42, -v26, v42, v111
	v_mov_b32_e32 v101, s86
	s_waitcnt lgkmcnt(6)
	v_fma_f32 v7, -v25, v7, v93
	v_dual_mov_b32 v96, s87 :: v_dual_mov_b32 v93, s89
	v_dual_mov_b32 v104, s90 :: v_dual_mov_b32 v107, s25
	s_delay_alu instid0(VALU_DEP_3)
	v_fma_f32 v6, -v24, v6, v7
	v_fma_f32 v7, -v25, v57, v98
	v_mov_b32_e32 v109, s20
	s_waitcnt lgkmcnt(4)
	v_fma_f32 v11, -v25, v11, v42
	v_dual_mov_b32 v111, s21 :: v_dual_mov_b32 v98, s22
	s_delay_alu instid0(VALU_DEP_2)
	v_fma_f32 v42, -v24, v10, v11
	v_fma_f32 v10, -v25, v73, v123
	;; [unrolled: 1-line block ×4, first 2 shown]
	v_mov_b32_e32 v124, s84
	v_fma_f32 v123, -v24, v8, v9
	v_fma_f32 v112, -v24, v72, v10
	;; [unrolled: 1-line block ×3, first 2 shown]
	v_mul_f32_e32 v7, v46, v7
	v_fma_f32 v8, -v24, v49, v100
	s_delay_alu instid0(VALU_DEP_2)
	v_fma_f32 v4, -v7, v4, v5
	ds_load_b32 v5, v86
	v_fma_f32 v17, -v7, v16, v10
	v_fma_f32 v10, -v7, v53, v97
	;; [unrolled: 1-line block ×3, first 2 shown]
	s_waitcnt lgkmcnt(4)
	v_fma_f32 v46, -v7, v13, v6
	v_fma_f32 v100, -v7, v48, v8
	;; [unrolled: 1-line block ×3, first 2 shown]
	v_mul_f32_e32 v6, v52, v10
	ds_load_b32 v92, v87
	ds_load_b32 v102, v88
	;; [unrolled: 1-line block ×3, first 2 shown]
	s_waitcnt lgkmcnt(5)
	v_fma_f32 v42, -v7, v51, v42
	v_fma_f32 v53, -v7, v59, v73
	;; [unrolled: 1-line block ×4, first 2 shown]
	ds_load_2addr_b32 v[8:9], v110 offset1:1
	ds_load_2addr_b32 v[10:11], v113 offset1:1
	;; [unrolled: 1-line block ×5, first 2 shown]
	v_mov_b32_e32 v108, s23
	v_fma_f32 v17, -v6, v19, v17
	v_fma_f32 v12, -v6, v12, v46
	;; [unrolled: 1-line block ×3, first 2 shown]
	ds_load_2addr_b32 v[45:46], v120 offset1:1
	ds_load_2addr_b32 v[47:48], v114 offset1:1
	;; [unrolled: 1-line block ×4, first 2 shown]
	s_waitcnt lgkmcnt(12)
	v_mul_f32_e32 v5, v5, v49
	ds_load_2addr_b32 v[49:50], v124 offset1:1
	ds_load_2addr_b32 v[72:73], v95 offset1:1
	;; [unrolled: 1-line block ×4, first 2 shown]
	v_fma_f32 v101, -v6, v58, v53
	v_fma_f32 v53, -v6, v41, v4
	;; [unrolled: 1-line block ×4, first 2 shown]
	ds_load_2addr_b32 v[17:18], v90 offset1:1
	ds_load_b32 v110, v103
	ds_load_2addr_b32 v[58:59], v93 offset1:1
	ds_load_2addr_b32 v[88:89], v104 offset1:1
	v_fma_f32 v40, -v5, v40, v53
	v_fma_f32 v53, -v6, v55, v100
	s_waitcnt lgkmcnt(19)
	v_mul_f32_e32 v4, v92, v42
	s_waitcnt lgkmcnt(15)
	v_fma_f32 v11, -v7, v11, v112
	ds_load_2addr_b32 v[41:42], v109 offset1:1
	ds_load_2addr_b32 v[90:91], v91 offset1:1
	;; [unrolled: 1-line block ×3, first 2 shown]
	v_mov_b32_e32 v126, s17
	v_mov_b32_e32 v128, s11
	v_fma_f32 v12, -v4, v82, v12
	v_mov_b32_e32 v118, s19
	v_fma_f32 v55, -v6, v10, v11
	v_fma_f32 v10, -v5, v85, v19
	;; [unrolled: 1-line block ×3, first 2 shown]
	v_mul_f32_e32 v11, v102, v12
	ds_load_2addr_b32 v[82:83], v105 offset1:1
	ds_load_2addr_b32 v[94:95], v107 offset1:1
	ds_load_2addr_b32 v[96:97], v98 offset1:1
	ds_load_2addr_b32 v[98:99], v108 offset1:1
	v_fma_f32 v40, -v5, v61, v101
	v_fma_f32 v108, -v4, v84, v10
	;; [unrolled: 1-line block ×4, first 2 shown]
	s_waitcnt lgkmcnt(9)
	v_mul_f32_e32 v19, v27, v110
	v_fma_f32 v40, -v4, v60, v40
	v_fma_f32 v9, -v11, v9, v108
	;; [unrolled: 1-line block ×3, first 2 shown]
	v_mul_f32_e32 v10, v133, v10
	s_waitcnt vmcnt(1)
	v_fma_f32 v19, v37, s15, -v19
	v_fma_f32 v37, -v7, v81, v123
	v_fma_f32 v14, -v5, v14, v55
	;; [unrolled: 1-line block ×6, first 2 shown]
	v_mov_b32_e32 v130, s10
	v_fma_f32 v13, -v4, v13, v14
	v_fma_f32 v12, -v11, v70, v12
	v_mul_f32_e32 v9, v115, v8
	v_fma_f32 v8, -v6, v80, v37
	v_fma_f32 v37, -v4, v48, v45
	v_mov_b32_e32 v45, s7
	v_fma_f32 v14, -v10, v62, v40
	v_fma_f32 v13, -v11, v16, v13
	;; [unrolled: 1-line block ×8, first 2 shown]
	ds_load_2addr_b32 v[53:54], v118 offset1:1
	s_waitcnt lgkmcnt(5)
	v_dual_mul_f32 v93, v27, v93 :: v_dual_mul_f32 v8, v64, v14
	v_fma_f32 v14, -v26, v59, v19
	v_fma_f32 v15, -v4, v49, v16
	;; [unrolled: 1-line block ×6, first 2 shown]
	v_mov_b32_e32 v132, s18
	ds_load_2addr_b32 v[43:44], v125 offset1:1
	ds_load_2addr_b32 v[84:85], v126 offset1:1
	;; [unrolled: 1-line block ×7, first 2 shown]
	ds_load_b32 v109, v131
	v_fma_f32 v36, v36, s15, -v93
	v_fma_f32 v19, -v11, v73, v15
	v_mul_f32_e32 v15, v68, v12
	v_fma_f32 v16, -v9, v51, v16
	v_fma_f32 v13, -v8, v38, v13
	;; [unrolled: 1-line block ×4, first 2 shown]
	s_add_i32 s10, s4, 0xfffff724
	v_fma_f32 v16, -v8, v57, v16
	v_fma_f32 v13, -v15, v79, v13
	;; [unrolled: 1-line block ×3, first 2 shown]
	s_waitcnt lgkmcnt(8)
	v_fma_f32 v12, -v25, v54, v12
	v_mov_b32_e32 v38, s5
	v_fma_f32 v16, -v15, v56, v16
	v_mul_f32_e32 v14, v78, v13
	v_fma_f32 v13, -v6, v83, v36
	ds_load_2addr_b32 v[36:37], v132 offset1:1
	ds_load_2addr_b32 v[38:39], v38 offset1:1
	v_fma_f32 v12, -v24, v53, v12
	v_fma_f32 v16, -v14, v75, v16
	;; [unrolled: 1-line block ×4, first 2 shown]
	s_add_i32 s5, s4, 0xfffff798
	s_waitcnt lgkmcnt(9)
	v_fma_f32 v12, -v7, v44, v12
	s_waitcnt lgkmcnt(2)
	v_dual_mul_f32 v13, v74, v16 :: v_dual_mul_f32 v16, v27, v109
	v_fma_f32 v19, -v9, v77, v19
	s_add_i32 s7, s4, 0xfffff780
	v_fma_f32 v12, -v6, v43, v12
	v_mov_b32_e32 v43, s5
	v_fma_f32 v16, v35, s15, -v16
	v_fma_f32 v35, -v4, v95, v40
	s_add_i32 s5, s4, 0xfffff73c
	v_fma_f32 v12, -v5, v85, v12
	ds_load_2addr_b32 v[43:44], v43 offset1:1
	ds_load_2addr_b32 v[45:46], v45 offset1:1
	v_fma_f32 v19, -v8, v76, v19
	s_waitcnt lgkmcnt(3)
	v_fma_f32 v16, -v26, v37, v16
	v_fma_f32 v35, -v11, v94, v35
	;; [unrolled: 1-line block ×3, first 2 shown]
	s_add_i32 s11, s4, 0xfffff5f0
	v_fma_f32 v19, -v15, v87, v19
	v_fma_f32 v16, -v25, v36, v16
	v_mov_b32_e32 v36, s5
	v_fma_f32 v37, -v10, v97, v35
	v_fma_f32 v12, -v11, v101, v12
	;; [unrolled: 1-line block ×3, first 2 shown]
	s_waitcnt lgkmcnt(2)
	v_fma_f32 v16, -v24, v39, v16
	ds_load_2addr_b32 v[35:36], v36 offset1:1
	v_fma_f32 v37, -v9, v96, v37
	s_add_i32 s5, s3, 0xfffff764
	v_fma_f32 v12, -v10, v100, v12
	v_mov_b32_e32 v40, s5
	v_fma_f32 v16, -v7, v38, v16
	s_add_i32 s5, s4, 0xfffff734
	v_fma_f32 v47, -v13, v18, v19
	v_mov_b32_e32 v19, s5
	v_fma_f32 v18, -v8, v99, v37
	v_fma_f32 v12, -v9, v103, v12
	s_waitcnt lgkmcnt(2)
	v_fma_f32 v16, -v6, v44, v16
	ds_load_2addr_b32 v[39:40], v40 offset1:1
	s_add_i32 s5, s4, 0xfffff72c
	v_fma_f32 v37, -v15, v98, v18
	ds_load_2addr_b32 v[18:19], v19 offset1:1
	v_fma_f32 v12, -v8, v102, v12
	v_fma_f32 v16, -v5, v43, v16
	v_mov_b32_e32 v38, s5
	s_add_i32 s5, s4, 0xfffff788
	s_waitcnt lgkmcnt(2)
	v_mul_f32_e32 v36, v27, v36
	v_fma_f32 v43, -v15, v61, v12
	v_fma_f32 v16, -v4, v46, v16
	v_mul_f32_e32 v12, v17, v47
	s_delay_alu instid0(VALU_DEP_4) | instskip(SKIP_3) | instid1(VALU_DEP_3)
	v_fma_f32 v17, v34, s15, -v36
	v_mov_b32_e32 v34, s7
	s_add_i32 s7, s4, 0xfffff770
	v_fma_f32 v36, -v11, v45, v16
	v_fma_f32 v16, -v26, v35, v17
	v_mov_b32_e32 v17, s5
	v_fma_f32 v50, -v14, v60, v43
	v_mov_b32_e32 v43, s7
	s_add_i32 s7, s4, 0xfffff70c
	v_fma_f32 v42, -v14, v42, v37
	v_mov_b32_e32 v51, s7
	ds_load_2addr_b32 v[37:38], v38 offset1:1
	s_waitcnt lgkmcnt(1)
	v_fma_f32 v19, -v25, v19, v16
	v_mov_b32_e32 v35, s10
	ds_load_2addr_b32 v[16:17], v17 offset1:1
	s_add_i32 s5, s4, 0xfffff778
	v_fma_f32 v49, -v13, v41, v42
	v_fma_f32 v45, -v24, v18, v19
	ds_load_2addr_b32 v[18:19], v35 offset1:1
	v_mov_b32_e32 v41, s5
	s_add_i32 s5, s4, 0xfffff71c
	s_add_i32 s10, s4, 0xfffff6b0
	s_delay_alu instid0(SALU_CYCLE_1)
	v_dual_mov_b32 v46, s5 :: v_dual_mov_b32 v53, s10
	s_add_i32 s5, s4, 0xfffff6d0
	ds_load_2addr_b32 v[34:35], v34 offset1:1
	ds_load_2addr_b32 v[41:42], v41 offset1:1
	;; [unrolled: 1-line block ×3, first 2 shown]
	v_mov_b32_e32 v47, s5
	s_add_i32 s5, s4, 0xfffff714
	s_add_i32 s7, s4, 0xfffff6b8
	v_mov_b32_e32 v48, s5
	s_add_i32 s5, s4, 0xfffff6c8
	s_waitcnt lgkmcnt(5)
	v_fma_f32 v38, -v7, v38, v45
	ds_load_2addr_b32 v[45:46], v46 offset1:1
	ds_load_b32 v52, v47
	s_waitcnt lgkmcnt(6)
	v_fma_f32 v17, -v10, v17, v36
	s_add_i32 s10, s4, 0xfffff690
	v_fma_f32 v38, -v6, v37, v38
	ds_load_2addr_b32 v[36:37], v48 offset1:1
	ds_load_2addr_b32 v[47:48], v51 offset1:1
	v_mov_b32_e32 v51, s5
	s_add_i32 s5, s4, 0xfffff6c0
	s_waitcnt lgkmcnt(7)
	v_fma_f32 v19, -v5, v19, v38
	v_fma_f32 v38, -v12, v91, v49
	;; [unrolled: 1-line block ×4, first 2 shown]
	ds_load_2addr_b32 v[16:17], v51 offset1:1
	v_fma_f32 v18, -v4, v18, v19
	v_mul_f32_e32 v19, v90, v38
	v_fma_f32 v38, -v12, v104, v49
	s_waitcnt lgkmcnt(7)
	v_fma_f32 v35, -v8, v35, v50
	s_waitcnt lgkmcnt(4)
	v_fma_f32 v18, -v11, v46, v18
	v_mov_b32_e32 v46, s5
	s_add_i32 s5, s4, 0xfffff704
	s_delay_alu instid0(SALU_CYCLE_1)
	v_mov_b32_e32 v55, s5
	s_add_i32 s5, s4, 0xfffff6fc
	ds_load_2addr_b32 v[49:50], v46 offset1:1
	s_waitcnt lgkmcnt(4)
	v_mul_f32_e32 v51, v27, v52
	v_fma_f32 v18, -v10, v45, v18
	s_delay_alu instid0(VALU_DEP_2) | instskip(SKIP_1) | instid1(VALU_DEP_2)
	v_fma_f32 v23, v23, s15, -v51
	s_waitcnt lgkmcnt(3)
	v_fma_f32 v18, -v9, v37, v18
	v_fma_f32 v37, -v15, v34, v35
	s_waitcnt lgkmcnt(1)
	v_fma_f32 v17, -v26, v17, v23
	v_mov_b32_e32 v23, s5
	s_add_i32 s5, s4, 0xfffff65c
	s_delay_alu instid0(SALU_CYCLE_1) | instskip(NEXT) | instid1(VALU_DEP_3)
	v_dual_mov_b32 v46, s7 :: v_dual_mov_b32 v35, s5
	v_fma_f32 v57, -v25, v16, v17
	ds_load_2addr_b32 v[51:52], v46 offset1:1
	ds_load_2addr_b32 v[53:54], v53 offset1:1
	s_add_i32 s7, s3, 0xfffff6f0
	s_waitcnt lgkmcnt(2)
	v_fma_f32 v34, -v24, v50, v57
	v_mov_b32_e32 v56, s7
	ds_load_2addr_b32 v[16:17], v55 offset1:1
	ds_load_2addr_b32 v[45:46], v23 offset1:1
	;; [unrolled: 1-line block ×3, first 2 shown]
	v_fma_f32 v18, -v8, v36, v18
	v_fma_f32 v36, -v7, v49, v34
	ds_load_2addr_b32 v[34:35], v35 offset1:1
	s_add_i32 s5, s4, 0xfffff688
	v_fma_f32 v23, -v19, v107, v38
	v_fma_f32 v42, -v14, v42, v37
	s_add_i32 s7, s4, 0xfffff654
	v_mov_b32_e32 v38, s5
	s_add_i32 s5, s3, 0xfffff67c
	v_fma_f32 v50, -v15, v48, v18
	v_mov_b32_e32 v49, s5
	s_add_i32 s5, s4, 0xfffff6a8
	s_waitcnt lgkmcnt(5)
	v_fma_f32 v52, -v6, v52, v36
	v_mul_f32_e32 v18, v106, v23
	v_fma_f32 v23, -v13, v41, v42
	v_mov_b32_e32 v42, s5
	ds_load_2addr_b32 v[36:37], v38 offset1:1
	ds_load_2addr_b32 v[48:49], v49 offset1:1
	v_fma_f32 v41, -v5, v51, v52
	v_fma_f32 v38, -v14, v47, v50
	v_mov_b32_e32 v47, s7
	v_fma_f32 v44, -v12, v44, v23
	s_add_i32 s5, s4, 0xfffff6a0
	s_waitcnt lgkmcnt(2)
	v_mul_f32_e32 v35, v27, v35
	v_fma_f32 v23, -v4, v54, v41
	ds_load_2addr_b32 v[41:42], v42 offset1:1
	ds_load_2addr_b32 v[50:51], v47 offset1:1
	s_add_i32 s7, s4, 0xfffff64c
	v_fma_f32 v17, -v13, v17, v38
	v_mov_b32_e32 v47, s5
	v_fma_f32 v38, -v11, v53, v23
	s_add_i32 s5, s4, 0xfffff698
	v_fma_f32 v22, v22, s15, -v35
	v_dual_mov_b32 v23, s7 :: v_dual_mov_b32 v52, s5
	s_add_i32 s5, s4, 0xfffff644
	v_mov_b32_e32 v54, s10
	s_delay_alu instid0(VALU_DEP_3)
	v_fma_f32 v59, -v26, v34, v22
	ds_load_2addr_b32 v[22:23], v23 offset1:1
	v_mov_b32_e32 v60, s5
	s_add_i32 s5, s4, 0xfffff63c
	ds_load_2addr_b32 v[34:35], v47 offset1:1
	ds_load_2addr_b32 v[52:53], v52 offset1:1
	;; [unrolled: 1-line block ×3, first 2 shown]
	v_mov_b32_e32 v61, s5
	s_add_i32 s10, s3, 0xfffff608
	s_add_i32 s7, s4, 0xfffff634
	s_waitcnt lgkmcnt(5)
	v_fma_f32 v38, -v10, v42, v38
	s_waitcnt lgkmcnt(4)
	v_fma_f32 v42, -v25, v51, v59
	ds_load_2addr_b32 v[59:60], v60 offset1:1
	v_dual_mov_b32 v47, s10 :: v_dual_mov_b32 v54, s11
	v_mov_b32_e32 v63, s7
	v_fma_f32 v42, -v24, v50, v42
	ds_load_2addr_b32 v[50:51], v47 offset1:1
	ds_load_b32 v47, v54
	ds_load_2addr_b32 v[61:62], v61 offset1:1
	ds_load_2addr_b32 v[63:64], v63 offset1:1
	s_add_i32 s5, s4, 0xfffff5e8
	v_fma_f32 v38, -v9, v41, v38
	v_mov_b32_e32 v41, s5
	s_add_i32 s5, s4, 0xfffff5e0
	s_waitcnt lgkmcnt(8)
	v_fma_f32 v23, -v7, v23, v42
	v_fma_f32 v42, -v19, v43, v44
	;; [unrolled: 1-line block ×3, first 2 shown]
	s_waitcnt lgkmcnt(7)
	v_fma_f32 v17, -v8, v35, v38
	v_mov_b32_e32 v38, s5
	v_fma_f32 v43, -v6, v22, v23
	ds_load_2addr_b32 v[22:23], v41 offset1:1
	v_fma_f32 v40, -v18, v40, v42
	s_add_i32 s7, s4, 0xfffff624
	v_fma_f32 v41, -v15, v34, v17
	s_waitcnt lgkmcnt(5)
	v_fma_f32 v35, -v5, v60, v43
	v_mov_b32_e32 v44, s7
	s_add_i32 s7, s4, 0xfffff5c0
	s_add_i32 s5, s4, 0xfffff5d8
	v_mul_f32_e32 v17, v39, v40
	v_fma_f32 v42, -v4, v59, v35
	ds_load_2addr_b32 v[34:35], v38 offset1:1
	s_waitcnt lgkmcnt(4)
	v_dual_mul_f32 v38, v27, v47 :: v_dual_mov_b32 v43, s7
	v_fma_f32 v39, -v14, v53, v41
	s_waitcnt lgkmcnt(3)
	v_fma_f32 v40, -v11, v62, v42
	v_fma_f32 v16, -v19, v46, v16
	v_fma_f32 v21, v21, s15, -v38
	v_mov_b32_e32 v38, s5
	v_fma_f32 v46, -v13, v52, v39
	v_fma_f32 v40, -v10, v61, v40
	s_add_i32 s5, s4, 0xfffff62c
	s_waitcnt lgkmcnt(1)
	v_fma_f32 v21, -v26, v23, v21
	ds_load_2addr_b32 v[38:39], v38 offset1:1
	v_fma_f32 v16, -v18, v45, v16
	v_fma_f32 v23, -v9, v64, v40
	v_mov_b32_e32 v40, s5
	s_add_i32 s5, s4, 0xfffff5d0
	v_fma_f32 v41, -v25, v22, v21
	v_mov_b32_e32 v42, s5
	s_add_i32 s5, s4, 0xfffff5c8
	ds_load_2addr_b32 v[21:22], v40 offset1:1
	s_add_i32 s7, s4, 0xfffff614
	s_waitcnt lgkmcnt(2)
	v_fma_f32 v35, -v24, v35, v41
	ds_load_2addr_b32 v[40:41], v42 offset1:1
	v_mov_b32_e32 v42, s5
	s_add_i32 s5, s4, 0xfffff61c
	v_fma_f32 v23, -v8, v63, v23
	v_fma_f32 v45, -v7, v34, v35
	ds_load_2addr_b32 v[34:35], v42 offset1:1
	ds_load_2addr_b32 v[42:43], v43 offset1:1
	v_mov_b32_e32 v47, s5
	v_fma_f32 v53, -v12, v58, v46
	s_waitcnt lgkmcnt(4)
	v_fma_f32 v39, -v6, v39, v45
	ds_load_2addr_b32 v[44:45], v44 offset1:1
	v_mov_b32_e32 v52, s7
	s_add_i32 s5, s4, 0xfffff57c
	v_fma_f32 v16, -v17, v56, v16
	v_fma_f32 v54, -v5, v38, v39
	ds_load_2addr_b32 v[38:39], v47 offset1:1
	ds_load_2addr_b32 v[46:47], v52 offset1:1
	v_fma_f32 v52, -v19, v57, v53
	s_waitcnt lgkmcnt(6)
	v_fma_f32 v22, -v15, v22, v23
	v_mul_f32_e32 v16, v55, v16
	s_add_i32 s7, s4, 0xfffff5a0
	s_waitcnt lgkmcnt(5)
	v_fma_f32 v23, -v4, v41, v54
	v_mov_b32_e32 v41, s5
	v_fma_f32 v54, -v14, v21, v22
	v_fma_f32 v37, -v18, v37, v52
	s_add_i32 s5, s3, 0xfffff594
	v_fma_f32 v23, -v11, v40, v23
	ds_load_2addr_b32 v[21:22], v41 offset1:1
	v_mov_b32_e32 v53, s5
	s_add_i32 s5, s4, 0xfffff574
	s_add_i32 s10, s4, 0xfffff4e0
	s_waitcnt lgkmcnt(3)
	v_fma_f32 v45, -v13, v45, v54
	v_fma_f32 v23, -v10, v35, v23
	v_fma_f32 v35, -v17, v36, v37
	v_mov_b32_e32 v37, s5
	s_add_i32 s5, s4, 0xfffff56c
	v_fma_f32 v36, -v12, v44, v45
	v_fma_f32 v23, -v9, v34, v23
	;; [unrolled: 1-line block ×3, first 2 shown]
	v_mov_b32_e32 v45, s5
	s_add_i32 s5, s4, 0xfffff5b8
	s_waitcnt lgkmcnt(2)
	v_fma_f32 v39, -v19, v39, v36
	v_fma_f32 v43, -v8, v43, v23
	v_dual_mul_f32 v23, v48, v44 :: v_dual_mov_b32 v44, s5
	s_add_i32 s5, s4, 0xfffff5b0
	s_delay_alu instid0(VALU_DEP_3)
	v_fma_f32 v58, -v18, v38, v39
	v_mov_b32_e32 v48, s7
	s_add_i32 s7, s4, 0xfffff510
	ds_load_2addr_b32 v[38:39], v44 offset1:1
	ds_load_2addr_b32 v[34:35], v37 offset1:1
	s_waitcnt lgkmcnt(2)
	v_mul_f32_e32 v22, v27, v22
	v_fma_f32 v56, -v15, v42, v43
	v_mov_b32_e32 v42, s7
	ds_load_2addr_b32 v[40:41], v53 offset1:1
	ds_load_2addr_b32 v[36:37], v45 offset1:1
	v_fma_f32 v20, v20, s15, -v22
	v_mov_b32_e32 v22, s5
	s_add_i32 s5, s4, 0xfffff5a8
	v_fma_f32 v47, -v17, v47, v58
	v_mov_b32_e32 v44, s5
	v_fma_f32 v20, -v26, v21, v20
	s_add_i32 s5, s4, 0xfffff564
	s_add_i32 s7, s4, 0xfffff4e8
	v_mov_b32_e32 v21, s5
	s_add_i32 s5, s3, 0xfffff520
	v_fma_f32 v58, -v16, v46, v47
	s_waitcnt lgkmcnt(3)
	v_fma_f32 v39, -v14, v39, v56
	s_waitcnt lgkmcnt(2)
	v_fma_f32 v20, -v25, v35, v20
	v_mov_b32_e32 v35, s5
	s_add_i32 s5, s4, 0xfffff55c
	v_fma_f32 v38, -v13, v38, v39
	s_delay_alu instid0(VALU_DEP_3)
	v_fma_f32 v52, -v24, v34, v20
	ds_load_2addr_b32 v[20:21], v21 offset1:1
	ds_load_2addr_b32 v[34:35], v35 offset1:1
	ds_load_b32 v59, v42
	ds_load_2addr_b32 v[42:43], v22 offset1:1
	ds_load_2addr_b32 v[44:45], v44 offset1:1
	;; [unrolled: 1-line block ×3, first 2 shown]
	v_mov_b32_e32 v22, s5
	s_add_i32 s5, s4, 0xfffff508
	s_waitcnt lgkmcnt(6)
	v_fma_f32 v37, -v7, v37, v52
	v_mov_b32_e32 v54, s5
	s_add_i32 s5, s4, 0xfffff554
	ds_load_2addr_b32 v[52:53], v22 offset1:1
	v_fma_f32 v60, -v6, v36, v37
	ds_load_2addr_b32 v[54:55], v54 offset1:1
	v_mov_b32_e32 v22, s5
	s_add_i32 s5, s4, 0xfffff54c
	s_delay_alu instid0(SALU_CYCLE_1) | instskip(SKIP_1) | instid1(SALU_CYCLE_1)
	v_mov_b32_e32 v57, s5
	s_add_i32 s5, s4, 0xfffff500
	v_mov_b32_e32 v61, s5
	s_add_i32 s5, s4, 0xfffff4f8
	s_waitcnt lgkmcnt(4)
	v_fma_f32 v43, -v12, v43, v38
	v_mul_f32_e32 v59, v27, v59
	v_mov_b32_e32 v39, s5
	s_add_i32 s5, s4, 0xfffff4f0
	v_fma_f32 v60, -v5, v21, v60
	v_fma_f32 v42, -v19, v42, v43
	v_mov_b32_e32 v43, s5
	s_add_i32 s5, s4, 0xfffff544
	s_waitcnt vmcnt(0)
	v_fma_f32 v3, v3, s15, -v59
	v_fma_f32 v20, -v4, v20, v60
	s_waitcnt lgkmcnt(3)
	v_fma_f32 v59, -v18, v45, v42
	v_mov_b32_e32 v45, s5
	ds_load_2addr_b32 v[36:37], v22 offset1:1
	ds_load_2addr_b32 v[56:57], v57 offset1:1
	;; [unrolled: 1-line block ×4, first 2 shown]
	s_waitcnt lgkmcnt(4)
	v_fma_f32 v3, -v26, v55, v3
	ds_load_2addr_b32 v[38:39], v39 offset1:1
	v_fma_f32 v20, -v11, v53, v20
	s_add_i32 s5, s4, 0xfffff53c
	v_fma_f32 v44, -v17, v44, v59
	v_fma_f32 v3, -v25, v54, v3
	s_delay_alu instid0(VALU_DEP_3) | instskip(SKIP_1) | instid1(VALU_DEP_1)
	v_fma_f32 v20, -v10, v52, v20
	s_waitcnt lgkmcnt(4)
	v_fma_f32 v20, -v9, v37, v20
	v_mov_b32_e32 v37, s10
	s_waitcnt lgkmcnt(2)
	v_fma_f32 v3, -v24, v22, v3
	v_mov_b32_e32 v22, s7
	s_add_i32 s7, s4, 0xfffff52c
	v_fma_f32 v47, -v8, v36, v20
	v_mov_b32_e32 v54, s7
	v_fma_f32 v3, -v7, v21, v3
	s_add_i32 s7, s4, 0xfffff4b8
	s_add_i32 s10, s4, 0xfffff410
	s_waitcnt lgkmcnt(0)
	s_delay_alu instid0(VALU_DEP_1)
	v_fma_f32 v3, -v6, v39, v3
	v_mov_b32_e32 v39, s5
	ds_load_2addr_b32 v[20:21], v22 offset1:1
	ds_load_2addr_b32 v[36:37], v37 offset1:1
	s_add_i32 s5, s4, 0xfffff534
	v_fma_f32 v22, -v15, v57, v47
	v_fma_f32 v3, -v5, v38, v3
	v_mov_b32_e32 v47, s5
	s_add_i32 s5, s4, 0xfffff49c
	ds_load_2addr_b32 v[45:46], v45 offset1:1
	ds_load_2addr_b32 v[38:39], v39 offset1:1
	;; [unrolled: 1-line block ×4, first 2 shown]
	v_fma_f32 v3, -v4, v43, v3
	v_mov_b32_e32 v47, s7
	v_fma_f32 v22, -v14, v56, v22
	s_add_i32 s7, s4, 0xfffff4d0
	s_delay_alu instid0(VALU_DEP_3) | instskip(SKIP_2) | instid1(SALU_CYCLE_1)
	v_fma_f32 v3, -v11, v42, v3
	v_mov_b32_e32 v42, s5
	s_add_i32 s5, s3, 0xfffff4ac
	v_mov_b32_e32 v56, s5
	s_waitcnt lgkmcnt(5)
	v_fma_f32 v3, -v10, v21, v3
	ds_load_2addr_b32 v[42:43], v42 offset1:1
	s_add_i32 s5, s4, 0xfffff494
	v_fma_f32 v21, -v23, v51, v58
	v_fma_f32 v51, -v16, v49, v44
	;; [unrolled: 1-line block ×3, first 2 shown]
	v_mov_b32_e32 v20, s5
	s_waitcnt lgkmcnt(4)
	v_fma_f32 v22, -v13, v46, v22
	s_add_i32 s5, s4, 0xfffff4d8
	v_fma_f32 v48, -v23, v48, v51
	v_fma_f32 v37, -v8, v37, v3
	v_mov_b32_e32 v3, s5
	ds_load_2addr_b32 v[46:47], v47 offset1:1
	ds_load_2addr_b32 v[56:57], v56 offset1:1
	v_fma_f32 v45, -v12, v45, v22
	v_mul_f32_e32 v22, v50, v21
	s_add_i32 s5, s4, 0xfffff48c
	v_fma_f32 v60, -v15, v36, v37
	v_mov_b32_e32 v50, s5
	s_waitcnt lgkmcnt(5)
	v_fma_f32 v39, -v19, v39, v45
	v_mov_b32_e32 v45, s7
	s_add_i32 s5, s4, 0xfffff4c8
	s_waitcnt lgkmcnt(2)
	v_mul_f32_e32 v49, v27, v43
	ds_load_2addr_b32 v[20:21], v20 offset1:1
	ds_load_2addr_b32 v[43:44], v3 offset1:1
	s_add_i32 s7, s4, 0xfffff4c0
	v_fma_f32 v41, -v22, v41, v48
	v_fma_f32 v49, v2, s15, -v49
	ds_load_2addr_b32 v[2:3], v50 offset1:1
	v_mov_b32_e32 v58, s7
	s_add_i32 s7, s4, 0xfffff474
	s_delay_alu instid0(SALU_CYCLE_1)
	v_dual_mov_b32 v50, s5 :: v_dual_mov_b32 v61, s7
	v_fma_f32 v42, -v26, v42, v49
	s_add_i32 s5, s4, 0xfffff484
	s_add_i32 s7, s4, 0xfffff444
	v_fma_f32 v38, -v18, v38, v39
	v_mov_b32_e32 v63, s7
	ds_load_2addr_b32 v[36:37], v45 offset1:1
	ds_load_2addr_b32 v[49:50], v50 offset1:1
	;; [unrolled: 1-line block ×3, first 2 shown]
	s_add_i32 s7, s4, 0xfffff430
	s_delay_alu instid0(SALU_CYCLE_1)
	v_mov_b32_e32 v66, s7
	s_add_i32 s7, s4, 0xfffff418
	s_waitcnt lgkmcnt(5)
	v_fma_f32 v21, -v25, v21, v42
	v_mov_b32_e32 v42, s5
	s_add_i32 s5, s4, 0xfffff47c
	s_delay_alu instid0(SALU_CYCLE_1) | instskip(NEXT) | instid1(VALU_DEP_3)
	v_mov_b32_e32 v45, s5
	v_fma_f32 v62, -v24, v20, v21
	ds_load_2addr_b32 v[20:21], v42 offset1:1
	s_waitcnt lgkmcnt(5)
	v_fma_f32 v42, -v14, v44, v60
	ds_load_2addr_b32 v[44:45], v45 offset1:1
	ds_load_2addr_b32 v[60:61], v61 offset1:1
	s_waitcnt lgkmcnt(6)
	v_fma_f32 v3, -v7, v3, v62
	s_add_i32 s5, s4, 0xfffff44c
	v_fma_f32 v39, -v13, v43, v42
	v_fma_f32 v43, -v17, v53, v38
	v_mov_b32_e32 v62, s5
	v_fma_f32 v67, -v6, v2, v3
	s_add_i32 s5, s3, 0xfffff438
	s_waitcnt lgkmcnt(5)
	v_fma_f32 v39, -v12, v37, v39
	v_mov_b32_e32 v64, s5
	s_add_i32 s5, s4, 0xfffff428
	s_delay_alu instid0(VALU_DEP_2) | instskip(SKIP_2) | instid1(VALU_DEP_1)
	v_fma_f32 v36, -v19, v36, v39
	s_waitcnt lgkmcnt(2)
	v_fma_f32 v21, -v5, v21, v67
	v_fma_f32 v20, -v4, v20, v21
	v_mul_f32_e32 v21, v40, v41
	s_waitcnt lgkmcnt(1)
	s_delay_alu instid0(VALU_DEP_2)
	v_fma_f32 v20, -v11, v45, v20
	v_fma_f32 v45, -v16, v52, v43
	v_mov_b32_e32 v43, s10
	s_add_i32 s10, s4, 0xfffff3a4
	v_mov_b32_e32 v42, s5
	s_add_i32 s5, s4, 0xfffff420
	v_fma_f32 v20, -v10, v44, v20
	v_mov_b32_e32 v39, s5
	ds_load_2addr_b32 v[2:3], v62 offset1:1
	ds_load_2addr_b32 v[62:63], v63 offset1:1
	ds_load_2addr_b32 v[64:65], v64 offset1:1
	ds_load_b32 v66, v66
	ds_load_2addr_b32 v[37:38], v42 offset1:1
	s_add_i32 s5, s4, 0xfffff46c
	v_fma_f32 v55, -v23, v55, v45
	ds_load_2addr_b32 v[39:40], v39 offset1:1
	v_mov_b32_e32 v42, s7
	v_mov_b32_e32 v48, s5
	s_add_i32 s5, s3, 0xfffff3c4
	s_add_i32 s7, s4, 0xfffff3bc
	v_fma_f32 v45, -v18, v50, v36
	v_mov_b32_e32 v36, s5
	s_add_i32 s5, s4, 0xfffff464
	s_waitcnt lgkmcnt(6)
	v_fma_f32 v20, -v9, v61, v20
	s_addk_i32 s3, 0xf350
	v_fma_f32 v70, -v17, v49, v45
	s_delay_alu instid0(VALU_DEP_2) | instskip(SKIP_2) | instid1(VALU_DEP_1)
	v_fma_f32 v20, -v8, v60, v20
	s_waitcnt lgkmcnt(2)
	v_mul_f32_e32 v41, v27, v66
	v_fma_f32 v1, v1, s15, -v41
	ds_load_2addr_b32 v[41:42], v42 offset1:1
	ds_load_2addr_b32 v[43:44], v43 offset1:1
	;; [unrolled: 1-line block ×3, first 2 shown]
	s_waitcnt lgkmcnt(4)
	v_fma_f32 v1, -v26, v38, v1
	v_mov_b32_e32 v38, s7
	s_add_i32 s7, s4, 0xfffff454
	s_delay_alu instid0(SALU_CYCLE_1) | instskip(NEXT) | instid1(VALU_DEP_3)
	v_mov_b32_e32 v66, s7
	v_fma_f32 v1, -v25, v37, v1
	ds_load_2addr_b32 v[36:37], v36 offset1:1
	ds_load_2addr_b32 v[52:53], v38 offset1:1
	s_add_i32 s7, s4, 0xfffff3f8
	s_waitcnt lgkmcnt(5)
	v_fma_f32 v1, -v24, v40, v1
	v_mov_b32_e32 v40, s5
	s_add_i32 s5, s4, 0xfffff45c
	s_delay_alu instid0(SALU_CYCLE_1) | instskip(NEXT) | instid1(VALU_DEP_3)
	v_mov_b32_e32 v48, s5
	v_fma_f32 v1, -v7, v39, v1
	s_add_i32 s5, s4, 0xfffff3b4
	ds_load_2addr_b32 v[38:39], v40 offset1:1
	ds_load_2addr_b32 v[60:61], v48 offset1:1
	;; [unrolled: 1-line block ×3, first 2 shown]
	s_waitcnt lgkmcnt(5)
	v_fma_f32 v20, -v15, v51, v20
	v_fma_f32 v1, -v6, v42, v1
	v_mov_b32_e32 v42, s5
	s_add_i32 s5, s4, 0xfffff3ac
	s_delay_alu instid0(SALU_CYCLE_1) | instskip(NEXT) | instid1(VALU_DEP_3)
	v_mov_b32_e32 v48, s5
	v_fma_f32 v1, -v5, v41, v1
	ds_load_2addr_b32 v[40:41], v42 offset1:1
	s_add_i32 s5, s4, 0xfffff408
	v_fma_f32 v20, -v14, v50, v20
	ds_load_2addr_b32 v[68:69], v48 offset1:1
	s_waitcnt lgkmcnt(5)
	v_mul_f32_e32 v48, v27, v53
	v_mov_b32_e32 v42, s5
	v_fma_f32 v1, -v4, v44, v1
	s_add_i32 s5, s4, 0xfffff400
	s_delay_alu instid0(VALU_DEP_3)
	v_fma_f32 v0, v0, s15, -v48
	ds_load_2addr_b32 v[44:45], v42 offset1:1
	v_fma_f32 v43, -v11, v43, v1
	v_dual_mov_b32 v1, s10 :: v_dual_mov_b32 v48, s7
	v_fma_f32 v0, -v26, v52, v0
	s_add_i32 s7, s4, 0xfffff38c
	s_waitcnt lgkmcnt(5)
	v_fma_f32 v20, -v13, v39, v20
	s_waitcnt lgkmcnt(2)
	v_fma_f32 v49, -v25, v41, v0
	ds_load_2addr_b32 v[0:1], v1 offset1:1
	v_mov_b32_e32 v42, s5
	s_add_i32 s5, s4, 0xfffff3f0
	v_fma_f32 v20, -v12, v38, v20
	v_mov_b32_e32 v50, s5
	s_add_i32 s5, s4, 0xfffff39c
	ds_load_2addr_b32 v[41:42], v42 offset1:1
	v_fma_f32 v40, -v24, v40, v49
	v_mov_b32_e32 v52, s5
	ds_load_2addr_b32 v[48:49], v48 offset1:1
	ds_load_2addr_b32 v[50:51], v50 offset1:1
	s_add_i32 s5, s4, 0xfffff394
	s_waitcnt lgkmcnt(4)
	v_fma_f32 v43, -v10, v45, v43
	v_fma_f32 v40, -v7, v69, v40
	ds_load_2addr_b32 v[52:53], v52 offset1:1
	v_mov_b32_e32 v45, s5
	v_mov_b32_e32 v69, s7
	v_fma_f32 v71, -v9, v44, v43
	v_fma_f32 v68, -v6, v68, v40
	ds_load_2addr_b32 v[39:40], v45 offset1:1
	ds_load_2addr_b32 v[43:44], v69 offset1:1
	v_fma_f32 v45, -v16, v59, v70
	v_fma_f32 v38, -v22, v54, v55
	s_waitcnt lgkmcnt(6)
	v_fma_f32 v1, -v5, v1, v68
	s_add_i32 s5, s4, 0xfffff384
	s_add_i32 s7, s4, 0xfffff3e0
	v_fma_f32 v20, -v19, v61, v20
	s_waitcnt lgkmcnt(5)
	v_fma_f32 v42, -v8, v42, v71
	v_fma_f32 v0, -v4, v0, v1
	;; [unrolled: 1-line block ×4, first 2 shown]
	v_mov_b32_e32 v38, s5
	v_fma_f32 v41, -v15, v41, v42
	s_add_i32 s5, s4, 0xfffff3e8
	s_waitcnt lgkmcnt(2)
	v_fma_f32 v0, -v11, v53, v0
	v_fma_f32 v53, -v22, v47, v1
	v_mov_b32_e32 v42, s7
	v_fma_f32 v1, -v14, v49, v41
	s_add_i32 s7, s4, 0xfffff36c
	v_fma_f32 v0, -v10, v52, v0
	v_fma_f32 v20, -v18, v60, v20
	s_delay_alu instid0(VALU_DEP_3)
	v_fma_f32 v41, -v13, v48, v1
	v_mov_b32_e32 v48, s7
	s_waitcnt lgkmcnt(1)
	v_fma_f32 v40, -v9, v40, v0
	ds_load_2addr_b32 v[0:1], v38 offset1:1
	v_mov_b32_e32 v38, s5
	s_add_i32 s5, s4, 0xfffff37c
	v_fma_f32 v49, -v12, v51, v41
	v_fma_f32 v45, -v8, v39, v40
	v_mov_b32_e32 v47, s5
	ds_load_2addr_b32 v[38:39], v38 offset1:1
	ds_load_2addr_b32 v[40:41], v42 offset1:1
	s_add_i32 s5, s4, 0xfffff374
	s_add_i32 s7, s4, 0xfffff3d0
	s_waitcnt lgkmcnt(3)
	v_fma_f32 v42, -v15, v44, v45
	ds_load_2addr_b32 v[44:45], v47 offset1:1
	v_mov_b32_e32 v47, s5
	s_add_i32 s5, s4, 0xfffff3d8
	v_fma_f32 v54, -v19, v50, v49
	v_fma_f32 v51, -v14, v43, v42
	ds_load_2addr_b32 v[42:43], v47 offset1:1
	ds_load_2addr_b32 v[47:48], v48 offset1:1
	v_mov_b32_e32 v52, s7
	v_fma_f32 v55, -v17, v67, v20
	v_mul_f32_e32 v20, v34, v35
	s_waitcnt lgkmcnt(5)
	v_fma_f32 v1, -v13, v1, v51
	v_mov_b32_e32 v51, s5
	s_add_i32 s5, s4, 0xfffff364
	v_fma_f32 v35, -v21, v46, v53
	s_addk_i32 s4, 0xf35c
	v_fma_f32 v58, -v12, v0, v1
	s_waitcnt lgkmcnt(4)
	v_fma_f32 v39, -v18, v39, v54
	ds_load_2addr_b32 v[0:1], v51 offset1:1
	ds_load_2addr_b32 v[49:50], v52 offset1:1
	s_waitcnt lgkmcnt(4)
	v_fma_f32 v34, -v19, v45, v58
	v_fma_f32 v45, -v16, v66, v55
	;; [unrolled: 1-line block ×3, first 2 shown]
	v_mov_b32_e32 v39, s5
	s_delay_alu instid0(VALU_DEP_4) | instskip(NEXT) | instid1(VALU_DEP_4)
	v_fma_f32 v34, -v18, v44, v34
	v_fma_f32 v3, -v23, v3, v45
	s_delay_alu instid0(VALU_DEP_4)
	v_fma_f32 v38, -v16, v41, v38
	v_fma_f32 v41, -v20, v57, v35
	s_waitcnt lgkmcnt(3)
	v_fma_f32 v43, -v17, v43, v34
	ds_load_2addr_b32 v[34:35], v39 offset1:1
	v_fma_f32 v2, -v22, v2, v3
	v_fma_f32 v38, -v23, v40, v38
	v_mov_b32_e32 v40, s4
	v_fma_f32 v39, -v16, v42, v43
	v_mul_f32_e32 v3, v56, v41
	v_fma_f32 v2, -v21, v63, v2
	s_waitcnt lgkmcnt(2)
	v_fma_f32 v1, -v22, v1, v38
	v_fma_f32 v41, -v23, v48, v39
	ds_load_2addr_b32 v[38:39], v40 offset1:1
	v_fma_f32 v2, -v20, v62, v2
	v_fma_f32 v0, -v21, v0, v1
	v_mov_b32_e32 v1, s3
	v_fma_f32 v42, -v22, v47, v41
	s_ashr_i32 s3, s2, 31
	v_fma_f32 v2, -v3, v65, v2
	s_waitcnt lgkmcnt(2)
	v_fma_f32 v0, -v20, v50, v0
	ds_load_2addr_b32 v[40:41], v1 offset1:1
	s_lshl_b64 s[4:5], s[2:3], 2
	s_waitcnt lgkmcnt(2)
	v_fma_f32 v1, -v21, v35, v42
	v_mul_f32_e32 v2, v64, v2
	v_fma_f32 v0, -v3, v49, v0
	s_delay_alu instid0(VALU_DEP_3) | instskip(NEXT) | instid1(VALU_DEP_2)
	v_fma_f32 v1, -v20, v34, v1
	v_fma_f32 v0, -v2, v37, v0
	s_waitcnt lgkmcnt(1)
	s_delay_alu instid0(VALU_DEP_2) | instskip(NEXT) | instid1(VALU_DEP_2)
	v_fma_f32 v34, -v3, v39, v1
	v_mul_f32_e32 v1, v36, v0
	s_delay_alu instid0(VALU_DEP_2) | instskip(SKIP_3) | instid1(VALU_DEP_3)
	v_fma_f32 v0, -v2, v38, v34
	v_add_co_u32 v34, vcc_lo, v28, s4
	v_add_co_ci_u32_e32 v35, vcc_lo, s5, v29, vcc_lo
	s_waitcnt lgkmcnt(0)
	v_fma_f32 v0, -v1, v41, v0
	s_sub_i32 s4, s2, 29
	s_clause 0x5
	global_store_b32 v[32:33], v27, off
	global_store_b96 v[34:35], v[24:26], off offset:-16
	global_store_b128 v[34:35], v[4:7], off offset:-32
	global_store_b128 v[34:35], v[8:11], off offset:-48
	global_store_b128 v[34:35], v[12:15], off offset:-64
	global_store_b128 v[34:35], v[16:19], off offset:-80
	v_mul_f32_e32 v0, v40, v0
	s_clause 0x1
	global_store_b128 v[34:35], v[20:23], off offset:-96
	global_store_b128 v[34:35], v[0:3], off offset:-112
.LBB34_14:
	s_cmp_gt_i32 s4, -1
	s_cbranch_scc0 .LBB34_33
; %bb.15:
	s_cmp_lt_u32 s4, 23
	s_cbranch_scc1 .LBB34_20
; %bb.16:
	s_mov_b32 s5, 0
	s_delay_alu instid0(SALU_CYCLE_1)
	s_lshl_b64 s[10:11], s[4:5], 2
	s_cmp_le_i32 s12, s4
	v_add_co_u32 v15, vcc_lo, v28, s10
	v_add_co_ci_u32_e32 v16, vcc_lo, s11, v29, vcc_lo
	s_clause 0x5
	global_load_b128 v[0:3], v[15:16], off offset:-12
	global_load_b128 v[4:7], v[15:16], off offset:-28
	;; [unrolled: 1-line block ×6, first 2 shown]
	s_waitcnt vmcnt(5)
	v_dual_mul_f32 v20, s15, v3 :: v_dual_mul_f32 v27, s15, v2
	v_dual_mul_f32 v14, s15, v1 :: v_dual_mul_f32 v13, s15, v0
	s_waitcnt vmcnt(4)
	v_dual_mul_f32 v12, s15, v7 :: v_dual_mul_f32 v3, s15, v6
	s_waitcnt vmcnt(3)
	v_dual_mul_f32 v2, s15, v5 :: v_dual_mul_f32 v25, s15, v11
	v_dual_mul_f32 v26, s15, v4 :: v_dual_mul_f32 v7, s15, v9
	s_waitcnt vmcnt(2)
	v_dual_mul_f32 v24, s15, v10 :: v_dual_mul_f32 v11, s15, v35
	v_dual_mul_f32 v6, s15, v8 :: v_dual_mul_f32 v5, s15, v34
	s_waitcnt vmcnt(1)
	v_dual_mul_f32 v4, s15, v33 :: v_dual_mul_f32 v23, s15, v39
	v_dual_mul_f32 v10, s15, v32 :: v_dual_mul_f32 v9, s15, v38
	s_waitcnt vmcnt(0)
	v_dual_mul_f32 v8, s15, v37 :: v_dual_mul_f32 v21, s15, v43
	v_dual_mul_f32 v22, s15, v36 :: v_dual_mul_f32 v19, s15, v42
	v_dual_mul_f32 v18, s15, v41 :: v_dual_mul_f32 v17, s15, v40
	s_cbranch_scc1 .LBB34_19
; %bb.17:
	s_mul_i32 s3, s4, 0x70
	s_lshl_b32 s5, s2, 2
	s_ashr_i32 s13, s12, 31
	s_add_i32 s3, s3, s5
	s_lshl_b64 s[10:11], s[12:13], 2
	s_addk_i32 s3, 0xf5ec
	s_add_u32 s5, s8, s10
	s_addc_u32 s7, s9, s11
	s_add_u32 s5, s5, s0
	s_addc_u32 s7, s7, s1
	v_add_co_u32 v0, vcc_lo, s5, v30
	v_add_co_ci_u32_e32 v1, vcc_lo, s7, v31, vcc_lo
	s_mov_b32 s5, s12
.LBB34_18:                              ; =>This Inner Loop Header: Depth=1
	global_load_b32 v56, v[0:1], off
	v_add_nc_u32_e64 v34, 0x800, s3
	v_add_nc_u32_e64 v36, 0x600, s3
	;; [unrolled: 1-line block ×3, first 2 shown]
	v_mov_b32_e32 v54, s3
	ds_load_2addr_b32 v[32:33], v34 offset0:104 offset1:132
	ds_load_2addr_b32 v[34:35], v34 offset0:48 offset1:76
	;; [unrolled: 1-line block ×11, first 2 shown]
	ds_load_2addr_b32 v[54:55], v54 offset1:28
	v_add_co_u32 v0, vcc_lo, v0, -4
	v_add_co_ci_u32_e32 v1, vcc_lo, -1, v1, vcc_lo
	s_add_i32 s5, s5, -1
	s_add_i32 s3, s3, -4
	s_cmp_gt_i32 s5, s4
	s_waitcnt vmcnt(0) lgkmcnt(11)
	v_fma_f32 v20, -v56, v33, v20
	v_fma_f32 v27, -v56, v32, v27
	s_waitcnt lgkmcnt(10)
	v_fma_f32 v14, -v56, v35, v14
	v_fma_f32 v13, -v56, v34, v13
	s_waitcnt lgkmcnt(9)
	;; [unrolled: 3-line block ×11, first 2 shown]
	v_fma_f32 v18, -v56, v55, v18
	v_fma_f32 v17, -v56, v54, v17
	s_cbranch_scc1 .LBB34_18
.LBB34_19:
	s_mul_i32 s3, s4, 0x74
	s_delay_alu instid0(SALU_CYCLE_1) | instskip(NEXT) | instid1(SALU_CYCLE_1)
	s_add_i32 s5, s3, 0xffffff8c
	v_dual_mov_b32 v0, s3 :: v_dual_mov_b32 v1, s5
	s_add_i32 s7, s3, 0xffffff20
	s_add_i32 s11, s3, 0xfffffeac
	v_mov_b32_e32 v32, s7
	ds_load_b32 v38, v0
	s_add_i32 s7, s3, 0xfffffe40
	s_add_i32 s14, s3, 0xfffffe30
	v_mov_b32_e32 v39, s7
	ds_load_b32 v40, v32
	ds_load_2addr_b32 v[0:1], v1 offset1:1
	v_dual_mov_b32 v32, s11 :: v_dual_mov_b32 v41, s14
	s_add_i32 s11, s3, 0xfffffd5c
	s_add_i32 s10, s3, 0xffffff18
	;; [unrolled: 1-line block ×3, first 2 shown]
	v_mov_b32_e32 v34, s10
	s_add_i32 s10, s3, 0xfffffdc4
	v_mov_b32_e32 v36, s5
	s_add_i32 s13, s3, 0xfffffe38
	s_add_i32 s5, s3, 0xfffffdbc
	;; [unrolled: 1-line block ×3, first 2 shown]
	v_mov_b32_e32 v45, s5
	s_add_i32 s5, s3, 0xfffffd54
	s_add_i32 s7, s3, 0xfffffd60
	s_waitcnt lgkmcnt(2)
	v_mul_f32_e32 v20, v38, v20
	s_waitcnt lgkmcnt(0)
	s_delay_alu instid0(VALU_DEP_1) | instskip(SKIP_1) | instid1(VALU_DEP_2)
	v_fma_f32 v1, -v20, v1, v27
	v_fma_f32 v27, -v20, v40, v14
	v_dual_mul_f32 v14, v0, v1 :: v_dual_mov_b32 v1, s10
	ds_load_2addr_b32 v[32:33], v32 offset1:1
	ds_load_2addr_b32 v[34:35], v34 offset1:1
	;; [unrolled: 1-line block ×3, first 2 shown]
	ds_load_b32 v44, v39
	s_add_i32 s10, s3, 0xfffffaa0
	s_delay_alu instid0(SALU_CYCLE_1)
	v_mov_b32_e32 v49, s10
	s_add_i32 s10, s3, 0xfffff954
	s_waitcnt lgkmcnt(3)
	v_fma_f32 v13, -v20, v33, v13
	s_waitcnt lgkmcnt(2)
	v_fma_f32 v27, -v14, v35, v27
	v_dual_mov_b32 v38, s13 :: v_dual_mov_b32 v33, s11
	s_waitcnt lgkmcnt(0)
	v_fma_f32 v12, -v20, v44, v12
	v_fma_f32 v32, -v14, v32, v13
	v_mul_f32_e32 v13, v34, v27
	ds_load_2addr_b32 v[38:39], v38 offset1:1
	v_mov_b32_e32 v34, s5
	s_add_i32 s5, s3, 0xfffffd4c
	v_mov_b32_e32 v42, s16
	v_fma_f32 v37, -v13, v37, v32
	s_waitcnt lgkmcnt(0)
	v_fma_f32 v39, -v14, v39, v12
	s_delay_alu instid0(VALU_DEP_2)
	v_dual_mul_f32 v12, v36, v37 :: v_dual_mov_b32 v37, s5
	ds_load_2addr_b32 v[40:41], v41 offset1:1
	ds_load_2addr_b32 v[42:43], v42 offset1:1
	s_add_i32 s5, s3, 0xfffffcf0
	v_fma_f32 v36, -v13, v38, v39
	v_mov_b32_e32 v39, s5
	s_add_i32 s5, s3, 0xfffffce8
	v_mov_b32_e32 v0, s7
	ds_load_b32 v27, v33
	s_add_i32 s7, s3, 0xfffffc7c
	ds_load_b32 v46, v0
	ds_load_2addr_b32 v[0:1], v1 offset1:1
	s_waitcnt lgkmcnt(4)
	v_fma_f32 v38, -v12, v41, v36
	s_waitcnt lgkmcnt(3)
	v_fma_f32 v3, -v20, v43, v3
	ds_load_2addr_b32 v[36:37], v37 offset1:1
	v_fma_f32 v3, -v14, v42, v3
	s_waitcnt lgkmcnt(2)
	v_fma_f32 v2, -v20, v46, v2
	s_waitcnt lgkmcnt(1)
	s_delay_alu instid0(VALU_DEP_2)
	v_fma_f32 v1, -v13, v1, v3
	v_mul_f32_e32 v3, v40, v38
	ds_load_2addr_b32 v[34:35], v34 offset1:1
	ds_load_2addr_b32 v[32:33], v45 offset1:1
	v_fma_f32 v2, -v14, v27, v2
	ds_load_b32 v27, v39
	v_mov_b32_e32 v39, s5
	s_add_i32 s5, s3, 0xfffffce0
	s_waitcnt lgkmcnt(2)
	v_fma_f32 v2, -v13, v35, v2
	v_mov_b32_e32 v35, s5
	v_fma_f32 v38, -v12, v0, v1
	ds_load_2addr_b32 v[0:1], v39 offset1:1
	s_add_i32 s5, s3, 0xfffffcd8
	v_fma_f32 v34, -v12, v34, v2
	s_waitcnt lgkmcnt(2)
	v_fma_f32 v33, -v3, v33, v38
	v_mov_b32_e32 v38, s5
	s_add_i32 s5, s3, 0xfffffc80
	v_fma_f32 v34, -v3, v37, v34
	s_waitcnt lgkmcnt(1)
	v_fma_f32 v37, -v20, v27, v26
	v_mul_f32_e32 v2, v32, v33
	ds_load_2addr_b32 v[32:33], v35 offset1:1
	ds_load_2addr_b32 v[26:27], v38 offset1:1
	v_dual_mov_b32 v35, s5 :: v_dual_mov_b32 v38, s7
	s_add_i32 s5, s3, 0xfffffd48
	s_add_i32 s7, s3, 0xfffffc74
	v_fma_f32 v43, -v2, v36, v34
	v_mov_b32_e32 v39, s7
	ds_load_b32 v35, v35
	ds_load_b32 v40, v38
	s_waitcnt lgkmcnt(4)
	v_fma_f32 v1, -v14, v1, v37
	v_mov_b32_e32 v37, s5
	s_add_i32 s5, s3, 0xfffffc10
	s_add_i32 s7, s3, 0xfffffc08
	v_mov_b32_e32 v34, s5
	v_fma_f32 v38, -v13, v0, v1
	ds_load_2addr_b32 v[0:1], v39 offset1:1
	ds_load_b32 v44, v37
	s_add_i32 s5, s3, 0xfffffc6c
	s_waitcnt lgkmcnt(5)
	v_fma_f32 v36, -v12, v33, v38
	v_mov_b32_e32 v33, s7
	ds_load_b32 v41, v34
	s_add_i32 s7, s3, 0xfffffc64
	s_delay_alu instid0(SALU_CYCLE_1)
	v_dual_mov_b32 v37, s5 :: v_dual_mov_b32 v38, s7
	ds_load_2addr_b32 v[33:34], v33 offset1:1
	s_add_i32 s5, s3, 0xfffffc00
	s_waitcnt lgkmcnt(5)
	v_fma_f32 v25, -v20, v35, v25
	s_add_i32 s7, s3, 0xfffffcd4
	s_delay_alu instid0(SALU_CYCLE_1)
	v_dual_mov_b32 v39, s5 :: v_dual_mov_b32 v42, s7
	v_fma_f32 v32, -v3, v32, v36
	ds_load_2addr_b32 v[35:36], v37 offset1:1
	ds_load_2addr_b32 v[37:38], v38 offset1:1
	s_waitcnt lgkmcnt(6)
	v_fma_f32 v25, -v14, v40, v25
	ds_load_2addr_b32 v[39:40], v39 offset1:1
	ds_load_b32 v47, v42
	v_fma_f32 v27, -v2, v27, v32
	s_add_i32 s5, s3, 0xfffffbf8
	s_waitcnt lgkmcnt(7)
	v_fma_f32 v1, -v13, v1, v25
	v_mov_b32_e32 v25, s5
	s_add_i32 s5, s3, 0xfffffba0
	s_waitcnt lgkmcnt(5)
	v_fma_f32 v46, -v20, v41, v24
	s_add_i32 s7, s3, 0xfffffbf0
	v_fma_f32 v0, -v12, v0, v1
	v_mul_f32_e32 v1, v44, v43
	s_waitcnt lgkmcnt(4)
	v_fma_f32 v34, -v14, v34, v46
	s_delay_alu instid0(VALU_DEP_2)
	v_fma_f32 v26, -v1, v26, v27
	v_mov_b32_e32 v43, s5
	s_waitcnt lgkmcnt(3)
	v_fma_f32 v0, -v3, v36, v0
	v_fma_f32 v32, -v13, v33, v34
	s_add_i32 s5, s3, 0xfffffb9c
	s_delay_alu instid0(SALU_CYCLE_1) | instskip(NEXT) | instid1(VALU_DEP_3)
	v_mov_b32_e32 v34, s5
	v_fma_f32 v27, -v2, v35, v0
	s_waitcnt lgkmcnt(1)
	v_fma_f32 v0, -v12, v40, v32
	s_add_i32 s5, s3, 0xfffffb94
	s_delay_alu instid0(SALU_CYCLE_1)
	v_dual_mov_b32 v45, s7 :: v_dual_mov_b32 v32, s5
	ds_load_2addr_b32 v[24:25], v25 offset1:1
	ds_load_2addr_b32 v[41:42], v45 offset1:1
	v_fma_f32 v35, -v3, v39, v0
	s_waitcnt lgkmcnt(2)
	v_mul_f32_e32 v0, v47, v26
	ds_load_b32 v33, v43
	s_add_i32 s7, s3, 0xfffffc60
	ds_load_b32 v36, v34
	v_mov_b32_e32 v34, s7
	v_fma_f32 v40, -v1, v38, v27
	ds_load_2addr_b32 v[26:27], v32 offset1:1
	ds_load_b32 v43, v34
	s_add_i32 s5, s3, 0xfffffb8c
	v_fma_f32 v37, -v0, v37, v40
	v_mov_b32_e32 v32, s5
	s_add_i32 s5, s3, 0xfffffb2c
	s_add_i32 s7, s3, 0xfffffb84
	v_mov_b32_e32 v38, s5
	s_add_i32 s5, s3, 0xfffffb78
	s_waitcnt lgkmcnt(5)
	v_fma_f32 v25, -v2, v25, v35
	s_waitcnt lgkmcnt(3)
	v_fma_f32 v7, -v20, v33, v7
	s_delay_alu instid0(VALU_DEP_2) | instskip(SKIP_1) | instid1(VALU_DEP_2)
	v_fma_f32 v24, -v1, v24, v25
	s_waitcnt lgkmcnt(2)
	v_fma_f32 v7, -v14, v36, v7
	v_mov_b32_e32 v36, s5
	s_add_i32 s5, s3, 0xfffffbec
	v_mov_b32_e32 v34, s7
	s_add_i32 s7, s3, 0xfffffb1c
	s_waitcnt lgkmcnt(1)
	v_fma_f32 v25, -v13, v27, v7
	v_mov_b32_e32 v27, s5
	s_waitcnt lgkmcnt(0)
	v_mul_f32_e32 v7, v43, v37
	ds_load_2addr_b32 v[32:33], v32 offset1:1
	ds_load_2addr_b32 v[34:35], v34 offset1:1
	;; [unrolled: 1-line block ×3, first 2 shown]
	ds_load_b32 v51, v36
	s_add_i32 s5, s3, 0xfffffb24
	v_mov_b32_e32 v36, s7
	s_add_i32 s7, s3, 0xfffffb0c
	v_fma_f32 v24, -v0, v42, v24
	v_fma_f32 v25, -v12, v26, v25
	ds_load_b32 v44, v27
	v_fma_f32 v43, -v7, v41, v24
	s_waitcnt lgkmcnt(4)
	v_fma_f32 v33, -v3, v33, v25
	s_waitcnt lgkmcnt(2)
	v_fma_f32 v6, -v20, v39, v6
	v_mov_b32_e32 v39, s7
	s_add_i32 s7, s3, 0xfffffac0
	s_delay_alu instid0(SALU_CYCLE_1)
	v_dual_mov_b32 v26, s5 :: v_dual_mov_b32 v45, s7
	ds_load_2addr_b32 v[24:25], v26 offset1:1
	ds_load_2addr_b32 v[26:27], v36 offset1:1
	s_add_i32 s5, s3, 0xfffffb14
	v_fma_f32 v6, -v14, v38, v6
	v_mov_b32_e32 v36, s5
	s_add_i32 s5, s3, 0xfffffb04
	v_fma_f32 v38, -v2, v32, v33
	v_mov_b32_e32 v41, s5
	s_add_i32 s5, s3, 0xfffffab8
	ds_load_2addr_b32 v[36:37], v36 offset1:1
	ds_load_2addr_b32 v[39:40], v39 offset1:1
	;; [unrolled: 1-line block ×3, first 2 shown]
	ds_load_b32 v45, v45
	v_mov_b32_e32 v46, s5
	s_add_i32 s5, s3, 0xfffffb7c
	s_add_i32 s7, s3, 0xfffffa4c
	v_mov_b32_e32 v47, s5
	s_add_i32 s5, s3, 0xfffffab0
	ds_load_2addr_b32 v[32:33], v46 offset1:1
	v_mov_b32_e32 v46, s5
	s_add_i32 s5, s3, 0xfffffaa8
	v_fma_f32 v35, -v1, v35, v38
	s_waitcnt lgkmcnt(6)
	v_fma_f32 v25, -v13, v25, v6
	v_mul_f32_e32 v6, v44, v43
	ds_load_2addr_b32 v[43:44], v47 offset1:1
	v_mov_b32_e32 v47, s5
	s_add_i32 s5, s3, 0xfffffa44
	v_fma_f32 v38, -v12, v24, v25
	ds_load_2addr_b32 v[24:25], v46 offset1:1
	v_mov_b32_e32 v46, s7
	s_add_i32 s7, s3, 0xfffffa90
	s_waitcnt lgkmcnt(3)
	v_fma_f32 v11, -v20, v45, v11
	ds_load_2addr_b32 v[45:46], v46 offset1:1
	ds_load_2addr_b32 v[47:48], v47 offset1:1
	;; [unrolled: 1-line block ×3, first 2 shown]
	v_fma_f32 v27, -v3, v27, v38
	s_waitcnt lgkmcnt(5)
	v_fma_f32 v11, -v14, v33, v11
	v_fma_f32 v33, -v0, v34, v35
	v_mov_b32_e32 v34, s5
	v_fma_f32 v35, -v2, v26, v27
	s_add_i32 s5, s3, 0xfffffa98
	v_fma_f32 v11, -v13, v32, v11
	s_waitcnt lgkmcnt(4)
	v_fma_f32 v38, -v7, v44, v33
	ds_load_2addr_b32 v[26:27], v34 offset1:1
	v_fma_f32 v37, -v1, v37, v35
	v_mov_b32_e32 v32, s5
	s_waitcnt lgkmcnt(4)
	v_fma_f32 v11, -v12, v25, v11
	s_add_i32 s5, s3, 0xfffffa3c
	v_fma_f32 v25, -v6, v43, v38
	v_fma_f32 v36, -v0, v36, v37
	s_waitcnt lgkmcnt(3)
	v_fma_f32 v37, -v20, v46, v5
	v_fma_f32 v11, -v3, v24, v11
	v_mov_b32_e32 v24, s5
	v_mov_b32_e32 v34, s7
	s_add_i32 s5, s3, 0xfffffa34
	v_fma_f32 v37, -v14, v45, v37
	v_fma_f32 v38, -v7, v40, v36
	v_mov_b32_e32 v36, s5
	s_add_i32 s5, s3, 0xfffff9e0
	ds_load_2addr_b32 v[32:33], v32 offset1:1
	ds_load_2addr_b32 v[34:35], v34 offset1:1
	v_mul_f32_e32 v5, v51, v25
	s_waitcnt lgkmcnt(4)
	v_fma_f32 v11, -v2, v48, v11
	ds_load_2addr_b32 v[24:25], v24 offset1:1
	s_waitcnt lgkmcnt(3)
	v_fma_f32 v27, -v13, v27, v37
	v_mov_b32_e32 v37, s5
	s_add_i32 s5, s3, 0xfffff9d8
	v_fma_f32 v11, -v1, v47, v11
	s_add_i32 s7, s3, 0xfffffa24
	v_fma_f32 v40, -v12, v26, v27
	ds_load_2addr_b32 v[26:27], v36 offset1:1
	ds_load_b32 v47, v37
	v_mov_b32_e32 v36, s5
	s_add_i32 s5, s3, 0xfffffa2c
	s_delay_alu instid0(SALU_CYCLE_1)
	v_dual_mov_b32 v44, s7 :: v_dual_mov_b32 v43, s5
	s_add_i32 s5, s3, 0xfffff9d0
	ds_load_2addr_b32 v[36:37], v36 offset1:1
	s_add_i32 s7, s3, 0xfffffa1c
	v_fma_f32 v45, -v6, v39, v38
	v_fma_f32 v11, -v0, v50, v11
	v_mov_b32_e32 v46, s7
	ds_load_2addr_b32 v[38:39], v43 offset1:1
	ds_load_2addr_b32 v[43:44], v44 offset1:1
	s_waitcnt lgkmcnt(5)
	v_fma_f32 v25, -v3, v25, v40
	v_mov_b32_e32 v40, s5
	v_fma_f32 v42, -v5, v42, v45
	v_fma_f32 v11, -v7, v49, v11
	s_add_i32 s5, s3, 0xfffff9c8
	v_fma_f32 v48, -v2, v24, v25
	ds_load_2addr_b32 v[24:25], v40 offset1:1
	ds_load_2addr_b32 v[45:46], v46 offset1:1
	s_add_i32 s7, s3, 0xfffff900
	s_waitcnt lgkmcnt(5)
	v_fma_f32 v40, -v20, v47, v4
	v_fma_f32 v11, -v6, v33, v11
	;; [unrolled: 1-line block ×3, first 2 shown]
	v_mul_f32_e32 v4, v41, v42
	s_waitcnt lgkmcnt(4)
	v_fma_f32 v33, -v14, v37, v40
	v_mov_b32_e32 v37, s5
	s_add_i32 s5, s3, 0xfffff96c
	v_fma_f32 v11, -v5, v32, v11
	v_mov_b32_e32 v32, s5
	v_fma_f32 v40, -v0, v26, v27
	ds_load_2addr_b32 v[26:27], v37 offset1:1
	s_add_i32 s5, s3, 0xfffff9c0
	v_fma_f32 v36, -v13, v36, v33
	ds_load_2addr_b32 v[32:33], v32 offset1:1
	v_mov_b32_e32 v37, s5
	s_add_i32 s5, s3, 0xfffff964
	s_waitcnt lgkmcnt(5)
	v_fma_f32 v41, -v7, v39, v40
	s_waitcnt lgkmcnt(3)
	v_fma_f32 v25, -v12, v25, v36
	v_mov_b32_e32 v39, s5
	ds_load_2addr_b32 v[36:37], v37 offset1:1
	s_add_i32 s5, s3, 0xfffff9b8
	v_fma_f32 v38, -v6, v38, v41
	v_fma_f32 v48, -v3, v24, v25
	ds_load_2addr_b32 v[39:40], v39 offset1:1
	v_mov_b32_e32 v42, s5
	s_add_i32 s5, s3, 0xfffff9b0
	v_fma_f32 v11, -v4, v35, v11
	v_mov_b32_e32 v47, s5
	s_add_i32 s5, s3, 0xfffff95c
	ds_load_2addr_b32 v[24:25], v42 offset1:1
	ds_load_2addr_b32 v[41:42], v47 offset1:1
	s_waitcnt lgkmcnt(5)
	v_fma_f32 v27, -v2, v27, v48
	v_mov_b32_e32 v49, s5
	s_waitcnt lgkmcnt(4)
	v_fma_f32 v10, -v20, v33, v10
	v_fma_f32 v33, -v5, v44, v38
	v_mul_f32_e32 v11, v34, v11
	v_fma_f32 v26, -v1, v26, v27
	ds_load_2addr_b32 v[47:48], v49 offset1:1
	v_fma_f32 v10, -v14, v32, v10
	v_fma_f32 v27, -v4, v43, v33
	s_add_i32 s5, s3, 0xfffff9a8
	s_waitcnt lgkmcnt(4)
	v_fma_f32 v26, -v0, v37, v26
	v_mov_b32_e32 v34, s5
	s_waitcnt lgkmcnt(3)
	v_fma_f32 v10, -v13, v40, v10
	v_fma_f32 v38, -v11, v46, v27
	v_mov_b32_e32 v27, s10
	v_fma_f32 v40, -v7, v36, v26
	v_mov_b32_e32 v26, s7
	s_add_i32 s7, s3, 0xfffff8f8
	s_add_i32 s10, s3, 0xfffff934
	v_mov_b32_e32 v32, s7
	v_fma_f32 v10, -v12, v39, v10
	ds_load_b32 v43, v26
	v_mov_b32_e32 v36, s10
	ds_load_2addr_b32 v[26:27], v27 offset1:1
	ds_load_2addr_b32 v[32:33], v32 offset1:1
	;; [unrolled: 1-line block ×4, first 2 shown]
	s_add_i32 s7, s3, 0xfffff8f0
	s_waitcnt lgkmcnt(5)
	v_fma_f32 v39, -v3, v48, v10
	v_mul_f32_e32 v10, v45, v38
	v_mov_b32_e32 v38, s7
	v_fma_f32 v25, -v6, v25, v40
	s_add_i32 s5, s3, 0xfffff94c
	v_fma_f32 v40, -v2, v47, v39
	v_mov_b32_e32 v44, s5
	ds_load_2addr_b32 v[38:39], v38 offset1:1
	s_add_i32 s5, s3, 0xfffff944
	s_add_i32 s7, s3, 0xfffff93c
	v_mov_b32_e32 v45, s5
	v_mov_b32_e32 v47, s7
	s_add_i32 s5, s3, 0xfffff8c8
	s_add_i32 s10, s3, 0xfffff88c
	;; [unrolled: 1-line block ×3, first 2 shown]
	s_waitcnt lgkmcnt(5)
	v_fma_f32 v23, -v20, v43, v23
	ds_load_2addr_b32 v[43:44], v44 offset1:1
	ds_load_2addr_b32 v[45:46], v45 offset1:1
	;; [unrolled: 1-line block ×3, first 2 shown]
	s_waitcnt lgkmcnt(7)
	v_fma_f32 v27, -v1, v27, v40
	v_mov_b32_e32 v51, s10
	v_mov_b32_e32 v53, s7
	s_waitcnt lgkmcnt(6)
	v_fma_f32 v23, -v14, v33, v23
	v_mov_b32_e32 v33, s5
	s_add_i32 s5, s3, 0xfffff8c0
	v_fma_f32 v25, -v5, v24, v25
	v_mov_b32_e32 v40, s5
	v_fma_f32 v23, -v13, v32, v23
	ds_load_2addr_b32 v[32:33], v33 offset1:1
	ds_load_2addr_b32 v[49:50], v40 offset1:1
	;; [unrolled: 1-line block ×3, first 2 shown]
	v_fma_f32 v26, -v0, v26, v27
	s_waitcnt lgkmcnt(6)
	v_fma_f32 v27, -v12, v39, v23
	ds_load_2addr_b32 v[23:24], v53 offset1:1
	s_add_i32 s5, s3, 0xfffff884
	v_fma_f32 v40, -v4, v42, v25
	v_mov_b32_e32 v25, s5
	s_waitcnt lgkmcnt(6)
	v_fma_f32 v42, -v7, v44, v26
	s_add_i32 s5, s3, 0xfffff8e0
	s_add_i32 s7, s3, 0xfffff87c
	;; [unrolled: 1-line block ×3, first 2 shown]
	ds_load_2addr_b32 v[25:26], v25 offset1:1
	v_fma_f32 v27, -v3, v38, v27
	v_mov_b32_e32 v56, s10
	s_add_i32 s10, s3, 0xfffff84c
	v_mov_b32_e32 v44, s7
	s_add_i32 s7, s3, 0xfffff854
	;; [unrolled: 2-line block ×3, first 2 shown]
	s_waitcnt lgkmcnt(2)
	v_fma_f32 v9, -v20, v52, v9
	v_mov_b32_e32 v54, s5
	ds_load_2addr_b32 v[38:39], v38 offset1:1
	s_waitcnt lgkmcnt(2)
	v_fma_f32 v24, -v2, v24, v27
	s_add_i32 s5, s3, 0xfffff874
	v_fma_f32 v9, -v14, v51, v9
	v_mov_b32_e32 v51, s10
	ds_load_2addr_b32 v[52:53], v44 offset1:1
	ds_load_2addr_b32 v[54:55], v54 offset1:1
	;; [unrolled: 1-line block ×3, first 2 shown]
	v_fma_f32 v27, -v11, v41, v40
	v_fma_f32 v41, -v1, v23, v24
	v_mov_b32_e32 v23, s5
	s_waitcnt lgkmcnt(4)
	v_fma_f32 v9, -v13, v26, v9
	s_add_i32 s5, s3, 0xfffff86c
	v_fma_f32 v40, -v6, v43, v42
	v_mov_b32_e32 v26, s5
	ds_load_2addr_b32 v[23:24], v23 offset1:1
	v_fma_f32 v9, -v12, v25, v9
	s_add_i32 s5, s3, 0xfffff864
	v_fma_f32 v43, -v5, v46, v40
	v_mov_b32_e32 v42, s5
	s_add_i32 s5, s3, 0xfffff820
	v_fma_f32 v27, -v10, v35, v27
	s_waitcnt lgkmcnt(4)
	v_fma_f32 v41, -v0, v39, v41
	v_mov_b32_e32 v35, s5
	s_add_i32 s5, s3, 0xfffff818
	s_waitcnt lgkmcnt(3)
	v_fma_f32 v9, -v3, v53, v9
	ds_load_2addr_b32 v[25:26], v26 offset1:1
	ds_load_2addr_b32 v[39:40], v42 offset1:1
	v_fma_f32 v42, -v4, v45, v43
	v_fma_f32 v38, -v7, v38, v41
	ds_load_b32 v43, v35
	v_fma_f32 v41, -v2, v52, v9
	v_mov_b32_e32 v35, s5
	v_mul_f32_e32 v9, v34, v27
	s_add_i32 s5, s3, 0xfffff85c
	s_waitcnt lgkmcnt(5)
	v_fma_f32 v38, -v6, v55, v38
	s_waitcnt lgkmcnt(3)
	v_fma_f32 v24, -v1, v24, v41
	ds_load_2addr_b32 v[34:35], v35 offset1:1
	v_mov_b32_e32 v45, s5
	s_add_i32 s5, s3, 0xfffff810
	v_fma_f32 v42, -v11, v48, v42
	v_fma_f32 v53, -v0, v23, v24
	v_mov_b32_e32 v23, s5
	s_add_i32 s5, s3, 0xfffff808
	v_fma_f32 v38, -v5, v54, v38
	v_mov_b32_e32 v41, s5
	s_add_i32 s5, s3, 0xfffff800
	ds_load_2addr_b32 v[23:24], v23 offset1:1
	v_mov_b32_e32 v44, s5
	v_fma_f32 v27, -v10, v47, v42
	s_waitcnt lgkmcnt(2)
	v_fma_f32 v8, -v20, v43, v8
	ds_load_2addr_b32 v[41:42], v41 offset1:1
	ds_load_2addr_b32 v[43:44], v44 offset1:1
	v_mov_b32_e32 v47, s7
	s_add_i32 s5, s3, 0xfffff7d8
	s_add_i32 s7, s3, 0xfffff7ac
	v_fma_f32 v26, -v7, v26, v53
	s_waitcnt lgkmcnt(3)
	v_fma_f32 v8, -v14, v35, v8
	v_fma_f32 v35, -v4, v57, v38
	v_fma_f32 v27, -v9, v37, v27
	v_mov_b32_e32 v37, s7
	ds_load_2addr_b32 v[45:46], v45 offset1:1
	ds_load_2addr_b32 v[47:48], v47 offset1:1
	;; [unrolled: 1-line block ×3, first 2 shown]
	v_fma_f32 v8, -v13, v34, v8
	v_mov_b32_e32 v34, s5
	v_fma_f32 v38, -v6, v25, v26
	s_add_i32 s5, s3, 0xfffff7a4
	s_add_i32 s7, s3, 0xfffff7e0
	s_waitcnt lgkmcnt(5)
	v_fma_f32 v8, -v12, v24, v8
	v_fma_f32 v24, -v11, v56, v35
	ds_load_2addr_b32 v[25:26], v34 offset1:1
	ds_load_2addr_b32 v[34:35], v37 offset1:1
	v_fma_f32 v37, -v5, v40, v38
	s_add_i32 s10, s3, 0xfffff720
	v_fma_f32 v23, -v3, v23, v8
	v_dual_mul_f32 v8, v36, v27 :: v_dual_mov_b32 v27, s5
	s_add_i32 s5, s3, 0xfffff7f8
	v_fma_f32 v33, -v10, v33, v24
	v_fma_f32 v36, -v4, v39, v37
	s_waitcnt lgkmcnt(6)
	v_fma_f32 v37, -v2, v42, v23
	ds_load_2addr_b32 v[23:24], v27 offset1:1
	v_mov_b32_e32 v27, s5
	s_add_i32 s5, s3, 0xfffff79c
	s_waitcnt lgkmcnt(5)
	v_fma_f32 v40, -v11, v46, v36
	v_fma_f32 v38, -v1, v41, v37
	v_mov_b32_e32 v39, s5
	ds_load_2addr_b32 v[36:37], v27 offset1:1
	s_add_i32 s5, s3, 0xfffff7f0
	v_fma_f32 v27, -v9, v32, v33
	v_fma_f32 v38, -v0, v44, v38
	s_waitcnt lgkmcnt(2)
	v_fma_f32 v22, -v20, v35, v22
	ds_load_2addr_b32 v[32:33], v39 offset1:1
	v_mov_b32_e32 v35, s5
	s_add_i32 s5, s3, 0xfffff7e8
	v_fma_f32 v43, -v7, v43, v38
	v_fma_f32 v22, -v14, v34, v22
	v_mov_b32_e32 v38, s5
	s_add_i32 s5, s3, 0xfffff794
	v_fma_f32 v42, -v10, v45, v40
	v_mov_b32_e32 v40, s7
	s_waitcnt lgkmcnt(2)
	v_fma_f32 v22, -v13, v24, v22
	v_mov_b32_e32 v24, s5
	ds_load_2addr_b32 v[34:35], v35 offset1:1
	ds_load_2addr_b32 v[38:39], v38 offset1:1
	;; [unrolled: 1-line block ×3, first 2 shown]
	s_add_i32 s7, s3, 0xfffff740
	s_add_i32 s5, s3, 0xfffff78c
	v_fma_f32 v46, -v9, v48, v42
	s_waitcnt lgkmcnt(4)
	v_fma_f32 v37, -v6, v37, v43
	v_fma_f32 v43, -v12, v23, v22
	ds_load_2addr_b32 v[22:23], v24 offset1:1
	v_fma_f32 v24, -v5, v36, v37
	v_dual_mov_b32 v37, s7 :: v_dual_mov_b32 v36, s5
	s_waitcnt lgkmcnt(4)
	v_fma_f32 v33, -v3, v33, v43
	s_add_i32 s5, s3, 0xfffff784
	s_add_i32 s7, s3, 0xfffff738
	ds_load_b32 v48, v37
	ds_load_2addr_b32 v[36:37], v36 offset1:1
	v_mov_b32_e32 v42, s5
	s_add_i32 s5, s3, 0xfffff77c
	s_delay_alu instid0(SALU_CYCLE_1)
	v_dual_mov_b32 v43, s7 :: v_dual_mov_b32 v44, s5
	v_fma_f32 v27, -v8, v50, v27
	v_fma_f32 v50, -v2, v32, v33
	ds_load_2addr_b32 v[32:33], v43 offset1:1
	ds_load_2addr_b32 v[42:43], v42 offset1:1
	;; [unrolled: 1-line block ×3, first 2 shown]
	s_add_i32 s5, s3, 0xfffff730
	s_waitcnt lgkmcnt(8)
	v_fma_f32 v35, -v4, v35, v24
	s_waitcnt lgkmcnt(5)
	v_fma_f32 v23, -v1, v23, v50
	v_dual_mul_f32 v24, v49, v27 :: v_dual_mov_b32 v27, s5
	s_add_i32 s7, s3, 0xfffff728
	v_fma_f32 v53, -v11, v34, v35
	s_delay_alu instid0(VALU_DEP_3)
	v_fma_f32 v34, -v0, v22, v23
	v_fma_f32 v50, -v8, v47, v46
	ds_load_2addr_b32 v[22:23], v27 offset1:1
	s_waitcnt lgkmcnt(5)
	v_fma_f32 v21, -v20, v48, v21
	v_dual_mov_b32 v27, s7 :: v_dual_mov_b32 v46, s10
	s_waitcnt lgkmcnt(4)
	v_fma_f32 v37, -v7, v37, v34
	ds_load_2addr_b32 v[34:35], v27 offset1:1
	ds_load_2addr_b32 v[46:47], v46 offset1:1
	s_waitcnt lgkmcnt(5)
	v_fma_f32 v21, -v14, v33, v21
	s_add_i32 s5, s3, 0xfffff774
	s_add_i32 s7, s3, 0xfffff764
	v_mov_b32_e32 v48, s5
	s_add_i32 s5, s3, 0xfffff76c
	v_fma_f32 v21, -v13, v32, v21
	v_fma_f32 v54, -v6, v36, v37
	v_mov_b32_e32 v27, s5
	v_mov_b32_e32 v49, s7
	s_add_i32 s5, s3, 0xfffff6f8
	ds_load_2addr_b32 v[32:33], v48 offset1:1
	ds_load_2addr_b32 v[36:37], v27 offset1:1
	;; [unrolled: 1-line block ×3, first 2 shown]
	s_waitcnt lgkmcnt(5)
	v_fma_f32 v21, -v12, v23, v21
	v_fma_f32 v27, -v10, v39, v53
	;; [unrolled: 1-line block ×3, first 2 shown]
	s_add_i32 s7, s3, 0xfffff6cc
	v_fma_f32 v23, -v24, v52, v50
	v_fma_f32 v21, -v3, v22, v21
	v_mov_b32_e32 v22, s5
	s_add_i32 s5, s3, 0xfffff6f0
	v_mov_b32_e32 v54, s7
	v_mov_b32_e32 v50, s5
	v_fma_f32 v39, -v4, v42, v39
	s_waitcnt lgkmcnt(4)
	v_fma_f32 v35, -v2, v35, v21
	ds_load_2addr_b32 v[42:43], v22 offset1:1
	ds_load_2addr_b32 v[52:53], v50 offset1:1
	;; [unrolled: 1-line block ×3, first 2 shown]
	v_fma_f32 v27, -v9, v38, v27
	s_add_i32 s5, s3, 0xfffff6c4
	v_fma_f32 v38, -v11, v45, v39
	v_fma_f32 v34, -v1, v34, v35
	v_mov_b32_e32 v35, s5
	v_fma_f32 v27, -v8, v41, v27
	s_add_i32 s5, s3, 0xfffff718
	v_fma_f32 v38, -v10, v44, v38
	s_waitcnt lgkmcnt(6)
	v_fma_f32 v39, -v0, v47, v34
	ds_load_2addr_b32 v[34:35], v35 offset1:1
	v_fma_f32 v27, -v24, v40, v27
	v_mov_b32_e32 v40, s5
	s_add_i32 s5, s3, 0xfffff6bc
	s_waitcnt lgkmcnt(6)
	v_fma_f32 v56, -v9, v33, v38
	v_mov_b32_e32 v33, s5
	v_fma_f32 v57, -v7, v46, v39
	ds_load_2addr_b32 v[38:39], v40 offset1:1
	s_add_i32 s7, s3, 0xfffff6b4
	s_add_i32 s5, s3, 0xfffff710
	s_waitcnt lgkmcnt(2)
	v_fma_f32 v19, -v20, v22, v19
	ds_load_2addr_b32 v[40:41], v33 offset1:1
	v_mov_b32_e32 v44, s5
	s_add_i32 s5, s3, 0xfffff708
	s_add_i32 s10, s3, 0xfffff640
	v_fma_f32 v19, -v14, v21, v19
	v_mov_b32_e32 v21, s7
	s_add_i32 s7, s3, 0xfffff700
	ds_load_2addr_b32 v[44:45], v44 offset1:1
	v_mov_b32_e32 v46, s7
	s_waitcnt lgkmcnt(3)
	v_fma_f32 v19, -v13, v35, v19
	ds_load_2addr_b32 v[21:22], v21 offset1:1
	v_mov_b32_e32 v33, s5
	s_add_i32 s5, s3, 0xfffff6ac
	s_add_i32 s7, s3, 0xfffff6a4
	v_fma_f32 v19, -v12, v34, v19
	v_dual_mov_b32 v35, s5 :: v_dual_mov_b32 v54, s7
	v_mul_f32_e32 v23, v51, v23
	ds_load_2addr_b32 v[33:34], v33 offset1:1
	ds_load_2addr_b32 v[46:47], v46 offset1:1
	;; [unrolled: 1-line block ×4, first 2 shown]
	s_add_i32 s5, s3, 0xfffff660
	s_waitcnt lgkmcnt(6)
	v_fma_f32 v19, -v3, v41, v19
	v_fma_f32 v35, -v6, v39, v57
	v_mov_b32_e32 v39, s5
	s_add_i32 s5, s3, 0xfffff658
	v_fma_f32 v32, -v8, v32, v56
	v_fma_f32 v19, -v2, v40, v19
	;; [unrolled: 1-line block ×3, first 2 shown]
	v_mov_b32_e32 v38, s5
	ds_load_b32 v39, v39
	v_fma_f32 v40, -v23, v26, v27
	s_waitcnt lgkmcnt(5)
	v_fma_f32 v19, -v1, v22, v19
	v_fma_f32 v35, -v4, v45, v35
	ds_load_2addr_b32 v[26:27], v38 offset1:1
	v_fma_f32 v32, -v24, v37, v32
	s_add_i32 s5, s3, 0xfffff650
	v_fma_f32 v19, -v0, v21, v19
	v_mul_f32_e32 v22, v25, v40
	v_fma_f32 v21, -v11, v44, v35
	v_fma_f32 v25, -v23, v36, v32
	v_mov_b32_e32 v32, s5
	s_waitcnt lgkmcnt(3)
	v_fma_f32 v19, -v7, v51, v19
	s_add_i32 s5, s3, 0xfffff67c
	v_fma_f32 v21, -v10, v34, v21
	v_fma_f32 v25, -v22, v49, v25
	ds_load_2addr_b32 v[34:35], v32 offset1:1
	v_fma_f32 v32, -v6, v50, v19
	v_mov_b32_e32 v36, s5
	s_add_i32 s5, s3, 0xfffff69c
	s_waitcnt lgkmcnt(2)
	v_fma_f32 v37, -v20, v39, v18
	v_fma_f32 v33, -v9, v33, v21
	v_fma_f32 v32, -v5, v55, v32
	v_mul_f32_e32 v21, v48, v25
	v_mov_b32_e32 v39, s10
	s_waitcnt lgkmcnt(1)
	v_fma_f32 v25, -v14, v27, v37
	ds_load_2addr_b32 v[18:19], v36 offset1:1
	v_fma_f32 v27, -v4, v54, v32
	v_mov_b32_e32 v32, s5
	s_add_i32 s5, s3, 0xfffff648
	v_fma_f32 v41, -v8, v47, v33
	v_fma_f32 v33, -v13, v26, v25
	ds_load_2addr_b32 v[39:40], v39 offset1:1
	ds_load_2addr_b32 v[25:26], v32 offset1:1
	v_mov_b32_e32 v36, s5
	s_add_i32 s5, s3, 0xfffff5ec
	s_waitcnt lgkmcnt(3)
	v_fma_f32 v38, -v12, v35, v33
	v_mov_b32_e32 v37, s5
	s_add_i32 s7, s3, 0xfffff5e4
	ds_load_2addr_b32 v[32:33], v36 offset1:1
	s_add_i32 s5, s3, 0xfffff694
	v_fma_f32 v34, -v3, v34, v38
	ds_load_2addr_b32 v[35:36], v37 offset1:1
	v_mov_b32_e32 v37, s7
	s_add_i32 s7, s3, 0xfffff638
	s_delay_alu instid0(SALU_CYCLE_1)
	v_dual_mov_b32 v49, s5 :: v_dual_mov_b32 v44, s7
	s_add_i32 s7, s3, 0xfffff630
	ds_load_2addr_b32 v[37:38], v37 offset1:1
	v_mov_b32_e32 v47, s7
	s_add_i32 s7, s3, 0xfffff5dc
	ds_load_2addr_b32 v[44:45], v44 offset1:1
	ds_load_2addr_b32 v[47:48], v47 offset1:1
	v_mov_b32_e32 v50, s7
	s_add_i32 s5, s3, 0xfffff68c
	s_add_i32 s7, s3, 0xfffff684
	s_waitcnt lgkmcnt(5)
	v_fma_f32 v26, -v11, v26, v27
	v_mov_b32_e32 v54, s7
	s_waitcnt lgkmcnt(4)
	v_fma_f32 v51, -v2, v33, v34
	ds_load_2addr_b32 v[33:34], v50 offset1:1
	v_mov_b32_e32 v50, s5
	s_waitcnt lgkmcnt(4)
	v_fma_f32 v17, -v20, v36, v17
	s_add_i32 s5, s3, 0xfffff5d4
	v_fma_f32 v32, -v1, v32, v51
	v_mov_b32_e32 v51, s5
	s_add_i32 s5, s3, 0xfffff5cc
	v_fma_f32 v17, -v14, v35, v17
	ds_load_2addr_b32 v[35:36], v49 offset1:1
	ds_load_2addr_b32 v[49:50], v50 offset1:1
	;; [unrolled: 1-line block ×3, first 2 shown]
	v_fma_f32 v27, -v0, v40, v32
	ds_load_2addr_b32 v[56:57], v51 offset1:1
	v_mov_b32_e32 v32, s5
	s_waitcnt lgkmcnt(7)
	v_fma_f32 v17, -v13, v38, v17
	v_fma_f32 v40, -v10, v25, v26
	s_add_i32 s7, s3, 0xfffff5c4
	s_add_i32 s10, s3, 0xfffff5bc
	ds_load_2addr_b32 v[25:26], v32 offset1:1
	v_fma_f32 v17, -v12, v37, v17
	v_mov_b32_e32 v32, s7
	s_add_i32 s5, s3, 0xfffff628
	v_fma_f32 v27, -v7, v39, v27
	v_mov_b32_e32 v39, s5
	s_waitcnt lgkmcnt(5)
	v_fma_f32 v17, -v3, v34, v17
	v_mov_b32_e32 v34, s10
	s_add_i32 s5, s3, 0xfffff620
	v_fma_f32 v27, -v6, v45, v27
	s_add_i32 s7, s3, 0xfffff618
	v_fma_f32 v17, -v2, v33, v17
	ds_load_2addr_b32 v[32:33], v32 offset1:1
	ds_load_2addr_b32 v[37:38], v34 offset1:1
	s_waitcnt lgkmcnt(6)
	v_fma_f32 v34, -v9, v36, v40
	ds_load_2addr_b32 v[39:40], v39 offset1:1
	v_fma_f32 v27, -v5, v44, v27
	s_waitcnt lgkmcnt(4)
	v_fma_f32 v17, -v1, v57, v17
	v_fma_f32 v36, -v24, v46, v41
	v_mov_b32_e32 v41, s7
	s_add_i32 s7, s3, 0xfffff5b4
	v_fma_f32 v27, -v4, v48, v27
	v_fma_f32 v17, -v0, v56, v17
	;; [unrolled: 1-line block ×3, first 2 shown]
	v_mov_b32_e32 v34, s7
	s_add_i32 s7, s3, 0xfffff59c
	v_fma_f32 v27, -v11, v47, v27
	s_waitcnt lgkmcnt(3)
	v_fma_f32 v17, -v7, v26, v17
	v_mov_b32_e32 v26, s5
	s_add_i32 s5, s3, 0xfffff610
	v_fma_f32 v35, -v24, v50, v35
	v_mov_b32_e32 v46, s5
	v_fma_f32 v17, -v6, v25, v17
	ds_load_2addr_b32 v[25:26], v26 offset1:1
	s_add_i32 s5, s3, 0xfffff5ac
	s_waitcnt lgkmcnt(1)
	v_fma_f32 v27, -v10, v40, v27
	v_fma_f32 v40, -v23, v43, v36
	;; [unrolled: 1-line block ×3, first 2 shown]
	ds_load_2addr_b32 v[33:34], v34 offset1:1
	ds_load_2addr_b32 v[44:45], v41 offset1:1
	;; [unrolled: 1-line block ×3, first 2 shown]
	v_mov_b32_e32 v36, s7
	v_fma_f32 v27, -v9, v39, v27
	v_fma_f32 v35, -v23, v49, v35
	;; [unrolled: 1-line block ×3, first 2 shown]
	v_mov_b32_e32 v32, s5
	s_add_i32 s5, s3, 0xfffff5a4
	s_delay_alu instid0(VALU_DEP_2)
	v_fma_f32 v17, -v11, v38, v17
	ds_load_2addr_b32 v[38:39], v32 offset1:1
	v_mov_b32_e32 v32, s5
	s_add_i32 s5, s3, 0xfffff608
	s_addk_i32 s3, 0xf594
	v_fma_f32 v17, -v10, v37, v17
	s_waitcnt lgkmcnt(4)
	v_fma_f32 v41, -v8, v26, v27
	ds_load_2addr_b32 v[26:27], v32 offset1:1
	ds_load_2addr_b32 v[36:37], v36 offset1:1
	v_mov_b32_e32 v32, s5
	s_ashr_i32 s5, s4, 31
	s_waitcnt lgkmcnt(5)
	v_fma_f32 v17, -v9, v34, v17
	v_fma_f32 v34, -v22, v42, v40
	;; [unrolled: 1-line block ×4, first 2 shown]
	s_lshl_b64 s[10:11], s[4:5], 2
	v_fma_f32 v17, -v8, v33, v17
	ds_load_2addr_b32 v[32:33], v32 offset1:1
	v_fma_f32 v34, -v21, v53, v34
	s_waitcnt lgkmcnt(5)
	v_fma_f32 v25, -v23, v45, v25
	s_sub_i32 s4, s4, 24
	s_waitcnt lgkmcnt(3)
	v_fma_f32 v17, -v24, v39, v17
	v_mul_f32_e32 v35, v52, v34
	v_fma_f32 v34, -v21, v54, v40
	v_fma_f32 v25, -v22, v44, v25
	s_delay_alu instid0(VALU_DEP_4) | instskip(SKIP_1) | instid1(VALU_DEP_4)
	v_fma_f32 v17, -v23, v38, v17
	v_mov_b32_e32 v38, s3
	v_fma_f32 v19, -v35, v19, v34
	s_delay_alu instid0(VALU_DEP_4)
	v_fma_f32 v25, -v21, v47, v25
	s_waitcnt lgkmcnt(2)
	v_fma_f32 v17, -v22, v27, v17
	ds_load_2addr_b32 v[38:39], v38 offset1:1
	v_mul_f32_e32 v34, v18, v19
	v_fma_f32 v18, -v35, v46, v25
	v_fma_f32 v17, -v21, v26, v17
	s_waitcnt lgkmcnt(1)
	s_delay_alu instid0(VALU_DEP_2) | instskip(NEXT) | instid1(VALU_DEP_2)
	v_fma_f32 v18, -v34, v33, v18
	v_fma_f32 v17, -v35, v37, v17
	s_delay_alu instid0(VALU_DEP_2) | instskip(NEXT) | instid1(VALU_DEP_2)
	v_mul_f32_e32 v33, v32, v18
	v_fma_f32 v19, -v34, v36, v17
	v_add_co_u32 v17, vcc_lo, v28, s10
	v_add_co_ci_u32_e32 v18, vcc_lo, s11, v29, vcc_lo
	s_clause 0x2
	global_store_b96 v[17:18], v[12:14], off offset:-12
	global_store_b128 v[17:18], v[0:3], off offset:-28
	global_store_b128 v[17:18], v[4:7], off offset:-44
	s_waitcnt lgkmcnt(0)
	v_fma_f32 v19, -v33, v39, v19
	s_clause 0x1
	global_store_b128 v[17:18], v[8:11], off offset:-60
	global_store_b128 v[17:18], v[21:24], off offset:-76
	v_mul_f32_e32 v32, v38, v19
	s_clause 0x1
	global_store_b32 v[15:16], v20, off
	global_store_b128 v[17:18], v[32:35], off offset:-92
.LBB34_20:
	s_cmp_lt_i32 s4, 0
	s_cbranch_scc1 .LBB34_33
; %bb.21:
	s_bitcmp1_b32 s4, 0
	s_mov_b32 s10, s4
	s_cselect_b32 s3, -1, 0
	s_delay_alu instid0(SALU_CYCLE_1)
	s_and_b32 vcc_lo, exec_lo, s3
	s_cbranch_vccnz .LBB34_26
; %bb.22:
	s_mov_b32 s5, 0
	s_delay_alu instid0(SALU_CYCLE_1)
	s_lshl_b64 s[10:11], s[4:5], 2
	s_cmp_le_i32 s12, s4
	v_add_co_u32 v0, vcc_lo, v28, s10
	v_add_co_ci_u32_e32 v1, vcc_lo, s11, v29, vcc_lo
	global_load_b32 v2, v[0:1], off
	s_waitcnt vmcnt(0)
	v_mul_f32_e32 v4, s15, v2
	s_cbranch_scc1 .LBB34_25
; %bb.23:
	s_mul_i32 s3, s4, 0x70
	s_lshl_b32 s5, s2, 2
	s_ashr_i32 s13, s12, 31
	s_add_i32 s3, s3, s5
	s_lshl_b64 s[10:11], s[12:13], 2
	s_add_i32 s3, s3, -4
	s_add_u32 s5, s8, s10
	s_addc_u32 s7, s9, s11
	s_add_u32 s5, s5, s0
	s_addc_u32 s7, s7, s1
	v_add_co_u32 v2, vcc_lo, s5, v30
	v_add_co_ci_u32_e32 v3, vcc_lo, s7, v31, vcc_lo
	s_mov_b32 s5, s12
.LBB34_24:                              ; =>This Inner Loop Header: Depth=1
	global_load_b32 v5, v[2:3], off
	v_mov_b32_e32 v6, s3
	v_add_co_u32 v2, vcc_lo, v2, -4
	v_add_co_ci_u32_e32 v3, vcc_lo, -1, v3, vcc_lo
	ds_load_b32 v6, v6
	s_add_i32 s5, s5, -1
	s_add_i32 s3, s3, -4
	s_cmp_gt_i32 s5, s4
	s_waitcnt vmcnt(0) lgkmcnt(0)
	v_fma_f32 v4, -v5, v6, v4
	s_cbranch_scc1 .LBB34_24
.LBB34_25:
	s_mul_i32 s3, s4, 0x74
	s_add_i32 s10, s4, -1
	v_mov_b32_e32 v2, s3
	ds_load_b32 v2, v2
	s_waitcnt lgkmcnt(0)
	v_mul_f32_e32 v2, v2, v4
	global_store_b32 v[0:1], v2, off
.LBB34_26:
	s_cmp_eq_u32 s4, 0
	s_mov_b32 s11, 0
	s_cbranch_scc1 .LBB34_33
; %bb.27:
	s_mul_i32 s3, s10, 0x70
	s_lshl_b32 s4, s2, 2
	s_ashr_i32 s13, s12, 31
	s_add_i32 s7, s3, s4
	s_lshl_b64 s[4:5], s[12:13], 2
	s_add_i32 s3, s7, -4
	s_add_u32 s4, s8, s4
	s_addc_u32 s5, s9, s5
	s_add_u32 s4, s4, s0
	s_addc_u32 s5, s5, s1
	v_add_co_u32 v0, vcc_lo, s4, v30
	v_add_co_ci_u32_e32 v1, vcc_lo, s5, v31, vcc_lo
	s_add_i32 s4, s7, 0xffffff8c
	s_branch .LBB34_29
.LBB34_28:                              ;   in Loop: Header=BB34_29 Depth=1
	s_addk_i32 s5, 0xff8c
	s_addk_i32 s3, 0xff20
	v_mov_b32_e32 v4, s5
	s_add_i32 s5, s10, -2
	s_addk_i32 s4, 0xff20
	s_cmp_lt_i32 s10, 2
	s_mov_b32 s10, s5
	ds_load_b32 v4, v4
	s_waitcnt lgkmcnt(0)
	v_mul_f32_e32 v4, v4, v6
	global_store_b32 v[2:3], v4, off offset:-4
	s_cbranch_scc1 .LBB34_33
.LBB34_29:                              ; =>This Loop Header: Depth=1
                                        ;     Child Loop BB34_30 Depth 2
                                        ;     Child Loop BB34_32 Depth 2
	s_lshl_b64 s[16:17], s[10:11], 2
	s_cmp_le_i32 s12, s10
	v_add_co_u32 v2, vcc_lo, v28, s16
	v_add_co_ci_u32_e32 v3, vcc_lo, s17, v29, vcc_lo
	s_mov_b32 s5, s3
	s_mov_b32 s7, s12
	global_load_b32 v2, v[2:3], off
	s_waitcnt vmcnt(0)
	v_dual_mul_f32 v4, s15, v2 :: v_dual_mov_b32 v3, v1
	v_mov_b32_e32 v2, v0
	s_cbranch_scc1 .LBB34_31
.LBB34_30:                              ;   Parent Loop BB34_29 Depth=1
                                        ; =>  This Inner Loop Header: Depth=2
	global_load_b32 v5, v[2:3], off
	v_mov_b32_e32 v6, s5
	v_add_co_u32 v2, vcc_lo, v2, -4
	v_add_co_ci_u32_e32 v3, vcc_lo, -1, v3, vcc_lo
	ds_load_b32 v6, v6
	s_add_i32 s7, s7, -1
	s_add_i32 s5, s5, -4
	s_cmp_gt_i32 s7, s10
	s_waitcnt vmcnt(0) lgkmcnt(0)
	v_fma_f32 v4, -v5, v6, v4
	s_cbranch_scc1 .LBB34_30
.LBB34_31:                              ;   in Loop: Header=BB34_29 Depth=1
	s_add_i32 s16, s10, -1
	s_mov_b32 s17, s11
	s_mul_i32 s5, s10, 0x74
	s_lshl_b64 s[16:17], s[16:17], 2
	s_mov_b32 s7, s4
	v_add_co_u32 v2, vcc_lo, v28, s16
	v_add_co_ci_u32_e32 v3, vcc_lo, s17, v29, vcc_lo
	s_ashr_i32 s17, s10, 31
	s_mov_b32 s16, s10
	s_mov_b32 s13, s2
	global_load_b32 v5, v[2:3], off
	v_mov_b32_e32 v2, s5
	s_lshl_b64 s[16:17], s[16:17], 2
	s_cmp_lt_i32 s12, s10
	ds_load_b32 v6, v2
	v_add_co_u32 v2, vcc_lo, v28, s16
	v_add_co_ci_u32_e32 v3, vcc_lo, s17, v29, vcc_lo
	s_waitcnt lgkmcnt(0)
	v_mul_f32_e32 v7, v6, v4
	global_store_b32 v[2:3], v7, off
	s_waitcnt vmcnt(0)
	v_dual_mul_f32 v6, s15, v5 :: v_dual_mov_b32 v5, v1
	v_mov_b32_e32 v4, v0
	s_cbranch_scc1 .LBB34_28
.LBB34_32:                              ;   Parent Loop BB34_29 Depth=1
                                        ; =>  This Inner Loop Header: Depth=2
	global_load_b32 v7, v[4:5], off
	v_mov_b32_e32 v8, s7
	v_add_co_u32 v4, vcc_lo, v4, -4
	v_add_co_ci_u32_e32 v5, vcc_lo, -1, v5, vcc_lo
	ds_load_b32 v8, v8
	s_add_i32 s13, s13, -1
	s_add_i32 s7, s7, -4
	s_cmp_gt_i32 s13, s10
	s_waitcnt vmcnt(0) lgkmcnt(0)
	v_fma_f32 v6, -v7, v8, v6
	s_cbranch_scc1 .LBB34_32
	s_branch .LBB34_28
.LBB34_33:
	s_mov_b32 s3, 0
.LBB34_34:
	s_delay_alu instid0(SALU_CYCLE_1)
	s_and_b32 vcc_lo, exec_lo, s3
	s_cbranch_vccz .LBB34_54
; %bb.35:
	s_cmp_gt_i32 s6, 27
	s_mov_b32 s4, 0
	s_cselect_b32 s3, -1, 0
	s_delay_alu instid0(SALU_CYCLE_1)
	s_and_b32 vcc_lo, exec_lo, s3
	s_cbranch_vccz .LBB34_37
; %bb.36:
	s_clause 0x6
	global_load_b128 v[24:27], v[28:29], off
	global_load_b128 v[20:23], v[28:29], off offset:16
	global_load_b128 v[16:19], v[28:29], off offset:32
	;; [unrolled: 1-line block ×6, first 2 shown]
	v_dual_mov_b32 v32, 0 :: v_dual_mov_b32 v33, 0x4fc
	v_mov_b32_e32 v37, 0x424
	v_add_nc_u32_e64 v113, 0x200, 0
	s_mov_b32 s4, 28
	ds_load_b128 v[75:78], v32
	ds_load_b128 v[79:82], v32 offset:16
	ds_load_b128 v[83:86], v32 offset:32
	;; [unrolled: 1-line block ×4, first 2 shown]
	ds_load_2addr_b64 v[95:98], v32 offset0:29 offset1:30
	ds_load_b128 v[99:102], v32 offset:80
	ds_load_2addr_b32 v[107:108], v32 offset0:29 offset1:30
	ds_load_b128 v[103:106], v32 offset:96
	s_waitcnt vmcnt(6)
	v_dual_mul_f32 v24, s15, v24 :: v_dual_mov_b32 v39, 0x5e4
	s_waitcnt lgkmcnt(8)
	s_delay_alu instid0(VALU_DEP_1)
	v_mul_f32_e32 v24, v75, v24
	v_mov_b32_e32 v36, 0x414
	v_mov_b32_e32 v40, 0x41c
	;; [unrolled: 1-line block ×4, first 2 shown]
	s_waitcnt lgkmcnt(7)
	v_dual_mov_b32 v42, 0x50c :: v_dual_mul_f32 v111, v24, v81
	v_dual_mov_b32 v43, 0x5ec :: v_dual_mul_f32 v110, v24, v80
	s_waitcnt lgkmcnt(6)
	v_dual_mov_b32 v44, 0x6cc :: v_dual_mul_f32 v83, v24, v83
	v_dual_mov_b32 v48, 0x434 :: v_dual_mul_f32 v85, v24, v85
	;; [unrolled: 1-line block ×5, first 2 shown]
	v_mul_f32_e32 v75, v24, v76
	v_mul_f32_e32 v76, v24, v77
	;; [unrolled: 1-line block ×3, first 2 shown]
	v_dual_mul_f32 v109, v24, v79 :: v_dual_mov_b32 v50, 0x514
	s_waitcnt lgkmcnt(5)
	v_dual_mul_f32 v87, v24, v87 :: v_dual_mov_b32 v34, 0x7b4
	v_mul_f32_e32 v89, v24, v89
	v_dual_mov_b32 v63, 0x43c :: v_dual_mul_f32 v88, v24, v88
	s_waitcnt lgkmcnt(4)
	v_dual_mov_b32 v52, 0x51c :: v_dual_mul_f32 v91, v24, v91
	v_dual_mov_b32 v54, 0x5fc :: v_dual_mul_f32 v93, v24, v93
	;; [unrolled: 1-line block ×5, first 2 shown]
	v_fma_f32 v25, v25, s15, -v75
	v_fma_f32 v26, v26, s15, -v76
	;; [unrolled: 1-line block ×3, first 2 shown]
	ds_load_b128 v[75:78], v32 offset:464
	ds_load_b128 v[79:82], v32 offset:480
	s_waitcnt vmcnt(5)
	v_fma_f32 v109, v20, s15, -v109
	v_fma_f32 v110, v21, s15, -v110
	;; [unrolled: 1-line block ×4, first 2 shown]
	s_waitcnt vmcnt(4)
	v_fma_f32 v115, v16, s15, -v83
	v_fma_f32 v116, v17, s15, -v84
	;; [unrolled: 1-line block ×4, first 2 shown]
	ds_load_2addr_b32 v[16:17], v32 offset0:31 offset1:32
	ds_load_2addr_b32 v[18:19], v32 offset0:33 offset1:34
	;; [unrolled: 1-line block ×4, first 2 shown]
	s_waitcnt vmcnt(3)
	v_fma_f32 v119, v8, s15, -v87
	v_fma_f32 v120, v9, s15, -v88
	;; [unrolled: 1-line block ×4, first 2 shown]
	s_waitcnt vmcnt(2)
	v_fma_f32 v123, v12, s15, -v91
	v_fma_f32 v124, v13, s15, -v92
	;; [unrolled: 1-line block ×4, first 2 shown]
	ds_load_2addr_b32 v[83:84], v32 offset0:87 offset1:88
	ds_load_2addr_b32 v[85:86], v32 offset0:89 offset1:90
	;; [unrolled: 1-line block ×8, first 2 shown]
	s_waitcnt lgkmcnt(15)
	v_dual_mov_b32 v56, 0x838 :: v_dual_mul_f32 v25, v107, v25
	v_dual_mov_b32 v58, 0x7bc :: v_dual_mul_f32 v99, v24, v99
	;; [unrolled: 1-line block ×3, first 2 shown]
	s_waitcnt lgkmcnt(14)
	v_dual_mov_b32 v64, 0x524 :: v_dual_mul_f32 v103, v24, v103
	v_dual_mov_b32 v45, 0x6e4 :: v_dual_mul_f32 v100, v24, v100
	;; [unrolled: 1-line block ×6, first 2 shown]
	v_fma_f32 v107, -v25, v108, v26
	ds_load_2addr_b32 v[26:27], v32 offset0:47 offset1:48
	ds_load_2addr_b32 v[91:92], v32 offset0:49 offset1:50
	s_waitcnt vmcnt(1)
	v_fma_f32 v99, v4, s15, -v99
	v_fma_f32 v100, v5, s15, -v100
	;; [unrolled: 1-line block ×4, first 2 shown]
	s_waitcnt vmcnt(0)
	v_fma_f32 v103, v0, s15, -v103
	v_fma_f32 v104, v1, s15, -v104
	;; [unrolled: 1-line block ×4, first 2 shown]
	ds_load_2addr_b64 v[0:3], v32 offset0:31 offset1:32
	ds_load_2addr_b64 v[4:7], v32 offset0:33 offset1:34
	s_waitcnt lgkmcnt(15)
	v_fma_f32 v17, -v25, v17, v109
	s_waitcnt lgkmcnt(14)
	v_fma_f32 v18, -v25, v18, v110
	v_fma_f32 v19, -v25, v19, v111
	s_waitcnt lgkmcnt(13)
	v_fma_f32 v108, -v25, v20, v112
	;; [unrolled: 3-line block ×3, first 2 shown]
	v_fma_f32 v111, -v25, v23, v117
	ds_load_2addr_b32 v[20:21], v32 offset0:51 offset1:52
	ds_load_2addr_b32 v[22:23], v32 offset0:53 offset1:54
	v_fma_f32 v16, -v25, v16, v114
	s_waitcnt lgkmcnt(9)
	v_fma_f32 v112, -v25, v8, v118
	v_fma_f32 v114, -v25, v9, v119
	s_waitcnt lgkmcnt(8)
	v_fma_f32 v115, -v25, v10, v120
	;; [unrolled: 3-line block ×3, first 2 shown]
	v_fma_f32 v118, -v25, v13, v123
	ds_load_b32 v119, v32 offset:220
	ds_load_2addr_b64 v[8:11], v32 offset0:35 offset1:36
	s_waitcnt lgkmcnt(8)
	v_fma_f32 v120, -v25, v14, v124
	v_fma_f32 v93, -v25, v15, v93
	ds_load_2addr_b64 v[12:15], v32 offset0:37 offset1:38
	v_mov_b32_e32 v69, 0x6ec
	s_waitcnt lgkmcnt(8)
	v_fma_f32 v94, -v25, v26, v94
	v_mul_f32_e32 v26, v95, v107
	v_fma_f32 v27, -v25, v27, v99
	s_waitcnt lgkmcnt(7)
	v_fma_f32 v91, -v25, v91, v100
	v_fma_f32 v99, -v25, v92, v101
	;; [unrolled: 1-line block ×5, first 2 shown]
	s_waitcnt lgkmcnt(6)
	v_fma_f32 v107, -v26, v0, v19
	v_fma_f32 v108, -v26, v1, v108
	;; [unrolled: 1-line block ×4, first 2 shown]
	ds_load_2addr_b64 v[0:3], v32 offset0:87 offset1:88
	ds_load_2addr_b64 v[16:19], v32 offset0:89 offset1:90
	s_waitcnt lgkmcnt(6)
	v_fma_f32 v97, -v25, v20, v102
	v_fma_f32 v102, -v26, v4, v111
	;; [unrolled: 1-line block ×5, first 2 shown]
	ds_load_2addr_b64 v[4:7], v32 offset0:39 offset1:40
	v_fma_f32 v98, -v25, v21, v103
	ds_load_b64 v[20:21], v32 offset:328
	v_mov_b32_e32 v74, 0x44c
	s_waitcnt lgkmcnt(5)
	v_fma_f32 v103, -v26, v8, v116
	v_fma_f32 v115, -v26, v9, v117
	;; [unrolled: 1-line block ×4, first 2 shown]
	ds_load_2addr_b64 v[8:11], v32 offset0:145 offset1:146
	v_fma_f32 v104, -v25, v22, v104
	v_fma_f32 v105, -v25, v23, v105
	;; [unrolled: 1-line block ×3, first 2 shown]
	s_waitcnt lgkmcnt(5)
	v_fma_f32 v118, -v26, v12, v93
	v_fma_f32 v119, -v26, v13, v94
	;; [unrolled: 1-line block ×3, first 2 shown]
	v_mul_f32_e32 v27, v83, v92
	v_fma_f32 v121, -v26, v15, v91
	ds_load_2addr_b32 v[22:23], v32 offset0:95 offset1:96
	ds_load_2addr_b32 v[91:92], v32 offset0:97 offset1:98
	;; [unrolled: 1-line block ×4, first 2 shown]
	s_waitcnt lgkmcnt(6)
	v_fma_f32 v99, -v26, v4, v99
	v_fma_f32 v122, -v26, v5, v97
	v_fma_f32 v123, -v26, v6, v98
	v_fma_f32 v104, -v26, v7, v104
	ds_load_2addr_b32 v[97:98], v32 offset0:103 offset1:104
	ds_load_b128 v[4:7], v32 offset:496
	ds_load_b128 v[12:15], v32 offset:512
	s_waitcnt lgkmcnt(8)
	v_fma_f32 v105, -v26, v20, v105
	v_fma_f32 v106, -v26, v21, v106
	;; [unrolled: 1-line block ×9, first 2 shown]
	s_waitcnt lgkmcnt(6)
	v_fma_f32 v110, -v27, v22, v111
	ds_load_2addr_b32 v[21:22], v32 offset0:105 offset1:106
	ds_load_2addr_b32 v[87:88], v32 offset0:107 offset1:108
	;; [unrolled: 1-line block ×3, first 2 shown]
	ds_load_b128 v[83:86], v32 offset:528
	v_dual_mov_b32 v61, 0x98c :: v_dual_mul_f32 v20, v75, v20
	v_fma_f32 v23, -v27, v23, v112
	s_waitcnt lgkmcnt(9)
	v_fma_f32 v111, -v27, v91, v114
	v_fma_f32 v103, -v27, v92, v103
	s_waitcnt lgkmcnt(8)
	v_fma_f32 v93, -v27, v93, v115
	v_fma_f32 v100, -v20, v76, v100
	;; [unrolled: 1-line block ×8, first 2 shown]
	ds_load_2addr_b32 v[75:76], v32 offset0:145 offset1:146
	ds_load_2addr_b32 v[77:78], v32 offset0:147 offset1:148
	;; [unrolled: 1-line block ×5, first 2 shown]
	s_waitcnt lgkmcnt(10)
	v_fma_f32 v111, -v20, v5, v111
	s_waitcnt lgkmcnt(8)
	v_fma_f32 v22, -v27, v22, v99
	v_fma_f32 v99, -v20, v4, v23
	;; [unrolled: 1-line block ×4, first 2 shown]
	ds_load_b128 v[4:7], v32 offset:544
	v_fma_f32 v112, -v27, v94, v116
	v_fma_f32 v95, -v27, v95, v117
	;; [unrolled: 1-line block ×5, first 2 shown]
	s_waitcnt lgkmcnt(8)
	v_fma_f32 v23, -v27, v87, v122
	v_fma_f32 v97, -v27, v97, v119
	;; [unrolled: 1-line block ×3, first 2 shown]
	ds_load_2addr_b32 v[87:88], v36 offset1:1
	ds_load_2addr_b32 v[93:94], v40 offset1:1
	s_waitcnt lgkmcnt(9)
	v_fma_f32 v36, -v27, v89, v104
	v_fma_f32 v40, -v20, v12, v112
	;; [unrolled: 1-line block ×4, first 2 shown]
	s_waitcnt lgkmcnt(8)
	v_fma_f32 v117, -v20, v83, v98
	v_fma_f32 v118, -v20, v84, v21
	;; [unrolled: 1-line block ×4, first 2 shown]
	ds_load_2addr_b32 v[22:23], v32 offset0:153 offset1:154
	ds_load_2addr_b32 v[83:84], v32 offset0:155 offset1:156
	;; [unrolled: 1-line block ×4, first 2 shown]
	s_waitcnt lgkmcnt(11)
	v_dual_mov_b32 v72, 0x52c :: v_dual_mul_f32 v21, v75, v100
	v_fma_f32 v12, -v27, v90, v105
	s_waitcnt lgkmcnt(7)
	v_fma_f32 v13, -v27, v91, v106
	s_waitcnt lgkmcnt(6)
	v_fma_f32 v105, -v20, v5, v36
	v_fma_f32 v116, -v20, v15, v97
	;; [unrolled: 1-line block ×6, first 2 shown]
	ds_load_b128 v[4:7], v32 offset:928
	ds_load_b128 v[12:15], v32 offset:944
	ds_load_2addr_b32 v[89:90], v32 offset0:161 offset1:162
	v_fma_f32 v101, -v21, v77, v107
	v_fma_f32 v106, -v21, v78, v108
	;; [unrolled: 1-line block ×6, first 2 shown]
	ds_load_2addr_b64 v[75:78], v32 offset0:91 offset1:92
	ds_load_2addr_b64 v[79:82], v32 offset0:93 offset1:94
	ds_load_2addr_b32 v[97:98], v32 offset0:163 offset1:164
	ds_load_2addr_b32 v[99:100], v32 offset0:165 offset1:166
	v_mov_b32_e32 v73, 0x454
	s_waitcnt lgkmcnt(10)
	v_fma_f32 v110, -v21, v22, v111
	v_mul_f32_e32 v22, v0, v36
	v_fma_f32 v23, -v21, v23, v103
	s_waitcnt lgkmcnt(9)
	v_fma_f32 v103, -v21, v83, v114
	v_fma_f32 v40, -v21, v84, v40
	s_waitcnt lgkmcnt(8)
	v_fma_f32 v104, -v21, v85, v104
	v_fma_f32 v111, -v21, v86, v112
	ds_load_2addr_b64 v[83:86], v32 offset0:95 offset1:96
	v_fma_f32 v101, -v22, v1, v101
	v_fma_f32 v106, -v22, v2, v106
	v_fma_f32 v107, -v22, v3, v107
	v_fma_f32 v102, -v22, v16, v102
	v_fma_f32 v108, -v22, v17, v108
	v_fma_f32 v109, -v22, v18, v109
	v_fma_f32 v110, -v22, v19, v110
	ds_load_2addr_b32 v[0:1], v32 offset0:203 offset1:204
	ds_load_2addr_b32 v[2:3], v32 offset0:205 offset1:206
	;; [unrolled: 1-line block ×4, first 2 shown]
	s_waitcnt lgkmcnt(12)
	v_fma_f32 v95, -v21, v95, v116
	v_fma_f32 v96, -v21, v96, v117
	s_waitcnt lgkmcnt(8)
	v_fma_f32 v116, -v22, v75, v23
	s_waitcnt lgkmcnt(6)
	v_fma_f32 v23, -v21, v97, v120
	v_mov_b32_e32 v68, 0x60c
	v_fma_f32 v112, -v21, v89, v118
	v_fma_f32 v118, -v22, v81, v96
	s_waitcnt lgkmcnt(5)
	v_fma_f32 v81, -v21, v99, v105
	v_fma_f32 v114, -v21, v90, v119
	v_fma_f32 v117, -v22, v77, v40
	v_fma_f32 v40, -v21, v98, v91
	s_waitcnt lgkmcnt(4)
	v_fma_f32 v99, -v22, v84, v23
	v_fma_f32 v103, -v22, v76, v103
	;; [unrolled: 1-line block ×3, first 2 shown]
	ds_load_2addr_b32 v[75:76], v33 offset1:1
	ds_load_2addr_b32 v[36:37], v37 offset1:1
	;; [unrolled: 1-line block ×4, first 2 shown]
	v_fma_f32 v33, -v22, v79, v111
	s_waitcnt lgkmcnt(7)
	v_mul_f32_e32 v23, v0, v101
	v_fma_f32 v111, -v22, v80, v95
	ds_load_2addr_b32 v[38:39], v32 offset0:211 offset1:212
	ds_load_2addr_b32 v[79:80], v32 offset0:213 offset1:214
	v_fma_f32 v112, -v22, v82, v112
	ds_load_b64 v[95:96], v32 offset:776
	v_fma_f32 v0, -v23, v1, v106
	v_mov_b32_e32 v67, 0x534
	s_waitcnt lgkmcnt(9)
	v_fma_f32 v1, -v23, v2, v107
	v_fma_f32 v91, -v22, v83, v114
	;; [unrolled: 1-line block ×3, first 2 shown]
	v_mul_f32_e32 v0, v4, v0
	v_fma_f32 v119, -v22, v86, v81
	ds_load_2addr_b32 v[40:41], v41 offset1:1
	ds_load_2addr_b32 v[81:82], v42 offset1:1
	;; [unrolled: 1-line block ×4, first 2 shown]
	ds_load_2addr_b32 v[42:43], v32 offset0:215 offset1:216
	ds_load_2addr_b32 v[97:98], v32 offset0:217 offset1:218
	v_fma_f32 v44, -v23, v3, v102
	ds_load_2addr_b32 v[101:102], v32 offset0:219 offset1:220
	s_waitcnt lgkmcnt(15)
	v_fma_f32 v16, -v23, v16, v108
	v_fma_f32 v5, -v0, v5, v1
	ds_load_b128 v[1:4], v32 offset:960
	v_fma_f32 v105, -v23, v17, v109
	s_waitcnt lgkmcnt(15)
	v_fma_f32 v106, -v23, v18, v110
	v_fma_f32 v107, -v23, v19, v116
	;; [unrolled: 1-line block ×3, first 2 shown]
	ds_load_b128 v[16:19], v32 offset:976
	s_waitcnt lgkmcnt(11)
	v_fma_f32 v38, -v23, v38, v103
	v_fma_f32 v109, -v23, v39, v117
	v_mov_b32_e32 v70, 0x7cc
	s_waitcnt lgkmcnt(10)
	v_fma_f32 v110, -v23, v79, v104
	v_fma_f32 v33, -v23, v80, v33
	;; [unrolled: 1-line block ×7, first 2 shown]
	ds_load_2addr_b32 v[38:39], v48 offset1:1
	ds_load_2addr_b32 v[79:80], v50 offset1:1
	ds_load_2addr_b32 v[103:104], v51 offset1:1
	ds_load_2addr_b32 v[105:106], v53 offset1:1
	ds_load_2addr_b32 v[50:51], v63 offset1:1
	s_waitcnt lgkmcnt(9)
	v_fma_f32 v6, -v23, v42, v111
	v_fma_f32 v12, -v23, v43, v118
	s_waitcnt lgkmcnt(8)
	v_fma_f32 v13, -v23, v97, v112
	v_fma_f32 v14, -v23, v98, v91
	s_waitcnt lgkmcnt(7)
	v_fma_f32 v15, -v23, v101, v99
	s_waitcnt lgkmcnt(6)
	v_fma_f32 v42, -v0, v1, v109
	v_mul_f32_e32 v1, v87, v5
	ds_load_2addr_b32 v[107:108], v32 offset0:221 offset1:222
	ds_load_b32 v91, v32 offset:3132
	v_fma_f32 v48, -v0, v2, v110
	v_fma_f32 v33, -v0, v3, v33
	;; [unrolled: 1-line block ×3, first 2 shown]
	s_waitcnt lgkmcnt(7)
	v_fma_f32 v63, -v0, v16, v12
	v_fma_f32 v99, -v0, v17, v13
	;; [unrolled: 1-line block ×4, first 2 shown]
	ds_load_2addr_b64 v[3:6], v32 offset0:147 offset1:148
	ds_load_2addr_b64 v[12:15], v32 offset0:149 offset1:150
	v_fma_f32 v2, -v1, v88, v44
	ds_load_2addr_b32 v[87:88], v58 offset1:1
	ds_load_2addr_b32 v[58:59], v59 offset1:1
	;; [unrolled: 1-line block ×3, first 2 shown]
	v_mov_b32_e32 v65, 0x614
	v_fma_f32 v7, -v1, v93, v7
	v_fma_f32 v66, -v1, v94, v116
	v_mul_f32_e32 v2, v8, v2
	v_fma_f32 v36, -v1, v36, v117
	ds_load_2addr_b32 v[93:94], v52 offset1:1
	ds_load_2addr_b32 v[97:98], v54 offset1:1
	;; [unrolled: 1-line block ×3, first 2 shown]
	v_fma_f32 v52, -v1, v37, v120
	v_fma_f32 v41, -v1, v41, v42
	s_waitcnt lgkmcnt(14)
	v_fma_f32 v42, -v1, v38, v48
	s_waitcnt lgkmcnt(10)
	v_fma_f32 v48, -v1, v50, v53
	v_fma_f32 v50, -v1, v51, v63
	;; [unrolled: 1-line block ×3, first 2 shown]
	ds_load_b128 v[16:19], v32 offset:992
	v_fma_f32 v33, -v1, v39, v33
	v_fma_f32 v53, -v2, v10, v66
	;; [unrolled: 1-line block ×3, first 2 shown]
	ds_load_b128 v[7:10], v32 offset:1392
	ds_load_b128 v[36:39], v32 offset:1408
	ds_load_2addr_b32 v[63:64], v64 offset1:1
	v_mov_b32_e32 v60, 0x8ac
	v_fma_f32 v40, -v1, v40, v122
	s_waitcnt lgkmcnt(7)
	v_fma_f32 v11, -v1, v43, v99
	v_fma_f32 v99, -v2, v3, v52
	v_mul_f32_e32 v3, v75, v51
	v_fma_f32 v5, -v2, v5, v41
	v_fma_f32 v110, -v2, v4, v40
	;; [unrolled: 1-line block ×7, first 2 shown]
	ds_load_2addr_b64 v[11:14], v32 offset0:203 offset1:204
	ds_load_2addr_b64 v[40:43], v32 offset0:205 offset1:206
	v_fma_f32 v114, -v23, v102, v114
	v_fma_f32 v4, -v3, v76, v53
	ds_load_2addr_b64 v[50:53], v71 offset1:1
	ds_load_2addr_b32 v[101:102], v74 offset1:1
	v_fma_f32 v6, -v3, v77, v66
	ds_load_2addr_b64 v[74:77], v32 offset0:151 offset1:152
	v_fma_f32 v66, -v3, v81, v110
	s_waitcnt lgkmcnt(7)
	v_mul_f32_e32 v4, v7, v4
	v_fma_f32 v7, -v3, v78, v99
	v_fma_f32 v5, -v3, v82, v5
	ds_load_2addr_b32 v[71:72], v72 offset1:1
	v_fma_f32 v48, -v3, v93, v48
	v_fma_f32 v78, -v4, v8, v6
	;; [unrolled: 1-line block ×3, first 2 shown]
	ds_load_b128 v[6:9], v32 offset:1424
	v_fma_f32 v10, -v4, v10, v66
	v_fma_f32 v66, -v3, v79, v112
	s_waitcnt lgkmcnt(8)
	v_fma_f32 v79, -v4, v36, v5
	v_mov_b32_e32 v62, 0xa6c
	v_fma_f32 v33, -v3, v80, v33
	v_fma_f32 v16, -v0, v16, v114
	;; [unrolled: 1-line block ×4, first 2 shown]
	s_waitcnt lgkmcnt(3)
	v_fma_f32 v5, -v1, v101, v111
	v_fma_f32 v66, -v4, v37, v66
	;; [unrolled: 1-line block ×3, first 2 shown]
	ds_load_2addr_b32 v[109:110], v34 offset1:1
	ds_load_2addr_b64 v[33:36], v35 offset1:1
	ds_load_2addr_b32 v[37:38], v57 offset1:1
	s_waitcnt lgkmcnt(5)
	v_fma_f32 v48, -v2, v75, v5
	v_mul_f32_e32 v5, v89, v78
	v_fma_f32 v16, -v1, v102, v16
	ds_load_b64 v[101:102], v32 offset:1224
	v_fma_f32 v57, -v3, v94, v116
	v_fma_f32 v15, -v3, v63, v15
	;; [unrolled: 1-line block ×4, first 2 shown]
	s_waitcnt lgkmcnt(5)
	v_fma_f32 v48, -v3, v71, v48
	s_waitcnt lgkmcnt(4)
	v_fma_f32 v57, -v4, v6, v57
	v_fma_f32 v89, -v4, v7, v15
	;; [unrolled: 1-line block ×3, first 2 shown]
	v_mul_f32_e32 v6, v11, v63
	v_fma_f32 v44, -v3, v64, v44
	ds_load_2addr_b32 v[74:75], v68 offset1:1
	ds_load_2addr_b32 v[93:94], v69 offset1:1
	;; [unrolled: 1-line block ×3, first 2 shown]
	ds_load_b128 v[68:71], v32 offset:1440
	v_fma_f32 v15, -v5, v84, v79
	v_fma_f32 v7, -v6, v12, v7
	;; [unrolled: 1-line block ×6, first 2 shown]
	v_mul_f32_e32 v7, v85, v7
	v_fma_f32 v44, -v4, v8, v44
	v_fma_f32 v99, -v4, v9, v48
	ds_load_b128 v[8:11], v32 offset:1856
	v_fma_f32 v48, -v5, v103, v66
	v_fma_f32 v66, -v5, v104, v80
	ds_load_b128 v[78:81], v32 offset:1872
	ds_load_2addr_b32 v[63:64], v45 offset1:1
	ds_load_2addr_b32 v[82:83], v47 offset1:1
	;; [unrolled: 1-line block ×3, first 2 shown]
	v_fma_f32 v47, -v7, v86, v90
	v_fma_f32 v45, -v6, v14, v48
	s_waitcnt lgkmcnt(10)
	v_fma_f32 v49, -v5, v38, v44
	ds_load_2addr_b64 v[12:15], v32 offset0:207 offset1:208
	v_fma_f32 v48, -v5, v37, v89
	v_fma_f32 v16, -v3, v72, v16
	v_fma_f32 v44, -v7, v105, v45
	s_waitcnt lgkmcnt(6)
	s_delay_alu instid0(VALU_DEP_2) | instskip(SKIP_2) | instid1(VALU_DEP_1)
	v_fma_f32 v16, -v4, v68, v16
	s_waitcnt lgkmcnt(5)
	v_mul_f32_e32 v8, v8, v47
	v_fma_f32 v9, -v8, v9, v44
	s_delay_alu instid0(VALU_DEP_1)
	v_mul_f32_e32 v9, v109, v9
	v_fma_f32 v37, -v6, v40, v66
	v_fma_f32 v41, -v6, v41, v39
	;; [unrolled: 1-line block ×3, first 2 shown]
	s_waitcnt lgkmcnt(0)
	v_fma_f32 v12, -v6, v12, v49
	v_fma_f32 v45, -v7, v106, v37
	ds_load_2addr_b32 v[89:90], v46 offset1:1
	ds_load_2addr_b64 v[37:40], v56 offset1:1
	v_fma_f32 v46, -v6, v42, v57
	v_fma_f32 v48, -v7, v54, v41
	;; [unrolled: 1-line block ×4, first 2 shown]
	ds_load_b128 v[41:44], v32 offset:1888
	ds_load_b64 v[97:98], v32 offset:1672
	v_fma_f32 v45, -v7, v55, v46
	v_fma_f32 v11, -v8, v11, v48
	;; [unrolled: 1-line block ×7, first 2 shown]
	v_mul_f32_e32 v10, v33, v10
	ds_load_b128 v[45:48], v32 offset:2320
	ds_load_b128 v[54:57], v32 offset:2336
	v_fma_f32 v12, -v8, v80, v12
	v_fma_f32 v64, -v9, v88, v63
	v_fma_f32 v49, -v9, v82, v49
	v_fma_f32 v11, -v10, v34, v11
	ds_load_2addr_b32 v[33:34], v60 offset1:1
	ds_load_2addr_b32 v[60:61], v61 offset1:1
	;; [unrolled: 1-line block ×4, first 2 shown]
	v_fma_f32 v12, -v9, v83, v12
	ds_load_2addr_b32 v[86:87], v113 offset0:95 offset1:151
	v_mul_f32_e32 v11, v58, v11
	v_fma_f32 v35, -v10, v35, v64
	v_fma_f32 v58, -v5, v74, v99
	;; [unrolled: 1-line block ×3, first 2 shown]
	s_waitcnt lgkmcnt(9)
	v_fma_f32 v37, -v10, v37, v12
	v_add_nc_u32_e64 v64, 0x400, 0
	v_fma_f32 v35, -v11, v59, v35
	v_fma_f32 v13, -v6, v13, v58
	;; [unrolled: 1-line block ×4, first 2 shown]
	s_waitcnt lgkmcnt(6)
	v_mul_f32_e32 v12, v45, v35
	v_fma_f32 v45, -v5, v75, v16
	v_fma_f32 v35, -v23, v107, v119
	;; [unrolled: 1-line block ×3, first 2 shown]
	s_delay_alu instid0(VALU_DEP_3)
	v_fma_f32 v58, -v6, v14, v45
	v_mov_b32_e32 v45, 0x6f4
	v_fma_f32 v36, -v12, v46, v36
	v_fma_f32 v17, -v0, v17, v35
	;; [unrolled: 1-line block ×5, first 2 shown]
	v_mul_f32_e32 v13, v89, v36
	s_waitcnt lgkmcnt(1)
	v_fma_f32 v36, -v1, v78, v17
	v_fma_f32 v35, -v9, v111, v35
	ds_load_2addr_b32 v[16:17], v67 offset1:1
	v_fma_f32 v37, -v13, v90, v37
	v_fma_f32 v47, -v2, v77, v36
	;; [unrolled: 1-line block ×3, first 2 shown]
	ds_load_2addr_b32 v[35:36], v65 offset1:1
	v_fma_f32 v38, -v21, v92, v121
	v_mul_f32_e32 v14, v50, v37
	v_fma_f32 v37, -v22, v95, v46
	v_mov_b32_e32 v46, 0x7d4
	v_fma_f32 v33, -v11, v33, v59
	v_fma_f32 v50, -v22, v96, v38
	s_delay_alu instid0(VALU_DEP_4)
	v_fma_f32 v49, -v23, v108, v37
	ds_load_2addr_b32 v[37:38], v45 offset1:1
	ds_load_2addr_b32 v[45:46], v46 offset1:1
	v_fma_f32 v33, -v12, v48, v33
	s_waitcnt lgkmcnt(4)
	v_fma_f32 v65, -v23, v86, v50
	v_fma_f32 v18, -v0, v18, v49
	ds_load_2addr_b32 v[49:50], v64 offset0:79 offset1:135
	s_waitcnt lgkmcnt(4)
	v_fma_f32 v16, -v3, v16, v47
	v_fma_f32 v47, -v7, v94, v58
	;; [unrolled: 1-line block ×4, first 2 shown]
	ds_load_b64 v[58:59], v32 offset:2120
	v_fma_f32 v16, -v4, v69, v16
	v_fma_f32 v41, -v8, v41, v47
	;; [unrolled: 1-line block ×4, first 2 shown]
	ds_load_2addr_b32 v[47:48], v64 offset0:191 offset1:247
	s_waitcnt lgkmcnt(5)
	v_fma_f32 v16, -v5, v35, v16
	v_fma_f32 v35, -v9, v112, v41
	;; [unrolled: 1-line block ×7, first 2 shown]
	v_mov_b32_e32 v19, 0x8b4
	v_fma_f32 v17, -v4, v70, v17
	s_waitcnt lgkmcnt(2)
	v_fma_f32 v18, -v3, v49, v18
	v_fma_f32 v15, -v7, v37, v15
	;; [unrolled: 1-line block ×3, first 2 shown]
	ds_load_2addr_b32 v[33:34], v19 offset1:1
	v_fma_f32 v17, -v5, v36, v17
	v_fma_f32 v18, -v4, v71, v18
	;; [unrolled: 1-line block ×4, first 2 shown]
	v_mov_b32_e32 v41, 0xb54
	v_fma_f32 v17, -v6, v97, v17
	v_fma_f32 v16, -v5, v50, v18
	;; [unrolled: 1-line block ×3, first 2 shown]
	v_mov_b32_e32 v18, 0x994
	v_add_nc_u32_e64 v45, 0x800, 0
	v_fma_f32 v17, -v7, v38, v17
	v_fma_f32 v16, -v6, v98, v16
	;; [unrolled: 1-line block ×3, first 2 shown]
	ds_load_2addr_b32 v[35:36], v18 offset1:1
	ds_load_2addr_b32 v[37:38], v45 offset0:47 offset1:103
	v_fma_f32 v17, -v8, v43, v17
	s_waitcnt lgkmcnt(3)
	v_fma_f32 v16, -v7, v47, v16
	v_mov_b32_e32 v19, 0xa74
	ds_load_2addr_b32 v[39:40], v19 offset1:1
	ds_load_2addr_b32 v[41:42], v41 offset1:1
	v_fma_f32 v17, -v9, v46, v17
	v_fma_f32 v46, -v8, v44, v16
	s_waitcnt lgkmcnt(4)
	v_fma_f32 v15, -v11, v33, v15
	v_fma_f32 v47, -v14, v51, v60
	;; [unrolled: 1-line block ×3, first 2 shown]
	ds_load_b128 v[16:19], v32 offset:2784
	ds_load_b64 v[43:44], v32 offset:2568
	v_fma_f32 v46, -v9, v48, v46
	v_fma_f32 v48, -v13, v61, v49
	;; [unrolled: 1-line block ×4, first 2 shown]
	v_mul_f32_e32 v15, v62, v47
	v_fma_f32 v34, -v10, v59, v46
	v_fma_f32 v46, -v14, v52, v48
	s_waitcnt lgkmcnt(5)
	v_fma_f32 v35, -v13, v35, v49
	v_fma_f32 v47, -v12, v56, v33
	s_waitcnt lgkmcnt(4)
	v_fma_f32 v37, -v11, v37, v34
	ds_load_2addr_b32 v[33:34], v45 offset0:159 offset1:215
	v_fma_f32 v45, -v15, v63, v46
	v_fma_f32 v46, -v14, v53, v35
	;; [unrolled: 1-line block ×4, first 2 shown]
	ds_load_b64 v[35:36], v32 offset:3016
	s_clause 0x1
	global_store_b128 v[28:29], v[24:27], off
	global_store_b128 v[28:29], v[20:23], off offset:16
	s_waitcnt lgkmcnt(3)
	v_mul_f32_e32 v16, v16, v45
	v_fma_f32 v32, -v15, v39, v46
	s_waitcnt lgkmcnt(2)
	v_fma_f32 v39, -v14, v43, v47
	v_fma_f32 v37, -v13, v38, v37
	s_clause 0x3
	global_store_b128 v[28:29], v[0:3], off offset:32
	global_store_b128 v[28:29], v[4:7], off offset:48
	global_store_b128 v[28:29], v[8:11], off offset:64
	global_store_b128 v[28:29], v[12:15], off offset:80
	v_fma_f32 v17, -v16, v17, v32
	v_fma_f32 v32, -v15, v40, v39
	;; [unrolled: 1-line block ×3, first 2 shown]
	s_delay_alu instid0(VALU_DEP_3) | instskip(NEXT) | instid1(VALU_DEP_3)
	v_mul_f32_e32 v17, v41, v17
	v_fma_f32 v18, -v16, v18, v32
	s_waitcnt lgkmcnt(1)
	s_delay_alu instid0(VALU_DEP_3) | instskip(NEXT) | instid1(VALU_DEP_2)
	v_fma_f32 v32, -v15, v33, v37
	v_fma_f32 v18, -v17, v42, v18
	s_delay_alu instid0(VALU_DEP_2) | instskip(SKIP_1) | instid1(VALU_DEP_2)
	v_fma_f32 v19, -v16, v19, v32
	s_waitcnt lgkmcnt(0)
	v_mul_f32_e32 v18, v35, v18
	s_delay_alu instid0(VALU_DEP_2) | instskip(NEXT) | instid1(VALU_DEP_1)
	v_fma_f32 v19, -v17, v34, v19
	v_fma_f32 v19, -v18, v36, v19
	s_delay_alu instid0(VALU_DEP_1)
	v_mul_f32_e32 v19, v91, v19
	global_store_b128 v[28:29], v[16:19], off offset:96
.LBB34_37:
	s_cmp_lt_i32 s4, s2
	s_cbranch_scc0 .LBB34_54
; %bb.38:
	s_add_i32 s5, s4, 23
	s_delay_alu instid0(SALU_CYCLE_1)
	s_cmp_ge_u32 s5, s2
	s_cbranch_scc1 .LBB34_43
; %bb.39:
	s_lshl_b32 s6, s4, 2
	s_delay_alu instid0(SALU_CYCLE_1)
	v_add_co_u32 v4, vcc_lo, v28, s6
	v_add_co_ci_u32_e32 v5, vcc_lo, 0, v29, vcc_lo
	s_and_not1_b32 vcc_lo, exec_lo, s3
	s_mov_b32 s3, 0
	s_clause 0x5
	global_load_b128 v[0:3], v[4:5], off
	global_load_b128 v[10:13], v[4:5], off offset:16
	global_load_b128 v[14:17], v[4:5], off offset:32
	;; [unrolled: 1-line block ×5, first 2 shown]
	s_waitcnt vmcnt(5)
	v_dual_mul_f32 v37, s15, v0 :: v_dual_mul_f32 v8, s15, v2
	v_dual_mul_f32 v9, s15, v1 :: v_dual_mul_f32 v2, s15, v3
	s_waitcnt vmcnt(4)
	v_dual_mul_f32 v36, s15, v10 :: v_dual_mul_f32 v3, s15, v11
	s_waitcnt vmcnt(3)
	v_dual_mul_f32 v35, s15, v12 :: v_dual_mul_f32 v34, s15, v14
	v_dual_mul_f32 v33, s15, v13 :: v_dual_mul_f32 v32, s15, v15
	;; [unrolled: 1-line block ×3, first 2 shown]
	s_waitcnt vmcnt(2)
	v_dual_mul_f32 v24, s15, v18 :: v_dual_mul_f32 v23, s15, v19
	v_dual_mul_f32 v22, s15, v20 :: v_dual_mul_f32 v21, s15, v21
	s_waitcnt vmcnt(1)
	v_dual_mul_f32 v20, s15, v38 :: v_dual_mul_f32 v19, s15, v39
	v_dual_mul_f32 v17, s15, v40 :: v_dual_mul_f32 v16, s15, v41
	;; [unrolled: 3-line block ×3, first 2 shown]
	s_cbranch_vccnz .LBB34_42
; %bb.40:
	v_dual_mov_b32 v0, v28 :: v_dual_mov_b32 v1, v29
.LBB34_41:                              ; =>This Inner Loop Header: Depth=1
	global_load_b32 v6, v[0:1], off
	v_mov_b32_e32 v7, s6
	v_add_co_u32 v0, vcc_lo, v0, 4
	v_add_co_ci_u32_e32 v1, vcc_lo, 0, v1, vcc_lo
	ds_load_b128 v[38:41], v7
	ds_load_b128 v[42:45], v7 offset:16
	ds_load_b128 v[46:49], v7 offset:32
	;; [unrolled: 1-line block ×5, first 2 shown]
	s_add_i32 s3, s3, 1
	s_addk_i32 s6, 0x70
	s_cmp_lt_u32 s3, s4
	s_waitcnt vmcnt(0) lgkmcnt(5)
	v_fma_f32 v37, -v6, v38, v37
	v_fma_f32 v9, -v6, v39, v9
	v_fma_f32 v8, -v6, v40, v8
	v_fma_f32 v2, -v6, v41, v2
	s_waitcnt lgkmcnt(4)
	v_fma_f32 v36, -v6, v42, v36
	v_fma_f32 v3, -v6, v43, v3
	v_fma_f32 v35, -v6, v44, v35
	v_fma_f32 v33, -v6, v45, v33
	s_waitcnt lgkmcnt(3)
	;; [unrolled: 5-line block ×5, first 2 shown]
	v_fma_f32 v15, -v6, v58, v15
	v_fma_f32 v14, -v6, v59, v14
	;; [unrolled: 1-line block ×4, first 2 shown]
	s_cbranch_scc1 .LBB34_41
.LBB34_42:
	s_mul_i32 s3, s4, 0x74
	s_add_i32 s4, s4, 24
	v_mov_b32_e32 v18, s3
	v_add_nc_u32_e64 v64, 0x200, s3
	v_add_nc_u32_e64 v27, 0x400, s3
	s_add_i32 s6, s3, 0x48c
	ds_load_b128 v[38:41], v18
	ds_load_2addr_b32 v[62:63], v18 offset0:29 offset1:30
	ds_load_b128 v[42:45], v18 offset:16
	ds_load_2addr_b32 v[10:11], v18 offset0:107 offset1:145
	ds_load_2addr_b64 v[46:49], v18 offset0:29 offset1:30
	ds_load_2addr_b64 v[50:53], v18 offset0:31 offset1:32
	ds_load_2addr_b32 v[6:7], v18 offset0:174 offset1:191
	s_waitcnt lgkmcnt(6)
	v_mul_f32_e32 v0, v38, v37
	s_delay_alu instid0(VALU_DEP_1)
	v_fma_f32 v1, -v0, v39, v9
	v_fma_f32 v65, -v0, v40, v8
	;; [unrolled: 1-line block ×3, first 2 shown]
	s_waitcnt lgkmcnt(4)
	v_fma_f32 v36, -v0, v42, v36
	v_fma_f32 v42, -v0, v43, v3
	v_mul_f32_e32 v1, v62, v1
	ds_load_2addr_b32 v[78:79], v18 offset0:31 offset1:32
	ds_load_2addr_b32 v[86:87], v18 offset0:33 offset1:34
	;; [unrolled: 1-line block ×4, first 2 shown]
	ds_load_b128 v[54:57], v18 offset:464
	ds_load_b128 v[58:61], v18 offset:480
	ds_load_2addr_b32 v[92:93], v18 offset0:87 offset1:88
	ds_load_2addr_b32 v[94:95], v18 offset0:89 offset1:90
	;; [unrolled: 1-line block ×6, first 2 shown]
	ds_load_2addr_b64 v[37:40], v18 offset0:75 offset1:76
	ds_load_2addr_b32 v[102:103], v18 offset0:95 offset1:96
	v_fma_f32 v33, -v0, v45, v33
	v_fma_f32 v41, -v1, v63, v65
	ds_load_b128 v[62:65], v18 offset:32
	ds_load_b128 v[66:69], v18 offset:48
	;; [unrolled: 1-line block ×4, first 2 shown]
	ds_load_2addr_b32 v[104:105], v18 offset0:175 offset1:176
	ds_load_2addr_b32 v[106:107], v18 offset0:177 offset1:178
	;; [unrolled: 1-line block ×4, first 2 shown]
	s_waitcnt lgkmcnt(21)
	v_fma_f32 v78, -v1, v78, v2
	v_mul_f32_e32 v2, v46, v41
	v_fma_f32 v36, -v1, v79, v36
	s_waitcnt lgkmcnt(19)
	v_fma_f32 v33, -v1, v88, v33
	s_delay_alu instid0(VALU_DEP_3) | instskip(NEXT) | instid1(VALU_DEP_3)
	v_fma_f32 v41, -v2, v47, v78
	v_fma_f32 v36, -v2, v48, v36
	ds_load_2addr_b32 v[46:47], v18 offset0:37 offset1:38
	ds_load_2addr_b32 v[112:113], v18 offset0:39 offset1:40
	;; [unrolled: 1-line block ×4, first 2 shown]
	s_waitcnt lgkmcnt(11)
	v_fma_f32 v45, -v0, v63, v32
	v_fma_f32 v33, -v2, v51, v33
	v_mul_f32_e32 v3, v92, v41
	v_fma_f32 v41, -v1, v86, v42
	ds_load_2addr_b64 v[78:81], v18 offset0:73 offset1:74
	ds_load_b128 v[82:85], v18 offset:528
	v_fma_f32 v36, -v3, v93, v36
	v_fma_f32 v41, -v2, v49, v41
	s_delay_alu instid0(VALU_DEP_2) | instskip(NEXT) | instid1(VALU_DEP_2)
	v_mul_f32_e32 v32, v54, v36
	v_fma_f32 v48, -v3, v94, v41
	s_waitcnt lgkmcnt(5)
	v_fma_f32 v45, -v1, v46, v45
	v_fma_f32 v46, -v3, v96, v33
	s_delay_alu instid0(VALU_DEP_3) | instskip(NEXT) | instid1(VALU_DEP_1)
	v_fma_f32 v36, -v32, v55, v48
	v_mul_f32_e32 v33, v11, v36
	v_fma_f32 v35, -v0, v44, v35
	v_fma_f32 v34, -v0, v62, v34
	ds_load_2addr_b64 v[41:44], v18 offset0:33 offset1:34
	v_fma_f32 v11, -v0, v64, v26
	v_fma_f32 v26, -v2, v53, v45
	;; [unrolled: 1-line block ×6, first 2 shown]
	ds_load_2addr_b64 v[45:48], v18 offset0:35 offset1:36
	v_fma_f32 v35, -v2, v50, v35
	v_fma_f32 v34, -v2, v52, v34
	;; [unrolled: 1-line block ×3, first 2 shown]
	s_waitcnt lgkmcnt(3)
	v_fma_f32 v36, -v33, v79, v36
	v_fma_f32 v25, -v0, v65, v25
	v_fma_f32 v35, -v3, v95, v35
	v_fma_f32 v34, -v3, v97, v34
	v_fma_f32 v24, -v0, v66, v24
	v_fma_f32 v22, -v0, v68, v22
	v_fma_f32 v25, -v1, v112, v25
	v_fma_f32 v35, -v32, v56, v35
	v_fma_f32 v49, -v32, v58, v34
	v_fma_f32 v21, -v0, v69, v21
	v_fma_f32 v22, -v1, v115, v22
	v_fma_f32 v23, -v0, v67, v23
	v_fma_f32 v35, -v33, v78, v35
	s_delay_alu instid0(VALU_DEP_4) | instskip(NEXT) | instid1(VALU_DEP_2)
	v_fma_f32 v21, -v1, v116, v21
	v_mul_f32_e32 v34, v6, v35
	s_waitcnt lgkmcnt(1)
	v_fma_f32 v6, -v2, v41, v11
	v_fma_f32 v11, -v32, v59, v26
	;; [unrolled: 1-line block ×3, first 2 shown]
	ds_load_2addr_b64 v[49:52], v18 offset0:77 offset1:78
	v_fma_f32 v35, -v34, v104, v36
	v_fma_f32 v6, -v3, v99, v6
	;; [unrolled: 1-line block ×4, first 2 shown]
	ds_load_2addr_b32 v[64:65], v18 offset0:235 offset1:236
	ds_load_2addr_b32 v[78:79], v18 offset0:237 offset1:238
	;; [unrolled: 1-line block ×3, first 2 shown]
	v_mul_f32_e32 v35, v90, v35
	v_fma_f32 v6, -v32, v60, v6
	v_fma_f32 v11, -v34, v106, v11
	s_delay_alu instid0(VALU_DEP_3) | instskip(NEXT) | instid1(VALU_DEP_3)
	v_fma_f32 v26, -v35, v70, v26
	v_fma_f32 v6, -v33, v37, v6
	s_delay_alu instid0(VALU_DEP_2) | instskip(NEXT) | instid1(VALU_DEP_4)
	v_mul_f32_e32 v36, v91, v26
	v_fma_f32 v11, -v35, v71, v11
	ds_load_2addr_b32 v[70:71], v18 offset0:97 offset1:98
	ds_load_2addr_b32 v[86:87], v18 offset0:99 offset1:100
	;; [unrolled: 1-line block ×3, first 2 shown]
	ds_load_b128 v[57:60], v18 offset:496
	ds_load_2addr_b64 v[53:56], v18 offset0:131 offset1:132
	ds_load_2addr_b32 v[90:91], v27 offset0:34 offset1:47
	v_fma_f32 v11, -v36, v100, v11
	s_delay_alu instid0(VALU_DEP_1)
	v_mul_f32_e32 v37, v9, v11
	v_fma_f32 v9, -v1, v113, v24
	v_fma_f32 v25, -v2, v42, v25
	s_waitcnt lgkmcnt(10)
	v_fma_f32 v22, -v2, v45, v22
	v_fma_f32 v21, -v2, v46, v21
	ds_load_2addr_b32 v[45:46], v18 offset0:183 offset1:184
	v_fma_f32 v9, -v2, v43, v9
	v_fma_f32 v25, -v3, v102, v25
	v_mov_b32_e32 v24, s6
	s_add_i32 s6, s3, 0x494
	s_delay_alu instid0(VALU_DEP_3) | instskip(NEXT) | instid1(VALU_DEP_3)
	v_fma_f32 v9, -v3, v103, v9
	v_fma_f32 v25, -v32, v61, v25
	ds_load_2addr_b32 v[66:67], v24 offset1:1
	s_waitcnt lgkmcnt(4)
	v_fma_f32 v9, -v32, v57, v9
	v_fma_f32 v11, -v33, v38, v25
	;; [unrolled: 1-line block ×3, first 2 shown]
	s_delay_alu instid0(VALU_DEP_3)
	v_fma_f32 v9, -v33, v39, v9
	v_mov_b32_e32 v39, s6
	v_fma_f32 v6, -v34, v107, v6
	v_fma_f32 v11, -v34, v108, v11
	;; [unrolled: 1-line block ×4, first 2 shown]
	ds_load_2addr_b32 v[92:93], v39 offset1:1
	v_fma_f32 v6, -v35, v72, v6
	ds_load_2addr_b64 v[23:26], v18 offset0:133 offset1:134
	v_fma_f32 v11, -v35, v73, v11
	ds_load_2addr_b32 v[72:73], v27 offset0:63 offset1:92
	v_fma_f32 v9, -v35, v74, v9
	v_fma_f32 v6, -v36, v101, v6
	s_add_i32 s6, s3, 0x574
	ds_load_b128 v[41:44], v18 offset:512
	s_waitcnt lgkmcnt(7)
	v_fma_f32 v6, -v37, v53, v6
	v_fma_f32 v53, -v3, v70, v38
	s_waitcnt lgkmcnt(6)
	s_delay_alu instid0(VALU_DEP_2) | instskip(SKIP_1) | instid1(VALU_DEP_3)
	v_mul_f32_e32 v38, v90, v6
	v_fma_f32 v6, -v36, v64, v11
	v_fma_f32 v11, -v32, v58, v53
	ds_load_b128 v[61:64], v18 offset:1280
	v_fma_f32 v6, -v37, v54, v6
	v_fma_f32 v11, -v33, v40, v11
	s_waitcnt lgkmcnt(5)
	s_delay_alu instid0(VALU_DEP_2) | instskip(NEXT) | instid1(VALU_DEP_2)
	v_fma_f32 v6, -v38, v66, v6
	v_fma_f32 v11, -v34, v110, v11
	s_waitcnt lgkmcnt(2)
	s_delay_alu instid0(VALU_DEP_2) | instskip(SKIP_1) | instid1(VALU_DEP_3)
	v_mul_f32_e32 v39, v72, v6
	v_fma_f32 v6, -v36, v65, v9
	v_fma_f32 v9, -v35, v75, v11
	v_fma_f32 v11, -v3, v71, v22
	s_delay_alu instid0(VALU_DEP_3) | instskip(NEXT) | instid1(VALU_DEP_3)
	v_fma_f32 v6, -v37, v55, v6
	v_fma_f32 v9, -v36, v78, v9
	s_delay_alu instid0(VALU_DEP_3) | instskip(NEXT) | instid1(VALU_DEP_3)
	v_fma_f32 v11, -v32, v59, v11
	v_fma_f32 v6, -v38, v67, v6
	s_delay_alu instid0(VALU_DEP_3)
	v_fma_f32 v9, -v37, v56, v9
	ds_load_b128 v[53:56], v18 offset:1296
	v_fma_f32 v11, -v33, v49, v11
	ds_load_b128 v[65:68], v18 offset:64
	s_waitcnt lgkmcnt(2)
	v_fma_f32 v6, -v39, v61, v6
	v_mov_b32_e32 v22, s6
	v_fma_f32 v9, -v38, v92, v9
	v_fma_f32 v11, -v34, v111, v11
	s_add_i32 s6, s3, 0x49c
	ds_load_2addr_b32 v[94:95], v22 offset1:1
	v_fma_f32 v22, -v3, v86, v21
	v_mul_f32_e32 v21, v73, v6
	v_fma_f32 v6, -v39, v62, v9
	v_fma_f32 v9, -v35, v76, v11
	ds_load_2addr_b32 v[96:97], v18 offset0:185 offset1:186
	ds_load_2addr_b32 v[98:99], v18 offset0:187 offset1:188
	;; [unrolled: 1-line block ×3, first 2 shown]
	v_fma_f32 v11, -v32, v60, v22
	v_mov_b32_e32 v22, s6
	s_add_i32 s6, s3, 0x57c
	v_fma_f32 v9, -v36, v79, v9
	s_delay_alu instid0(VALU_DEP_3)
	v_fma_f32 v11, -v33, v50, v11
	ds_load_2addr_b32 v[49:50], v22 offset1:1
	ds_load_b128 v[57:60], v18 offset:80
	s_waitcnt lgkmcnt(6)
	v_fma_f32 v20, -v0, v65, v20
	ds_load_2addr_b32 v[104:105], v18 offset0:45 offset1:46
	ds_load_2addr_b64 v[69:72], v18 offset0:189 offset1:190
	v_fma_f32 v11, -v34, v45, v11
	ds_load_2addr_b32 v[102:103], v27 offset0:103 offset1:121
	v_fma_f32 v20, -v1, v117, v20
	v_fma_f32 v9, -v37, v23, v9
	v_mov_b32_e32 v22, s6
	v_fma_f32 v11, -v35, v77, v11
	s_waitcnt lgkmcnt(8)
	v_fma_f32 v6, -v21, v94, v6
	v_fma_f32 v20, -v2, v47, v20
	;; [unrolled: 1-line block ×3, first 2 shown]
	s_add_i32 s6, s3, 0x65c
	v_fma_f32 v11, -v36, v80, v11
	v_fma_f32 v17, -v0, v67, v17
	;; [unrolled: 1-line block ×4, first 2 shown]
	s_delay_alu instid0(VALU_DEP_4)
	v_fma_f32 v11, -v37, v24, v11
	ds_load_2addr_b32 v[23:24], v22 offset1:1
	ds_load_b128 v[73:76], v18 offset:848
	ds_load_2addr_b32 v[86:87], v27 offset0:150 offset1:159
	v_fma_f32 v22, -v0, v66, v19
	v_fma_f32 v40, -v32, v41, v20
	s_waitcnt lgkmcnt(7)
	v_fma_f32 v11, -v38, v49, v11
	ds_load_2addr_b32 v[19:20], v18 offset0:47 offset1:48
	ds_load_2addr_b32 v[92:93], v18 offset0:49 offset1:50
	ds_load_b32 v90, v18 offset:204
	ds_load_2addr_b64 v[77:80], v18 offset0:37 offset1:38
	s_waitcnt lgkmcnt(9)
	v_fma_f32 v41, -v1, v104, v22
	v_fma_f32 v40, -v33, v51, v40
	s_waitcnt lgkmcnt(7)
	v_mul_f32_e32 v22, v103, v6
	v_fma_f32 v6, -v21, v95, v9
	v_fma_f32 v9, -v39, v64, v11
	;; [unrolled: 1-line block ×4, first 2 shown]
	ds_load_b128 v[61:64], v18 offset:864
	ds_load_2addr_b32 v[65:66], v18 offset0:241 offset1:242
	v_fma_f32 v6, -v22, v69, v6
	v_fma_f32 v11, -v3, v88, v11
	;; [unrolled: 1-line block ×3, first 2 shown]
	ds_load_b128 v[45:48], v18 offset:1312
	s_waitcnt lgkmcnt(9)
	v_fma_f32 v9, -v21, v23, v9
	s_waitcnt lgkmcnt(8)
	v_fma_f32 v40, -v35, v73, v40
	s_waitcnt lgkmcnt(7)
	v_mul_f32_e32 v23, v86, v6
	v_fma_f32 v6, -v32, v42, v11
	v_fma_f32 v41, -v0, v68, v16
	;; [unrolled: 1-line block ×4, first 2 shown]
	v_mov_b32_e32 v40, s6
	v_fma_f32 v6, -v33, v52, v6
	s_add_i32 s6, s3, 0x4a4
	s_waitcnt lgkmcnt(6)
	v_fma_f32 v19, -v1, v19, v41
	v_fma_f32 v11, -v37, v25, v11
	v_mov_b32_e32 v25, s6
	v_fma_f32 v6, -v34, v96, v6
	ds_load_2addr_b32 v[94:95], v40 offset1:1
	s_add_i32 s6, s3, 0x584
	v_fma_f32 v11, -v38, v50, v11
	ds_load_2addr_b32 v[69:70], v25 offset1:1
	v_fma_f32 v6, -v35, v74, v6
	ds_load_2addr_b32 v[73:74], v18 offset0:103 offset1:104
	ds_load_2addr_b64 v[49:52], v18 offset0:79 offset1:80
	ds_load_b64 v[103:104], v18 offset:312
	v_mov_b32_e32 v25, s6
	s_waitcnt lgkmcnt(8)
	v_fma_f32 v40, -v2, v77, v17
	ds_load_2addr_b32 v[105:106], v18 offset0:243 offset1:244
	ds_load_2addr_b32 v[107:108], v18 offset0:245 offset1:246
	s_waitcnt lgkmcnt(8)
	v_fma_f32 v6, -v36, v65, v6
	v_fma_f32 v11, -v39, v53, v11
	ds_load_2addr_b32 v[16:17], v25 offset1:1
	v_fma_f32 v25, -v3, v89, v40
	v_fma_f32 v19, -v2, v78, v19
	;; [unrolled: 1-line block ×4, first 2 shown]
	ds_load_2addr_b32 v[88:89], v27 offset0:179 offset1:208
	v_fma_f32 v24, -v32, v43, v25
	ds_load_2addr_b64 v[40:43], v18 offset0:135 offset1:136
	s_add_i32 s6, s3, 0x4ac
	s_waitcnt lgkmcnt(9)
	v_fma_f32 v9, -v23, v94, v9
	ds_load_2addr_b32 v[25:26], v18 offset0:105 offset1:106
	ds_load_b64 v[77:78], v18 offset:648
	s_waitcnt lgkmcnt(10)
	v_fma_f32 v6, -v38, v69, v6
	s_waitcnt lgkmcnt(9)
	v_fma_f32 v19, -v3, v73, v19
	;; [unrolled: 2-line block ×3, first 2 shown]
	v_fma_f32 v15, -v0, v57, v15
	v_fma_f32 v14, -v0, v58, v14
	;; [unrolled: 1-line block ×7, first 2 shown]
	s_waitcnt lgkmcnt(4)
	v_fma_f32 v6, -v21, v16, v6
	v_fma_f32 v16, -v33, v50, v19
	;; [unrolled: 1-line block ×3, first 2 shown]
	v_mov_b32_e32 v24, s6
	s_add_i32 s6, s3, 0x664
	v_fma_f32 v15, -v2, v79, v15
	v_fma_f32 v16, -v34, v98, v16
	;; [unrolled: 1-line block ×3, first 2 shown]
	ds_load_2addr_b32 v[49:50], v24 offset1:1
	v_mov_b32_e32 v24, s6
	s_add_i32 s6, s3, 0x58c
	v_fma_f32 v16, -v35, v76, v16
	ds_load_b64 v[75:76], v18 offset:1096
	s_waitcnt lgkmcnt(4)
	v_fma_f32 v19, -v37, v40, v19
	v_mov_b32_e32 v40, s6
	s_add_i32 s6, s3, 0x66c
	ds_load_b128 v[65:68], v18 offset:1744
	ds_load_2addr_b32 v[96:97], v24 offset1:1
	v_fma_f32 v16, -v36, v105, v16
	v_fma_f32 v19, -v38, v70, v19
	v_dual_mul_f32 v24, v88, v9 :: v_dual_mov_b32 v9, s6
	v_fma_f32 v11, -v22, v71, v11
	v_fma_f32 v6, -v22, v72, v6
	ds_load_2addr_b64 v[69:72], v18 offset0:191 offset1:192
	ds_load_2addr_b32 v[109:110], v40 offset1:1
	v_fma_f32 v16, -v37, v41, v16
	ds_load_2addr_b32 v[40:41], v9 offset1:1
	v_fma_f32 v19, -v39, v55, v19
	s_add_i32 s6, s3, 0x744
	v_fma_f32 v11, -v23, v95, v11
	s_waitcnt lgkmcnt(6)
	v_fma_f32 v16, -v38, v49, v16
	ds_load_b64 v[94:95], v18 offset:1544
	v_fma_f32 v9, -v21, v17, v19
	v_mov_b32_e32 v17, s6
	s_add_i32 s6, s3, 0x74c
	v_fma_f32 v16, -v39, v56, v16
	ds_load_2addr_b32 v[19:20], v27 offset0:215 offset1:237
	s_waitcnt lgkmcnt(5)
	v_fma_f32 v6, -v23, v96, v6
	ds_load_b128 v[53:56], v18 offset:1760
	v_fma_f32 v11, -v24, v65, v11
	v_add_nc_u32_e64 v27, 0x800, s3
	v_fma_f32 v49, -v3, v74, v15
	v_fma_f32 v6, -v24, v66, v6
	s_waitcnt lgkmcnt(5)
	v_fma_f32 v9, -v22, v69, v9
	s_waitcnt lgkmcnt(4)
	v_fma_f32 v16, -v21, v109, v16
	v_fma_f32 v66, -v1, v92, v14
	v_mul_f32_e32 v65, v89, v11
	v_fma_f32 v49, -v32, v82, v49
	v_fma_f32 v9, -v23, v97, v9
	;; [unrolled: 1-line block ×3, first 2 shown]
	ds_load_2addr_b32 v[69:70], v17 offset1:1
	v_fma_f32 v11, -v2, v80, v66
	v_fma_f32 v13, -v1, v93, v13
	v_fma_f32 v9, -v24, v67, v9
	s_waitcnt lgkmcnt(4)
	v_fma_f32 v16, -v23, v40, v16
	v_mov_b32_e32 v40, s6
	s_add_i32 s6, s3, 0x82c
	v_fma_f32 v11, -v3, v25, v11
	s_delay_alu instid0(VALU_DEP_3)
	v_fma_f32 v44, -v24, v68, v16
	ds_load_2addr_b64 v[14:17], v18 offset0:247 offset1:248
	ds_load_2addr_b32 v[57:58], v40 offset1:1
	ds_load_2addr_b32 v[73:74], v27 offset0:10 offset1:15
	v_mov_b32_e32 v40, s6
	ds_load_2addr_b32 v[79:80], v27 offset0:39 offset1:68
	v_fma_f32 v11, -v32, v83, v11
	s_add_i32 s6, s3, 0x4b4
	ds_load_b64 v[81:82], v18 offset:1992
	v_fma_f32 v11, -v33, v52, v11
	s_waitcnt lgkmcnt(5)
	v_fma_f32 v6, -v65, v69, v6
	ds_load_2addr_b32 v[68:69], v40 offset1:1
	v_fma_f32 v40, -v33, v51, v49
	v_mul_f32_e32 v66, v20, v6
	v_fma_f32 v6, -v65, v70, v9
	s_delay_alu instid0(VALU_DEP_3) | instskip(SKIP_1) | instid1(VALU_DEP_2)
	v_fma_f32 v9, -v34, v99, v40
	s_waitcnt lgkmcnt(5)
	v_fma_f32 v6, -v66, v14, v6
	s_waitcnt lgkmcnt(4)
	v_fma_f32 v14, -v65, v57, v44
	v_fma_f32 v9, -v35, v61, v9
	s_waitcnt lgkmcnt(3)
	v_mul_f32_e32 v67, v73, v6
	s_delay_alu instid0(VALU_DEP_3) | instskip(NEXT) | instid1(VALU_DEP_3)
	v_fma_f32 v6, -v66, v15, v14
	v_fma_f32 v9, -v36, v106, v9
	;; [unrolled: 1-line block ×3, first 2 shown]
	s_waitcnt lgkmcnt(0)
	s_delay_alu instid0(VALU_DEP_3) | instskip(NEXT) | instid1(VALU_DEP_3)
	v_fma_f32 v6, -v67, v68, v6
	v_fma_f32 v9, -v37, v42, v9
	s_delay_alu instid0(VALU_DEP_2)
	v_mul_f32_e32 v68, v79, v6
	v_fma_f32 v6, -v0, v60, v12
	v_fma_f32 v12, -v2, v103, v13
	v_mov_b32_e32 v13, s6
	s_add_i32 s6, s3, 0x594
	v_fma_f32 v9, -v38, v50, v9
	v_fma_f32 v6, -v1, v90, v6
	;; [unrolled: 1-line block ×3, first 2 shown]
	ds_load_2addr_b32 v[11:12], v13 offset1:1
	v_fma_f32 v6, -v2, v104, v6
	v_fma_f32 v13, -v32, v84, v14
	v_mov_b32_e32 v14, s6
	s_add_i32 s6, s3, 0x674
	s_delay_alu instid0(VALU_DEP_3) | instskip(SKIP_3) | instid1(VALU_DEP_4)
	v_fma_f32 v6, -v3, v10, v6
	v_fma_f32 v10, -v35, v62, v15
	;; [unrolled: 1-line block ×5, first 2 shown]
	s_delay_alu instid0(VALU_DEP_4)
	v_fma_f32 v20, -v36, v107, v10
	ds_load_2addr_b32 v[9:10], v14 offset1:1
	v_fma_f32 v13, -v34, v101, v13
	v_fma_f32 v14, -v21, v110, v15
	;; [unrolled: 1-line block ×4, first 2 shown]
	v_mov_b32_e32 v20, s6
	v_fma_f32 v13, -v35, v63, v13
	s_add_i32 s6, s3, 0x754
	v_fma_f32 v6, -v34, v7, v6
	v_fma_f32 v7, -v22, v71, v14
	s_waitcnt lgkmcnt(1)
	v_fma_f32 v11, -v38, v11, v15
	v_fma_f32 v15, -v36, v108, v13
	ds_load_2addr_b32 v[13:14], v20 offset1:1
	v_fma_f32 v6, -v35, v64, v6
	v_fma_f32 v7, -v23, v41, v7
	;; [unrolled: 1-line block ×4, first 2 shown]
	s_delay_alu instid0(VALU_DEP_4)
	v_fma_f32 v6, -v36, v8, v6
	v_mov_b32_e32 v8, s6
	s_waitcnt lgkmcnt(1)
	v_fma_f32 v9, -v21, v9, v11
	v_fma_f32 v15, -v38, v12, v15
	s_add_i32 s6, s3, 0x834
	v_fma_f32 v6, -v37, v76, v6
	ds_load_2addr_b32 v[11:12], v8 offset1:1
	v_fma_f32 v7, -v24, v53, v7
	v_fma_f32 v8, -v22, v72, v9
	;; [unrolled: 1-line block ×4, first 2 shown]
	v_mov_b32_e32 v20, s6
	v_fma_f32 v15, -v65, v58, v7
	s_addk_i32 s3, 0x914
	v_fma_f32 v10, -v21, v10, v9
	s_waitcnt lgkmcnt(1)
	v_fma_f32 v13, -v23, v13, v8
	v_fma_f32 v40, -v39, v48, v6
	ds_load_b128 v[6:9], v18 offset:2208
	ds_load_2addr_b32 v[25:26], v20 offset1:1
	v_fma_f32 v15, -v66, v16, v15
	v_fma_f32 v10, -v22, v94, v10
	;; [unrolled: 1-line block ×4, first 2 shown]
	v_mov_b32_e32 v40, s3
	s_mul_i32 s3, s5, 0x74
	v_fma_f32 v14, -v23, v14, v10
	s_waitcnt lgkmcnt(2)
	v_fma_f32 v13, -v65, v11, v13
	ds_load_2addr_b32 v[10:11], v40 offset1:1
	v_fma_f32 v16, -v22, v95, v20
	v_fma_f32 v20, -v24, v55, v14
	v_fma_f32 v40, -v67, v69, v15
	v_fma_f32 v17, -v66, v17, v13
	ds_load_2addr_b32 v[13:14], v27 offset0:71 offset1:97
	v_fma_f32 v41, -v23, v87, v16
	v_fma_f32 v12, -v65, v12, v20
	ds_load_b64 v[15:16], v18 offset:2440
	s_waitcnt lgkmcnt(4)
	v_fma_f32 v6, -v68, v6, v40
	s_waitcnt lgkmcnt(3)
	v_fma_f32 v17, -v67, v25, v17
	v_fma_f32 v12, -v66, v81, v12
	s_delay_alu instid0(VALU_DEP_3) | instskip(NEXT) | instid1(VALU_DEP_3)
	v_mul_f32_e32 v6, v80, v6
	v_fma_f32 v7, -v68, v7, v17
	s_delay_alu instid0(VALU_DEP_3) | instskip(SKIP_1) | instid1(VALU_DEP_2)
	v_fma_f32 v12, -v67, v26, v12
	s_waitcnt lgkmcnt(2)
	v_fma_f32 v7, -v6, v10, v7
	s_delay_alu instid0(VALU_DEP_2) | instskip(SKIP_1) | instid1(VALU_DEP_2)
	v_fma_f32 v8, -v68, v8, v12
	s_waitcnt lgkmcnt(1)
	v_dual_mov_b32 v12, s3 :: v_dual_mul_f32 v7, v14, v7
	v_fma_f32 v18, -v24, v56, v41
	s_delay_alu instid0(VALU_DEP_3) | instskip(NEXT) | instid1(VALU_DEP_2)
	v_fma_f32 v8, -v6, v11, v8
	v_fma_f32 v19, -v65, v19, v18
	ds_load_2addr_b32 v[17:18], v27 offset0:126 offset1:127
	s_waitcnt lgkmcnt(1)
	v_fma_f32 v8, -v7, v15, v8
	v_fma_f32 v19, -v66, v82, v19
	s_delay_alu instid0(VALU_DEP_1) | instskip(NEXT) | instid1(VALU_DEP_1)
	v_fma_f32 v10, -v67, v74, v19
	v_fma_f32 v9, -v68, v9, v10
	ds_load_b32 v10, v12
	s_clause 0x1
	global_store_b128 v[4:5], v[0:3], off
	global_store_b128 v[4:5], v[32:35], off offset:16
	v_fma_f32 v9, -v6, v13, v9
	s_waitcnt lgkmcnt(1)
	v_mul_f32_e32 v8, v17, v8
	s_delay_alu instid0(VALU_DEP_2) | instskip(NEXT) | instid1(VALU_DEP_1)
	v_fma_f32 v9, -v7, v16, v9
	v_fma_f32 v9, -v8, v18, v9
	s_waitcnt lgkmcnt(0)
	s_delay_alu instid0(VALU_DEP_1)
	v_mul_f32_e32 v9, v10, v9
	s_clause 0x3
	global_store_b128 v[4:5], v[36:39], off offset:32
	global_store_b128 v[4:5], v[21:24], off offset:48
	;; [unrolled: 1-line block ×4, first 2 shown]
.LBB34_43:
	s_cmp_ge_i32 s4, s2
	s_cbranch_scc1 .LBB34_54
; %bb.44:
	s_add_i32 s3, s4, -1
	s_lshl_b32 s6, s4, 2
	s_add_u32 s0, s8, s0
	s_addc_u32 s1, s9, s1
	v_add_co_u32 v6, vcc_lo, s0, v30
	v_add_co_ci_u32_e32 v7, vcc_lo, s1, v31, vcc_lo
	s_mov_b32 s1, 0
	s_delay_alu instid0(VALU_DEP_2) | instskip(NEXT) | instid1(VALU_DEP_2)
	v_add_co_u32 v0, vcc_lo, v6, 28
	v_add_co_ci_u32_e32 v1, vcc_lo, 0, v7, vcc_lo
	s_mov_b32 s8, s4
	s_mov_b32 s7, 0
	s_branch .LBB34_46
.LBB34_45:                              ;   in Loop: Header=BB34_46 Depth=1
	s_mul_i32 s0, s4, 0x74
	v_add_nc_u16 v5, s8, 1
	v_mov_b32_e32 v4, s0
	s_add_i32 s4, s4, 1
	s_add_i32 s7, s7, 1
	;; [unrolled: 1-line block ×3, first 2 shown]
	v_readfirstlane_b32 s8, v5
	ds_load_b32 v4, v4
	s_cmp_ge_i32 s4, s2
	s_waitcnt lgkmcnt(0)
	v_mul_f32_e32 v4, v4, v8
	global_store_b32 v[2:3], v4, off
	s_cbranch_scc1 .LBB34_54
.LBB34_46:                              ; =>This Loop Header: Depth=1
                                        ;     Child Loop BB34_49 Depth 2
                                        ;     Child Loop BB34_53 Depth 2
	s_ashr_i32 s5, s4, 31
	s_delay_alu instid0(SALU_CYCLE_1)
	s_lshl_b64 s[10:11], s[4:5], 2
	s_cmp_eq_u32 s4, 0
	v_add_co_u32 v2, vcc_lo, v28, s10
	v_add_co_ci_u32_e32 v3, vcc_lo, s11, v29, vcc_lo
	global_load_b32 v4, v[2:3], off
	s_waitcnt vmcnt(0)
	v_mul_f32_e32 v8, s15, v4
	s_cbranch_scc1 .LBB34_45
; %bb.47:                               ;   in Loop: Header=BB34_46 Depth=1
	s_add_i32 s0, s3, s7
	s_delay_alu instid0(SALU_CYCLE_1)
	s_cmp_lt_u32 s0, 7
	s_cbranch_scc1 .LBB34_51
; %bb.48:                               ;   in Loop: Header=BB34_46 Depth=1
	v_dual_mov_b32 v5, v1 :: v_dual_mov_b32 v4, v0
	s_and_b32 s0, s4, -8
	s_mov_b32 s5, 0
	s_mov_b32 s9, s6
	s_set_inst_prefetch_distance 0x1
	.p2align	6
.LBB34_49:                              ;   Parent Loop BB34_46 Depth=1
                                        ; =>  This Inner Loop Header: Depth=2
	s_clause 0x1
	global_load_b128 v[9:12], v[4:5], off offset:-28
	global_load_b128 v[13:16], v[4:5], off offset:-12
	v_mov_b32_e32 v23, s9
	v_add_co_u32 v4, vcc_lo, v4, 32
	v_add_co_ci_u32_e32 v5, vcc_lo, 0, v5, vcc_lo
	ds_load_2addr_b32 v[17:18], v23 offset1:28
	ds_load_2addr_b32 v[19:20], v23 offset0:56 offset1:84
	ds_load_2addr_b32 v[21:22], v23 offset0:112 offset1:140
	s_add_i32 s5, s5, 8
	s_addk_i32 s9, 0x380
	s_cmp_lg_u32 s0, s5
	s_waitcnt vmcnt(1) lgkmcnt(2)
	v_fma_f32 v8, -v9, v17, v8
	s_delay_alu instid0(VALU_DEP_1) | instskip(SKIP_3) | instid1(VALU_DEP_1)
	v_fma_f32 v10, -v10, v18, v8
	ds_load_2addr_b32 v[8:9], v23 offset0:168 offset1:196
	s_waitcnt lgkmcnt(2)
	v_fma_f32 v10, -v11, v19, v10
	v_fma_f32 v10, -v12, v20, v10
	s_waitcnt vmcnt(0) lgkmcnt(1)
	s_delay_alu instid0(VALU_DEP_1) | instskip(NEXT) | instid1(VALU_DEP_1)
	v_fma_f32 v10, -v13, v21, v10
	v_fma_f32 v10, -v14, v22, v10
	s_waitcnt lgkmcnt(0)
	s_delay_alu instid0(VALU_DEP_1) | instskip(NEXT) | instid1(VALU_DEP_1)
	v_fma_f32 v8, -v15, v8, v10
	v_fma_f32 v8, -v16, v9, v8
	s_cbranch_scc1 .LBB34_49
; %bb.50:                               ;   in Loop: Header=BB34_46 Depth=1
	s_set_inst_prefetch_distance 0x2
	s_and_b32 s5, s4, 7
	s_delay_alu instid0(SALU_CYCLE_1)
	s_cmp_eq_u32 s5, 0
	s_cbranch_scc0 .LBB34_52
	s_branch .LBB34_45
.LBB34_51:                              ;   in Loop: Header=BB34_46 Depth=1
	s_mov_b32 s0, 0
	s_and_b32 s5, s4, 7
	s_delay_alu instid0(SALU_CYCLE_1)
	s_cmp_eq_u32 s5, 0
	s_cbranch_scc1 .LBB34_45
.LBB34_52:                              ;   in Loop: Header=BB34_46 Depth=1
	s_lshl_b64 s[10:11], s[0:1], 2
	s_and_b32 s5, s8, 7
	v_add_co_u32 v4, vcc_lo, v6, s10
	v_add_co_ci_u32_e32 v5, vcc_lo, s11, v7, vcc_lo
	s_mulk_i32 s0, 0x70
.LBB34_53:                              ;   Parent Loop BB34_46 Depth=1
                                        ; =>  This Inner Loop Header: Depth=2
	global_load_b32 v9, v[4:5], off
	s_add_i32 s9, s6, s0
	v_add_co_u32 v4, vcc_lo, v4, 4
	v_mov_b32_e32 v10, s9
	v_add_co_ci_u32_e32 v5, vcc_lo, 0, v5, vcc_lo
	s_add_i32 s5, s5, -1
	s_addk_i32 s0, 0x70
	ds_load_b32 v10, v10
	s_cmp_lg_u32 s5, 0
	s_waitcnt vmcnt(0) lgkmcnt(0)
	v_fma_f32 v8, -v9, v10, v8
	s_cbranch_scc1 .LBB34_53
	s_branch .LBB34_45
.LBB34_54:
	s_nop 0
	s_sendmsg sendmsg(MSG_DEALLOC_VGPRS)
	s_endpgm
	.section	.rodata,"a",@progbits
	.p2align	6, 0x0
	.amdhsa_kernel _ZL30rocblas_trsm_small_left_deviceILi28ELi28ELb1EffPKPKfPKPfEv13rocblas_fill_18rocblas_operation_17rocblas_diagonal_iiT3_T4_lilT5_lili
		.amdhsa_group_segment_fixed_size 3136
		.amdhsa_private_segment_fixed_size 0
		.amdhsa_kernarg_size 352
		.amdhsa_user_sgpr_count 14
		.amdhsa_user_sgpr_dispatch_ptr 0
		.amdhsa_user_sgpr_queue_ptr 0
		.amdhsa_user_sgpr_kernarg_segment_ptr 1
		.amdhsa_user_sgpr_dispatch_id 0
		.amdhsa_user_sgpr_private_segment_size 0
		.amdhsa_wavefront_size32 1
		.amdhsa_uses_dynamic_stack 0
		.amdhsa_enable_private_segment 0
		.amdhsa_system_sgpr_workgroup_id_x 1
		.amdhsa_system_sgpr_workgroup_id_y 0
		.amdhsa_system_sgpr_workgroup_id_z 1
		.amdhsa_system_sgpr_workgroup_info 0
		.amdhsa_system_vgpr_workitem_id 0
		.amdhsa_next_free_vgpr 135
		.amdhsa_next_free_sgpr 91
		.amdhsa_reserve_vcc 1
		.amdhsa_float_round_mode_32 0
		.amdhsa_float_round_mode_16_64 0
		.amdhsa_float_denorm_mode_32 3
		.amdhsa_float_denorm_mode_16_64 3
		.amdhsa_dx10_clamp 1
		.amdhsa_ieee_mode 1
		.amdhsa_fp16_overflow 0
		.amdhsa_workgroup_processor_mode 1
		.amdhsa_memory_ordered 1
		.amdhsa_forward_progress 0
		.amdhsa_shared_vgpr_count 0
		.amdhsa_exception_fp_ieee_invalid_op 0
		.amdhsa_exception_fp_denorm_src 0
		.amdhsa_exception_fp_ieee_div_zero 0
		.amdhsa_exception_fp_ieee_overflow 0
		.amdhsa_exception_fp_ieee_underflow 0
		.amdhsa_exception_fp_ieee_inexact 0
		.amdhsa_exception_int_div_zero 0
	.end_amdhsa_kernel
	.section	.text._ZL30rocblas_trsm_small_left_deviceILi28ELi28ELb1EffPKPKfPKPfEv13rocblas_fill_18rocblas_operation_17rocblas_diagonal_iiT3_T4_lilT5_lili,"axG",@progbits,_ZL30rocblas_trsm_small_left_deviceILi28ELi28ELb1EffPKPKfPKPfEv13rocblas_fill_18rocblas_operation_17rocblas_diagonal_iiT3_T4_lilT5_lili,comdat
.Lfunc_end34:
	.size	_ZL30rocblas_trsm_small_left_deviceILi28ELi28ELb1EffPKPKfPKPfEv13rocblas_fill_18rocblas_operation_17rocblas_diagonal_iiT3_T4_lilT5_lili, .Lfunc_end34-_ZL30rocblas_trsm_small_left_deviceILi28ELi28ELb1EffPKPKfPKPfEv13rocblas_fill_18rocblas_operation_17rocblas_diagonal_iiT3_T4_lilT5_lili
                                        ; -- End function
	.section	.AMDGPU.csdata,"",@progbits
; Kernel info:
; codeLenInByte = 27116
; NumSgprs: 93
; NumVgprs: 135
; ScratchSize: 0
; MemoryBound: 0
; FloatMode: 240
; IeeeMode: 1
; LDSByteSize: 3136 bytes/workgroup (compile time only)
; SGPRBlocks: 11
; VGPRBlocks: 16
; NumSGPRsForWavesPerEU: 93
; NumVGPRsForWavesPerEU: 135
; Occupancy: 10
; WaveLimiterHint : 1
; COMPUTE_PGM_RSRC2:SCRATCH_EN: 0
; COMPUTE_PGM_RSRC2:USER_SGPR: 14
; COMPUTE_PGM_RSRC2:TRAP_HANDLER: 0
; COMPUTE_PGM_RSRC2:TGID_X_EN: 1
; COMPUTE_PGM_RSRC2:TGID_Y_EN: 0
; COMPUTE_PGM_RSRC2:TGID_Z_EN: 1
; COMPUTE_PGM_RSRC2:TIDIG_COMP_CNT: 0
	.section	.text._ZL31rocblas_trsm_small_right_deviceIffPKPKfPKPfLi28EEv13rocblas_fill_18rocblas_operation_17rocblas_diagonal_iiT0_T1_lilT2_lili,"axG",@progbits,_ZL31rocblas_trsm_small_right_deviceIffPKPKfPKPfLi28EEv13rocblas_fill_18rocblas_operation_17rocblas_diagonal_iiT0_T1_lilT2_lili,comdat
	.globl	_ZL31rocblas_trsm_small_right_deviceIffPKPKfPKPfLi28EEv13rocblas_fill_18rocblas_operation_17rocblas_diagonal_iiT0_T1_lilT2_lili ; -- Begin function _ZL31rocblas_trsm_small_right_deviceIffPKPKfPKPfLi28EEv13rocblas_fill_18rocblas_operation_17rocblas_diagonal_iiT0_T1_lilT2_lili
	.p2align	8
	.type	_ZL31rocblas_trsm_small_right_deviceIffPKPKfPKPfLi28EEv13rocblas_fill_18rocblas_operation_17rocblas_diagonal_iiT0_T1_lilT2_lili,@function
_ZL31rocblas_trsm_small_right_deviceIffPKPKfPKPfLi28EEv13rocblas_fill_18rocblas_operation_17rocblas_diagonal_iiT0_T1_lilT2_lili: ; @_ZL31rocblas_trsm_small_right_deviceIffPKPKfPKPfLi28EEv13rocblas_fill_18rocblas_operation_17rocblas_diagonal_iiT0_T1_lilT2_lili
; %bb.0:
	s_clause 0x1
	s_load_b128 s[8:11], s[0:1], 0x38
	s_load_b64 s[12:13], s[0:1], 0x10
	s_mov_b32 s20, s15
	s_mov_b32 s21, 0
	s_mov_b32 s15, exec_lo
	s_lshl_b64 s[22:23], s[20:21], 3
	s_waitcnt lgkmcnt(0)
	s_add_u32 s2, s8, s22
	s_addc_u32 s3, s9, s23
	s_load_b128 s[4:7], s[0:1], 0x0
	s_load_b64 s[2:3], s[2:3], 0x0
	s_min_i32 s20, s12, 28
	s_delay_alu instid0(SALU_CYCLE_1)
	s_add_i32 s28, s20, -1
	v_cmpx_gt_i32_e64 s20, v0
	s_cbranch_execz .LBB35_9
; %bb.1:
	s_clause 0x1
	s_load_b32 s8, s[0:1], 0x28
	s_load_b128 s[16:19], s[0:1], 0x18
	s_waitcnt lgkmcnt(0)
	s_ashr_i32 s9, s8, 31
	s_add_u32 s16, s16, s22
	s_addc_u32 s17, s17, s23
	s_cmp_lt_u32 s28, 3
	s_load_b64 s[16:17], s[16:17], 0x0
	s_cbranch_scc1 .LBB35_4
; %bb.2:
	v_lshlrev_b32_e32 v3, 2, v0
	s_lshl_b64 s[22:23], s[18:19], 2
	s_mul_hi_i32 s29, s8, 12
	s_waitcnt lgkmcnt(0)
	s_add_u32 s21, s16, s22
	s_addc_u32 s22, s17, s23
	v_add_co_u32 v1, s21, s21, v3
	s_delay_alu instid0(VALU_DEP_1)
	v_add_co_ci_u32_e64 v2, null, s22, 0, s21
	s_and_b32 s21, s20, -4
	s_mul_i32 s30, s8, 12
	s_lshl_b64 s[22:23], s[8:9], 4
	s_lshl_b64 s[24:25], s[8:9], 3
	;; [unrolled: 1-line block ×3, first 2 shown]
	s_mov_b32 s31, 0
	.p2align	6
.LBB35_3:                               ; =>This Inner Loop Header: Depth=1
	v_add_co_u32 v4, vcc_lo, v1, s26
	v_add_co_ci_u32_e32 v5, vcc_lo, s27, v2, vcc_lo
	v_add_co_u32 v6, vcc_lo, v1, s24
	v_add_co_ci_u32_e32 v7, vcc_lo, s25, v2, vcc_lo
	;; [unrolled: 2-line block ×3, first 2 shown]
	s_clause 0x3
	global_load_b32 v10, v[1:2], off
	global_load_b32 v4, v[4:5], off
	global_load_b32 v5, v[6:7], off
	global_load_b32 v6, v[8:9], off
	v_add_co_u32 v1, vcc_lo, v1, s22
	v_add_co_ci_u32_e32 v2, vcc_lo, s23, v2, vcc_lo
	s_add_i32 s31, s31, 4
	s_waitcnt vmcnt(2)
	ds_store_2addr_b32 v3, v10, v4 offset1:28
	s_waitcnt vmcnt(0)
	ds_store_2addr_b32 v3, v5, v6 offset0:56 offset1:84
	v_add_nc_u32_e32 v3, 0x1c0, v3
	s_cmp_eq_u32 s21, s31
	s_cbranch_scc0 .LBB35_3
.LBB35_4:
	s_and_b32 s22, s20, 3
	s_delay_alu instid0(SALU_CYCLE_1)
	s_cmp_eq_u32 s22, 0
	s_cbranch_scc1 .LBB35_7
; %bb.5:
	s_mul_i32 s23, s9, s21
	s_mul_hi_u32 s24, s8, s21
	s_lshl_b64 s[18:19], s[18:19], 2
	s_add_i32 s25, s24, s23
	s_mul_i32 s24, s8, s21
	v_lshlrev_b32_e32 v1, 2, v0
	s_lshl_b64 s[24:25], s[24:25], 2
	s_mulk_i32 s21, 0x70
	s_add_u32 s18, s24, s18
	s_addc_u32 s19, s25, s19
	s_waitcnt lgkmcnt(0)
	s_add_u32 s16, s16, s18
	s_addc_u32 s17, s17, s19
	v_add_co_u32 v1, s16, s16, v1
	v_lshl_add_u32 v3, v0, 2, s21
	v_add_co_ci_u32_e64 v2, null, s17, 0, s16
	s_lshl_b64 s[8:9], s[8:9], 2
.LBB35_6:                               ; =>This Inner Loop Header: Depth=1
	global_load_b32 v4, v[1:2], off
	v_add_co_u32 v1, vcc_lo, v1, s8
	v_add_co_ci_u32_e32 v2, vcc_lo, s9, v2, vcc_lo
	s_add_i32 s22, s22, -1
	s_delay_alu instid0(SALU_CYCLE_1)
	s_cmp_lg_u32 s22, 0
	s_waitcnt vmcnt(0)
	ds_store_b32 v3, v4
	v_add_nc_u32_e32 v3, 0x70, v3
	s_cbranch_scc1 .LBB35_6
.LBB35_7:
	s_cmpk_eq_i32 s6, 0x84
	s_cbranch_scc0 .LBB35_9
; %bb.8:
	v_mul_u32_u24_e32 v1, 29, v0
	s_delay_alu instid0(VALU_DEP_1)
	v_dual_mov_b32 v2, 1.0 :: v_dual_lshlrev_b32 v1, 2, v1
	ds_store_b32 v1, v2
.LBB35_9:
	s_or_b32 exec_lo, exec_lo, s15
	s_waitcnt lgkmcnt(0)
	s_clause 0x1
	s_load_b32 s6, s[0:1], 0x60
	s_load_b32 s0, s[0:1], 0x48
	s_lshl_b64 s[8:9], s[10:11], 2
	s_mul_i32 s11, s14, 0xffffffe4
	s_add_u32 s1, s2, s8
	s_addc_u32 s10, s3, s9
	s_add_i32 s11, s11, s7
	s_mul_i32 s16, s14, 0x70
	s_mul_hi_i32 s17, s14, 0x70
	s_mov_b32 s23, 0
	s_waitcnt lgkmcnt(0)
	s_add_i32 s6, s6, -1
	s_delay_alu instid0(SALU_CYCLE_1)
	s_cmp_ge_u32 s14, s6
	s_cselect_b32 s6, s11, 28
	s_add_u32 s18, s1, s16
	s_addc_u32 s19, s10, s17
	v_cmp_gt_i32_e32 vcc_lo, s6, v0
	s_cmp_gt_i32 s12, 0
	s_cselect_b32 s1, -1, 0
	s_delay_alu instid0(SALU_CYCLE_1) | instskip(NEXT) | instid1(SALU_CYCLE_1)
	s_and_b32 s21, vcc_lo, s1
	s_and_saveexec_b32 s22, s21
	s_cbranch_execz .LBB35_16
; %bb.10:
	s_ashr_i32 s1, s0, 31
	s_cmp_lt_u32 s12, 4
	s_cbranch_scc1 .LBB35_13
; %bb.11:
	v_lshlrev_b32_e32 v1, 2, v0
	v_lshl_add_u32 v3, v0, 2, 0xc40
	s_and_b32 s23, s12, 0x7ffffffc
	s_mul_hi_i32 s24, s0, 12
	s_mul_i32 s25, s0, 12
	v_add_co_u32 v1, s6, s18, v1
	s_delay_alu instid0(VALU_DEP_1)
	v_add_co_ci_u32_e64 v2, null, s19, 0, s6
	s_lshl_b64 s[6:7], s[0:1], 4
	s_lshl_b64 s[10:11], s[0:1], 3
	;; [unrolled: 1-line block ×3, first 2 shown]
	s_mov_b32 s26, 0
	s_set_inst_prefetch_distance 0x1
	.p2align	6
.LBB35_12:                              ; =>This Inner Loop Header: Depth=1
	v_add_co_u32 v4, vcc_lo, v1, s14
	v_add_co_ci_u32_e32 v5, vcc_lo, s15, v2, vcc_lo
	v_add_co_u32 v6, vcc_lo, v1, s10
	v_add_co_ci_u32_e32 v7, vcc_lo, s11, v2, vcc_lo
	;; [unrolled: 2-line block ×3, first 2 shown]
	s_clause 0x3
	global_load_b32 v10, v[1:2], off
	global_load_b32 v4, v[4:5], off
	;; [unrolled: 1-line block ×4, first 2 shown]
	v_add_co_u32 v1, vcc_lo, v1, s6
	v_add_co_ci_u32_e32 v2, vcc_lo, s7, v2, vcc_lo
	s_add_i32 s26, s26, 4
	s_delay_alu instid0(SALU_CYCLE_1)
	s_cmp_lg_u32 s23, s26
	s_waitcnt vmcnt(2)
	v_dual_mul_f32 v7, s13, v10 :: v_dual_mul_f32 v4, s13, v4
	s_waitcnt vmcnt(0)
	v_dual_mul_f32 v5, s13, v5 :: v_dual_mul_f32 v6, s13, v6
	ds_store_2addr_b32 v3, v7, v4 offset1:28
	ds_store_2addr_b32 v3, v5, v6 offset0:56 offset1:84
	v_add_nc_u32_e32 v3, 0x1c0, v3
	s_cbranch_scc1 .LBB35_12
.LBB35_13:
	s_set_inst_prefetch_distance 0x2
	s_and_b32 s10, s12, 3
	s_delay_alu instid0(SALU_CYCLE_1)
	s_cmp_eq_u32 s10, 0
	s_cbranch_scc1 .LBB35_16
; %bb.14:
	s_mul_hi_i32 s7, s0, s23
	s_mul_i32 s6, s0, s23
	v_lshlrev_b32_e32 v1, 2, v0
	s_lshl_b64 s[6:7], s[6:7], 2
	s_mul_i32 s11, s23, 0x70
	s_add_u32 s6, s6, s16
	s_addc_u32 s7, s7, s17
	s_add_u32 s6, s6, s8
	s_addc_u32 s7, s7, s9
	s_add_u32 s6, s2, s6
	v_add3_u32 v3, s11, v1, 0xc40
	s_addc_u32 s7, s3, s7
	v_add_co_u32 v1, s6, s6, v1
	s_delay_alu instid0(VALU_DEP_1)
	v_add_co_ci_u32_e64 v2, null, s7, 0, s6
	s_lshl_b64 s[6:7], s[0:1], 2
.LBB35_15:                              ; =>This Inner Loop Header: Depth=1
	global_load_b32 v4, v[1:2], off
	v_add_co_u32 v1, vcc_lo, v1, s6
	v_add_co_ci_u32_e32 v2, vcc_lo, s7, v2, vcc_lo
	s_add_i32 s10, s10, -1
	s_delay_alu instid0(SALU_CYCLE_1)
	s_cmp_lg_u32 s10, 0
	s_waitcnt vmcnt(0)
	v_mul_f32_e32 v4, s13, v4
	ds_store_b32 v3, v4
	v_add_nc_u32_e32 v3, 0x70, v3
	s_cbranch_scc1 .LBB35_15
.LBB35_16:
	s_or_b32 exec_lo, exec_lo, s22
	s_cmpk_eq_i32 s5, 0x6f
	s_waitcnt lgkmcnt(0)
	s_cselect_b32 s1, -1, 0
	s_cmpk_eq_i32 s4, 0x79
	; wave barrier
	buffer_gl0_inv
	s_cselect_b32 s6, -1, 0
	s_cmpk_lg_i32 s4, 0x79
	s_cselect_b32 s5, -1, 0
	s_and_b32 s6, s6, s1
	s_delay_alu instid0(SALU_CYCLE_1)
	s_and_not1_b32 vcc_lo, exec_lo, s6
	s_mov_b32 s6, -1
	s_cbranch_vccz .LBB35_80
; %bb.17:
	s_cmpk_lg_i32 s4, 0x7a
	s_cselect_b32 s4, -1, 0
	s_xor_b32 s1, s1, -1
	s_delay_alu instid0(SALU_CYCLE_1)
	s_or_b32 s4, s4, s1
	s_cmp_gt_i32 s12, 3
	s_cselect_b32 s1, -1, 0
	s_and_b32 vcc_lo, exec_lo, s4
	s_mov_b32 s4, -1
	s_cbranch_vccz .LBB35_59
; %bb.18:
	s_and_not1_b32 vcc_lo, exec_lo, s5
	s_cbranch_vccnz .LBB35_38
; %bb.19:
	s_and_not1_b32 vcc_lo, exec_lo, s1
	s_mov_b32 s6, 0
	s_cbranch_vccnz .LBB35_26
; %bb.20:
	v_lshl_add_u32 v3, v0, 2, 0xc40
	s_mov_b32 s4, 0
	s_mov_b32 s5, 0
.LBB35_21:                              ; =>This Loop Header: Depth=1
                                        ;     Child Loop BB35_23 Depth 2
	s_delay_alu instid0(SALU_CYCLE_1) | instskip(NEXT) | instid1(SALU_CYCLE_1)
	s_mul_i32 s7, s5, 28
	s_add_i32 s6, s7, 56
	v_add_lshl_u32 v4, s7, v0, 2
	v_add_lshl_u32 v6, s6, v0, 2
	s_add_i32 s6, s7, 28
	s_cmp_eq_u32 s5, 0
	v_add_lshl_u32 v5, s6, v0, 2
	s_delay_alu instid0(VALU_DEP_2)
	v_add_nc_u32_e32 v1, 0xc00, v6
	ds_load_b32 v8, v4 offset:3136
	ds_load_b32 v7, v5 offset:3136
	ds_load_2addr_b32 v[1:2], v1 offset0:16 offset1:44
	s_cbranch_scc1 .LBB35_24
; %bb.22:                               ;   in Loop: Header=BB35_21 Depth=1
	v_mov_b32_e32 v9, v3
	s_mov_b32 s7, 0
	s_mov_b32 s10, s4
.LBB35_23:                              ;   Parent Loop BB35_21 Depth=1
                                        ; =>  This Inner Loop Header: Depth=2
	s_delay_alu instid0(SALU_CYCLE_1)
	v_mov_b32_e32 v22, s10
	s_add_i32 s7, s7, 4
	s_addk_i32 s10, 0x1c0
	s_cmp_ge_u32 s7, s5
	ds_load_2addr_b32 v[26:27], v9 offset1:28
	ds_load_b128 v[10:13], v22
	ds_load_b128 v[14:17], v22 offset:112
	ds_load_2addr_b32 v[28:29], v9 offset0:56 offset1:84
	ds_load_b128 v[18:21], v22 offset:224
	ds_load_b128 v[22:25], v22 offset:336
	v_add_nc_u32_e32 v9, 0x1c0, v9
	s_waitcnt lgkmcnt(4)
	v_fma_f32 v8, -v26, v10, v8
	v_fma_f32 v7, -v26, v11, v7
	v_fma_f32 v1, -v26, v12, v1
	v_fma_f32 v2, -v26, v13, v2
	s_waitcnt lgkmcnt(3)
	v_fma_f32 v8, -v27, v14, v8
	v_fma_f32 v7, -v27, v15, v7
	v_fma_f32 v1, -v27, v16, v1
	v_fma_f32 v2, -v27, v17, v2
	;; [unrolled: 5-line block ×4, first 2 shown]
	s_cbranch_scc0 .LBB35_23
.LBB35_24:                              ;   in Loop: Header=BB35_21 Depth=1
	s_mul_i32 s7, s5, 0x74
	s_delay_alu instid0(SALU_CYCLE_1)
	v_dual_mov_b32 v15, s7 :: v_dual_add_nc_u32 v4, 0xc40, v4
	s_add_i32 s6, s6, s5
	s_add_i32 s4, s4, 16
	s_lshl_b32 s6, s6, 2
	ds_load_b128 v[9:12], v15
	ds_load_2addr_b32 v[13:14], v15 offset0:29 offset1:30
	s_waitcnt lgkmcnt(1)
	v_div_scale_f32 v16, null, v9, v9, v8
	v_div_scale_f32 v19, vcc_lo, v8, v9, v8
	s_delay_alu instid0(VALU_DEP_2) | instskip(SKIP_2) | instid1(VALU_DEP_1)
	v_rcp_f32_e32 v17, v16
	s_waitcnt_depctr 0xfff
	v_fma_f32 v18, -v16, v17, 1.0
	v_dual_fmac_f32 v17, v18, v17 :: v_dual_add_nc_u32 v6, 0xc40, v6
	s_delay_alu instid0(VALU_DEP_1) | instskip(NEXT) | instid1(VALU_DEP_1)
	v_mul_f32_e32 v18, v19, v17
	v_fma_f32 v20, -v16, v18, v19
	s_delay_alu instid0(VALU_DEP_1) | instskip(NEXT) | instid1(VALU_DEP_1)
	v_fmac_f32_e32 v18, v20, v17
	v_fma_f32 v16, -v16, v18, v19
	s_delay_alu instid0(VALU_DEP_1) | instskip(NEXT) | instid1(VALU_DEP_1)
	v_div_fmas_f32 v16, v16, v17, v18
	v_div_fixup_f32 v9, v16, v9, v8
	s_delay_alu instid0(VALU_DEP_1)
	v_fma_f32 v10, -v9, v10, v7
	v_fma_f32 v1, -v9, v11, v1
	;; [unrolled: 1-line block ×3, first 2 shown]
	ds_load_b32 v11, v15 offset:348
	s_waitcnt lgkmcnt(1)
	v_div_scale_f32 v16, null, v13, v13, v10
	v_div_scale_f32 v18, vcc_lo, v10, v13, v10
	s_delay_alu instid0(VALU_DEP_2) | instskip(SKIP_2) | instid1(VALU_DEP_1)
	v_rcp_f32_e32 v17, v16
	s_waitcnt_depctr 0xfff
	v_fma_f32 v7, -v16, v17, 1.0
	v_fmac_f32_e32 v17, v7, v17
	s_delay_alu instid0(VALU_DEP_1) | instskip(NEXT) | instid1(VALU_DEP_1)
	v_mul_f32_e32 v19, v18, v17
	v_fma_f32 v7, -v16, v19, v18
	s_delay_alu instid0(VALU_DEP_1) | instskip(SKIP_2) | instid1(VALU_DEP_1)
	v_fmac_f32_e32 v19, v7, v17
	ds_load_b64 v[7:8], v15 offset:232
	v_fma_f32 v16, -v16, v19, v18
	v_div_fmas_f32 v16, v16, v17, v19
	s_delay_alu instid0(VALU_DEP_1) | instskip(NEXT) | instid1(VALU_DEP_1)
	v_div_fixup_f32 v10, v16, v13, v10
	v_fma_f32 v1, -v10, v14, v1
	s_waitcnt lgkmcnt(0)
	s_delay_alu instid0(VALU_DEP_1) | instskip(SKIP_1) | instid1(VALU_DEP_2)
	v_div_scale_f32 v13, null, v7, v7, v1
	v_div_scale_f32 v16, vcc_lo, v1, v7, v1
	v_rcp_f32_e32 v14, v13
	s_waitcnt_depctr 0xfff
	v_fma_f32 v15, -v13, v14, 1.0
	s_delay_alu instid0(VALU_DEP_1) | instskip(SKIP_3) | instid1(SALU_CYCLE_1)
	v_dual_fmac_f32 v14, v15, v14 :: v_dual_add_nc_u32 v5, 0xc40, v5
	v_mov_b32_e32 v15, s6
	s_add_i32 s6, s5, 4
	s_add_i32 s5, s5, 7
	s_cmp_ge_i32 s5, s20
	v_mul_f32_e32 v17, v16, v14
	ds_load_b32 v15, v15 offset:12
	v_fma_f32 v18, -v13, v17, v16
	s_delay_alu instid0(VALU_DEP_1) | instskip(NEXT) | instid1(VALU_DEP_1)
	v_fmac_f32_e32 v17, v18, v14
	v_fma_f32 v13, -v13, v17, v16
	s_delay_alu instid0(VALU_DEP_1) | instskip(SKIP_2) | instid1(VALU_DEP_2)
	v_div_fmas_f32 v12, v13, v14, v17
	s_waitcnt lgkmcnt(0)
	v_fma_f32 v2, -v10, v15, v2
	v_div_fixup_f32 v1, v12, v7, v1
	s_delay_alu instid0(VALU_DEP_1) | instskip(NEXT) | instid1(VALU_DEP_1)
	v_fma_f32 v2, -v1, v8, v2
	v_div_scale_f32 v7, null, v11, v11, v2
	v_div_scale_f32 v13, vcc_lo, v2, v11, v2
	s_delay_alu instid0(VALU_DEP_2) | instskip(SKIP_2) | instid1(VALU_DEP_1)
	v_rcp_f32_e32 v8, v7
	s_waitcnt_depctr 0xfff
	v_fma_f32 v12, -v7, v8, 1.0
	v_fmac_f32_e32 v8, v12, v8
	s_delay_alu instid0(VALU_DEP_1) | instskip(NEXT) | instid1(VALU_DEP_1)
	v_mul_f32_e32 v12, v13, v8
	v_fma_f32 v14, -v7, v12, v13
	s_delay_alu instid0(VALU_DEP_1) | instskip(NEXT) | instid1(VALU_DEP_1)
	v_fmac_f32_e32 v12, v14, v8
	v_fma_f32 v7, -v7, v12, v13
	s_delay_alu instid0(VALU_DEP_1) | instskip(NEXT) | instid1(VALU_DEP_1)
	v_div_fmas_f32 v7, v7, v8, v12
	v_div_fixup_f32 v2, v7, v11, v2
	ds_store_b32 v4, v9
	ds_store_b32 v5, v10
	ds_store_2addr_b32 v6, v1, v2 offset1:28
	s_cbranch_scc1 .LBB35_26
; %bb.25:                               ;   in Loop: Header=BB35_21 Depth=1
	s_mov_b32 s5, s6
	s_branch .LBB35_21
.LBB35_26:
	s_cmp_ge_i32 s6, s20
	s_cbranch_scc1 .LBB35_37
; %bb.27:
	v_lshl_add_u32 v1, v0, 2, 0xc40
	s_add_i32 s4, s6, -1
	s_lshl_b32 s5, s6, 2
	s_mov_b32 s7, 0
	s_mov_b32 s10, s6
	s_branch .LBB35_29
.LBB35_28:                              ;   in Loop: Header=BB35_29 Depth=1
	s_mul_i32 s11, s6, 0x74
	s_delay_alu instid0(SALU_CYCLE_1)
	v_dual_mov_b32 v4, s11 :: v_dual_add_nc_u32 v3, 0xc40, v3
	s_add_i32 s6, s6, 1
	s_add_i32 s7, s7, 1
	;; [unrolled: 1-line block ×3, first 2 shown]
	s_cmp_ge_i32 s6, s20
	ds_load_b32 v4, v4
	s_waitcnt lgkmcnt(0)
	v_div_scale_f32 v5, null, v4, v4, v2
	v_div_scale_f32 v8, vcc_lo, v2, v4, v2
	s_delay_alu instid0(VALU_DEP_2) | instskip(SKIP_2) | instid1(VALU_DEP_1)
	v_rcp_f32_e32 v6, v5
	s_waitcnt_depctr 0xfff
	v_fma_f32 v7, -v5, v6, 1.0
	v_fmac_f32_e32 v6, v7, v6
	s_delay_alu instid0(VALU_DEP_1) | instskip(NEXT) | instid1(VALU_DEP_1)
	v_mul_f32_e32 v7, v8, v6
	v_fma_f32 v9, -v5, v7, v8
	s_delay_alu instid0(VALU_DEP_1) | instskip(NEXT) | instid1(VALU_DEP_1)
	v_fmac_f32_e32 v7, v9, v6
	v_fma_f32 v5, -v5, v7, v8
	s_delay_alu instid0(VALU_DEP_1) | instskip(SKIP_1) | instid1(VALU_DEP_2)
	v_div_fmas_f32 v5, v5, v6, v7
	v_add_nc_u16 v6, s10, 1
	v_div_fixup_f32 v2, v5, v4, v2
	s_delay_alu instid0(VALU_DEP_2)
	v_readfirstlane_b32 s10, v6
	ds_store_b32 v3, v2
	s_cbranch_scc1 .LBB35_37
.LBB35_29:                              ; =>This Loop Header: Depth=1
                                        ;     Child Loop BB35_32 Depth 2
                                        ;     Child Loop BB35_36 Depth 2
	s_mul_i32 s11, s6, 28
	s_cmp_eq_u32 s6, 0
	v_add_lshl_u32 v3, s11, v0, 2
	ds_load_b32 v2, v3 offset:3136
	s_cbranch_scc1 .LBB35_28
; %bb.30:                               ;   in Loop: Header=BB35_29 Depth=1
	s_add_i32 s11, s4, s7
	s_delay_alu instid0(SALU_CYCLE_1)
	s_cmp_lt_u32 s11, 7
	s_cbranch_scc1 .LBB35_34
; %bb.31:                               ;   in Loop: Header=BB35_29 Depth=1
	v_mov_b32_e32 v4, v1
	s_and_b32 s11, s6, -8
	s_mov_b32 s13, 0
	s_mov_b32 s14, s5
	s_set_inst_prefetch_distance 0x1
	.p2align	6
.LBB35_32:                              ;   Parent Loop BB35_29 Depth=1
                                        ; =>  This Inner Loop Header: Depth=2
	v_mov_b32_e32 v17, s14
	s_add_i32 s13, s13, 8
	s_addk_i32 s14, 0x380
	s_cmp_eq_u32 s11, s13
	ds_load_2addr_b32 v[5:6], v4 offset1:28
	ds_load_2addr_b32 v[7:8], v17 offset1:28
	ds_load_2addr_b32 v[9:10], v4 offset0:56 offset1:84
	ds_load_2addr_b32 v[11:12], v17 offset0:56 offset1:84
	;; [unrolled: 1-line block ×4, first 2 shown]
	s_waitcnt lgkmcnt(4)
	v_fma_f32 v2, -v5, v7, v2
	s_delay_alu instid0(VALU_DEP_1)
	v_fma_f32 v2, -v6, v8, v2
	ds_load_2addr_b32 v[5:6], v4 offset0:168 offset1:196
	ds_load_2addr_b32 v[7:8], v17 offset0:168 offset1:196
	v_add_nc_u32_e32 v4, 0x380, v4
	s_waitcnt lgkmcnt(4)
	v_fma_f32 v2, -v9, v11, v2
	s_delay_alu instid0(VALU_DEP_1) | instskip(SKIP_1) | instid1(VALU_DEP_1)
	v_fma_f32 v2, -v10, v12, v2
	s_waitcnt lgkmcnt(2)
	v_fma_f32 v2, -v13, v15, v2
	s_delay_alu instid0(VALU_DEP_1) | instskip(SKIP_1) | instid1(VALU_DEP_1)
	v_fma_f32 v2, -v14, v16, v2
	s_waitcnt lgkmcnt(0)
	v_fma_f32 v2, -v5, v7, v2
	s_delay_alu instid0(VALU_DEP_1)
	v_fma_f32 v2, -v6, v8, v2
	s_cbranch_scc0 .LBB35_32
; %bb.33:                               ;   in Loop: Header=BB35_29 Depth=1
	s_set_inst_prefetch_distance 0x2
	s_and_b32 s13, s6, 7
	s_delay_alu instid0(SALU_CYCLE_1)
	s_cmp_eq_u32 s13, 0
	s_cbranch_scc0 .LBB35_35
	s_branch .LBB35_28
.LBB35_34:                              ;   in Loop: Header=BB35_29 Depth=1
	s_mov_b32 s11, 0
	s_and_b32 s13, s6, 7
	s_delay_alu instid0(SALU_CYCLE_1)
	s_cmp_eq_u32 s13, 0
	s_cbranch_scc1 .LBB35_28
.LBB35_35:                              ;   in Loop: Header=BB35_29 Depth=1
	s_and_b32 s13, s10, 7
	s_mulk_i32 s11, 0x70
.LBB35_36:                              ;   Parent Loop BB35_29 Depth=1
                                        ; =>  This Inner Loop Header: Depth=2
	s_delay_alu instid0(SALU_CYCLE_1) | instskip(NEXT) | instid1(SALU_CYCLE_1)
	s_add_i32 s14, s5, s11
	v_dual_mov_b32 v5, s14 :: v_dual_add_nc_u32 v4, s11, v1
	s_add_i32 s13, s13, -1
	s_addk_i32 s11, 0x70
	s_cmp_lg_u32 s13, 0
	ds_load_b32 v4, v4
	ds_load_b32 v5, v5
	s_waitcnt lgkmcnt(0)
	v_fma_f32 v2, -v4, v5, v2
	s_cbranch_scc1 .LBB35_36
	s_branch .LBB35_28
.LBB35_37:
	s_mov_b32 s4, 0
.LBB35_38:
	s_delay_alu instid0(SALU_CYCLE_1)
	s_and_b32 vcc_lo, exec_lo, s4
	s_cbranch_vccz .LBB35_58
; %bb.39:
	s_and_not1_b32 vcc_lo, exec_lo, s1
	s_mov_b32 s6, s28
	s_cbranch_vccnz .LBB35_45
; %bb.40:
	v_lshlrev_b32_e32 v1, 2, v0
	s_mul_i32 s4, s20, 0x70
	s_mov_b32 s5, s28
	s_delay_alu instid0(VALU_DEP_1) | instskip(SKIP_1) | instid1(SALU_CYCLE_1)
	v_add3_u32 v3, s4, v1, 0xa80
	s_mul_i32 s4, s20, 0x74
	s_addk_i32 s4, 0xfe30
.LBB35_41:                              ; =>This Loop Header: Depth=1
                                        ;     Child Loop BB35_42 Depth 2
	s_mul_i32 s7, s5, 28
	s_mov_b32 s11, s4
	s_sub_i32 s6, s7, 56
	s_sub_i32 s10, s7, 28
	v_add_lshl_u32 v9, s6, v0, 2
	v_add_lshl_u32 v6, s7, v0, 2
	;; [unrolled: 1-line block ×3, first 2 shown]
	s_cmp_le_i32 s28, s5
	s_mov_b32 s13, s28
	v_dual_mov_b32 v8, v3 :: v_dual_add_nc_u32 v1, 0xa00, v9
	ds_load_b32 v5, v6 offset:3136
	ds_load_b32 v4, v7 offset:3136
	ds_load_2addr_b32 v[1:2], v1 offset0:116 offset1:144
	s_cbranch_scc1 .LBB35_43
.LBB35_42:                              ;   Parent Loop BB35_41 Depth=1
                                        ; =>  This Inner Loop Header: Depth=2
	v_mov_b32_e32 v28, s11
	s_add_i32 s13, s13, -4
	s_addk_i32 s11, 0xfe40
	s_cmp_le_i32 s13, s5
	ds_load_2addr_b32 v[10:11], v8 offset0:56 offset1:84
	ds_load_2addr_b32 v[12:13], v28 offset0:86 offset1:87
	;; [unrolled: 1-line block ×5, first 2 shown]
	ds_load_2addr_b32 v[20:21], v8 offset1:28
	ds_load_2addr_b32 v[22:23], v28 offset0:30 offset1:31
	ds_load_2addr_b32 v[24:25], v28 offset0:28 offset1:29
	;; [unrolled: 1-line block ×3, first 2 shown]
	ds_load_2addr_b32 v[28:29], v28 offset1:1
	v_add_nc_u32_e32 v8, 0xfffffe40, v8
	s_waitcnt lgkmcnt(8)
	v_fma_f32 v5, -v11, v13, v5
	v_fma_f32 v4, -v11, v12, v4
	s_waitcnt lgkmcnt(7)
	v_fma_f32 v2, -v11, v15, v2
	v_fma_f32 v1, -v11, v14, v1
	;; [unrolled: 3-line block ×8, first 2 shown]
	s_cbranch_scc0 .LBB35_42
.LBB35_43:                              ;   in Loop: Header=BB35_41 Depth=1
	s_add_i32 s11, s5, s7
	s_add_i32 s13, s5, -3
	s_lshl_b32 s11, s11, 2
	s_add_i32 s10, s10, s13
	s_add_i32 s11, s11, -4
	s_delay_alu instid0(SALU_CYCLE_1)
	v_dual_mov_b32 v10, s11 :: v_dual_add_nc_u32 v7, 0xc40, v7
	s_mul_i32 s11, s5, 0x74
	s_lshl_b32 s10, s10, 2
	s_add_i32 s7, s7, s13
	s_add_i32 s14, s11, 0xffffff8c
	ds_load_2addr_b32 v[10:11], v10 offset1:1
	s_lshl_b32 s7, s7, 2
	s_delay_alu instid0(SALU_CYCLE_1)
	v_dual_mov_b32 v13, s7 :: v_dual_add_nc_u32 v6, 0xc40, v6
	s_add_i32 s6, s6, s13
	s_add_i32 s4, s4, -16
	s_lshl_b32 s6, s6, 2
	v_mov_b32_e32 v12, s14
	s_waitcnt lgkmcnt(0)
	v_div_scale_f32 v17, null, v11, v11, v5
	v_div_scale_f32 v20, vcc_lo, v5, v11, v5
	s_delay_alu instid0(VALU_DEP_2) | instskip(SKIP_2) | instid1(VALU_DEP_1)
	v_rcp_f32_e32 v18, v17
	s_waitcnt_depctr 0xfff
	v_fma_f32 v19, -v17, v18, 1.0
	v_fmac_f32_e32 v18, v19, v18
	v_add_nc_u32_e32 v8, 0xc40, v9
	v_add_nc_u32_e32 v9, 0xbd0, v9
	s_delay_alu instid0(VALU_DEP_3) | instskip(NEXT) | instid1(VALU_DEP_1)
	v_mul_f32_e32 v19, v20, v18
	v_fma_f32 v21, -v17, v19, v20
	s_delay_alu instid0(VALU_DEP_1) | instskip(SKIP_4) | instid1(VALU_DEP_1)
	v_dual_mov_b32 v14, s10 :: v_dual_fmac_f32 v19, v21, v18
	ds_load_b32 v16, v12
	ds_load_2addr_b32 v[12:13], v13 offset1:1
	ds_load_2addr_b32 v[14:15], v14 offset1:1
	v_fma_f32 v17, -v17, v19, v20
	v_div_fmas_f32 v17, v17, v18, v19
	s_delay_alu instid0(VALU_DEP_1) | instskip(NEXT) | instid1(VALU_DEP_1)
	v_div_fixup_f32 v11, v17, v11, v5
	v_fma_f32 v10, -v11, v10, v4
	s_waitcnt lgkmcnt(1)
	v_fma_f32 v2, -v11, v13, v2
	v_fma_f32 v1, -v11, v12, v1
	s_delay_alu instid0(VALU_DEP_3) | instskip(SKIP_1) | instid1(VALU_DEP_2)
	v_div_scale_f32 v4, null, v16, v16, v10
	v_div_scale_f32 v18, vcc_lo, v10, v16, v10
	v_rcp_f32_e32 v17, v4
	s_waitcnt_depctr 0xfff
	v_fma_f32 v5, -v4, v17, 1.0
	s_delay_alu instid0(VALU_DEP_1) | instskip(NEXT) | instid1(VALU_DEP_1)
	v_fmac_f32_e32 v17, v5, v17
	v_mul_f32_e32 v19, v18, v17
	s_delay_alu instid0(VALU_DEP_1) | instskip(NEXT) | instid1(VALU_DEP_1)
	v_fma_f32 v5, -v4, v19, v18
	v_fmac_f32_e32 v19, v5, v17
	v_mov_b32_e32 v5, s6
	s_add_i32 s6, s11, 0xfffffea4
	s_delay_alu instid0(SALU_CYCLE_1) | instskip(NEXT) | instid1(VALU_DEP_3)
	v_mov_b32_e32 v13, s6
	v_fma_f32 v18, -v4, v19, v18
	ds_load_2addr_b32 v[4:5], v5 offset1:1
	s_add_i32 s6, s5, -4
	s_cmp_lt_i32 s5, 7
	ds_load_b32 v13, v13
	v_div_fmas_f32 v17, v18, v17, v19
	s_delay_alu instid0(VALU_DEP_1) | instskip(SKIP_1) | instid1(VALU_DEP_1)
	v_div_fixup_f32 v10, v17, v16, v10
	s_waitcnt lgkmcnt(2)
	v_fma_f32 v2, -v10, v15, v2
	v_fma_f32 v1, -v10, v14, v1
	s_waitcnt lgkmcnt(1)
	s_delay_alu instid0(VALU_DEP_2) | instskip(SKIP_1) | instid1(VALU_DEP_2)
	v_div_scale_f32 v15, null, v5, v5, v2
	v_div_scale_f32 v18, vcc_lo, v2, v5, v2
	v_rcp_f32_e32 v16, v15
	s_waitcnt_depctr 0xfff
	v_fma_f32 v17, -v15, v16, 1.0
	s_delay_alu instid0(VALU_DEP_1) | instskip(NEXT) | instid1(VALU_DEP_1)
	v_fmac_f32_e32 v16, v17, v16
	v_mul_f32_e32 v17, v18, v16
	s_delay_alu instid0(VALU_DEP_1) | instskip(NEXT) | instid1(VALU_DEP_1)
	v_fma_f32 v19, -v15, v17, v18
	v_fmac_f32_e32 v17, v19, v16
	s_delay_alu instid0(VALU_DEP_1) | instskip(NEXT) | instid1(VALU_DEP_1)
	v_fma_f32 v15, -v15, v17, v18
	v_div_fmas_f32 v12, v15, v16, v17
	s_delay_alu instid0(VALU_DEP_1) | instskip(NEXT) | instid1(VALU_DEP_1)
	v_div_fixup_f32 v2, v12, v5, v2
	v_fma_f32 v1, -v2, v4, v1
	s_waitcnt lgkmcnt(0)
	s_delay_alu instid0(VALU_DEP_1) | instskip(SKIP_1) | instid1(VALU_DEP_2)
	v_div_scale_f32 v4, null, v13, v13, v1
	v_div_scale_f32 v14, vcc_lo, v1, v13, v1
	v_rcp_f32_e32 v5, v4
	s_waitcnt_depctr 0xfff
	v_fma_f32 v12, -v4, v5, 1.0
	s_delay_alu instid0(VALU_DEP_1) | instskip(NEXT) | instid1(VALU_DEP_1)
	v_fmac_f32_e32 v5, v12, v5
	v_mul_f32_e32 v12, v14, v5
	s_delay_alu instid0(VALU_DEP_1) | instskip(NEXT) | instid1(VALU_DEP_1)
	v_fma_f32 v15, -v4, v12, v14
	v_fmac_f32_e32 v12, v15, v5
	s_delay_alu instid0(VALU_DEP_1) | instskip(NEXT) | instid1(VALU_DEP_1)
	v_fma_f32 v4, -v4, v12, v14
	v_div_fmas_f32 v4, v4, v5, v12
	s_delay_alu instid0(VALU_DEP_1)
	v_div_fixup_f32 v1, v4, v13, v1
	ds_store_b32 v6, v11
	ds_store_b32 v7, v10
	;; [unrolled: 1-line block ×4, first 2 shown]
	s_cbranch_scc1 .LBB35_45
; %bb.44:                               ;   in Loop: Header=BB35_41 Depth=1
	s_mov_b32 s5, s6
	s_branch .LBB35_41
.LBB35_45:
	s_cmp_lt_i32 s6, 0
	s_cbranch_scc1 .LBB35_58
; %bb.46:
	s_bitcmp1_b32 s6, 0
	s_cselect_b32 s4, -1, 0
	s_delay_alu instid0(SALU_CYCLE_1)
	s_and_b32 vcc_lo, exec_lo, s4
	s_mov_b32 s4, s6
	s_cbranch_vccnz .LBB35_51
; %bb.47:
	s_mul_i32 s4, s6, 28
	s_cmp_le_i32 s28, s6
	v_add_lshl_u32 v2, s4, v0, 2
	ds_load_b32 v1, v2 offset:3136
	s_cbranch_scc1 .LBB35_50
; %bb.48:
	v_lshlrev_b32_e32 v3, 2, v0
	s_mul_i32 s4, s20, 0x70
	s_lshl_b32 s5, s6, 2
	s_delay_alu instid0(SALU_CYCLE_1) | instskip(NEXT) | instid1(VALU_DEP_1)
	s_add_i32 s5, s4, s5
	v_add3_u32 v3, s4, v3, 0xbd0
	s_add_i32 s4, s5, 0xffffff90
	s_mov_b32 s5, s28
.LBB35_49:                              ; =>This Inner Loop Header: Depth=1
	v_mov_b32_e32 v4, s4
	s_add_i32 s5, s5, -1
	s_addk_i32 s4, 0xff90
	s_cmp_gt_i32 s5, s6
	ds_load_b32 v5, v3
	ds_load_b32 v4, v4
	v_add_nc_u32_e32 v3, 0xffffff90, v3
	s_waitcnt lgkmcnt(0)
	v_fma_f32 v1, -v5, v4, v1
	s_cbranch_scc1 .LBB35_49
.LBB35_50:
	s_mul_i32 s4, s6, 0x74
	s_delay_alu instid0(SALU_CYCLE_1) | instskip(SKIP_4) | instid1(VALU_DEP_1)
	v_dual_mov_b32 v3, s4 :: v_dual_add_nc_u32 v2, 0xc40, v2
	s_add_i32 s4, s6, -1
	ds_load_b32 v3, v3
	s_waitcnt lgkmcnt(0)
	v_div_scale_f32 v4, null, v3, v3, v1
	v_rcp_f32_e32 v5, v4
	s_waitcnt_depctr 0xfff
	v_fma_f32 v6, -v4, v5, 1.0
	s_delay_alu instid0(VALU_DEP_1) | instskip(SKIP_1) | instid1(VALU_DEP_1)
	v_fmac_f32_e32 v5, v6, v5
	v_div_scale_f32 v6, vcc_lo, v1, v3, v1
	v_mul_f32_e32 v7, v6, v5
	s_delay_alu instid0(VALU_DEP_1) | instskip(NEXT) | instid1(VALU_DEP_1)
	v_fma_f32 v8, -v4, v7, v6
	v_fmac_f32_e32 v7, v8, v5
	s_delay_alu instid0(VALU_DEP_1) | instskip(NEXT) | instid1(VALU_DEP_1)
	v_fma_f32 v4, -v4, v7, v6
	v_div_fmas_f32 v4, v4, v5, v7
	s_delay_alu instid0(VALU_DEP_1)
	v_div_fixup_f32 v1, v4, v3, v1
	ds_store_b32 v2, v1
.LBB35_51:
	s_cmp_eq_u32 s6, 0
	s_cbranch_scc1 .LBB35_58
; %bb.52:
	v_lshlrev_b32_e32 v1, 2, v0
	s_mul_i32 s5, s20, 0x70
	s_lshl_b32 s6, s4, 2
	s_delay_alu instid0(SALU_CYCLE_1) | instskip(NEXT) | instid1(VALU_DEP_1)
	s_add_i32 s6, s5, s6
	v_add3_u32 v1, s5, v1, 0xbd0
	s_add_i32 s5, s6, 0xffffff90
	s_addk_i32 s6, 0xff8c
	s_branch .LBB35_54
.LBB35_53:                              ;   in Loop: Header=BB35_54 Depth=1
	s_addk_i32 s7, 0xff8c
	s_add_i32 s5, s5, -8
	v_mov_b32_e32 v3, s7
	s_add_i32 s7, s4, -2
	s_add_i32 s6, s6, -8
	s_cmp_lt_i32 s4, 2
	s_mov_b32 s4, s7
	ds_load_b32 v3, v3
	s_waitcnt lgkmcnt(0)
	v_div_scale_f32 v5, null, v3, v3, v4
	v_div_scale_f32 v8, vcc_lo, v4, v3, v4
	s_delay_alu instid0(VALU_DEP_2) | instskip(SKIP_2) | instid1(VALU_DEP_1)
	v_rcp_f32_e32 v6, v5
	s_waitcnt_depctr 0xfff
	v_fma_f32 v7, -v5, v6, 1.0
	v_fmac_f32_e32 v6, v7, v6
	s_delay_alu instid0(VALU_DEP_1) | instskip(NEXT) | instid1(VALU_DEP_1)
	v_mul_f32_e32 v7, v8, v6
	v_fma_f32 v9, -v5, v7, v8
	s_delay_alu instid0(VALU_DEP_1) | instskip(NEXT) | instid1(VALU_DEP_1)
	v_fmac_f32_e32 v7, v9, v6
	v_fma_f32 v5, -v5, v7, v8
	s_delay_alu instid0(VALU_DEP_1) | instskip(NEXT) | instid1(VALU_DEP_1)
	v_div_fmas_f32 v5, v5, v6, v7
	v_div_fixup_f32 v3, v5, v3, v4
	ds_store_b32 v2, v3
	s_cbranch_scc1 .LBB35_58
.LBB35_54:                              ; =>This Loop Header: Depth=1
                                        ;     Child Loop BB35_55 Depth 2
                                        ;     Child Loop BB35_57 Depth 2
	s_mul_i32 s7, s4, 28
	v_mov_b32_e32 v4, v1
	v_add_lshl_u32 v2, s7, v0, 2
	s_cmp_le_i32 s28, s4
	s_mov_b32 s7, s5
	s_mov_b32 s10, s28
	ds_load_b32 v3, v2 offset:3136
	s_cbranch_scc1 .LBB35_56
.LBB35_55:                              ;   Parent Loop BB35_54 Depth=1
                                        ; =>  This Inner Loop Header: Depth=2
	v_mov_b32_e32 v5, s7
	s_add_i32 s10, s10, -1
	s_addk_i32 s7, 0xff90
	s_cmp_le_i32 s10, s4
	ds_load_b32 v6, v4
	ds_load_b32 v5, v5
	v_add_nc_u32_e32 v4, 0xffffff90, v4
	s_waitcnt lgkmcnt(0)
	v_fma_f32 v3, -v6, v5, v3
	s_cbranch_scc0 .LBB35_55
.LBB35_56:                              ;   in Loop: Header=BB35_54 Depth=1
	s_mul_i32 s7, s4, 0x74
	s_delay_alu instid0(SALU_CYCLE_1)
	v_dual_mov_b32 v2, s7 :: v_dual_add_nc_u32 v5, 0xc40, v2
	s_cmp_lt_i32 s28, s4
	s_mov_b32 s10, s6
	s_mov_b32 s11, s20
	ds_load_b32 v6, v2
	v_add_nc_u32_e32 v2, 0xffffff90, v5
	s_waitcnt lgkmcnt(0)
	v_div_scale_f32 v7, null, v6, v6, v3
	s_delay_alu instid0(VALU_DEP_1) | instskip(SKIP_2) | instid1(VALU_DEP_1)
	v_rcp_f32_e32 v8, v7
	s_waitcnt_depctr 0xfff
	v_fma_f32 v9, -v7, v8, 1.0
	v_fmac_f32_e32 v8, v9, v8
	v_div_scale_f32 v9, vcc_lo, v3, v6, v3
	s_delay_alu instid0(VALU_DEP_1) | instskip(NEXT) | instid1(VALU_DEP_1)
	v_mul_f32_e32 v10, v9, v8
	v_fma_f32 v11, -v7, v10, v9
	s_delay_alu instid0(VALU_DEP_1) | instskip(NEXT) | instid1(VALU_DEP_1)
	v_fmac_f32_e32 v10, v11, v8
	v_fma_f32 v7, -v7, v10, v9
	s_delay_alu instid0(VALU_DEP_1) | instskip(NEXT) | instid1(VALU_DEP_1)
	v_div_fmas_f32 v7, v7, v8, v10
	v_div_fixup_f32 v6, v7, v6, v3
	v_mov_b32_e32 v3, v1
	ds_load_b32 v4, v2
	ds_store_b32 v5, v6
	s_cbranch_scc1 .LBB35_53
.LBB35_57:                              ;   Parent Loop BB35_54 Depth=1
                                        ; =>  This Inner Loop Header: Depth=2
	v_mov_b32_e32 v5, s10
	s_add_i32 s11, s11, -1
	s_addk_i32 s10, 0xff90
	s_cmp_gt_i32 s11, s4
	ds_load_b32 v6, v3
	ds_load_b32 v5, v5
	v_add_nc_u32_e32 v3, 0xffffff90, v3
	s_waitcnt lgkmcnt(0)
	v_fma_f32 v4, -v6, v5, v4
	s_cbranch_scc1 .LBB35_57
	s_branch .LBB35_53
.LBB35_58:
	s_mov_b32 s4, 0
.LBB35_59:
	s_delay_alu instid0(SALU_CYCLE_1)
	s_and_not1_b32 vcc_lo, exec_lo, s4
	s_cbranch_vccnz .LBB35_79
; %bb.60:
	s_and_not1_b32 vcc_lo, exec_lo, s1
	s_mov_b32 s5, s28
	s_cbranch_vccnz .LBB35_66
; %bb.61:
	v_lshlrev_b32_e32 v1, 2, v0
	s_mul_i32 s1, s20, 0x70
	s_mul_i32 s4, s20, 0x74
	s_delay_alu instid0(VALU_DEP_1)
	v_add3_u32 v1, s1, v1, 0xa80
	s_add_i32 s1, s4, 0xfffffe30
	s_mov_b32 s4, s28
.LBB35_62:                              ; =>This Loop Header: Depth=1
                                        ;     Child Loop BB35_63 Depth 2
	s_delay_alu instid0(SALU_CYCLE_1) | instskip(NEXT) | instid1(VALU_DEP_1)
	s_mul_i32 s5, s4, 28
	v_mov_b32_e32 v10, v1
	s_sub_i32 s7, s5, 28
	v_add_lshl_u32 v6, s5, v0, 2
	s_sub_i32 s6, s5, 56
	v_add_lshl_u32 v7, s7, v0, 2
	s_addk_i32 s5, 0xffac
	v_add_lshl_u32 v8, s6, v0, 2
	v_add_lshl_u32 v9, s5, v0, 2
	ds_load_b32 v5, v6 offset:3136
	ds_load_b32 v4, v7 offset:3136
	;; [unrolled: 1-line block ×4, first 2 shown]
	s_cmp_le_i32 s28, s4
	s_mov_b32 s7, s1
	s_mov_b32 s10, s28
	s_cbranch_scc1 .LBB35_64
.LBB35_63:                              ;   Parent Loop BB35_62 Depth=1
                                        ; =>  This Inner Loop Header: Depth=2
	v_mov_b32_e32 v29, s7
	s_add_i32 s10, s10, -4
	s_add_i32 s7, s7, -16
	s_cmp_le_i32 s10, s4
	ds_load_2addr_b32 v[11:12], v10 offset0:56 offset1:84
	ds_load_2addr_b32 v[13:14], v29 offset0:86 offset1:87
	;; [unrolled: 1-line block ×5, first 2 shown]
	ds_load_2addr_b32 v[21:22], v10 offset1:28
	ds_load_2addr_b32 v[23:24], v29 offset0:84 offset1:85
	ds_load_2addr_b32 v[25:26], v29 offset0:56 offset1:57
	;; [unrolled: 1-line block ×3, first 2 shown]
	ds_load_2addr_b32 v[29:30], v29 offset1:1
	v_add_nc_u32_e32 v10, 0xfffffe40, v10
	s_waitcnt lgkmcnt(8)
	v_fma_f32 v5, -v12, v14, v5
	s_waitcnt lgkmcnt(7)
	v_fma_f32 v4, -v12, v16, v4
	;; [unrolled: 2-line block ×4, first 2 shown]
	v_fma_f32 v5, -v11, v13, v5
	v_fma_f32 v4, -v11, v15, v4
	;; [unrolled: 1-line block ×3, first 2 shown]
	s_delay_alu instid0(VALU_DEP_4)
	v_fma_f32 v2, -v11, v19, v2
	s_waitcnt lgkmcnt(3)
	v_fma_f32 v5, -v22, v24, v5
	s_waitcnt lgkmcnt(2)
	;; [unrolled: 2-line block ×4, first 2 shown]
	v_fma_f32 v2, -v22, v30, v2
	v_fma_f32 v5, -v21, v23, v5
	;; [unrolled: 1-line block ×4, first 2 shown]
	s_delay_alu instid0(VALU_DEP_4)
	v_fma_f32 v2, -v21, v29, v2
	s_cbranch_scc0 .LBB35_63
.LBB35_64:                              ;   in Loop: Header=BB35_62 Depth=1
	s_mul_i32 s7, s4, 0x74
	s_delay_alu instid0(SALU_CYCLE_1)
	v_dual_mov_b32 v10, s7 :: v_dual_add_nc_u32 v7, 0xc40, v7
	s_add_i32 s6, s6, s4
	s_add_i32 s10, s7, 0xffffff8c
	s_lshl_b32 s6, s6, 2
	v_add_nc_u32_e32 v9, 0xc40, v9
	ds_load_b32 v14, v10
	v_mov_b32_e32 v10, s10
	s_add_i32 s11, s7, 0xffffff18
	v_mov_b32_e32 v12, s6
	v_dual_mov_b32 v13, s11 :: v_dual_add_nc_u32 v6, 0xc40, v6
	ds_load_2addr_b32 v[10:11], v10 offset1:1
	ds_load_b32 v15, v12
	ds_load_2addr_b32 v[12:13], v13 offset1:1
	s_add_i32 s5, s4, s5
	s_addk_i32 s1, 0xfe40
	s_lshl_b32 s5, s5, 2
	s_delay_alu instid0(SALU_CYCLE_1) | instskip(SKIP_3) | instid1(VALU_DEP_2)
	s_add_i32 s5, s5, -4
	s_waitcnt lgkmcnt(3)
	v_div_scale_f32 v16, null, v14, v14, v5
	v_div_scale_f32 v19, vcc_lo, v5, v14, v5
	v_rcp_f32_e32 v17, v16
	s_waitcnt_depctr 0xfff
	v_fma_f32 v18, -v16, v17, 1.0
	s_delay_alu instid0(VALU_DEP_1) | instskip(NEXT) | instid1(VALU_DEP_1)
	v_dual_fmac_f32 v17, v18, v17 :: v_dual_add_nc_u32 v8, 0xc40, v8
	v_mul_f32_e32 v18, v19, v17
	s_delay_alu instid0(VALU_DEP_1) | instskip(NEXT) | instid1(VALU_DEP_1)
	v_fma_f32 v20, -v16, v18, v19
	v_fmac_f32_e32 v18, v20, v17
	s_delay_alu instid0(VALU_DEP_1) | instskip(NEXT) | instid1(VALU_DEP_1)
	v_fma_f32 v16, -v16, v18, v19
	v_div_fmas_f32 v16, v16, v17, v18
	s_delay_alu instid0(VALU_DEP_1) | instskip(SKIP_1) | instid1(VALU_DEP_1)
	v_div_fixup_f32 v5, v16, v14, v5
	s_waitcnt lgkmcnt(2)
	v_fma_f32 v4, -v5, v11, v4
	s_waitcnt lgkmcnt(1)
	v_fma_f32 v3, -v5, v15, v3
	s_delay_alu instid0(VALU_DEP_2) | instskip(SKIP_1) | instid1(VALU_DEP_2)
	v_div_scale_f32 v11, null, v10, v10, v4
	v_div_scale_f32 v17, vcc_lo, v4, v10, v4
	v_rcp_f32_e32 v14, v11
	s_waitcnt_depctr 0xfff
	v_fma_f32 v16, -v11, v14, 1.0
	s_delay_alu instid0(VALU_DEP_1) | instskip(NEXT) | instid1(VALU_DEP_1)
	v_fmac_f32_e32 v14, v16, v14
	v_mul_f32_e32 v16, v17, v14
	s_delay_alu instid0(VALU_DEP_1) | instskip(NEXT) | instid1(VALU_DEP_1)
	v_fma_f32 v18, -v11, v16, v17
	v_fmac_f32_e32 v16, v18, v14
	s_delay_alu instid0(VALU_DEP_1) | instskip(NEXT) | instid1(VALU_DEP_1)
	v_fma_f32 v11, -v11, v16, v17
	v_div_fmas_f32 v11, v11, v14, v16
	s_delay_alu instid0(VALU_DEP_1) | instskip(SKIP_2) | instid1(SALU_CYCLE_1)
	v_div_fixup_f32 v14, v11, v10, v4
	v_mov_b32_e32 v4, s5
	s_add_i32 s5, s7, 0xfffffea4
	v_mov_b32_e32 v10, s5
	s_waitcnt lgkmcnt(0)
	v_fma_f32 v13, -v14, v13, v3
	s_add_i32 s5, s4, -4
	s_cmp_lt_i32 s4, 7
	ds_load_2addr_b32 v[10:11], v10 offset1:1
	v_div_scale_f32 v15, null, v12, v12, v13
	v_div_scale_f32 v17, vcc_lo, v13, v12, v13
	s_delay_alu instid0(VALU_DEP_2) | instskip(SKIP_2) | instid1(VALU_DEP_1)
	v_rcp_f32_e32 v16, v15
	s_waitcnt_depctr 0xfff
	v_fma_f32 v3, -v15, v16, 1.0
	v_fmac_f32_e32 v16, v3, v16
	ds_load_2addr_b32 v[3:4], v4 offset1:1
	v_mul_f32_e32 v18, v17, v16
	s_delay_alu instid0(VALU_DEP_1) | instskip(NEXT) | instid1(VALU_DEP_1)
	v_fma_f32 v19, -v15, v18, v17
	v_fmac_f32_e32 v18, v19, v16
	s_delay_alu instid0(VALU_DEP_1) | instskip(SKIP_2) | instid1(VALU_DEP_2)
	v_fma_f32 v15, -v15, v18, v17
	s_waitcnt lgkmcnt(0)
	v_fma_f32 v2, -v5, v4, v2
	v_div_fmas_f32 v4, v15, v16, v18
	s_delay_alu instid0(VALU_DEP_2) | instskip(NEXT) | instid1(VALU_DEP_2)
	v_fma_f32 v2, -v14, v3, v2
	v_div_fixup_f32 v3, v4, v12, v13
	s_delay_alu instid0(VALU_DEP_1) | instskip(NEXT) | instid1(VALU_DEP_1)
	v_fma_f32 v2, -v3, v11, v2
	v_div_scale_f32 v4, null, v10, v10, v2
	v_div_scale_f32 v13, vcc_lo, v2, v10, v2
	s_delay_alu instid0(VALU_DEP_2) | instskip(SKIP_2) | instid1(VALU_DEP_1)
	v_rcp_f32_e32 v11, v4
	s_waitcnt_depctr 0xfff
	v_fma_f32 v12, -v4, v11, 1.0
	v_fmac_f32_e32 v11, v12, v11
	s_delay_alu instid0(VALU_DEP_1) | instskip(NEXT) | instid1(VALU_DEP_1)
	v_mul_f32_e32 v12, v13, v11
	v_fma_f32 v15, -v4, v12, v13
	s_delay_alu instid0(VALU_DEP_1) | instskip(NEXT) | instid1(VALU_DEP_1)
	v_fmac_f32_e32 v12, v15, v11
	v_fma_f32 v4, -v4, v12, v13
	s_delay_alu instid0(VALU_DEP_1) | instskip(NEXT) | instid1(VALU_DEP_1)
	v_div_fmas_f32 v4, v4, v11, v12
	v_div_fixup_f32 v2, v4, v10, v2
	ds_store_b32 v6, v5
	ds_store_b32 v7, v14
	;; [unrolled: 1-line block ×4, first 2 shown]
	s_cbranch_scc1 .LBB35_66
; %bb.65:                               ;   in Loop: Header=BB35_62 Depth=1
	s_mov_b32 s4, s5
	s_branch .LBB35_62
.LBB35_66:
	s_cmp_lt_i32 s5, 0
	s_cbranch_scc1 .LBB35_79
; %bb.67:
	s_bitcmp1_b32 s5, 0
	s_cselect_b32 s1, -1, 0
	s_delay_alu instid0(SALU_CYCLE_1)
	s_and_b32 vcc_lo, exec_lo, s1
	s_mov_b32 s1, s5
	s_cbranch_vccnz .LBB35_72
; %bb.68:
	s_mul_i32 s1, s5, 28
	s_cmp_le_i32 s28, s5
	v_add_lshl_u32 v2, s1, v0, 2
	ds_load_b32 v1, v2 offset:3136
	s_cbranch_scc1 .LBB35_71
; %bb.69:
	v_lshlrev_b32_e32 v3, 2, v0
	s_mul_i32 s6, s20, 0x70
	s_mul_i32 s1, s5, 0x70
	s_lshl_b32 s4, s20, 2
	s_delay_alu instid0(SALU_CYCLE_1)
	s_add_i32 s1, s1, s4
	v_add3_u32 v3, s6, v3, 0xbd0
	s_add_i32 s1, s1, -4
	s_mov_b32 s4, s28
.LBB35_70:                              ; =>This Inner Loop Header: Depth=1
	v_mov_b32_e32 v4, s1
	s_add_i32 s4, s4, -1
	s_add_i32 s1, s1, -4
	s_cmp_gt_i32 s4, s5
	ds_load_b32 v5, v3
	ds_load_b32 v4, v4
	v_add_nc_u32_e32 v3, 0xffffff90, v3
	s_waitcnt lgkmcnt(0)
	v_fma_f32 v1, -v5, v4, v1
	s_cbranch_scc1 .LBB35_70
.LBB35_71:
	s_mul_i32 s1, s5, 0x74
	s_delay_alu instid0(SALU_CYCLE_1) | instskip(SKIP_4) | instid1(VALU_DEP_1)
	v_dual_mov_b32 v3, s1 :: v_dual_add_nc_u32 v2, 0xc40, v2
	s_add_i32 s1, s5, -1
	ds_load_b32 v3, v3
	s_waitcnt lgkmcnt(0)
	v_div_scale_f32 v4, null, v3, v3, v1
	v_rcp_f32_e32 v5, v4
	s_waitcnt_depctr 0xfff
	v_fma_f32 v6, -v4, v5, 1.0
	s_delay_alu instid0(VALU_DEP_1) | instskip(SKIP_1) | instid1(VALU_DEP_1)
	v_fmac_f32_e32 v5, v6, v5
	v_div_scale_f32 v6, vcc_lo, v1, v3, v1
	v_mul_f32_e32 v7, v6, v5
	s_delay_alu instid0(VALU_DEP_1) | instskip(NEXT) | instid1(VALU_DEP_1)
	v_fma_f32 v8, -v4, v7, v6
	v_fmac_f32_e32 v7, v8, v5
	s_delay_alu instid0(VALU_DEP_1) | instskip(NEXT) | instid1(VALU_DEP_1)
	v_fma_f32 v4, -v4, v7, v6
	v_div_fmas_f32 v4, v4, v5, v7
	s_delay_alu instid0(VALU_DEP_1)
	v_div_fixup_f32 v1, v4, v3, v1
	ds_store_b32 v2, v1
.LBB35_72:
	s_cmp_eq_u32 s5, 0
	s_cbranch_scc1 .LBB35_79
; %bb.73:
	v_lshlrev_b32_e32 v1, 2, v0
	s_mul_i32 s6, s20, 0x70
	s_mul_i32 s4, s1, 0x70
	s_lshl_b32 s5, s20, 2
	s_delay_alu instid0(SALU_CYCLE_1)
	s_add_i32 s5, s4, s5
	v_add3_u32 v1, s6, v1, 0xbd0
	s_add_i32 s4, s5, -4
	s_addk_i32 s5, 0xff8c
	s_branch .LBB35_75
.LBB35_74:                              ;   in Loop: Header=BB35_75 Depth=1
	s_addk_i32 s6, 0xff8c
	v_add_nc_u32_e32 v2, 0xc40, v4
	v_mov_b32_e32 v4, s6
	s_add_i32 s6, s1, -2
	s_addk_i32 s4, 0xff20
	s_addk_i32 s5, 0xff20
	s_cmp_lt_i32 s1, 2
	ds_load_b32 v4, v4
	s_mov_b32 s1, s6
	s_waitcnt lgkmcnt(0)
	v_div_scale_f32 v5, null, v4, v4, v3
	v_div_scale_f32 v8, vcc_lo, v3, v4, v3
	s_delay_alu instid0(VALU_DEP_2) | instskip(SKIP_2) | instid1(VALU_DEP_1)
	v_rcp_f32_e32 v6, v5
	s_waitcnt_depctr 0xfff
	v_fma_f32 v7, -v5, v6, 1.0
	v_fmac_f32_e32 v6, v7, v6
	s_delay_alu instid0(VALU_DEP_1) | instskip(NEXT) | instid1(VALU_DEP_1)
	v_mul_f32_e32 v7, v8, v6
	v_fma_f32 v9, -v5, v7, v8
	s_delay_alu instid0(VALU_DEP_1) | instskip(NEXT) | instid1(VALU_DEP_1)
	v_fmac_f32_e32 v7, v9, v6
	v_fma_f32 v5, -v5, v7, v8
	s_delay_alu instid0(VALU_DEP_1) | instskip(NEXT) | instid1(VALU_DEP_1)
	v_div_fmas_f32 v5, v5, v6, v7
	v_div_fixup_f32 v3, v5, v4, v3
	ds_store_b32 v2, v3
	s_cbranch_scc1 .LBB35_79
.LBB35_75:                              ; =>This Loop Header: Depth=1
                                        ;     Child Loop BB35_76 Depth 2
                                        ;     Child Loop BB35_78 Depth 2
	s_mul_i32 s7, s1, 28
	v_mov_b32_e32 v4, v1
	v_add_lshl_u32 v3, s7, v0, 2
	s_cmp_le_i32 s28, s1
	s_mov_b32 s6, s4
	s_mov_b32 s10, s28
	ds_load_b32 v2, v3 offset:3136
	s_cbranch_scc1 .LBB35_77
.LBB35_76:                              ;   Parent Loop BB35_75 Depth=1
                                        ; =>  This Inner Loop Header: Depth=2
	v_mov_b32_e32 v5, s6
	s_add_i32 s10, s10, -1
	s_add_i32 s6, s6, -4
	s_cmp_le_i32 s10, s1
	ds_load_b32 v6, v4
	ds_load_b32 v5, v5
	v_add_nc_u32_e32 v4, 0xffffff90, v4
	s_waitcnt lgkmcnt(0)
	v_fma_f32 v2, -v6, v5, v2
	s_cbranch_scc0 .LBB35_76
.LBB35_77:                              ;   in Loop: Header=BB35_75 Depth=1
	s_mul_i32 s6, s1, 0x74
	v_add_nc_u32_e32 v5, 0xc40, v3
	v_mov_b32_e32 v3, s6
	s_sub_i32 s7, s7, 28
	s_cmp_lt_i32 s28, s1
	v_add_lshl_u32 v4, s7, v0, 2
	s_mov_b32 s7, s5
	ds_load_b32 v6, v3
	s_mov_b32 s10, s20
	ds_load_b32 v3, v4 offset:3136
	s_waitcnt lgkmcnt(1)
	v_div_scale_f32 v7, null, v6, v6, v2
	s_delay_alu instid0(VALU_DEP_1) | instskip(SKIP_2) | instid1(VALU_DEP_1)
	v_rcp_f32_e32 v8, v7
	s_waitcnt_depctr 0xfff
	v_fma_f32 v9, -v7, v8, 1.0
	v_fmac_f32_e32 v8, v9, v8
	v_div_scale_f32 v9, vcc_lo, v2, v6, v2
	s_delay_alu instid0(VALU_DEP_1) | instskip(NEXT) | instid1(VALU_DEP_1)
	v_mul_f32_e32 v10, v9, v8
	v_fma_f32 v11, -v7, v10, v9
	s_delay_alu instid0(VALU_DEP_1) | instskip(NEXT) | instid1(VALU_DEP_1)
	v_fmac_f32_e32 v10, v11, v8
	v_fma_f32 v7, -v7, v10, v9
	s_delay_alu instid0(VALU_DEP_1) | instskip(NEXT) | instid1(VALU_DEP_1)
	v_div_fmas_f32 v7, v7, v8, v10
	v_div_fixup_f32 v6, v7, v6, v2
	v_mov_b32_e32 v2, v1
	ds_store_b32 v5, v6
	s_cbranch_scc1 .LBB35_74
.LBB35_78:                              ;   Parent Loop BB35_75 Depth=1
                                        ; =>  This Inner Loop Header: Depth=2
	v_mov_b32_e32 v5, s7
	s_add_i32 s10, s10, -1
	s_add_i32 s7, s7, -4
	s_cmp_gt_i32 s10, s1
	ds_load_b32 v6, v2
	ds_load_b32 v5, v5
	v_add_nc_u32_e32 v2, 0xffffff90, v2
	s_waitcnt lgkmcnt(0)
	v_fma_f32 v3, -v6, v5, v3
	s_cbranch_scc1 .LBB35_78
	s_branch .LBB35_74
.LBB35_79:
	s_mov_b32 s6, 0
.LBB35_80:
	s_delay_alu instid0(SALU_CYCLE_1)
	s_and_not1_b32 vcc_lo, exec_lo, s6
	s_cbranch_vccnz .LBB35_99
; %bb.81:
	s_cmp_lt_i32 s12, 4
	s_mov_b32 s5, 0
	s_cbranch_scc1 .LBB35_88
; %bb.82:
	v_lshl_add_u32 v1, v0, 2, 0xc40
	s_mov_b32 s1, 0
	s_mov_b32 s4, 0
.LBB35_83:                              ; =>This Loop Header: Depth=1
                                        ;     Child Loop BB35_85 Depth 2
	s_delay_alu instid0(SALU_CYCLE_1) | instskip(NEXT) | instid1(SALU_CYCLE_1)
	s_mul_i32 s5, s4, 28
	s_add_i32 s7, s5, 28
	v_add_lshl_u32 v6, s5, v0, 2
	s_add_i32 s6, s5, 56
	v_add_lshl_u32 v7, s7, v0, 2
	s_addk_i32 s5, 0x54
	v_add_lshl_u32 v8, s6, v0, 2
	v_add_lshl_u32 v9, s5, v0, 2
	ds_load_b32 v5, v6 offset:3136
	ds_load_b32 v4, v7 offset:3136
	;; [unrolled: 1-line block ×4, first 2 shown]
	s_cmp_eq_u32 s4, 0
	s_cbranch_scc1 .LBB35_86
; %bb.84:                               ;   in Loop: Header=BB35_83 Depth=1
	v_mov_b32_e32 v10, v1
	s_mov_b32 s10, 0
	s_mov_b32 s11, s1
.LBB35_85:                              ;   Parent Loop BB35_83 Depth=1
                                        ; =>  This Inner Loop Header: Depth=2
	s_delay_alu instid0(SALU_CYCLE_1)
	v_mov_b32_e32 v23, s11
	s_add_i32 s10, s10, 4
	s_add_i32 s11, s11, 16
	s_cmp_ge_u32 s10, s4
	ds_load_2addr_b32 v[27:28], v10 offset1:28
	ds_load_b128 v[11:14], v23
	ds_load_b128 v[15:18], v23 offset:112
	ds_load_b128 v[19:22], v23 offset:224
	;; [unrolled: 1-line block ×3, first 2 shown]
	ds_load_2addr_b32 v[29:30], v10 offset0:56 offset1:84
	v_add_nc_u32_e32 v10, 0x1c0, v10
	s_waitcnt lgkmcnt(4)
	v_fma_f32 v5, -v27, v11, v5
	s_waitcnt lgkmcnt(3)
	v_fma_f32 v4, -v27, v15, v4
	;; [unrolled: 2-line block ×4, first 2 shown]
	v_fma_f32 v5, -v28, v12, v5
	v_fma_f32 v4, -v28, v16, v4
	;; [unrolled: 1-line block ×3, first 2 shown]
	s_delay_alu instid0(VALU_DEP_4)
	v_fma_f32 v2, -v28, v24, v2
	s_waitcnt lgkmcnt(0)
	v_fma_f32 v5, -v29, v13, v5
	v_fma_f32 v4, -v29, v17, v4
	;; [unrolled: 1-line block ×4, first 2 shown]
	s_delay_alu instid0(VALU_DEP_4) | instskip(NEXT) | instid1(VALU_DEP_4)
	v_fma_f32 v5, -v30, v14, v5
	v_fma_f32 v4, -v30, v18, v4
	s_delay_alu instid0(VALU_DEP_4) | instskip(NEXT) | instid1(VALU_DEP_4)
	v_fma_f32 v3, -v30, v22, v3
	v_fma_f32 v2, -v30, v26, v2
	s_cbranch_scc0 .LBB35_85
.LBB35_86:                              ;   in Loop: Header=BB35_83 Depth=1
	s_mul_i32 s10, s4, 0x74
	s_delay_alu instid0(SALU_CYCLE_1)
	v_dual_mov_b32 v10, s10 :: v_dual_add_nc_u32 v7, 0xc40, v7
	s_add_i32 s7, s7, s4
	s_add_i32 s6, s6, s4
	s_lshl_b32 s7, s7, 2
	s_lshl_b32 s6, s6, 2
	ds_load_b32 v15, v10
	s_add_i32 s5, s5, s4
	v_dual_mov_b32 v10, s7 :: v_dual_add_nc_u32 v9, 0xc40, v9
	s_lshl_b32 s5, s5, 2
	v_mov_b32_e32 v12, s6
	ds_load_b64 v[10:11], v10
	ds_load_b96 v[12:14], v12
	s_addk_i32 s1, 0x1c0
	s_waitcnt lgkmcnt(2)
	v_div_scale_f32 v16, null, v15, v15, v5
	v_div_scale_f32 v19, vcc_lo, v5, v15, v5
	s_delay_alu instid0(VALU_DEP_2) | instskip(SKIP_2) | instid1(VALU_DEP_1)
	v_rcp_f32_e32 v17, v16
	s_waitcnt_depctr 0xfff
	v_fma_f32 v18, -v16, v17, 1.0
	v_dual_fmac_f32 v17, v18, v17 :: v_dual_add_nc_u32 v6, 0xc40, v6
	s_delay_alu instid0(VALU_DEP_1) | instskip(NEXT) | instid1(VALU_DEP_1)
	v_mul_f32_e32 v18, v19, v17
	v_fma_f32 v20, -v16, v18, v19
	s_delay_alu instid0(VALU_DEP_1) | instskip(NEXT) | instid1(VALU_DEP_1)
	v_fmac_f32_e32 v18, v20, v17
	v_fma_f32 v16, -v16, v18, v19
	s_delay_alu instid0(VALU_DEP_1) | instskip(NEXT) | instid1(VALU_DEP_1)
	v_div_fmas_f32 v16, v16, v17, v18
	v_div_fixup_f32 v5, v16, v15, v5
	s_waitcnt lgkmcnt(1)
	s_delay_alu instid0(VALU_DEP_1) | instskip(SKIP_2) | instid1(VALU_DEP_2)
	v_fma_f32 v4, -v5, v10, v4
	s_waitcnt lgkmcnt(0)
	v_fma_f32 v3, -v5, v12, v3
	v_div_scale_f32 v10, null, v11, v11, v4
	v_div_scale_f32 v17, vcc_lo, v4, v11, v4
	s_delay_alu instid0(VALU_DEP_2) | instskip(SKIP_2) | instid1(VALU_DEP_1)
	v_rcp_f32_e32 v15, v10
	s_waitcnt_depctr 0xfff
	v_fma_f32 v16, -v10, v15, 1.0
	v_dual_fmac_f32 v15, v16, v15 :: v_dual_add_nc_u32 v8, 0xc40, v8
	s_delay_alu instid0(VALU_DEP_1) | instskip(NEXT) | instid1(VALU_DEP_1)
	v_mul_f32_e32 v16, v17, v15
	v_fma_f32 v18, -v10, v16, v17
	s_delay_alu instid0(VALU_DEP_1) | instskip(NEXT) | instid1(VALU_DEP_1)
	v_fmac_f32_e32 v16, v18, v15
	v_fma_f32 v10, -v10, v16, v17
	s_delay_alu instid0(VALU_DEP_1) | instskip(NEXT) | instid1(VALU_DEP_1)
	v_div_fmas_f32 v10, v10, v15, v16
	v_div_fixup_f32 v4, v10, v11, v4
	v_mov_b32_e32 v11, s5
	s_add_i32 s5, s4, 4
	s_add_i32 s4, s4, 7
	s_delay_alu instid0(SALU_CYCLE_1) | instskip(SKIP_1) | instid1(VALU_DEP_1)
	s_cmp_ge_i32 s4, s20
	v_fma_f32 v3, -v4, v13, v3
	v_div_scale_f32 v15, null, v14, v14, v3
	v_div_scale_f32 v17, vcc_lo, v3, v14, v3
	s_delay_alu instid0(VALU_DEP_2) | instskip(SKIP_2) | instid1(VALU_DEP_1)
	v_rcp_f32_e32 v16, v15
	s_waitcnt_depctr 0xfff
	v_fma_f32 v10, -v15, v16, 1.0
	v_fmac_f32_e32 v16, v10, v16
	ds_load_b128 v[10:13], v11
	v_mul_f32_e32 v18, v17, v16
	s_delay_alu instid0(VALU_DEP_1) | instskip(NEXT) | instid1(VALU_DEP_1)
	v_fma_f32 v19, -v15, v18, v17
	v_fmac_f32_e32 v18, v19, v16
	s_delay_alu instid0(VALU_DEP_1) | instskip(SKIP_2) | instid1(VALU_DEP_2)
	v_fma_f32 v15, -v15, v18, v17
	s_waitcnt lgkmcnt(0)
	v_fma_f32 v2, -v5, v10, v2
	v_div_fmas_f32 v10, v15, v16, v18
	s_delay_alu instid0(VALU_DEP_2) | instskip(NEXT) | instid1(VALU_DEP_2)
	v_fma_f32 v2, -v4, v11, v2
	v_div_fixup_f32 v3, v10, v14, v3
	s_delay_alu instid0(VALU_DEP_1) | instskip(NEXT) | instid1(VALU_DEP_1)
	v_fma_f32 v2, -v3, v12, v2
	v_div_scale_f32 v10, null, v13, v13, v2
	v_div_scale_f32 v14, vcc_lo, v2, v13, v2
	s_delay_alu instid0(VALU_DEP_2) | instskip(SKIP_2) | instid1(VALU_DEP_1)
	v_rcp_f32_e32 v11, v10
	s_waitcnt_depctr 0xfff
	v_fma_f32 v12, -v10, v11, 1.0
	v_fmac_f32_e32 v11, v12, v11
	s_delay_alu instid0(VALU_DEP_1) | instskip(NEXT) | instid1(VALU_DEP_1)
	v_mul_f32_e32 v12, v14, v11
	v_fma_f32 v15, -v10, v12, v14
	s_delay_alu instid0(VALU_DEP_1) | instskip(NEXT) | instid1(VALU_DEP_1)
	v_fmac_f32_e32 v12, v15, v11
	v_fma_f32 v10, -v10, v12, v14
	s_delay_alu instid0(VALU_DEP_1) | instskip(NEXT) | instid1(VALU_DEP_1)
	v_div_fmas_f32 v10, v10, v11, v12
	v_div_fixup_f32 v2, v10, v13, v2
	ds_store_b32 v6, v5
	ds_store_b32 v7, v4
	;; [unrolled: 1-line block ×4, first 2 shown]
	s_cbranch_scc1 .LBB35_88
; %bb.87:                               ;   in Loop: Header=BB35_83 Depth=1
	s_mov_b32 s4, s5
	s_branch .LBB35_83
.LBB35_88:
	s_cmp_ge_i32 s5, s20
	s_cbranch_scc1 .LBB35_99
; %bb.89:
	v_lshl_add_u32 v1, v0, 2, 0xc40
	s_add_i32 s1, s5, -1
	s_mul_i32 s4, s5, 0x70
	s_mov_b32 s6, 0
	s_mov_b32 s7, s5
	s_branch .LBB35_91
.LBB35_90:                              ;   in Loop: Header=BB35_91 Depth=1
	s_mul_i32 s10, s5, 0x74
	s_delay_alu instid0(SALU_CYCLE_1)
	v_dual_mov_b32 v3, s10 :: v_dual_add_nc_u32 v2, 0xc40, v5
	s_add_i32 s5, s5, 1
	s_add_i32 s6, s6, 1
	s_addk_i32 s4, 0x70
	s_cmp_ge_i32 s5, s20
	ds_load_b32 v3, v3
	s_waitcnt lgkmcnt(0)
	v_div_scale_f32 v5, null, v3, v3, v4
	v_div_scale_f32 v8, vcc_lo, v4, v3, v4
	s_delay_alu instid0(VALU_DEP_2) | instskip(SKIP_2) | instid1(VALU_DEP_1)
	v_rcp_f32_e32 v6, v5
	s_waitcnt_depctr 0xfff
	v_fma_f32 v7, -v5, v6, 1.0
	v_fmac_f32_e32 v6, v7, v6
	s_delay_alu instid0(VALU_DEP_1) | instskip(NEXT) | instid1(VALU_DEP_1)
	v_mul_f32_e32 v7, v8, v6
	v_fma_f32 v9, -v5, v7, v8
	s_delay_alu instid0(VALU_DEP_1) | instskip(NEXT) | instid1(VALU_DEP_1)
	v_fmac_f32_e32 v7, v9, v6
	v_fma_f32 v5, -v5, v7, v8
	s_delay_alu instid0(VALU_DEP_1) | instskip(SKIP_1) | instid1(VALU_DEP_2)
	v_div_fmas_f32 v5, v5, v6, v7
	v_add_nc_u16 v6, s7, 1
	v_div_fixup_f32 v3, v5, v3, v4
	s_delay_alu instid0(VALU_DEP_2)
	v_readfirstlane_b32 s7, v6
	ds_store_b32 v2, v3
	s_cbranch_scc1 .LBB35_99
.LBB35_91:                              ; =>This Loop Header: Depth=1
                                        ;     Child Loop BB35_94 Depth 2
                                        ;     Child Loop BB35_98 Depth 2
	s_mul_i32 s10, s5, 28
	s_cmp_eq_u32 s5, 0
	v_add_lshl_u32 v5, s10, v0, 2
	ds_load_b32 v4, v5 offset:3136
	s_cbranch_scc1 .LBB35_90
; %bb.92:                               ;   in Loop: Header=BB35_91 Depth=1
	s_add_i32 s10, s1, s6
	s_delay_alu instid0(SALU_CYCLE_1)
	s_cmp_lt_u32 s10, 7
	s_cbranch_scc1 .LBB35_96
; %bb.93:                               ;   in Loop: Header=BB35_91 Depth=1
	v_mov_b32_e32 v2, v1
	s_and_b32 s10, s5, -8
	s_mov_b32 s11, 0
	s_mov_b32 s13, s4
	s_set_inst_prefetch_distance 0x1
	.p2align	6
.LBB35_94:                              ;   Parent Loop BB35_91 Depth=1
                                        ; =>  This Inner Loop Header: Depth=2
	v_mov_b32_e32 v3, s13
	s_add_i32 s11, s11, 8
	s_add_i32 s13, s13, 32
	s_cmp_eq_u32 s10, s11
	ds_load_2addr_b32 v[14:15], v2 offset1:28
	ds_load_b128 v[6:9], v3
	ds_load_2addr_b32 v[16:17], v2 offset0:56 offset1:84
	ds_load_2addr_b32 v[18:19], v2 offset0:112 offset1:140
	ds_load_b128 v[10:13], v3 offset:16
	s_waitcnt lgkmcnt(3)
	v_fma_f32 v3, -v14, v6, v4
	s_delay_alu instid0(VALU_DEP_1) | instskip(SKIP_4) | instid1(VALU_DEP_1)
	v_fma_f32 v6, -v15, v7, v3
	ds_load_2addr_b32 v[3:4], v2 offset0:168 offset1:196
	v_add_nc_u32_e32 v2, 0x380, v2
	s_waitcnt lgkmcnt(3)
	v_fma_f32 v6, -v16, v8, v6
	v_fma_f32 v6, -v17, v9, v6
	s_waitcnt lgkmcnt(1)
	s_delay_alu instid0(VALU_DEP_1) | instskip(NEXT) | instid1(VALU_DEP_1)
	v_fma_f32 v6, -v18, v10, v6
	v_fma_f32 v6, -v19, v11, v6
	s_waitcnt lgkmcnt(0)
	s_delay_alu instid0(VALU_DEP_1) | instskip(NEXT) | instid1(VALU_DEP_1)
	v_fma_f32 v3, -v3, v12, v6
	v_fma_f32 v4, -v4, v13, v3
	s_cbranch_scc0 .LBB35_94
; %bb.95:                               ;   in Loop: Header=BB35_91 Depth=1
	s_set_inst_prefetch_distance 0x2
	s_and_b32 s11, s5, 7
	s_delay_alu instid0(SALU_CYCLE_1)
	s_cmp_eq_u32 s11, 0
	s_cbranch_scc0 .LBB35_97
	s_branch .LBB35_90
.LBB35_96:                              ;   in Loop: Header=BB35_91 Depth=1
	s_mov_b32 s10, 0
	s_and_b32 s11, s5, 7
	s_delay_alu instid0(SALU_CYCLE_1)
	s_cmp_eq_u32 s11, 0
	s_cbranch_scc1 .LBB35_90
.LBB35_97:                              ;   in Loop: Header=BB35_91 Depth=1
	v_mad_u64_u32 v[2:3], null, 0x70, s10, v[1:2]
	s_and_b32 s11, s7, 7
	s_lshl_b32 s10, s10, 2
.LBB35_98:                              ;   Parent Loop BB35_91 Depth=1
                                        ; =>  This Inner Loop Header: Depth=2
	s_delay_alu instid0(SALU_CYCLE_1)
	s_add_i32 s13, s4, s10
	s_add_i32 s11, s11, -1
	v_mov_b32_e32 v3, s13
	s_add_i32 s10, s10, 4
	s_cmp_lg_u32 s11, 0
	ds_load_b32 v6, v2
	ds_load_b32 v3, v3
	v_add_nc_u32_e32 v2, 0x70, v2
	s_waitcnt lgkmcnt(0)
	v_fma_f32 v4, -v6, v3, v4
	s_cbranch_scc1 .LBB35_98
	s_branch .LBB35_90
.LBB35_99:
	s_and_saveexec_b32 s1, s21
	s_cbranch_execz .LBB35_106
; %bb.100:
	v_lshlrev_b32_e32 v3, 2, v0
	s_ashr_i32 s1, s0, 31
	s_cmp_lt_u32 s12, 4
	s_mov_b32 s13, 0
	s_cbranch_scc1 .LBB35_103
; %bb.101:
	v_add_co_u32 v1, s4, s18, v3
	s_delay_alu instid0(VALU_DEP_1)
	v_add_co_ci_u32_e64 v2, null, s19, 0, s4
	v_lshl_add_u32 v0, v0, 2, 0xc40
	s_and_b32 s13, s12, 0x7ffffffc
	s_mul_hi_i32 s14, s0, 12
	s_mul_i32 s15, s0, 12
	s_lshl_b64 s[4:5], s[0:1], 4
	s_lshl_b64 s[6:7], s[0:1], 3
	;; [unrolled: 1-line block ×3, first 2 shown]
	s_mov_b32 s18, 0
	.p2align	6
.LBB35_102:                             ; =>This Inner Loop Header: Depth=1
	ds_load_2addr_b32 v[4:5], v0 offset1:28
	ds_load_2addr_b32 v[6:7], v0 offset0:56 offset1:84
	v_add_co_u32 v8, vcc_lo, v1, s10
	v_add_co_ci_u32_e32 v9, vcc_lo, s11, v2, vcc_lo
	v_add_co_u32 v10, vcc_lo, v1, s6
	v_add_co_ci_u32_e32 v11, vcc_lo, s7, v2, vcc_lo
	;; [unrolled: 2-line block ×3, first 2 shown]
	v_add_nc_u32_e32 v0, 0x1c0, v0
	s_add_i32 s18, s18, 4
	s_delay_alu instid0(SALU_CYCLE_1)
	s_cmp_lg_u32 s13, s18
	s_waitcnt lgkmcnt(1)
	global_store_b32 v[1:2], v4, off
	v_add_co_u32 v1, vcc_lo, v1, s4
	v_add_co_ci_u32_e32 v2, vcc_lo, s5, v2, vcc_lo
	global_store_b32 v[8:9], v5, off
	s_waitcnt lgkmcnt(0)
	s_clause 0x1
	global_store_b32 v[10:11], v6, off
	global_store_b32 v[12:13], v7, off
	s_cbranch_scc1 .LBB35_102
.LBB35_103:
	s_and_b32 s4, s12, 3
	s_delay_alu instid0(SALU_CYCLE_1)
	s_cmp_eq_u32 s4, 0
	s_cbranch_scc1 .LBB35_106
; %bb.104:
	s_mul_hi_i32 s7, s0, s13
	s_mul_i32 s6, s0, s13
	s_mul_i32 s5, s13, 0x70
	s_lshl_b64 s[6:7], s[6:7], 2
	v_add3_u32 v2, s5, v3, 0xc40
	s_add_u32 s6, s6, s16
	s_addc_u32 s7, s7, s17
	s_add_u32 s6, s6, s8
	s_addc_u32 s7, s7, s9
	s_add_u32 s2, s2, s6
	s_addc_u32 s3, s3, s7
	v_add_co_u32 v0, s2, s2, v3
	s_delay_alu instid0(VALU_DEP_1)
	v_add_co_ci_u32_e64 v1, null, s3, 0, s2
	s_lshl_b64 s[0:1], s[0:1], 2
.LBB35_105:                             ; =>This Inner Loop Header: Depth=1
	ds_load_b32 v3, v2
	v_add_nc_u32_e32 v2, 0x70, v2
	s_add_i32 s4, s4, -1
	s_delay_alu instid0(SALU_CYCLE_1)
	s_cmp_lg_u32 s4, 0
	s_waitcnt lgkmcnt(0)
	global_store_b32 v[0:1], v3, off
	v_add_co_u32 v0, vcc_lo, v0, s0
	v_add_co_ci_u32_e32 v1, vcc_lo, s1, v1, vcc_lo
	s_cbranch_scc1 .LBB35_105
.LBB35_106:
	s_nop 0
	s_sendmsg sendmsg(MSG_DEALLOC_VGPRS)
	s_endpgm
	.section	.rodata,"a",@progbits
	.p2align	6, 0x0
	.amdhsa_kernel _ZL31rocblas_trsm_small_right_deviceIffPKPKfPKPfLi28EEv13rocblas_fill_18rocblas_operation_17rocblas_diagonal_iiT0_T1_lilT2_lili
		.amdhsa_group_segment_fixed_size 6272
		.amdhsa_private_segment_fixed_size 0
		.amdhsa_kernarg_size 352
		.amdhsa_user_sgpr_count 14
		.amdhsa_user_sgpr_dispatch_ptr 0
		.amdhsa_user_sgpr_queue_ptr 0
		.amdhsa_user_sgpr_kernarg_segment_ptr 1
		.amdhsa_user_sgpr_dispatch_id 0
		.amdhsa_user_sgpr_private_segment_size 0
		.amdhsa_wavefront_size32 1
		.amdhsa_uses_dynamic_stack 0
		.amdhsa_enable_private_segment 0
		.amdhsa_system_sgpr_workgroup_id_x 1
		.amdhsa_system_sgpr_workgroup_id_y 0
		.amdhsa_system_sgpr_workgroup_id_z 1
		.amdhsa_system_sgpr_workgroup_info 0
		.amdhsa_system_vgpr_workitem_id 0
		.amdhsa_next_free_vgpr 31
		.amdhsa_next_free_sgpr 32
		.amdhsa_reserve_vcc 1
		.amdhsa_float_round_mode_32 0
		.amdhsa_float_round_mode_16_64 0
		.amdhsa_float_denorm_mode_32 3
		.amdhsa_float_denorm_mode_16_64 3
		.amdhsa_dx10_clamp 1
		.amdhsa_ieee_mode 1
		.amdhsa_fp16_overflow 0
		.amdhsa_workgroup_processor_mode 1
		.amdhsa_memory_ordered 1
		.amdhsa_forward_progress 0
		.amdhsa_shared_vgpr_count 0
		.amdhsa_exception_fp_ieee_invalid_op 0
		.amdhsa_exception_fp_denorm_src 0
		.amdhsa_exception_fp_ieee_div_zero 0
		.amdhsa_exception_fp_ieee_overflow 0
		.amdhsa_exception_fp_ieee_underflow 0
		.amdhsa_exception_fp_ieee_inexact 0
		.amdhsa_exception_int_div_zero 0
	.end_amdhsa_kernel
	.section	.text._ZL31rocblas_trsm_small_right_deviceIffPKPKfPKPfLi28EEv13rocblas_fill_18rocblas_operation_17rocblas_diagonal_iiT0_T1_lilT2_lili,"axG",@progbits,_ZL31rocblas_trsm_small_right_deviceIffPKPKfPKPfLi28EEv13rocblas_fill_18rocblas_operation_17rocblas_diagonal_iiT0_T1_lilT2_lili,comdat
.Lfunc_end35:
	.size	_ZL31rocblas_trsm_small_right_deviceIffPKPKfPKPfLi28EEv13rocblas_fill_18rocblas_operation_17rocblas_diagonal_iiT0_T1_lilT2_lili, .Lfunc_end35-_ZL31rocblas_trsm_small_right_deviceIffPKPKfPKPfLi28EEv13rocblas_fill_18rocblas_operation_17rocblas_diagonal_iiT0_T1_lilT2_lili
                                        ; -- End function
	.section	.AMDGPU.csdata,"",@progbits
; Kernel info:
; codeLenInByte = 8564
; NumSgprs: 34
; NumVgprs: 31
; ScratchSize: 0
; MemoryBound: 0
; FloatMode: 240
; IeeeMode: 1
; LDSByteSize: 6272 bytes/workgroup (compile time only)
; SGPRBlocks: 4
; VGPRBlocks: 3
; NumSGPRsForWavesPerEU: 34
; NumVGPRsForWavesPerEU: 31
; Occupancy: 5
; WaveLimiterHint : 0
; COMPUTE_PGM_RSRC2:SCRATCH_EN: 0
; COMPUTE_PGM_RSRC2:USER_SGPR: 14
; COMPUTE_PGM_RSRC2:TRAP_HANDLER: 0
; COMPUTE_PGM_RSRC2:TGID_X_EN: 1
; COMPUTE_PGM_RSRC2:TGID_Y_EN: 0
; COMPUTE_PGM_RSRC2:TGID_Z_EN: 1
; COMPUTE_PGM_RSRC2:TIDIG_COMP_CNT: 0
	.section	.text._ZL38rocblas_trsm_small_left_device_sharedBILi32ELi32ELb0EffPKPKfPKPfEv13rocblas_fill_18rocblas_operation_17rocblas_diagonal_iiT3_T4_lilT5_lili,"axG",@progbits,_ZL38rocblas_trsm_small_left_device_sharedBILi32ELi32ELb0EffPKPKfPKPfEv13rocblas_fill_18rocblas_operation_17rocblas_diagonal_iiT3_T4_lilT5_lili,comdat
	.globl	_ZL38rocblas_trsm_small_left_device_sharedBILi32ELi32ELb0EffPKPKfPKPfEv13rocblas_fill_18rocblas_operation_17rocblas_diagonal_iiT3_T4_lilT5_lili ; -- Begin function _ZL38rocblas_trsm_small_left_device_sharedBILi32ELi32ELb0EffPKPKfPKPfEv13rocblas_fill_18rocblas_operation_17rocblas_diagonal_iiT3_T4_lilT5_lili
	.p2align	8
	.type	_ZL38rocblas_trsm_small_left_device_sharedBILi32ELi32ELb0EffPKPKfPKPfEv13rocblas_fill_18rocblas_operation_17rocblas_diagonal_iiT3_T4_lilT5_lili,@function
_ZL38rocblas_trsm_small_left_device_sharedBILi32ELi32ELb0EffPKPKfPKPfEv13rocblas_fill_18rocblas_operation_17rocblas_diagonal_iiT3_T4_lilT5_lili: ; @_ZL38rocblas_trsm_small_left_device_sharedBILi32ELi32ELb0EffPKPKfPKPfEv13rocblas_fill_18rocblas_operation_17rocblas_diagonal_iiT3_T4_lilT5_lili
; %bb.0:
	s_clause 0x1
	s_load_b128 s[8:11], s[0:1], 0x38
	s_load_b128 s[4:7], s[0:1], 0x4
	s_mov_b32 s12, s15
	s_mov_b32 s13, 0
	s_delay_alu instid0(SALU_CYCLE_1)
	s_lshl_b64 s[20:21], s[12:13], 3
	s_mov_b32 s12, exec_lo
	s_waitcnt lgkmcnt(0)
	s_add_u32 s2, s8, s20
	s_addc_u32 s3, s9, s21
	s_load_b32 s27, s[0:1], 0x14
	s_load_b64 s[2:3], s[2:3], 0x0
	s_min_i32 s15, s6, 32
	s_delay_alu instid0(SALU_CYCLE_1)
	s_add_i32 s26, s15, -1
	v_cmpx_gt_i32_e64 s15, v0
	s_cbranch_execz .LBB36_10
; %bb.1:
	s_clause 0x1
	s_load_b32 s8, s[0:1], 0x28
	s_load_b128 s[16:19], s[0:1], 0x18
	s_waitcnt lgkmcnt(0)
	s_ashr_i32 s9, s8, 31
	s_add_u32 s16, s16, s20
	s_addc_u32 s17, s17, s21
	s_cmp_lt_u32 s26, 3
	s_load_b64 s[16:17], s[16:17], 0x0
	s_cbranch_scc1 .LBB36_4
; %bb.2:
	v_lshlrev_b32_e32 v3, 2, v0
	s_lshl_b64 s[20:21], s[18:19], 2
	s_mul_hi_i32 s28, s8, 12
	s_waitcnt lgkmcnt(0)
	s_add_u32 s13, s16, s20
	s_addc_u32 s20, s17, s21
	v_add_co_u32 v1, s13, s13, v3
	s_delay_alu instid0(VALU_DEP_1)
	v_add_co_ci_u32_e64 v2, null, s20, 0, s13
	s_and_b32 s13, s15, -4
	s_mul_i32 s29, s8, 12
	s_lshl_b64 s[20:21], s[8:9], 4
	s_lshl_b64 s[22:23], s[8:9], 3
	;; [unrolled: 1-line block ×3, first 2 shown]
	s_mov_b32 s30, 0
	.p2align	6
.LBB36_3:                               ; =>This Inner Loop Header: Depth=1
	v_add_co_u32 v4, vcc_lo, v1, s24
	v_add_co_ci_u32_e32 v5, vcc_lo, s25, v2, vcc_lo
	v_add_co_u32 v6, vcc_lo, v1, s22
	v_add_co_ci_u32_e32 v7, vcc_lo, s23, v2, vcc_lo
	v_add_co_u32 v8, vcc_lo, v1, s29
	v_add_co_ci_u32_e32 v9, vcc_lo, s28, v2, vcc_lo
	s_clause 0x3
	global_load_b32 v10, v[1:2], off
	global_load_b32 v4, v[4:5], off
	;; [unrolled: 1-line block ×4, first 2 shown]
	v_add_co_u32 v1, vcc_lo, v1, s20
	v_add_co_ci_u32_e32 v2, vcc_lo, s21, v2, vcc_lo
	s_add_i32 s30, s30, 4
	s_waitcnt vmcnt(2)
	ds_store_2addr_b32 v3, v10, v4 offset1:32
	s_waitcnt vmcnt(0)
	ds_store_2addr_b32 v3, v5, v6 offset0:64 offset1:96
	v_add_nc_u32_e32 v3, 0x200, v3
	s_cmp_eq_u32 s13, s30
	s_cbranch_scc0 .LBB36_3
.LBB36_4:
	s_and_b32 s20, s15, 3
	s_delay_alu instid0(SALU_CYCLE_1)
	s_cmp_eq_u32 s20, 0
	s_cbranch_scc1 .LBB36_7
; %bb.5:
	s_mul_i32 s21, s9, s13
	s_mul_hi_u32 s22, s8, s13
	v_lshlrev_b32_e32 v1, 2, v0
	s_add_i32 s23, s22, s21
	s_mul_i32 s22, s8, s13
	s_lshl_b64 s[18:19], s[18:19], 2
	s_lshl_b64 s[22:23], s[22:23], 2
	v_lshl_or_b32 v3, s13, 7, v1
	s_add_u32 s13, s22, s18
	s_addc_u32 s18, s23, s19
	s_waitcnt lgkmcnt(0)
	s_add_u32 s13, s16, s13
	s_addc_u32 s16, s17, s18
	v_add_co_u32 v1, s13, s13, v1
	s_delay_alu instid0(VALU_DEP_1)
	v_add_co_ci_u32_e64 v2, null, s16, 0, s13
	s_lshl_b64 s[8:9], s[8:9], 2
.LBB36_6:                               ; =>This Inner Loop Header: Depth=1
	global_load_b32 v4, v[1:2], off
	v_add_co_u32 v1, vcc_lo, v1, s8
	v_add_co_ci_u32_e32 v2, vcc_lo, s9, v2, vcc_lo
	s_add_i32 s20, s20, -1
	s_delay_alu instid0(SALU_CYCLE_1)
	s_cmp_lg_u32 s20, 0
	s_waitcnt vmcnt(0)
	ds_store_b32 v3, v4
	v_add_nc_u32_e32 v3, 0x80, v3
	s_cbranch_scc1 .LBB36_6
.LBB36_7:
	v_mul_u32_u24_e32 v1, 33, v0
	s_cmpk_lg_i32 s5, 0x84
	s_delay_alu instid0(VALU_DEP_1)
	v_dual_mov_b32 v2, 1.0 :: v_dual_lshlrev_b32 v1, 2, v1
	s_cbranch_scc0 .LBB36_9
; %bb.8:
	ds_load_b32 v2, v1
	s_waitcnt lgkmcnt(0)
	v_div_scale_f32 v3, null, v2, v2, 1.0
	s_delay_alu instid0(VALU_DEP_1) | instskip(SKIP_2) | instid1(VALU_DEP_1)
	v_rcp_f32_e32 v4, v3
	s_waitcnt_depctr 0xfff
	v_fma_f32 v5, -v3, v4, 1.0
	v_fmac_f32_e32 v4, v5, v4
	v_div_scale_f32 v5, vcc_lo, 1.0, v2, 1.0
	s_delay_alu instid0(VALU_DEP_1) | instskip(NEXT) | instid1(VALU_DEP_1)
	v_mul_f32_e32 v6, v5, v4
	v_fma_f32 v7, -v3, v6, v5
	s_delay_alu instid0(VALU_DEP_1) | instskip(NEXT) | instid1(VALU_DEP_1)
	v_fmac_f32_e32 v6, v7, v4
	v_fma_f32 v3, -v3, v6, v5
	s_delay_alu instid0(VALU_DEP_1) | instskip(NEXT) | instid1(VALU_DEP_1)
	v_div_fmas_f32 v3, v3, v4, v6
	v_div_fixup_f32 v2, v3, v2, 1.0
.LBB36_9:
	ds_store_b32 v1, v2
.LBB36_10:
	s_or_b32 exec_lo, exec_lo, s12
	s_load_b32 s5, s[0:1], 0x60
	s_waitcnt lgkmcnt(0)
	s_load_b32 s16, s[0:1], 0x48
	s_lshl_b64 s[0:1], s[10:11], 2
	s_waitcnt lgkmcnt(0)
	s_ashr_i32 s17, s16, 31
	s_add_u32 s12, s2, s0
	s_addc_u32 s13, s3, s1
	s_lshl_b32 s8, s14, 5
	s_add_i32 s5, s5, -1
	s_sub_i32 s7, s7, s8
	s_mul_hi_i32 s11, s16, s8
	s_cmp_ge_u32 s14, s5
	s_mul_i32 s10, s16, s8
	s_cselect_b32 s14, s7, 32
	s_lshl_b64 s[10:11], s[10:11], 2
	s_ashr_i32 s9, s8, 31
	s_add_u32 s5, s12, s10
	s_addc_u32 s7, s13, s11
	v_cmp_gt_i32_e32 vcc_lo, s14, v0
	s_cmp_gt_i32 s6, 0
	s_mov_b32 s10, 0
	s_cselect_b32 s11, -1, 0
	s_delay_alu instid0(SALU_CYCLE_1) | instskip(NEXT) | instid1(SALU_CYCLE_1)
	s_and_b32 s14, vcc_lo, s11
	s_and_saveexec_b32 s18, s14
	s_cbranch_execz .LBB36_17
; %bb.11:
	s_cmp_lt_i32 s6, 8
	s_cbranch_scc1 .LBB36_14
; %bb.12:
	v_mad_i64_i32 v[1:2], null, s16, v0, 0
	v_lshl_or_b32 v3, v0, 2, 0x1000
	s_lshl_b32 s10, s15, 2
	s_mov_b64 s[12:13], 0
	s_and_b32 s11, s10, 0xe0
	s_mov_b32 s10, 0
	s_delay_alu instid0(VALU_DEP_2) | instskip(NEXT) | instid1(VALU_DEP_1)
	v_lshlrev_b64 v[1:2], 2, v[1:2]
	v_add_co_u32 v1, vcc_lo, s5, v1
	s_delay_alu instid0(VALU_DEP_2)
	v_add_co_ci_u32_e32 v2, vcc_lo, s7, v2, vcc_lo
	.p2align	6
.LBB36_13:                              ; =>This Inner Loop Header: Depth=1
	s_delay_alu instid0(VALU_DEP_2) | instskip(NEXT) | instid1(VALU_DEP_2)
	v_add_co_u32 v8, vcc_lo, v1, s12
	v_add_co_ci_u32_e32 v9, vcc_lo, s13, v2, vcc_lo
	s_add_i32 s10, s10, 8
	s_add_u32 s12, s12, 32
	s_addc_u32 s13, s13, 0
	s_clause 0x1
	global_load_b128 v[4:7], v[8:9], off
	global_load_b128 v[8:11], v[8:9], off offset:16
	s_cmp_lg_u32 s11, s12
	s_waitcnt vmcnt(1)
	v_dual_mul_f32 v4, s27, v4 :: v_dual_mul_f32 v5, s27, v5
	v_dual_mul_f32 v6, s27, v6 :: v_dual_mul_f32 v7, s27, v7
	s_waitcnt vmcnt(0)
	v_dual_mul_f32 v8, s27, v8 :: v_dual_mul_f32 v9, s27, v9
	v_dual_mul_f32 v10, s27, v10 :: v_dual_mul_f32 v11, s27, v11
	ds_store_2addr_b32 v3, v4, v5 offset1:32
	ds_store_2addr_b32 v3, v6, v7 offset0:64 offset1:96
	ds_store_2addr_b32 v3, v8, v9 offset0:128 offset1:160
	;; [unrolled: 1-line block ×3, first 2 shown]
	v_add_nc_u32_e32 v3, 0x400, v3
	s_cbranch_scc1 .LBB36_13
.LBB36_14:
	s_and_b32 s12, s15, 7
	s_mov_b32 s11, 0
	s_cmp_eq_u32 s12, 0
	s_cbranch_scc1 .LBB36_17
; %bb.15:
	v_lshlrev_b32_e32 v3, 2, v0
	s_lshl_b64 s[20:21], s[8:9], 2
	s_lshl_b64 s[22:23], s[10:11], 2
	s_delay_alu instid0(VALU_DEP_1) | instskip(NEXT) | instid1(VALU_DEP_1)
	v_add_co_u32 v4, s11, s20, v3
	v_add_co_ci_u32_e64 v5, null, s21, 0, s11
	s_add_u32 s11, s2, s22
	s_addc_u32 s13, s3, s23
	s_add_u32 s20, s11, s0
	s_addc_u32 s21, s13, s1
	v_mul_lo_u32 v5, v5, s16
	v_mad_u64_u32 v[1:2], null, v4, s16, s[20:21]
	v_mul_lo_u32 v4, v4, s17
	v_lshl_or_b32 v3, s10, 7, v3
	s_delay_alu instid0(VALU_DEP_1) | instskip(NEXT) | instid1(VALU_DEP_3)
	v_add_nc_u32_e32 v3, 0x1000, v3
	v_add3_u32 v2, v5, v2, v4
.LBB36_16:                              ; =>This Inner Loop Header: Depth=1
	global_load_b32 v4, v[1:2], off
	v_add_co_u32 v1, vcc_lo, v1, 4
	v_add_co_ci_u32_e32 v2, vcc_lo, 0, v2, vcc_lo
	s_add_i32 s12, s12, -1
	s_delay_alu instid0(SALU_CYCLE_1)
	s_cmp_lg_u32 s12, 0
	s_waitcnt vmcnt(0)
	v_mul_f32_e32 v4, s27, v4
	ds_store_b32 v3, v4
	v_add_nc_u32_e32 v3, 0x80, v3
	s_cbranch_scc1 .LBB36_16
.LBB36_17:
	s_or_b32 exec_lo, exec_lo, s18
	s_cmpk_eq_i32 s4, 0x6f
	s_mov_b32 s4, -1
	s_waitcnt vmcnt(0) lgkmcnt(0)
	s_waitcnt_vscnt null, 0x0
	; wave barrier
	s_waitcnt lgkmcnt(0)
	buffer_gl0_inv
	s_cbranch_scc1 .LBB36_38
; %bb.18:
	s_cmp_gt_i32 s6, 31
	s_mov_b32 s4, 0
	s_cselect_b32 s11, -1, 0
	s_delay_alu instid0(SALU_CYCLE_1)
	s_and_b32 vcc_lo, exec_lo, s11
	s_cbranch_vccz .LBB36_20
; %bb.19:
	v_dual_mov_b32 v4, 0 :: v_dual_lshlrev_b32 v105, 2, v0
	s_mov_b32 s4, 32
	s_delay_alu instid0(VALU_DEP_1)
	v_add_nc_u32_e32 v1, 0x1000, v105
	ds_load_2addr_b32 v[5:6], v1 offset1:32
	ds_load_b32 v51, v4
	ds_load_b64 v[74:75], v4 offset:128
	ds_load_b96 v[78:80], v4 offset:256
	ds_load_b128 v[7:10], v4 offset:384
	ds_load_b128 v[11:14], v4 offset:512
	ds_load_b32 v106, v4 offset:528
	ds_load_b128 v[15:18], v4 offset:640
	ds_load_b64 v[87:88], v4 offset:656
	ds_load_b128 v[19:22], v4 offset:768
	ds_load_b96 v[81:83], v4 offset:784
	ds_load_b128 v[23:26], v4 offset:896
	ds_load_2addr_b32 v[89:90], v1 offset0:64 offset1:96
	ds_load_b128 v[27:30], v4 offset:912
	ds_load_b128 v[31:34], v4 offset:1024
	;; [unrolled: 1-line block ×3, first 2 shown]
	ds_load_b32 v107, v4 offset:1056
	ds_load_b128 v[39:42], v4 offset:1152
	ds_load_b128 v[43:46], v4 offset:1168
	ds_load_b64 v[91:92], v4 offset:1184
	ds_load_b128 v[47:50], v4 offset:1280
	ds_load_2addr_b32 v[93:94], v1 offset0:128 offset1:160
	s_waitcnt lgkmcnt(20)
	v_mul_f32_e32 v5, v51, v5
	s_waitcnt lgkmcnt(19)
	s_delay_alu instid0(VALU_DEP_1) | instskip(SKIP_2) | instid1(VALU_DEP_2)
	v_fma_f32 v6, -v5, v74, v6
	s_waitcnt lgkmcnt(9)
	v_fma_f32 v89, -v5, v78, v89
	v_mul_f32_e32 v6, v75, v6
	v_fma_f32 v7, -v5, v7, v90
	ds_load_b128 v[51:54], v4 offset:1296
	ds_load_b96 v[84:86], v4 offset:1312
	ds_load_b128 v[55:58], v4 offset:1408
	ds_load_b128 v[59:62], v4 offset:1424
	ds_load_2addr_b32 v[95:96], v1 offset0:192 offset1:224
	v_fma_f32 v79, -v6, v79, v89
	v_add_nc_u32_e32 v2, 0x1800, v105
	v_fma_f32 v8, -v6, v8, v7
	s_waitcnt lgkmcnt(5)
	v_fma_f32 v11, -v5, v11, v93
	v_fma_f32 v15, -v5, v15, v94
	v_mul_f32_e32 v7, v80, v79
	s_delay_alu instid0(VALU_DEP_3) | instskip(NEXT) | instid1(VALU_DEP_3)
	v_fma_f32 v11, -v6, v12, v11
	v_fma_f32 v15, -v6, v16, v15
	s_delay_alu instid0(VALU_DEP_3) | instskip(SKIP_1) | instid1(VALU_DEP_4)
	v_fma_f32 v8, -v7, v9, v8
	v_add_nc_u32_e32 v3, 0x1400, v105
	v_fma_f32 v11, -v7, v13, v11
	s_delay_alu instid0(VALU_DEP_4) | instskip(NEXT) | instid1(VALU_DEP_4)
	v_fma_f32 v15, -v7, v17, v15
	v_mul_f32_e32 v8, v10, v8
	ds_load_b128 v[63:66], v4 offset:1440
	ds_load_b128 v[67:70], v4 offset:1536
	;; [unrolled: 1-line block ×3, first 2 shown]
	ds_load_2addr_b32 v[97:98], v3 offset1:32
	s_waitcnt lgkmcnt(4)
	v_fma_f32 v9, -v5, v23, v96
	ds_load_b32 v108, v4 offset:1584
	ds_load_b128 v[75:78], v4 offset:1664
	ds_load_2addr_b32 v[99:100], v3 offset0:64 offset1:96
	ds_load_2addr_b32 v[101:102], v3 offset0:128 offset1:160
	;; [unrolled: 1-line block ×3, first 2 shown]
	ds_load_2addr_b32 v[103:104], v2 offset1:32
	v_fma_f32 v11, -v8, v14, v11
	v_fma_f32 v15, -v8, v18, v15
	;; [unrolled: 1-line block ×3, first 2 shown]
	ds_load_2addr_b32 v[79:80], v2 offset0:64 offset1:96
	v_mul_f32_e32 v9, v106, v11
	s_delay_alu instid0(VALU_DEP_1) | instskip(SKIP_3) | instid1(VALU_DEP_2)
	v_fma_f32 v15, -v9, v87, v15
	s_waitcnt lgkmcnt(7)
	v_fma_f32 v12, -v5, v31, v97
	v_fma_f32 v10, -v5, v39, v98
	;; [unrolled: 1-line block ×4, first 2 shown]
	s_delay_alu instid0(VALU_DEP_3)
	v_fma_f32 v17, -v6, v40, v10
	v_mul_f32_e32 v10, v88, v15
	v_fma_f32 v19, -v5, v19, v95
	s_waitcnt lgkmcnt(4)
	v_fma_f32 v13, -v5, v47, v99
	v_fma_f32 v11, -v7, v33, v11
	;; [unrolled: 1-line block ×17, first 2 shown]
	s_waitcnt lgkmcnt(3)
	v_fma_f32 v18, -v5, v67, v101
	v_fma_f32 v14, -v6, v56, v14
	v_fma_f32 v16, -v9, v81, v16
	v_fma_f32 v13, -v9, v51, v13
	v_fma_f32 v15, -v10, v44, v15
	s_delay_alu instid0(VALU_DEP_4) | instskip(NEXT) | instid1(VALU_DEP_4)
	v_fma_f32 v14, -v7, v57, v14
	v_fma_f32 v16, -v10, v82, v16
	s_delay_alu instid0(VALU_DEP_4) | instskip(NEXT) | instid1(VALU_DEP_3)
	v_fma_f32 v13, -v10, v52, v13
	v_fma_f32 v14, -v8, v58, v14
	s_delay_alu instid0(VALU_DEP_3)
	v_mul_f32_e32 v11, v83, v16
	v_fma_f32 v16, -v10, v36, v17
	v_fma_f32 v17, -v6, v68, v18
	ds_load_2addr_b32 v[67:68], v2 offset0:128 offset1:160
	v_fma_f32 v14, -v9, v59, v14
	v_fma_f32 v12, -v11, v29, v12
	v_fma_f32 v16, -v11, v37, v16
	v_fma_f32 v15, -v11, v45, v15
	v_fma_f32 v17, -v7, v69, v17
	v_fma_f32 v18, -v11, v53, v13
	v_mul_f32_e32 v12, v30, v12
	v_fma_f32 v14, -v10, v60, v14
	v_fma_f32 v30, -v5, v75, v102
	v_fma_f32 v27, -v8, v70, v17
	s_delay_alu instid0(VALU_DEP_4) | instskip(SKIP_3) | instid1(VALU_DEP_4)
	v_fma_f32 v16, -v12, v38, v16
	v_fma_f32 v15, -v12, v46, v15
	;; [unrolled: 1-line block ×4, first 2 shown]
	v_mul_f32_e32 v13, v107, v16
	s_delay_alu instid0(VALU_DEP_2) | instskip(NEXT) | instid1(VALU_DEP_2)
	v_fma_f32 v30, -v7, v77, v30
	v_fma_f32 v29, -v13, v91, v15
	ds_load_b64 v[58:59], v4 offset:1712
	ds_load_b128 v[15:18], v4 offset:1792
	ds_load_b128 v[19:22], v4 offset:1680
	;; [unrolled: 1-line block ×3, first 2 shown]
	v_fma_f32 v28, -v13, v84, v28
	ds_load_2addr_b32 v[69:70], v2 offset0:192 offset1:224
	v_fma_f32 v42, -v8, v78, v30
	s_waitcnt lgkmcnt(3)
	v_fma_f32 v43, -v5, v15, v89
	s_delay_alu instid0(VALU_DEP_1) | instskip(NEXT) | instid1(VALU_DEP_1)
	v_fma_f32 v16, -v6, v16, v43
	v_fma_f32 v17, -v7, v17, v16
	v_add_nc_u32_e32 v16, 0x1c00, v105
	v_fma_f32 v31, -v11, v61, v14
	v_mul_f32_e32 v14, v92, v29
	v_fma_f32 v27, -v9, v71, v27
	s_waitcnt lgkmcnt(2)
	v_fma_f32 v19, -v9, v19, v42
	v_fma_f32 v17, -v8, v18, v17
	;; [unrolled: 1-line block ×6, first 2 shown]
	s_delay_alu instid0(VALU_DEP_4) | instskip(NEXT) | instid1(VALU_DEP_3)
	v_fma_f32 v40, -v13, v63, v29
	v_fma_f32 v41, -v11, v73, v27
	ds_load_b96 v[55:57], v4 offset:1840
	ds_load_b128 v[27:30], v4 offset:1920
	ds_load_b128 v[31:34], v4 offset:1696
	;; [unrolled: 1-line block ×3, first 2 shown]
	v_mul_f32_e32 v15, v86, v39
	v_fma_f32 v47, -v14, v64, v40
	v_fma_f32 v41, -v12, v74, v41
	;; [unrolled: 1-line block ×3, first 2 shown]
	s_waitcnt lgkmcnt(5)
	s_delay_alu instid0(VALU_DEP_2)
	v_fma_f32 v20, -v13, v23, v41
	ds_load_b128 v[39:42], v4 offset:1968
	ds_load_b128 v[43:46], v4 offset:2048
	v_fma_f32 v23, -v15, v65, v47
	v_fma_f32 v22, -v12, v22, v19
	;; [unrolled: 1-line block ×3, first 2 shown]
	ds_load_b128 v[18:21], v4 offset:1936
	ds_load_b128 v[47:50], v4 offset:1824
	;; [unrolled: 1-line block ×3, first 2 shown]
	s_waitcnt lgkmcnt(7)
	v_fma_f32 v27, -v5, v27, v90
	s_waitcnt lgkmcnt(6)
	v_fma_f32 v31, -v13, v31, v22
	;; [unrolled: 2-line block ×3, first 2 shown]
	v_mul_f32_e32 v17, v66, v23
	v_fma_f32 v27, -v6, v28, v27
	v_fma_f32 v28, -v15, v25, v24
	s_delay_alu instid0(VALU_DEP_4)
	v_fma_f32 v35, -v10, v36, v35
	ds_load_b128 v[22:25], v4 offset:2176
	v_fma_f32 v31, -v14, v32, v31
	v_fma_f32 v27, -v7, v29, v27
	s_waitcnt lgkmcnt(4)
	v_fma_f32 v29, -v5, v43, v103
	v_fma_f32 v32, -v11, v37, v35
	v_fma_f32 v35, -v17, v26, v28
	v_fma_f32 v31, -v15, v33, v31
	v_fma_f32 v30, -v8, v30, v27
	v_fma_f32 v36, -v6, v44, v29
	v_fma_f32 v32, -v12, v38, v32
	ds_load_b128 v[26:29], v4 offset:1952
	v_fma_f32 v38, -v17, v34, v31
	s_waitcnt lgkmcnt(4)
	v_fma_f32 v30, -v9, v18, v30
	v_fma_f32 v33, -v7, v45, v36
	v_mul_f32_e32 v18, v108, v35
	s_waitcnt lgkmcnt(3)
	v_fma_f32 v34, -v13, v47, v32
	v_fma_f32 v19, -v10, v19, v30
	;; [unrolled: 1-line block ×3, first 2 shown]
	ds_load_b128 v[30:33], v4 offset:2192
	v_fma_f32 v44, -v14, v48, v34
	ds_load_b128 v[34:37], v4 offset:2080
	s_waitcnt lgkmcnt(3)
	v_fma_f32 v22, -v5, v22, v104
	v_fma_f32 v19, -v11, v20, v19
	;; [unrolled: 1-line block ×3, first 2 shown]
	s_delay_alu instid0(VALU_DEP_3) | instskip(SKIP_2) | instid1(VALU_DEP_4)
	v_fma_f32 v20, -v6, v23, v22
	v_fma_f32 v23, -v15, v49, v44
	;; [unrolled: 1-line block ×7, first 2 shown]
	v_mul_f32_e32 v19, v59, v22
	v_fma_f32 v38, -v11, v53, v38
	s_waitcnt lgkmcnt(2)
	v_fma_f32 v26, -v13, v26, v21
	v_fma_f32 v20, -v8, v25, v20
	ds_load_b64 v[62:63], v4 offset:2240
	ds_load_b128 v[21:24], v4 offset:2304
	ds_load_b128 v[43:46], v4 offset:2208
	v_fma_f32 v25, -v12, v54, v38
	v_fma_f32 v26, -v14, v27, v26
	s_waitcnt lgkmcnt(4)
	v_fma_f32 v20, -v9, v30, v20
	v_fma_f32 v30, -v18, v55, v47
	ds_load_b128 v[47:50], v4 offset:2432
	s_waitcnt lgkmcnt(4)
	v_fma_f32 v34, -v13, v34, v25
	ds_load_b32 v59, v4 offset:2112
	v_fma_f32 v20, -v10, v31, v20
	v_fma_f32 v30, -v19, v56, v30
	ds_load_2addr_b32 v[64:65], v16 offset1:32
	v_fma_f32 v31, -v14, v35, v34
	v_fma_f32 v32, -v11, v32, v20
	v_mul_f32_e32 v20, v57, v30
	v_fma_f32 v38, -v15, v28, v26
	ds_load_b128 v[25:28], v4 offset:2096
	v_fma_f32 v34, -v15, v36, v31
	s_waitcnt lgkmcnt(5)
	v_fma_f32 v21, -v5, v21, v79
	v_fma_f32 v29, -v17, v29, v38
	s_delay_alu instid0(VALU_DEP_3) | instskip(NEXT) | instid1(VALU_DEP_3)
	v_fma_f32 v37, -v17, v37, v34
	v_fma_f32 v21, -v6, v22, v21
	s_delay_alu instid0(VALU_DEP_3)
	v_fma_f32 v38, -v18, v39, v29
	v_fma_f32 v39, -v12, v33, v32
	ds_load_b128 v[29:32], v4 offset:2320
	ds_load_b128 v[33:36], v4 offset:2224
	v_fma_f32 v21, -v7, v23, v21
	v_fma_f32 v22, -v19, v40, v38
	s_waitcnt lgkmcnt(6)
	v_fma_f32 v39, -v13, v43, v39
	s_waitcnt lgkmcnt(5)
	v_fma_f32 v23, -v5, v47, v80
	v_fma_f32 v21, -v8, v24, v21
	;; [unrolled: 1-line block ×3, first 2 shown]
	s_waitcnt lgkmcnt(2)
	v_fma_f32 v25, -v18, v25, v37
	v_fma_f32 v43, -v14, v44, v39
	ds_load_b128 v[37:40], v4 offset:2448
	v_fma_f32 v44, -v6, v48, v23
	v_fma_f32 v26, -v19, v26, v25
	ds_load_b128 v[51:54], v4 offset:2496
	ds_load_b128 v[22:25], v4 offset:2560
	;; [unrolled: 1-line block ×3, first 2 shown]
	v_fma_f32 v43, -v15, v45, v43
	ds_load_2addr_b32 v[71:72], v16 offset0:64 offset1:96
	v_fma_f32 v26, -v20, v27, v26
	s_waitcnt lgkmcnt(6)
	v_fma_f32 v29, -v9, v29, v21
	v_mul_f32_e32 v21, v42, v41
	v_fma_f32 v41, -v7, v49, v44
	v_fma_f32 v27, -v17, v46, v43
	s_delay_alu instid0(VALU_DEP_4) | instskip(NEXT) | instid1(VALU_DEP_4)
	v_fma_f32 v29, -v10, v30, v29
	v_fma_f32 v45, -v21, v28, v26
	s_delay_alu instid0(VALU_DEP_4)
	v_fma_f32 v30, -v8, v50, v41
	s_waitcnt lgkmcnt(5)
	v_fma_f32 v33, -v18, v33, v27
	v_fma_f32 v31, -v11, v31, v29
	ds_load_b128 v[26:29], v4 offset:2464
	s_waitcnt lgkmcnt(5)
	v_fma_f32 v30, -v9, v37, v30
	ds_load_b32 v66, v4 offset:2640
	ds_load_b128 v[41:44], v4 offset:2688
	s_waitcnt lgkmcnt(5)
	v_fma_f32 v46, -v5, v22, v67
	v_fma_f32 v37, -v12, v32, v31
	;; [unrolled: 1-line block ×4, first 2 shown]
	ds_load_b128 v[30:33], v4 offset:2576
	v_fma_f32 v23, -v6, v23, v46
	s_waitcnt lgkmcnt(5)
	v_fma_f32 v37, -v13, v55, v37
	v_fma_f32 v34, -v20, v35, v34
	;; [unrolled: 1-line block ×3, first 2 shown]
	v_mul_f32_e32 v22, v59, v45
	v_fma_f32 v23, -v7, v24, v23
	v_fma_f32 v35, -v14, v56, v37
	ds_load_b128 v[45:48], v4 offset:2352
	v_fma_f32 v38, -v12, v40, v38
	v_fma_f32 v49, -v21, v36, v34
	;; [unrolled: 1-line block ×4, first 2 shown]
	ds_load_b128 v[34:37], v4 offset:2480
	s_waitcnt lgkmcnt(5)
	v_fma_f32 v38, -v13, v26, v38
	s_waitcnt lgkmcnt(3)
	v_fma_f32 v55, -v5, v41, v68
	ds_load_b128 v[23:26], v4 offset:2704
	v_fma_f32 v67, -v17, v58, v39
	v_fma_f32 v27, -v14, v27, v38
	;; [unrolled: 1-line block ×3, first 2 shown]
	ds_load_b128 v[38:41], v4 offset:2592
	s_waitcnt lgkmcnt(4)
	v_fma_f32 v30, -v9, v30, v50
	ds_load_b64 v[73:74], v4 offset:2768
	ds_load_b128 v[55:58], v4 offset:2816
	v_fma_f32 v27, -v15, v28, v27
	v_fma_f32 v28, -v7, v43, v42
	ds_load_b96 v[59:61], v4 offset:2368
	v_fma_f32 v30, -v10, v31, v30
	s_waitcnt lgkmcnt(6)
	v_fma_f32 v31, -v18, v45, v67
	v_fma_f32 v27, -v17, v29, v27
	;; [unrolled: 1-line block ×6, first 2 shown]
	s_waitcnt lgkmcnt(5)
	v_fma_f32 v34, -v18, v34, v27
	ds_load_b128 v[27:30], v4 offset:2720
	s_waitcnt lgkmcnt(5)
	v_fma_f32 v43, -v9, v23, v43
	v_fma_f32 v32, -v12, v33, v32
	;; [unrolled: 1-line block ×4, first 2 shown]
	v_mul_f32_e32 v23, v63, v42
	v_fma_f32 v24, -v10, v24, v43
	s_waitcnt lgkmcnt(4)
	v_fma_f32 v38, -v13, v38, v32
	s_waitcnt lgkmcnt(2)
	v_fma_f32 v47, -v5, v55, v69
	ds_load_b128 v[31:34], v4 offset:2832
	ds_load_b128 v[42:45], v4 offset:2608
	v_fma_f32 v35, -v20, v36, v35
	v_fma_f32 v24, -v11, v25, v24
	;; [unrolled: 1-line block ×5, first 2 shown]
	s_delay_alu instid0(VALU_DEP_4)
	v_fma_f32 v24, -v12, v26, v24
	s_waitcnt lgkmcnt(3)
	v_fma_f32 v39, -v22, v59, v25
	v_fma_f32 v25, -v7, v57, v46
	;; [unrolled: 1-line block ×3, first 2 shown]
	s_waitcnt lgkmcnt(2)
	v_fma_f32 v24, -v13, v27, v24
	v_fma_f32 v39, -v23, v60, v39
	;; [unrolled: 1-line block ×4, first 2 shown]
	s_delay_alu instid0(VALU_DEP_4) | instskip(SKIP_1) | instid1(VALU_DEP_3)
	v_fma_f32 v24, -v14, v28, v24
	s_waitcnt lgkmcnt(1)
	v_fma_f32 v31, -v9, v31, v40
	s_waitcnt lgkmcnt(0)
	v_fma_f32 v40, -v18, v42, v41
	v_fma_f32 v29, -v15, v29, v24
	v_mul_f32_e32 v24, v61, v39
	v_fma_f32 v50, -v21, v37, v35
	ds_load_b128 v[35:38], v4 offset:2736
	ds_load_b96 v[67:69], v4 offset:2896
	ds_load_b128 v[46:49], v4 offset:2944
	ds_load_b128 v[25:28], v4 offset:2848
	v_fma_f32 v31, -v10, v32, v31
	ds_load_b128 v[55:58], v4 offset:2624
	v_fma_f32 v40, -v19, v43, v40
	v_fma_f32 v39, -v17, v30, v29
	;; [unrolled: 1-line block ×4, first 2 shown]
	s_delay_alu instid0(VALU_DEP_4) | instskip(NEXT) | instid1(VALU_DEP_3)
	v_fma_f32 v44, -v20, v44, v40
	v_fma_f32 v43, -v23, v52, v32
	ds_load_b128 v[29:32], v4 offset:2752
	v_fma_f32 v33, -v12, v34, v33
	v_fma_f32 v44, -v21, v45, v44
	s_waitcnt lgkmcnt(5)
	v_fma_f32 v35, -v18, v35, v39
	s_waitcnt lgkmcnt(3)
	v_fma_f32 v46, -v5, v46, v70
	ds_load_b128 v[39:42], v4 offset:2960
	s_waitcnt lgkmcnt(3)
	v_fma_f32 v25, -v13, v25, v33
	s_waitcnt lgkmcnt(2)
	v_fma_f32 v55, -v22, v55, v44
	v_fma_f32 v45, -v19, v36, v35
	ds_load_b128 v[33:36], v4 offset:2864
	v_fma_f32 v46, -v6, v47, v46
	v_fma_f32 v25, -v14, v26, v25
	v_fma_f32 v47, -v24, v53, v43
	v_fma_f32 v26, -v20, v37, v45
	s_delay_alu instid0(VALU_DEP_4)
	v_fma_f32 v37, -v7, v48, v46
	ds_load_b128 v[43:46], v4 offset:3024
	ds_load_b128 v[50:53], v4 offset:3072
	v_fma_f32 v27, -v15, v27, v25
	v_fma_f32 v26, -v21, v38, v26
	v_mul_f32_e32 v25, v54, v47
	v_fma_f32 v37, -v8, v49, v37
	v_fma_f32 v47, -v23, v56, v55
	;; [unrolled: 1-line block ×3, first 2 shown]
	s_waitcnt lgkmcnt(4)
	v_fma_f32 v26, -v22, v29, v26
	ds_load_b128 v[59:62], v4 offset:2976
	s_waitcnt lgkmcnt(4)
	v_fma_f32 v28, -v9, v39, v37
	v_fma_f32 v37, -v24, v57, v47
	ds_load_b128 v[54:57], v4 offset:2880
	v_fma_f32 v26, -v23, v30, v26
	s_waitcnt lgkmcnt(4)
	v_fma_f32 v27, -v18, v33, v27
	v_fma_f32 v28, -v10, v40, v28
	;; [unrolled: 1-line block ×3, first 2 shown]
	ds_load_b128 v[37:40], v4 offset:3088
	v_fma_f32 v31, -v24, v31, v26
	v_fma_f32 v34, -v19, v34, v27
	;; [unrolled: 1-line block ×3, first 2 shown]
	ds_load_b128 v[27:30], v4 offset:3200
	s_waitcnt lgkmcnt(4)
	v_fma_f32 v47, -v5, v50, v64
	ds_load_2addr_b32 v[75:76], v16 offset0:128 offset1:160
	v_fma_f32 v34, -v20, v35, v34
	v_fma_f32 v35, -v12, v42, v41
	v_mul_f32_e32 v26, v66, v33
	v_fma_f32 v41, -v6, v51, v47
	v_fma_f32 v42, -v25, v32, v31
	;; [unrolled: 1-line block ×3, first 2 shown]
	ds_load_b64 v[77:78], v4 offset:3296
	ds_load_b128 v[31:34], v4 offset:3328
	s_waitcnt lgkmcnt(6)
	v_fma_f32 v35, -v13, v59, v35
	v_fma_f32 v41, -v7, v52, v41
	ds_load_b128 v[47:50], v4 offset:2992
	s_waitcnt lgkmcnt(6)
	v_fma_f32 v36, -v22, v54, v36
	v_fma_f32 v42, -v26, v73, v42
	;; [unrolled: 1-line block ×4, first 2 shown]
	ds_load_b128 v[51:54], v4 offset:3216
	v_fma_f32 v36, -v23, v55, v36
	v_mul_f32_e32 v79, v74, v42
	s_waitcnt lgkmcnt(5)
	v_fma_f32 v27, -v5, v27, v65
	v_fma_f32 v37, -v9, v37, v41
	ds_load_b128 v[63:66], v4 offset:3104
	v_fma_f32 v35, -v15, v61, v35
	ds_load_b128 v[58:61], v4 offset:3344
	v_fma_f32 v27, -v6, v28, v27
	v_fma_f32 v28, -v10, v38, v37
	;; [unrolled: 1-line block ×4, first 2 shown]
	s_waitcnt lgkmcnt(4)
	v_fma_f32 v31, -v5, v31, v71
	v_fma_f32 v27, -v7, v29, v27
	;; [unrolled: 1-line block ×3, first 2 shown]
	ds_load_b128 v[35:38], v4 offset:3008
	s_waitcnt lgkmcnt(4)
	v_fma_f32 v42, -v18, v47, v42
	v_fma_f32 v31, -v6, v32, v31
	;; [unrolled: 1-line block ×4, first 2 shown]
	ds_load_b128 v[27:30], v4 offset:3232
	v_fma_f32 v47, -v25, v57, v41
	v_fma_f32 v48, -v19, v48, v42
	s_waitcnt lgkmcnt(4)
	v_fma_f32 v32, -v9, v51, v39
	v_fma_f32 v31, -v7, v33, v31
	s_waitcnt lgkmcnt(3)
	v_fma_f32 v51, -v13, v63, v40
	ds_load_b128 v[39:42], v4 offset:3120
	v_fma_f32 v33, -v20, v49, v48
	v_fma_f32 v32, -v10, v52, v32
	;; [unrolled: 1-line block ×7, first 2 shown]
	ds_load_b128 v[31:34], v4 offset:3360
	s_waitcnt lgkmcnt(4)
	v_fma_f32 v51, -v9, v58, v47
	v_fma_f32 v53, -v15, v65, v49
	s_waitcnt lgkmcnt(3)
	v_fma_f32 v35, -v22, v35, v50
	v_fma_f32 v52, -v12, v54, v48
	ds_load_b128 v[47:50], v4 offset:3248
	v_fma_f32 v56, -v10, v59, v51
	v_fma_f32 v57, -v17, v66, v53
	;; [unrolled: 1-line block ×3, first 2 shown]
	s_waitcnt lgkmcnt(3)
	v_fma_f32 v27, -v13, v27, v52
	ds_load_b128 v[51:54], v4 offset:3136
	v_fma_f32 v36, -v11, v60, v56
	v_fma_f32 v35, -v24, v37, v35
	;; [unrolled: 1-line block ×3, first 2 shown]
	s_waitcnt lgkmcnt(3)
	v_fma_f32 v28, -v18, v39, v57
	v_fma_f32 v36, -v12, v61, v36
	;; [unrolled: 1-line block ×3, first 2 shown]
	ds_load_b128 v[55:58], v4 offset:3456
	ds_load_b128 v[59:62], v4 offset:3376
	v_fma_f32 v27, -v15, v29, v27
	v_fma_f32 v28, -v19, v40, v28
	s_waitcnt lgkmcnt(4)
	v_fma_f32 v29, -v13, v31, v36
	v_mul_f32_e32 v80, v69, v39
	ds_load_b32 v66, v4 offset:3168
	v_fma_f32 v27, -v17, v30, v27
	v_fma_f32 v30, -v25, v38, v35
	;; [unrolled: 1-line block ×4, first 2 shown]
	s_waitcnt lgkmcnt(4)
	v_fma_f32 v32, -v18, v47, v27
	v_fma_f32 v35, -v26, v43, v30
	v_fma_f32 v36, -v21, v42, v28
	ds_load_b128 v[27:30], v4 offset:3264
	v_fma_f32 v31, -v15, v33, v31
	v_fma_f32 v32, -v19, v48, v32
	;; [unrolled: 1-line block ×3, first 2 shown]
	s_waitcnt lgkmcnt(4)
	v_fma_f32 v44, -v22, v51, v36
	ds_load_b128 v[39:42], v4 offset:3392
	v_fma_f32 v47, -v17, v34, v31
	v_fma_f32 v48, -v20, v49, v32
	ds_load_b128 v[31:34], v4 offset:3472
	s_waitcnt lgkmcnt(5)
	v_fma_f32 v49, -v5, v55, v72
	v_fma_f32 v43, -v80, v45, v43
	s_waitcnt lgkmcnt(4)
	v_fma_f32 v47, -v18, v59, v47
	ds_load_b128 v[35:38], v4 offset:3152
	v_fma_f32 v44, -v23, v52, v44
	v_fma_f32 v45, -v6, v56, v49
	;; [unrolled: 1-line block ×4, first 2 shown]
	ds_load_b128 v[47:50], v4 offset:3280
	v_fma_f32 v44, -v24, v53, v44
	v_fma_f32 v45, -v7, v57, v45
	s_waitcnt lgkmcnt(4)
	v_fma_f32 v27, -v22, v27, v51
	v_fma_f32 v51, -v20, v61, v52
	v_mul_f32_e32 v81, v46, v43
	v_fma_f32 v44, -v25, v54, v44
	v_fma_f32 v45, -v8, v58, v45
	;; [unrolled: 1-line block ×4, first 2 shown]
	ds_load_b128 v[51:54], v4 offset:3488
	ds_load_b128 v[55:58], v4 offset:3584
	;; [unrolled: 1-line block ×3, first 2 shown]
	s_waitcnt lgkmcnt(5)
	v_fma_f32 v31, -v9, v31, v45
	v_fma_f32 v27, -v24, v29, v27
	;; [unrolled: 1-line block ×3, first 2 shown]
	s_waitcnt lgkmcnt(4)
	v_fma_f32 v35, -v26, v35, v44
	v_fma_f32 v29, -v10, v32, v31
	;; [unrolled: 1-line block ×4, first 2 shown]
	s_delay_alu instid0(VALU_DEP_4) | instskip(NEXT) | instid1(VALU_DEP_4)
	v_fma_f32 v31, -v79, v36, v35
	v_fma_f32 v32, -v11, v33, v29
	s_waitcnt lgkmcnt(3)
	v_fma_f32 v33, -v26, v47, v27
	v_fma_f32 v35, -v24, v41, v28
	;; [unrolled: 1-line block ×3, first 2 shown]
	ds_load_b128 v[27:30], v4 offset:3552
	v_fma_f32 v36, -v12, v34, v32
	v_fma_f32 v40, -v79, v48, v33
	;; [unrolled: 1-line block ×4, first 2 shown]
	ds_load_b128 v[31:34], v4 offset:3504
	s_waitcnt lgkmcnt(4)
	v_fma_f32 v42, -v13, v51, v36
	ds_load_b96 v[63:65], v4 offset:3424
	ds_load_b128 v[35:38], v4 offset:3600
	s_waitcnt lgkmcnt(5)
	v_fma_f32 v43, -v5, v55, v75
	s_waitcnt lgkmcnt(4)
	v_fma_f32 v41, -v26, v59, v41
	v_mul_f32_e32 v82, v66, v39
	v_fma_f32 v42, -v14, v52, v42
	v_fma_f32 v44, -v80, v49, v40
	;; [unrolled: 1-line block ×4, first 2 shown]
	s_delay_alu instid0(VALU_DEP_4)
	v_fma_f32 v46, -v15, v53, v42
	ds_load_b32 v83, v4 offset:3696
	ds_load_b128 v[39:42], v4 offset:3712
	v_fma_f32 v43, -v7, v57, v43
	v_fma_f32 v44, -v81, v50, v44
	;; [unrolled: 1-line block ×4, first 2 shown]
	ds_load_2addr_b32 v[66:67], v16 offset0:192 offset1:224
	v_fma_f32 v47, -v8, v58, v43
	v_fma_f32 v51, -v82, v77, v44
	;; [unrolled: 1-line block ×3, first 2 shown]
	s_waitcnt lgkmcnt(5)
	v_fma_f32 v31, -v18, v31, v46
	ds_load_b128 v[43:46], v4 offset:3616
	s_waitcnt lgkmcnt(4)
	v_fma_f32 v35, -v9, v35, v47
	ds_load_b128 v[47:50], v4 offset:3840
	ds_load_b64 v[74:75], v4 offset:3824
	v_mul_f32_e32 v77, v78, v51
	v_fma_f32 v59, -v82, v63, v52
	ds_load_b128 v[51:54], v4 offset:3728
	ds_load_b128 v[55:58], v4 offset:3968
	v_fma_f32 v31, -v19, v32, v31
	v_fma_f32 v32, -v10, v36, v35
	ds_load_b96 v[71:73], v4 offset:3952
	v_fma_f32 v36, -v77, v64, v59
	s_waitcnt lgkmcnt(7)
	v_fma_f32 v35, -v5, v39, v76
	v_fma_f32 v31, -v20, v33, v31
	v_fma_f32 v32, -v11, v37, v32
	ds_load_b128 v[59:62], v4 offset:3520
	v_mul_f32_e32 v76, v65, v36
	v_fma_f32 v33, -v6, v40, v35
	v_fma_f32 v78, -v21, v34, v31
	;; [unrolled: 1-line block ×3, first 2 shown]
	ds_load_b128 v[35:38], v4 offset:3536
	ds_store_2addr_b32 v1, v5, v6 offset1:32
	v_fma_f32 v40, -v7, v41, v33
	ds_load_b128 v[31:34], v4 offset:3856
	s_waitcnt lgkmcnt(8)
	v_fma_f32 v47, -v5, v47, v66
	v_fma_f32 v43, -v13, v43, v39
	ds_load_b128 v[63:66], v4 offset:3984
	v_fma_f32 v68, -v8, v42, v40
	ds_load_b128 v[39:42], v4 offset:3744
	v_fma_f32 v47, -v6, v48, v47
	s_waitcnt lgkmcnt(7)
	v_fma_f32 v48, -v5, v55, v67
	v_fma_f32 v43, -v14, v44, v43
	;; [unrolled: 1-line block ×3, first 2 shown]
	ds_load_b128 v[67:70], v4 offset:3632
	v_fma_f32 v47, -v7, v49, v47
	v_fma_f32 v44, -v6, v56, v48
	;; [unrolled: 1-line block ×4, first 2 shown]
	s_waitcnt lgkmcnt(6)
	v_fma_f32 v51, -v22, v59, v78
	v_fma_f32 v52, -v8, v50, v47
	;; [unrolled: 1-line block ×5, first 2 shown]
	ds_load_b128 v[47:50], v4 offset:3872
	s_waitcnt lgkmcnt(4)
	v_fma_f32 v31, -v9, v31, v52
	v_fma_f32 v59, -v23, v60, v51
	;; [unrolled: 1-line block ×4, first 2 shown]
	ds_load_b128 v[43:46], v4 offset:4000
	v_fma_f32 v31, -v10, v32, v31
	s_waitcnt lgkmcnt(4)
	v_fma_f32 v32, -v9, v63, v51
	ds_load_b128 v[51:54], v4 offset:3648
	s_waitcnt lgkmcnt(3)
	v_fma_f32 v60, -v18, v67, v55
	v_fma_f32 v31, -v11, v33, v31
	;; [unrolled: 1-line block ×4, first 2 shown]
	ds_load_b128 v[55:58], v4 offset:3760
	v_fma_f32 v39, -v24, v61, v59
	v_fma_f32 v59, -v12, v34, v31
	;; [unrolled: 1-line block ×5, first 2 shown]
	ds_load_b128 v[31:34], v4 offset:3888
	s_waitcnt lgkmcnt(4)
	v_fma_f32 v47, -v13, v47, v59
	v_fma_f32 v63, -v25, v62, v39
	;; [unrolled: 1-line block ×6, first 2 shown]
	ds_load_b128 v[59:62], v4 offset:4016
	s_waitcnt lgkmcnt(4)
	v_fma_f32 v43, -v13, v43, v39
	v_fma_f32 v48, -v17, v42, v40
	;; [unrolled: 1-line block ×4, first 2 shown]
	ds_load_b128 v[39:42], v4 offset:3776
	v_fma_f32 v43, -v14, v44, v43
	s_waitcnt lgkmcnt(3)
	v_fma_f32 v44, -v18, v55, v48
	v_fma_f32 v51, -v22, v51, v64
	;; [unrolled: 1-line block ×3, first 2 shown]
	ds_load_b128 v[47:50], v4 offset:3904
	v_fma_f32 v43, -v15, v45, v43
	v_fma_f32 v44, -v19, v56, v44
	v_fma_f32 v51, -v23, v52, v51
	s_waitcnt lgkmcnt(3)
	v_fma_f32 v31, -v18, v31, v55
	v_fma_f32 v35, -v26, v35, v63
	ds_load_b128 v[63:66], v4 offset:4032
	v_fma_f32 v52, -v17, v46, v43
	v_fma_f32 v55, -v20, v57, v44
	ds_load_b128 v[43:46], v4 offset:3664
	v_fma_f32 v31, -v19, v32, v31
	v_fma_f32 v35, -v79, v36, v35
	s_waitcnt lgkmcnt(4)
	v_fma_f32 v32, -v18, v59, v52
	v_fma_f32 v52, -v21, v58, v55
	ds_load_b128 v[55:58], v4 offset:3792
	v_fma_f32 v31, -v20, v33, v31
	v_fma_f32 v33, -v24, v53, v51
	v_fma_f32 v32, -v19, v60, v32
	s_waitcnt lgkmcnt(4)
	v_fma_f32 v36, -v22, v39, v52
	v_fma_f32 v35, -v80, v37, v35
	;; [unrolled: 1-line block ×6, first 2 shown]
	ds_load_b128 v[51:54], v4 offset:3680
	s_waitcnt lgkmcnt(4)
	v_fma_f32 v40, -v22, v47, v31
	ds_load_b128 v[31:34], v4 offset:3920
	v_fma_f32 v37, -v21, v62, v37
	v_fma_f32 v36, -v24, v41, v36
	s_waitcnt lgkmcnt(3)
	v_fma_f32 v39, -v26, v43, v39
	v_fma_f32 v40, -v23, v48, v40
	ds_load_b128 v[59:62], v4 offset:4048
	v_fma_f32 v37, -v22, v63, v37
	v_fma_f32 v36, -v25, v42, v36
	;; [unrolled: 1-line block ×4, first 2 shown]
	ds_load_b128 v[39:42], v4 offset:3808
	v_fma_f32 v37, -v23, v64, v37
	s_waitcnt lgkmcnt(4)
	v_fma_f32 v36, -v26, v55, v36
	v_fma_f32 v47, -v81, v38, v35
	;; [unrolled: 1-line block ×6, first 2 shown]
	ds_load_b128 v[35:38], v4 offset:3936
	v_fma_f32 v27, -v82, v27, v47
	s_waitcnt lgkmcnt(3)
	v_fma_f32 v31, -v26, v31, v44
	v_fma_f32 v47, -v25, v66, v45
	;; [unrolled: 1-line block ×3, first 2 shown]
	ds_load_b128 v[43:46], v4 offset:4064
	v_fma_f32 v48, -v80, v57, v48
	v_fma_f32 v31, -v79, v32, v31
	s_waitcnt lgkmcnt(3)
	v_fma_f32 v32, -v26, v59, v47
	v_fma_f32 v27, -v77, v28, v27
	;; [unrolled: 1-line block ×8, first 2 shown]
	s_waitcnt lgkmcnt(2)
	v_fma_f32 v29, -v82, v39, v47
	v_fma_f32 v31, -v81, v34, v31
	;; [unrolled: 1-line block ×3, first 2 shown]
	v_mul_f32_e32 v33, v30, v27
	v_fma_f32 v27, -v76, v53, v28
	v_fma_f32 v28, -v77, v40, v29
	s_waitcnt lgkmcnt(1)
	v_fma_f32 v29, -v82, v35, v31
	v_fma_f32 v30, -v81, v62, v32
	v_fma_f32 v31, -v33, v54, v27
	v_fma_f32 v32, -v76, v41, v28
	s_delay_alu instid0(VALU_DEP_4)
	v_fma_f32 v34, -v77, v36, v29
	s_waitcnt lgkmcnt(0)
	v_fma_f32 v35, -v82, v43, v30
	ds_load_b128 v[27:30], v4 offset:4080
	v_mul_f32_e32 v4, v83, v31
	v_fma_f32 v31, -v33, v42, v32
	v_fma_f32 v32, -v76, v37, v34
	;; [unrolled: 1-line block ×3, first 2 shown]
	ds_store_2addr_b32 v1, v7, v8 offset0:64 offset1:96
	ds_store_2addr_b32 v1, v9, v10 offset0:128 offset1:160
	;; [unrolled: 1-line block ×3, first 2 shown]
	ds_store_2addr_b32 v3, v13, v14 offset1:32
	ds_store_2addr_b32 v3, v15, v17 offset0:64 offset1:96
	ds_store_2addr_b32 v3, v18, v19 offset0:128 offset1:160
	;; [unrolled: 1-line block ×3, first 2 shown]
	v_fma_f32 v31, -v4, v74, v31
	v_fma_f32 v32, -v33, v38, v32
	;; [unrolled: 1-line block ×3, first 2 shown]
	ds_store_2addr_b32 v2, v22, v23 offset1:32
	ds_store_2addr_b32 v2, v24, v25 offset0:64 offset1:96
	ds_store_2addr_b32 v2, v26, v79 offset0:128 offset1:160
	;; [unrolled: 1-line block ×3, first 2 shown]
	v_mul_f32_e32 v31, v75, v31
	v_fma_f32 v32, -v4, v71, v32
	v_fma_f32 v34, -v33, v46, v34
	s_delay_alu instid0(VALU_DEP_2) | instskip(SKIP_1) | instid1(VALU_DEP_2)
	v_fma_f32 v5, -v31, v72, v32
	s_waitcnt lgkmcnt(11)
	v_fma_f32 v6, -v4, v27, v34
	s_delay_alu instid0(VALU_DEP_2) | instskip(SKIP_4) | instid1(VALU_DEP_1)
	v_mul_f32_e32 v1, v73, v5
	ds_store_2addr_b32 v16, v82, v77 offset1:32
	ds_store_2addr_b32 v16, v76, v33 offset0:64 offset1:96
	ds_store_2addr_b32 v16, v4, v31 offset0:128 offset1:160
	v_fma_f32 v5, -v31, v28, v6
	v_fma_f32 v3, -v1, v29, v5
	s_delay_alu instid0(VALU_DEP_1)
	v_mul_f32_e32 v2, v30, v3
	ds_store_2addr_b32 v16, v1, v2 offset0:192 offset1:224
.LBB36_20:
	s_cmp_lt_i32 s4, s15
	s_cbranch_scc0 .LBB36_37
; %bb.21:
	s_or_b32 s10, s4, 27
	s_delay_alu instid0(SALU_CYCLE_1)
	s_cmp_ge_u32 s10, s15
	s_cbranch_scc1 .LBB36_26
; %bb.22:
	v_lshlrev_b32_e32 v1, 2, v0
	s_lshl_b32 s10, s10, 5
	s_and_not1_b32 vcc_lo, exec_lo, s11
	v_or_b32_e32 v2, s10, v0
	s_delay_alu instid0(VALU_DEP_2) | instskip(NEXT) | instid1(VALU_DEP_2)
	v_lshl_or_b32 v29, s4, 7, v1
	v_lshlrev_b32_e32 v30, 2, v2
	s_delay_alu instid0(VALU_DEP_2)
	v_add_nc_u32_e32 v1, 0x1000, v29
	v_add_nc_u32_e32 v3, 0x1400, v29
	;; [unrolled: 1-line block ×3, first 2 shown]
	ds_load_2addr_b32 v[25:26], v1 offset1:32
	ds_load_2addr_b32 v[23:24], v1 offset0:64 offset1:96
	ds_load_2addr_b32 v[21:22], v1 offset0:128 offset1:160
	;; [unrolled: 1-line block ×3, first 2 shown]
	ds_load_2addr_b32 v[17:18], v3 offset1:32
	ds_load_2addr_b32 v[15:16], v3 offset0:64 offset1:96
	ds_load_2addr_b32 v[13:14], v3 offset0:128 offset1:160
	;; [unrolled: 1-line block ×3, first 2 shown]
	ds_load_2addr_b32 v[9:10], v4 offset1:32
	v_add_nc_u32_e32 v1, 0x1c00, v29
	ds_load_2addr_b32 v[7:8], v4 offset0:64 offset1:96
	ds_load_2addr_b32 v[5:6], v4 offset0:128 offset1:160
	;; [unrolled: 1-line block ×3, first 2 shown]
	ds_load_2addr_b32 v[1:2], v1 offset1:32
	ds_load_b32 v28, v29 offset:7424
	ds_load_b32 v27, v30 offset:4096
	s_cbranch_vccnz .LBB36_25
; %bb.23:
	v_lshl_or_b32 v31, v0, 2, 0x1000
	s_lshl_b32 s11, s4, 7
	s_mov_b32 s12, 0
.LBB36_24:                              ; =>This Inner Loop Header: Depth=1
	v_mov_b32_e32 v38, s11
	v_add_nc_u32_e64 v46, 0x400, s11
	v_add_nc_u32_e64 v54, 0x800, s11
	;; [unrolled: 1-line block ×3, first 2 shown]
	ds_load_b32 v60, v31
	v_add_nc_u32_e32 v31, 0x80, v31
	ds_load_2addr_b32 v[32:33], v38 offset1:32
	ds_load_2addr_b32 v[34:35], v38 offset0:64 offset1:96
	ds_load_2addr_b32 v[36:37], v38 offset0:128 offset1:160
	ds_load_2addr_b32 v[38:39], v38 offset0:192 offset1:224
	ds_load_2addr_b32 v[40:41], v46 offset1:32
	ds_load_2addr_b32 v[42:43], v46 offset0:64 offset1:96
	ds_load_2addr_b32 v[44:45], v46 offset0:128 offset1:160
	ds_load_2addr_b32 v[46:47], v46 offset0:192 offset1:224
	;; [unrolled: 4-line block ×3, first 2 shown]
	ds_load_2addr_b32 v[56:57], v58 offset1:32
	ds_load_2addr_b32 v[58:59], v58 offset0:64 offset1:96
	s_add_i32 s12, s12, 1
	s_add_i32 s11, s11, 4
	s_cmp_lt_u32 s12, s4
	s_waitcnt lgkmcnt(13)
	v_fma_f32 v25, -v60, v32, v25
	v_fma_f32 v26, -v60, v33, v26
	s_waitcnt lgkmcnt(12)
	v_fma_f32 v23, -v60, v34, v23
	v_fma_f32 v24, -v60, v35, v24
	;; [unrolled: 3-line block ×14, first 2 shown]
	s_cbranch_scc1 .LBB36_24
.LBB36_25:
	s_mul_i32 s13, s4, 0x84
	s_or_b32 s20, s4, 16
	v_add_nc_u32_e32 v31, 0x1000, v29
	s_mul_i32 s37, s20, 0x84
	s_delay_alu instid0(SALU_CYCLE_1)
	v_dual_mov_b32 v148, s37 :: v_dual_add_nc_u32 v29, 0x1000, v30
	v_mov_b32_e32 v30, s13
	v_add_nc_u32_e64 v32, 0x400, s13
	ds_load_2addr_b32 v[165:166], v30 offset1:132
	ds_load_2addr_b32 v[167:168], v30 offset0:198 offset1:231
	ds_load_2addr_b32 v[169:170], v32 offset0:8 offset1:41
	;; [unrolled: 1-line block ×4, first 2 shown]
	ds_load_b32 v186, v30 offset:1848
	s_lshl_b32 s12, s4, 5
	s_lshl_b32 s19, s20, 5
	s_or_b32 s22, s12, 32
	s_or_b32 s23, s12, 64
	;; [unrolled: 1-line block ×3, first 2 shown]
	s_add_i32 s38, s22, s4
	s_or_b32 s25, s12, 0x80
	v_or_b32_e32 v33, s22, v0
	s_or_b32 s22, s23, s4
	s_or_b32 s27, s12, 0xa0
	;; [unrolled: 1-line block ×12, first 2 shown]
	v_or_b32_e32 v34, s23, v0
	s_add_i32 s23, s24, s4
	s_lshl_b32 s38, s38, 2
	s_or_b32 s13, s12, 0x240
	v_or_b32_e32 v35, s24, v0
	s_or_b32 s24, s25, s4
	s_lshl_b32 s22, s22, 2
	v_or_b32_e32 v36, s25, v0
	s_add_i32 s25, s27, s4
	v_or_b32_e32 v37, s27, v0
	s_or_b32 s27, s28, s4
	v_or_b32_e32 v38, s28, v0
	s_add_i32 s28, s29, s4
	v_or_b32_e32 v39, s29, v0
	s_or_b32 s29, s30, s4
	;; [unrolled: 4-line block ×5, first 2 shown]
	s_add_i32 s39, s21, s4
	s_lshl_b32 s23, s23, 2
	v_dual_mov_b32 v32, s38 :: v_dual_mov_b32 v45, s22
	s_or_b32 s40, s19, s4
	s_or_b32 s41, s13, s4
	s_lshl_b32 s24, s24, 2
	s_lshl_b32 s25, s25, 2
	;; [unrolled: 1-line block ×12, first 2 shown]
	v_dual_mov_b32 v46, s23 :: v_dual_mov_b32 v47, s24
	s_lshl_b32 s40, s40, 2
	s_lshl_b32 s41, s41, 2
	v_dual_mov_b32 v48, s25 :: v_dual_mov_b32 v49, s27
	v_dual_mov_b32 v52, s28 :: v_dual_mov_b32 v187, s40
	v_dual_mov_b32 v56, s29 :: v_dual_mov_b32 v189, s41
	v_dual_mov_b32 v68, s30 :: v_dual_lshlrev_b32 v191, 2, v35
	v_dual_mov_b32 v76, s31 :: v_dual_lshlrev_b32 v193, 2, v37
	v_dual_mov_b32 v84, s33 :: v_dual_lshlrev_b32 v195, 2, v39
	v_dual_mov_b32 v92, s34 :: v_dual_lshlrev_b32 v197, 2, v41
	v_dual_mov_b32 v108, s35 :: v_dual_lshlrev_b32 v199, 2, v43
	s_waitcnt lgkmcnt(5)
	v_dual_mov_b32 v120, s36 :: v_dual_mul_f32 v25, v165, v25
	v_mov_b32_e32 v132, s39
	v_lshlrev_b32_e32 v30, 2, v33
	v_lshlrev_b32_e32 v190, 2, v34
	;; [unrolled: 1-line block ×7, first 2 shown]
	ds_load_b64 v[175:176], v32
	ds_load_b96 v[156:158], v45
	ds_load_b128 v[32:35], v46
	ds_load_b128 v[36:39], v47
	;; [unrolled: 1-line block ×3, first 2 shown]
	ds_load_b64 v[177:178], v48 offset:16
	ds_load_b128 v[44:47], v49
	ds_load_b64 v[179:180], v49 offset:16
	ds_load_b128 v[48:51], v52
	ds_load_b96 v[159:161], v52 offset:16
	ds_load_b128 v[52:55], v56
	ds_load_b128 v[56:59], v56 offset:16
	ds_load_b128 v[60:63], v68
	ds_load_b128 v[64:67], v68 offset:16
	ds_load_b32 v201, v68 offset:32
	ds_load_b128 v[68:71], v76
	ds_load_b128 v[72:75], v76 offset:16
	ds_load_b64 v[181:182], v76 offset:32
	ds_load_b128 v[76:79], v84
	ds_load_b128 v[80:83], v84 offset:16
	ds_load_b96 v[162:164], v84 offset:32
	ds_load_b128 v[84:87], v92
	ds_load_b128 v[88:91], v92 offset:16
	ds_load_b128 v[92:95], v92 offset:32
	ds_load_b128 v[96:99], v108
	ds_load_b128 v[100:103], v108 offset:16
	ds_load_b128 v[104:107], v108 offset:32
	ds_load_b32 v202, v108 offset:48
	ds_load_b128 v[108:111], v120
	ds_load_b128 v[112:115], v120 offset:16
	ds_load_b128 v[116:119], v120 offset:32
	ds_load_b64 v[183:184], v120 offset:48
	ds_load_b128 v[120:123], v132
	ds_load_b128 v[124:127], v132 offset:16
	ds_load_b128 v[128:131], v132 offset:32
	;; [unrolled: 1-line block ×3, first 2 shown]
	ds_load_b128 v[136:139], v187
	ds_load_b128 v[140:143], v187 offset:16
	s_or_b32 s20, s12, 0x220
	s_waitcnt lgkmcnt(37)
	v_fma_f32 v26, -v25, v175, v26
	s_add_i32 s37, s20, s4
	s_waitcnt lgkmcnt(36)
	v_fma_f32 v23, -v25, v156, v23
	s_lshl_b32 s37, s37, 2
	s_waitcnt lgkmcnt(35)
	v_fma_f32 v24, -v25, v32, v24
	v_mov_b32_e32 v188, s37
	ds_load_b128 v[144:147], v187 offset:32
	ds_load_b32 v165, v148
	ds_load_b128 v[148:151], v188
	ds_load_b128 v[152:155], v188 offset:16
	ds_store_b32 v31, v25
	s_waitcnt lgkmcnt(21)
	v_fma_f32 v31, -v25, v84, v13
	v_mul_f32_e32 v13, v176, v26
	v_fma_f32 v21, -v25, v36, v21
	s_waitcnt lgkmcnt(14)
	v_fma_f32 v11, -v25, v108, v11
	v_fma_f32 v22, -v25, v40, v22
	;; [unrolled: 1-line block ×4, first 2 shown]
	s_waitcnt lgkmcnt(6)
	v_fma_f32 v26, -v25, v136, v9
	v_fma_f32 v9, -v13, v157, v23
	;; [unrolled: 1-line block ×6, first 2 shown]
	v_mul_f32_e32 v9, v158, v9
	v_fma_f32 v22, -v13, v41, v22
	v_fma_f32 v14, -v25, v96, v14
	;; [unrolled: 1-line block ×3, first 2 shown]
	s_waitcnt lgkmcnt(2)
	v_fma_f32 v10, -v25, v148, v10
	v_fma_f32 v11, -v9, v34, v23
	v_fma_f32 v23, -v13, v137, v26
	v_fma_f32 v21, -v9, v38, v21
	v_fma_f32 v17, -v13, v53, v17
	v_fma_f32 v26, -v13, v149, v10
	v_mul_f32_e32 v10, v35, v11
	v_fma_f32 v11, -v9, v42, v22
	v_fma_f32 v20, -v25, v48, v20
	v_fma_f32 v12, -v25, v120, v12
	v_fma_f32 v14, -v13, v97, v14
	v_fma_f32 v21, -v10, v39, v21
	v_fma_f32 v19, -v9, v46, v19
	v_fma_f32 v17, -v9, v54, v17
	v_fma_f32 v22, -v10, v43, v11
	v_fma_f32 v20, -v13, v49, v20
	v_mul_f32_e32 v11, v166, v21
	v_fma_f32 v12, -v13, v121, v12
	v_fma_f32 v21, -v9, v86, v24
	v_fma_f32 v24, -v9, v98, v14
	;; [unrolled: 10-line block ×3, first 2 shown]
	v_fma_f32 v14, -v11, v179, v14
	v_fma_f32 v16, -v25, v76, v16
	;; [unrolled: 1-line block ×3, first 2 shown]
	v_lshlrev_b32_e32 v57, 2, v185
	v_fma_f32 v20, -v10, v51, v20
	v_fma_f32 v15, -v13, v69, v15
	;; [unrolled: 1-line block ×8, first 2 shown]
	v_mul_f32_e32 v14, v167, v14
	v_fma_f32 v16, -v9, v78, v16
	v_fma_f32 v19, -v12, v160, v19
	;; [unrolled: 1-line block ×13, first 2 shown]
	v_mul_f32_e32 v15, v168, v19
	v_fma_f32 v16, -v11, v80, v16
	v_fma_f32 v19, -v11, v88, v20
	v_fma_f32 v20, -v12, v73, v31
	v_fma_f32 v18, -v14, v66, v18
	v_fma_f32 v17, -v15, v59, v17
	v_fma_f32 v31, -v12, v81, v16
	v_fma_f32 v21, -v11, v100, v21
	v_fma_f32 v20, -v14, v74, v20
	v_fma_f32 v18, -v15, v67, v18
	v_mul_f32_e32 v16, v169, v17
	v_fma_f32 v17, -v12, v89, v19
	v_fma_f32 v19, -v14, v82, v31
	v_fma_f32 v20, -v15, v75, v20
	v_fma_f32 v21, -v12, v101, v21
	v_fma_f32 v18, -v16, v201, v18
	v_fma_f32 v31, -v14, v90, v17
	v_fma_f32 v19, -v15, v83, v19
	v_fma_f32 v20, -v16, v181, v20
	v_fma_f32 v22, -v10, v123, v22
	;; [unrolled: 10-line block ×3, first 2 shown]
	v_fma_f32 v19, -v17, v163, v19
	v_mul_f32_e32 v18, v171, v20
	v_fma_f32 v20, -v12, v125, v22
	v_fma_f32 v22, -v14, v114, v24
	;; [unrolled: 1-line block ×9, first 2 shown]
	v_mul_f32_e32 v19, v172, v19
	v_fma_f32 v23, -v10, v139, v23
	v_fma_f32 v20, -v15, v127, v20
	v_fma_f32 v24, -v18, v106, v24
	v_fma_f32 v22, -v15, v115, v22
	v_fma_f32 v21, -v19, v95, v21
	v_fma_f32 v23, -v11, v140, v23
	v_fma_f32 v31, -v16, v128, v20
	v_fma_f32 v24, -v19, v107, v24
	v_fma_f32 v22, -v16, v116, v22
	v_mul_f32_e32 v20, v173, v21
	v_fma_f32 v21, -v9, v150, v26
	v_fma_f32 v23, -v12, v141, v23
	ds_store_b32 v190, v9 offset:4096
	ds_store_b32 v191, v10 offset:4096
	;; [unrolled: 1-line block ×6, first 2 shown]
	v_fma_f32 v22, -v17, v117, v22
	v_fma_f32 v24, -v20, v202, v24
	;; [unrolled: 1-line block ×5, first 2 shown]
	ds_load_b128 v[31:34], v188 offset:32
	ds_load_b128 v[35:38], v189
	v_mul_f32_e32 v21, v174, v24
	s_waitcnt lgkmcnt(9)
	v_fma_f32 v24, -v11, v152, v39
	v_or_b32_e32 v55, s18, v0
	s_or_b32 s18, s12, 0x260
	v_fma_f32 v22, -v18, v118, v22
	v_fma_f32 v23, -v15, v143, v23
	;; [unrolled: 1-line block ×3, first 2 shown]
	s_add_i32 s22, s18, s4
	v_fma_f32 v26, -v18, v130, v26
	s_lshl_b32 s22, s22, 2
	v_fma_f32 v22, -v19, v119, v22
	v_mov_b32_e32 v59, s22
	ds_load_b128 v[39:42], v187 offset:48
	ds_load_b128 v[47:50], v188 offset:48
	v_fma_f32 v23, -v16, v144, v23
	v_fma_f32 v24, -v14, v154, v24
	ds_load_b128 v[43:46], v189 offset:16
	ds_load_b96 v[61:63], v189 offset:64
	ds_load_b128 v[51:54], v59
	v_fma_f32 v22, -v20, v183, v22
	v_fma_f32 v26, -v19, v131, v26
	;; [unrolled: 1-line block ×4, first 2 shown]
	s_waitcnt lgkmcnt(5)
	v_fma_f32 v7, -v25, v35, v7
	v_fma_f32 v22, -v21, v184, v22
	;; [unrolled: 1-line block ×6, first 2 shown]
	v_mul_f32_e32 v22, v186, v22
	v_fma_f32 v26, -v21, v133, v26
	v_fma_f32 v23, -v19, v147, v23
	;; [unrolled: 1-line block ×4, first 2 shown]
	s_or_b32 s23, s4, 20
	v_fma_f32 v26, -v22, v134, v26
	s_waitcnt lgkmcnt(4)
	v_fma_f32 v23, -v20, v39, v23
	v_fma_f32 v24, -v18, v33, v24
	s_waitcnt lgkmcnt(0)
	v_fma_f32 v8, -v25, v51, v8
	v_or_b32_e32 v51, s19, v0
	s_lshl_b32 s19, s23, 5
	v_fma_f32 v31, -v21, v40, v23
	v_fma_f32 v7, -v10, v38, v7
	v_mul_f32_e32 v23, v135, v26
	v_or_b32_e32 v26, s21, v0
	v_fma_f32 v24, -v19, v34, v24
	s_or_b32 s21, s19, s4
	v_fma_f32 v35, -v22, v41, v31
	s_lshl_b32 s21, s21, 2
	v_fma_f32 v7, -v11, v43, v7
	v_mov_b32_e32 v64, s21
	s_or_b32 s21, s12, 0x2a0
	ds_load_b128 v[31:34], v189 offset:32
	v_fma_f32 v24, -v20, v47, v24
	s_add_i32 s22, s21, s4
	v_fma_f32 v39, -v23, v42, v35
	s_lshl_b32 s22, s22, 2
	ds_load_b128 v[35:38], v59 offset:16
	v_fma_f32 v24, -v21, v48, v24
	v_mov_b32_e32 v67, s22
	v_fma_f32 v7, -v12, v44, v7
	v_fma_f32 v8, -v13, v52, v8
	v_lshlrev_b32_e32 v58, 2, v55
	v_fma_f32 v24, -v22, v49, v24
	ds_load_b64 v[55:56], v188 offset:64
	v_fma_f32 v40, -v14, v45, v7
	v_fma_f32 v8, -v9, v53, v8
	v_mul_f32_e32 v7, v165, v39
	v_fma_f32 v24, -v23, v50, v24
	ds_load_b128 v[47:50], v64
	v_fma_f32 v43, -v15, v46, v40
	ds_load_b128 v[39:42], v189 offset:48
	v_fma_f32 v8, -v10, v54, v8
	v_lshlrev_b32_e32 v26, 2, v26
	s_or_b32 s22, s12, 0x2c0
	s_waitcnt lgkmcnt(4)
	v_fma_f32 v31, -v16, v31, v43
	ds_load_b128 v[43:46], v59 offset:32
	ds_store_b32 v196, v16 offset:4096
	ds_store_b32 v197, v17 offset:4096
	;; [unrolled: 1-line block ×8, first 2 shown]
	s_or_b32 s24, s22, s4
	s_mulk_i32 s23, 0x84
	v_fma_f32 v31, -v17, v32, v31
	s_waitcnt lgkmcnt(12)
	v_fma_f32 v32, -v11, v35, v8
	s_lshl_b32 s24, s24, 2
	v_lshlrev_b32_e32 v8, 2, v51
	s_waitcnt lgkmcnt(11)
	v_fma_f32 v24, -v7, v55, v24
	v_fma_f32 v26, -v18, v33, v31
	v_fma_f32 v31, -v12, v36, v32
	v_mov_b32_e32 v68, s24
	ds_load_b128 v[51:54], v59 offset:48
	s_waitcnt lgkmcnt(11)
	v_fma_f32 v5, -v25, v47, v5
	v_fma_f32 v26, -v19, v34, v26
	;; [unrolled: 1-line block ×3, first 2 shown]
	ds_load_b128 v[31:34], v64 offset:16
	v_mul_f32_e32 v24, v56, v24
	v_fma_f32 v5, -v13, v48, v5
	s_waitcnt lgkmcnt(11)
	v_fma_f32 v26, -v20, v39, v26
	v_fma_f32 v39, -v15, v38, v35
	ds_load_b128 v[35:38], v67
	ds_load_b128 v[55:58], v68
	v_fma_f32 v5, -v9, v49, v5
	v_fma_f32 v26, -v21, v40, v26
	s_waitcnt lgkmcnt(12)
	v_fma_f32 v39, -v16, v43, v39
	v_or_b32_e32 v43, s20, v0
	s_or_b32 s20, s12, 0x2e0
	v_fma_f32 v5, -v10, v50, v5
	v_fma_f32 v26, -v22, v41, v26
	;; [unrolled: 1-line block ×3, first 2 shown]
	ds_load_b128 v[47:50], v67 offset:16
	v_lshlrev_b32_e32 v70, 2, v43
	s_add_i32 s24, s20, s4
	v_fma_f32 v26, -v23, v42, v26
	v_fma_f32 v44, -v18, v45, v39
	ds_load_b128 v[39:42], v64 offset:32
	s_waitcnt lgkmcnt(4)
	v_fma_f32 v5, -v11, v31, v5
	s_lshl_b32 s24, s24, 2
	v_fma_f32 v26, -v7, v61, v26
	v_fma_f32 v31, -v19, v46, v44
	s_waitcnt lgkmcnt(3)
	v_fma_f32 v6, -v25, v35, v6
	v_fma_f32 v5, -v12, v32, v5
	ds_load_b128 v[43:46], v59 offset:64
	v_fma_f32 v26, -v24, v62, v26
	ds_load_b128 v[59:62], v68 offset:16
	v_fma_f32 v6, -v13, v36, v6
	v_fma_f32 v5, -v14, v33, v5
	s_waitcnt lgkmcnt(4)
	v_fma_f32 v3, -v25, v55, v3
	v_fma_f32 v31, -v20, v51, v31
	v_mov_b32_e32 v71, s24
	v_fma_f32 v6, -v9, v37, v6
	v_fma_f32 v5, -v15, v34, v5
	;; [unrolled: 1-line block ×4, first 2 shown]
	ds_load_b128 v[31:34], v64 offset:48
	v_fma_f32 v6, -v10, v38, v6
	s_waitcnt lgkmcnt(3)
	v_fma_f32 v5, -v16, v39, v5
	v_fma_f32 v3, -v9, v57, v3
	;; [unrolled: 1-line block ×3, first 2 shown]
	ds_load_b128 v[35:38], v67 offset:32
	v_fma_f32 v6, -v11, v47, v6
	v_fma_f32 v5, -v17, v40, v5
	;; [unrolled: 1-line block ×3, first 2 shown]
	ds_load_b128 v[55:58], v68 offset:32
	v_fma_f32 v51, -v23, v54, v51
	v_fma_f32 v6, -v12, v48, v6
	;; [unrolled: 1-line block ×3, first 2 shown]
	s_waitcnt lgkmcnt(3)
	v_fma_f32 v3, -v11, v59, v3
	v_mul_f32_e32 v72, v63, v26
	s_or_b32 s24, s4, 24
	v_fma_f32 v6, -v14, v49, v6
	v_fma_f32 v5, -v19, v42, v5
	ds_load_b128 v[39:42], v71
	v_fma_f32 v3, -v12, v60, v3
	s_add_i32 s10, s10, s4
	v_fma_f32 v6, -v15, v50, v6
	s_waitcnt lgkmcnt(3)
	v_fma_f32 v5, -v20, v31, v5
	ds_load_b128 v[47:50], v67 offset:48
	v_fma_f32 v3, -v14, v61, v3
	v_fma_f32 v31, -v7, v43, v51
	s_waitcnt lgkmcnt(3)
	v_fma_f32 v6, -v16, v35, v6
	ds_load_b128 v[51:54], v64 offset:64
	v_fma_f32 v5, -v21, v32, v5
	v_fma_f32 v3, -v15, v62, v3
	;; [unrolled: 1-line block ×4, first 2 shown]
	v_mov_b32_e32 v31, s23
	ds_load_b128 v[59:62], v68 offset:48
	s_waitcnt lgkmcnt(4)
	v_fma_f32 v3, -v16, v55, v3
	s_lshl_b32 s23, s24, 5
	v_fma_f32 v6, -v18, v37, v6
	v_fma_f32 v5, -v22, v33, v5
	s_or_b32 s25, s23, s4
	v_fma_f32 v3, -v17, v56, v3
	ds_load_b32 v56, v31
	ds_load_b128 v[63:66], v71 offset:16
	s_waitcnt lgkmcnt(5)
	v_fma_f32 v4, -v25, v39, v4
	v_fma_f32 v6, -v19, v38, v6
	ds_load_b128 v[35:38], v68 offset:64
	s_lshl_b32 s25, s25, 2
	v_fma_f32 v5, -v23, v34, v5
	v_fma_f32 v4, -v13, v40, v4
	;; [unrolled: 1-line block ×3, first 2 shown]
	v_mov_b32_e32 v73, s25
	s_waitcnt lgkmcnt(5)
	v_fma_f32 v6, -v20, v47, v6
	s_waitcnt lgkmcnt(4)
	v_fma_f32 v33, -v7, v51, v5
	v_fma_f32 v32, -v9, v41, v4
	v_fma_f32 v31, -v19, v58, v31
	v_fma_f32 v26, -v72, v45, v26
	v_fma_f32 v34, -v21, v48, v6
	ds_load_b128 v[3:6], v67 offset:64
	ds_load_b64 v[47:48], v67 offset:80
	v_fma_f32 v32, -v10, v42, v32
	v_fma_f32 v43, -v24, v52, v33
	v_fma_f32 v39, -v22, v49, v34
	s_waitcnt lgkmcnt(5)
	v_fma_f32 v40, -v20, v59, v31
	v_mul_f32_e32 v74, v46, v26
	s_waitcnt lgkmcnt(3)
	v_fma_f32 v41, -v11, v63, v32
	ds_load_b128 v[31:34], v71 offset:32
	v_fma_f32 v39, -v23, v50, v39
	v_fma_f32 v49, -v72, v53, v43
	;; [unrolled: 1-line block ×4, first 2 shown]
	s_mulk_i32 s24, 0x84
	s_or_b32 s11, s4, 28
	s_delay_alu instid0(VALU_DEP_1)
	v_fma_f32 v45, -v14, v65, v41
	s_waitcnt lgkmcnt(2)
	v_fma_f32 v3, -v7, v3, v39
	ds_load_b128 v[39:42], v73
	v_fma_f32 v26, -v15, v66, v45
	v_fma_f32 v3, -v24, v4, v3
	s_waitcnt lgkmcnt(1)
	s_delay_alu instid0(VALU_DEP_2) | instskip(SKIP_1) | instid1(VALU_DEP_3)
	v_fma_f32 v26, -v16, v31, v26
	v_fma_f32 v31, -v74, v54, v49
	v_fma_f32 v3, -v72, v5, v3
	ds_load_b96 v[53:55], v68 offset:80
	v_fma_f32 v5, -v17, v32, v26
	v_mul_f32_e32 v75, v56, v31
	v_fma_f32 v44, -v22, v61, v44
	v_or_b32_e32 v26, s13, v0
	v_fma_f32 v31, -v74, v6, v3
	s_or_b32 s13, s12, 0x320
	s_or_b32 s12, s12, 0x340
	v_fma_f32 v4, -v23, v62, v44
	ds_load_b128 v[43:46], v71 offset:48
	s_add_i32 s25, s13, s4
	v_lshlrev_b32_e32 v76, 2, v26
	v_fma_f32 v26, -v75, v47, v31
	v_fma_f32 v4, -v7, v35, v4
	v_mov_b32_e32 v31, s24
	s_lshl_b32 s24, s25, 2
	v_fma_f32 v33, -v18, v33, v5
	s_waitcnt lgkmcnt(2)
	v_fma_f32 v1, -v25, v39, v1
	v_fma_f32 v32, -v24, v36, v4
	ds_load_b128 v[3:6], v73 offset:16
	v_mov_b32_e32 v77, s24
	s_or_b32 s24, s12, s4
	v_fma_f32 v36, -v19, v34, v33
	s_lshl_b32 s24, s24, 2
	v_fma_f32 v35, -v72, v37, v32
	v_fma_f32 v1, -v13, v40, v1
	ds_load_b32 v78, v31
	ds_load_b128 v[31:34], v77
	v_mov_b32_e32 v79, s24
	s_lshl_b32 s4, s10, 2
	v_fma_f32 v39, -v74, v38, v35
	v_fma_f32 v1, -v9, v41, v1
	s_waitcnt lgkmcnt(3)
	v_fma_f32 v40, -v20, v43, v36
	ds_load_b128 v[35:38], v79
	v_dual_mov_b32 v81, s4 :: v_dual_mul_f32 v80, v48, v26
	v_fma_f32 v1, -v10, v42, v1
	v_fma_f32 v26, -v75, v53, v39
	;; [unrolled: 1-line block ×3, first 2 shown]
	ds_load_b96 v[67:69], v79 offset:96
	ds_load_b128 v[39:42], v81
	ds_load_b128 v[47:50], v73 offset:32
	s_waitcnt lgkmcnt(6)
	v_fma_f32 v1, -v11, v3, v1
	v_fma_f32 v26, -v80, v54, v26
	;; [unrolled: 1-line block ×3, first 2 shown]
	ds_load_b128 v[51:54], v77 offset:16
	s_mov_b32 s4, s11
	v_fma_f32 v44, -v12, v4, v1
	s_waitcnt lgkmcnt(5)
	v_fma_f32 v31, -v25, v31, v2
	ds_load_b128 v[1:4], v71 offset:64
	v_mul_f32_e32 v82, v55, v26
	v_fma_f32 v83, -v23, v46, v43
	v_fma_f32 v5, -v14, v5, v44
	ds_load_b128 v[43:46], v79 offset:16
	v_fma_f32 v26, -v13, v32, v31
	s_waitcnt lgkmcnt(6)
	v_fma_f32 v28, -v25, v35, v28
	ds_load_b128 v[55:58], v71 offset:80
	ds_load_b128 v[59:62], v73 offset:48
	v_fma_f32 v5, -v15, v6, v5
	ds_load_b128 v[63:66], v81 offset:16
	v_fma_f32 v26, -v9, v33, v26
	v_fma_f32 v6, -v13, v36, v28
	s_waitcnt lgkmcnt(7)
	v_fma_f32 v31, -v25, v39, v27
	s_waitcnt lgkmcnt(6)
	v_fma_f32 v5, -v16, v47, v5
	v_fma_f32 v32, -v10, v34, v26
	;; [unrolled: 1-line block ×4, first 2 shown]
	ds_load_b128 v[25:28], v77 offset:32
	v_fma_f32 v5, -v17, v48, v5
	s_waitcnt lgkmcnt(6)
	v_fma_f32 v32, -v11, v51, v32
	s_waitcnt lgkmcnt(5)
	v_fma_f32 v1, -v7, v1, v83
	v_fma_f32 v6, -v10, v38, v6
	;; [unrolled: 1-line block ×5, first 2 shown]
	ds_load_b128 v[31:34], v79 offset:32
	s_waitcnt lgkmcnt(5)
	v_fma_f32 v6, -v11, v43, v6
	v_fma_f32 v1, -v24, v2, v1
	;; [unrolled: 1-line block ×4, first 2 shown]
	ds_load_b128 v[35:38], v81 offset:32
	v_fma_f32 v6, -v12, v44, v6
	v_fma_f32 v1, -v72, v3, v1
	s_waitcnt lgkmcnt(3)
	v_fma_f32 v2, -v11, v63, v2
	v_fma_f32 v9, -v15, v54, v9
	;; [unrolled: 1-line block ×3, first 2 shown]
	ds_load_b128 v[47:50], v81 offset:48
	v_fma_f32 v3, -v14, v45, v6
	v_fma_f32 v2, -v12, v64, v2
	ds_load_b128 v[39:42], v79 offset:48
	v_fma_f32 v5, -v20, v59, v5
	v_fma_f32 v3, -v15, v46, v3
	;; [unrolled: 1-line block ×3, first 2 shown]
	ds_load_b128 v[43:46], v73 offset:64
	v_fma_f32 v5, -v21, v60, v5
	s_waitcnt lgkmcnt(4)
	v_fma_f32 v3, -v16, v31, v3
	v_fma_f32 v2, -v15, v66, v2
	s_delay_alu instid0(VALU_DEP_3) | instskip(NEXT) | instid1(VALU_DEP_3)
	v_fma_f32 v5, -v22, v61, v5
	v_fma_f32 v3, -v17, v32, v3
	s_waitcnt lgkmcnt(3)
	s_delay_alu instid0(VALU_DEP_3) | instskip(SKIP_3) | instid1(VALU_DEP_4)
	v_fma_f32 v2, -v16, v35, v2
	v_fma_f32 v35, -v74, v4, v1
	;; [unrolled: 1-line block ×5, first 2 shown]
	ds_load_b128 v[1:4], v77 offset:64
	v_fma_f32 v6, -v16, v25, v9
	ds_load_b128 v[9:12], v77 offset:48
	v_fma_f32 v35, -v75, v55, v35
	v_fma_f32 v6, -v17, v26, v6
	s_delay_alu instid0(VALU_DEP_1) | instskip(SKIP_1) | instid1(VALU_DEP_2)
	v_fma_f32 v6, -v18, v27, v6
	v_fma_f32 v18, -v18, v37, v15
	;; [unrolled: 1-line block ×3, first 2 shown]
	ds_load_b128 v[25:28], v79 offset:64
	s_waitcnt lgkmcnt(1)
	v_fma_f32 v6, -v20, v9, v6
	v_fma_f32 v9, -v19, v34, v14
	ds_load_b128 v[14:17], v73 offset:80
	v_fma_f32 v5, -v7, v43, v5
	ds_load_b128 v[31:34], v81 offset:64
	v_fma_f32 v6, -v21, v10, v6
	v_fma_f32 v9, -v20, v39, v9
	;; [unrolled: 1-line block ×4, first 2 shown]
	s_delay_alu instid0(VALU_DEP_4) | instskip(NEXT) | instid1(VALU_DEP_4)
	v_fma_f32 v6, -v22, v11, v6
	v_fma_f32 v9, -v21, v40, v9
	s_delay_alu instid0(VALU_DEP_4) | instskip(NEXT) | instid1(VALU_DEP_4)
	v_fma_f32 v10, -v20, v47, v10
	v_fma_f32 v5, -v72, v45, v5
	;; [unrolled: 3-line block ×3, first 2 shown]
	s_delay_alu instid0(VALU_DEP_4)
	v_fma_f32 v19, -v21, v48, v10
	ds_load_b128 v[9:12], v77 offset:80
	v_fma_f32 v5, -v74, v46, v5
	v_fma_f32 v1, -v7, v1, v6
	;; [unrolled: 1-line block ×4, first 2 shown]
	ds_load_b128 v[18:21], v79 offset:80
	s_waitcnt lgkmcnt(3)
	v_fma_f32 v5, -v75, v14, v5
	v_fma_f32 v1, -v24, v2, v1
	;; [unrolled: 1-line block ×5, first 2 shown]
	ds_load_b128 v[35:38], v81 offset:80
	v_fma_f32 v1, -v72, v3, v1
	s_waitcnt lgkmcnt(3)
	v_fma_f32 v3, -v7, v31, v6
	v_fma_f32 v14, -v82, v57, v22
	s_delay_alu instid0(VALU_DEP_3)
	v_fma_f32 v1, -v74, v4, v1
	v_fma_f32 v4, -v80, v15, v5
	ds_load_b64 v[5:6], v77 offset:96
	s_waitcnt lgkmcnt(3)
	v_fma_f32 v1, -v75, v9, v1
	v_mul_f32_e32 v9, v58, v14
	v_fma_f32 v2, -v24, v26, v2
	v_fma_f32 v4, -v82, v16, v4
	;; [unrolled: 1-line block ×4, first 2 shown]
	v_or_b32_e32 v10, s18, v0
	v_fma_f32 v2, -v72, v27, v2
	v_fma_f32 v15, -v9, v17, v4
	v_or_b32_e32 v17, s22, v0
	v_fma_f32 v11, -v82, v11, v1
	v_lshlrev_b32_e32 v10, 2, v10
	v_fma_f32 v2, -v74, v28, v2
	v_mul_f32_e32 v15, v78, v15
	s_delay_alu instid0(VALU_DEP_4) | instskip(SKIP_1) | instid1(VALU_DEP_3)
	v_fma_f32 v11, -v9, v12, v11
	s_waitcnt lgkmcnt(2)
	v_fma_f32 v2, -v75, v18, v2
	v_or_b32_e32 v18, s13, v0
	s_waitcnt lgkmcnt(0)
	v_fma_f32 v5, -v15, v5, v11
	s_delay_alu instid0(VALU_DEP_3) | instskip(SKIP_1) | instid1(VALU_DEP_3)
	v_fma_f32 v16, -v80, v19, v2
	v_or_b32_e32 v19, s12, v0
	v_mul_f32_e32 v5, v6, v5
	s_delay_alu instid0(VALU_DEP_3) | instskip(SKIP_1) | instid1(VALU_DEP_2)
	v_fma_f32 v12, -v82, v20, v16
	v_or_b32_e32 v16, s19, v0
	v_fma_f32 v11, -v9, v21, v12
	v_or_b32_e32 v12, s21, v0
	s_delay_alu instid0(VALU_DEP_2) | instskip(NEXT) | instid1(VALU_DEP_4)
	v_fma_f32 v6, -v15, v67, v11
	v_lshlrev_b32_e32 v11, 2, v16
	v_fma_f32 v3, -v72, v33, v3
	v_lshlrev_b32_e32 v16, 2, v17
	v_or_b32_e32 v17, s20, v0
	v_fma_f32 v6, -v5, v68, v6
	v_lshlrev_b32_e32 v12, 2, v12
	v_fma_f32 v14, -v74, v34, v3
	ds_load_b128 v[1:4], v81 offset:96
	v_mul_f32_e32 v6, v69, v6
	v_fma_f32 v14, -v75, v35, v14
	s_delay_alu instid0(VALU_DEP_1) | instskip(NEXT) | instid1(VALU_DEP_1)
	v_fma_f32 v14, -v80, v36, v14
	v_fma_f32 v14, -v82, v37, v14
	s_delay_alu instid0(VALU_DEP_1) | instskip(SKIP_1) | instid1(VALU_DEP_1)
	v_fma_f32 v14, -v9, v38, v14
	s_waitcnt lgkmcnt(0)
	v_fma_f32 v1, -v15, v1, v14
	v_or_b32_e32 v14, s23, v0
	s_delay_alu instid0(VALU_DEP_2) | instskip(NEXT) | instid1(VALU_DEP_2)
	v_fma_f32 v1, -v5, v2, v1
	v_lshlrev_b32_e32 v14, 2, v14
	v_lshlrev_b32_e32 v2, 2, v17
	;; [unrolled: 1-line block ×4, first 2 shown]
	v_fma_f32 v1, -v6, v3, v1
	s_delay_alu instid0(VALU_DEP_1)
	v_mul_f32_e32 v1, v4, v1
	ds_store_b32 v8, v7 offset:4096
	ds_store_b32 v70, v24 offset:4096
	ds_store_b32 v76, v72 offset:4096
	ds_store_b32 v10, v74 offset:4096
	ds_store_b32 v11, v75 offset:4096
	ds_store_b32 v12, v80 offset:4096
	ds_store_b32 v16, v82 offset:4096
	ds_store_b32 v2, v9 offset:4096
	ds_store_b32 v14, v15 offset:4096
	ds_store_b32 v17, v5 offset:4096
	ds_store_b32 v18, v6 offset:4096
	ds_store_b32 v30, v13 offset:4096
	ds_store_b32 v29, v1
.LBB36_26:
	s_cmp_ge_i32 s4, s15
	s_cbranch_scc1 .LBB36_37
; %bb.27:
	v_lshl_or_b32 v1, v0, 2, 0x1000
	v_lshlrev_b32_e32 v2, 2, v0
	s_add_i32 s10, s4, -1
	s_lshl_b32 s11, s4, 7
	s_mov_b32 s12, 0
	s_mov_b32 s13, s4
	s_branch .LBB36_29
.LBB36_28:                              ;   in Loop: Header=BB36_29 Depth=1
	s_mul_i32 s18, s4, 0x84
	v_add_nc_u16 v6, s13, 1
	v_mov_b32_e32 v5, s18
	s_add_i32 s4, s4, 1
	s_add_i32 s12, s12, 1
	s_addk_i32 s11, 0x80
	v_readfirstlane_b32 s13, v6
	ds_load_b32 v5, v5
	v_add_nc_u32_e32 v3, 0x1000, v3
	s_cmp_ge_i32 s4, s15
	s_waitcnt lgkmcnt(0)
	v_mul_f32_e32 v4, v5, v4
	ds_store_b32 v3, v4
	s_cbranch_scc1 .LBB36_37
.LBB36_29:                              ; =>This Loop Header: Depth=1
                                        ;     Child Loop BB36_32 Depth 2
                                        ;     Child Loop BB36_36 Depth 2
	v_lshl_or_b32 v3, s4, 7, v2
	s_cmp_eq_u32 s4, 0
	ds_load_b32 v4, v3 offset:4096
	s_cbranch_scc1 .LBB36_28
; %bb.30:                               ;   in Loop: Header=BB36_29 Depth=1
	s_add_i32 s18, s10, s12
	s_delay_alu instid0(SALU_CYCLE_1)
	s_cmp_lt_u32 s18, 7
	s_cbranch_scc1 .LBB36_34
; %bb.31:                               ;   in Loop: Header=BB36_29 Depth=1
	v_mov_b32_e32 v5, v1
	s_and_b32 s18, s4, -8
	s_mov_b32 s19, 0
	s_mov_b32 s20, s11
	s_set_inst_prefetch_distance 0x1
	.p2align	6
.LBB36_32:                              ;   Parent Loop BB36_29 Depth=1
                                        ; =>  This Inner Loop Header: Depth=2
	v_mov_b32_e32 v10, s20
	s_add_i32 s19, s19, 8
	s_add_i32 s20, s20, 32
	s_cmp_lg_u32 s18, s19
	ds_load_2addr_b32 v[14:15], v5 offset1:32
	ds_load_b128 v[6:9], v10
	ds_load_2addr_b32 v[16:17], v5 offset0:64 offset1:96
	ds_load_2addr_b32 v[18:19], v5 offset0:128 offset1:160
	ds_load_b128 v[10:13], v10 offset:16
	s_waitcnt lgkmcnt(3)
	v_fma_f32 v4, -v14, v6, v4
	s_delay_alu instid0(VALU_DEP_1) | instskip(SKIP_4) | instid1(VALU_DEP_1)
	v_fma_f32 v4, -v15, v7, v4
	ds_load_2addr_b32 v[6:7], v5 offset0:192 offset1:224
	v_add_nc_u32_e32 v5, 0x400, v5
	s_waitcnt lgkmcnt(3)
	v_fma_f32 v4, -v16, v8, v4
	v_fma_f32 v4, -v17, v9, v4
	s_waitcnt lgkmcnt(1)
	s_delay_alu instid0(VALU_DEP_1) | instskip(NEXT) | instid1(VALU_DEP_1)
	v_fma_f32 v4, -v18, v10, v4
	v_fma_f32 v4, -v19, v11, v4
	s_waitcnt lgkmcnt(0)
	s_delay_alu instid0(VALU_DEP_1) | instskip(NEXT) | instid1(VALU_DEP_1)
	v_fma_f32 v4, -v6, v12, v4
	v_fma_f32 v4, -v7, v13, v4
	s_cbranch_scc1 .LBB36_32
; %bb.33:                               ;   in Loop: Header=BB36_29 Depth=1
	s_set_inst_prefetch_distance 0x2
	s_and_b32 s19, s4, 7
	s_delay_alu instid0(SALU_CYCLE_1)
	s_cmp_eq_u32 s19, 0
	s_cbranch_scc0 .LBB36_35
	s_branch .LBB36_28
.LBB36_34:                              ;   in Loop: Header=BB36_29 Depth=1
	s_mov_b32 s18, 0
	s_and_b32 s19, s4, 7
	s_delay_alu instid0(SALU_CYCLE_1)
	s_cmp_eq_u32 s19, 0
	s_cbranch_scc1 .LBB36_28
.LBB36_35:                              ;   in Loop: Header=BB36_29 Depth=1
	v_lshl_add_u32 v5, s18, 7, v1
	s_and_b32 s19, s13, 7
	s_lshl_b32 s18, s18, 2
.LBB36_36:                              ;   Parent Loop BB36_29 Depth=1
                                        ; =>  This Inner Loop Header: Depth=2
	s_delay_alu instid0(SALU_CYCLE_1)
	s_add_i32 s20, s11, s18
	s_add_i32 s19, s19, -1
	v_mov_b32_e32 v6, s20
	s_add_i32 s18, s18, 4
	s_cmp_lg_u32 s19, 0
	ds_load_b32 v7, v5
	ds_load_b32 v6, v6
	v_add_nc_u32_e32 v5, 0x80, v5
	s_waitcnt lgkmcnt(0)
	v_fma_f32 v4, -v7, v6, v4
	s_cbranch_scc1 .LBB36_36
	s_branch .LBB36_28
.LBB36_37:
	s_mov_b32 s4, 0
.LBB36_38:
	s_delay_alu instid0(SALU_CYCLE_1)
	s_and_b32 vcc_lo, exec_lo, s4
	s_cbranch_vccz .LBB36_60
; %bb.39:
	s_cmp_gt_i32 s6, 31
	s_mov_b32 s4, s26
	s_cbranch_scc0 .LBB36_41
; %bb.40:
	s_lshl_b32 s40, s15, 5
	s_lshl_b32 s18, s26, 5
	s_sub_i32 s4, s40, 64
	s_add_i32 s11, s40, 0xffffff20
	v_or_b32_e32 v1, s18, v0
	v_or_b32_e32 v2, s4, v0
	;; [unrolled: 1-line block ×3, first 2 shown]
	s_add_i32 s13, s40, 0xffffffa0
	s_add_i32 s19, s15, -2
	v_or_b32_e32 v3, s13, v0
	s_add_i32 s4, s40, 0xffffff80
	s_add_i32 s10, s40, 0xfffffee0
	;; [unrolled: 1-line block ×3, first 2 shown]
	s_add_i32 s22, s15, -4
	v_lshlrev_b32_e32 v13, 2, v5
	v_or_b32_e32 v5, s10, v0
	s_lshl_b32 s20, s20, 2
	v_lshlrev_b32_e32 v8, 2, v1
	v_lshlrev_b32_e32 v1, 2, v2
	v_or_b32_e32 v2, s4, v0
	s_add_i32 s4, s40, 0xffffff40
	s_add_i32 s12, s40, 0xffffff60
	s_lshl_b32 s24, s19, 5
	s_add_i32 s19, s22, s18
	v_or_b32_e32 v4, s4, v0
	s_add_i32 s4, s40, 0xffffff00
	s_lshl_b32 s19, s19, 2
	v_lshlrev_b32_e32 v10, 2, v3
	v_or_b32_e32 v3, s12, v0
	v_or_b32_e32 v6, s4, v0
	v_dual_mov_b32 v5, s19 :: v_dual_lshlrev_b32 v14, 2, v5
	s_add_i32 s19, s22, s24
	s_add_i32 s4, s40, 0xfffffec0
	s_lshl_b32 s19, s19, 2
	v_lshlrev_b32_e32 v2, 2, v2
	v_lshlrev_b32_e32 v12, 2, v3
	;; [unrolled: 1-line block ×4, first 2 shown]
	ds_load_b32 v7, v8 offset:4096
	ds_load_b32 v9, v1 offset:4096
	;; [unrolled: 1-line block ×8, first 2 shown]
	v_or_b32_e32 v1, s4, v0
	s_add_i32 s4, s40, 0xfffffea0
	s_add_i32 s21, s40, 0xfffffe80
	v_or_b32_e32 v2, s4, v0
	s_mul_i32 s27, s26, 0x84
	v_lshlrev_b32_e32 v25, 2, v1
	v_mov_b32_e32 v1, s20
	v_or_b32_e32 v3, s21, v0
	v_lshlrev_b32_e32 v18, 2, v2
	s_add_i32 s21, s27, 0xffffff7c
	s_add_i32 s20, s40, 0xfffffe60
	ds_load_2addr_b32 v[1:2], v1 offset1:1
	v_dual_mov_b32 v4, s21 :: v_dual_lshlrev_b32 v27, 2, v3
	v_mov_b32_e32 v3, s19
	s_add_i32 s19, s40, 0xfffffe40
	v_or_b32_e32 v15, s20, v0
	ds_load_b32 v4, v4
	ds_load_2addr_b32 v[5:6], v5 offset1:1
	v_or_b32_e32 v20, s19, v0
	s_add_i32 s19, s22, s13
	s_add_i32 s21, s40, 0xfffffe20
	s_lshl_b32 s19, s19, 2
	v_lshlrev_b32_e32 v19, 2, v15
	ds_load_2addr_b32 v[15:16], v3 offset1:1
	v_mov_b32_e32 v21, s19
	s_add_i32 s19, s40, 0xfffffe00
	s_add_i32 s23, s15, -6
	s_add_i32 s29, s15, -8
	s_add_i32 s25, s23, s18
	ds_load_2addr_b32 v[21:22], v21 offset1:1
	s_add_i32 s28, s23, s13
	s_waitcnt lgkmcnt(4)
	v_mul_f32_e32 v3, v2, v7
	v_or_b32_e32 v2, s21, v0
	v_lshlrev_b32_e32 v7, 2, v20
	s_lshl_b32 s28, s28, 2
	s_add_i32 s36, s15, -14
	v_fma_f32 v1, -v3, v1, v9
	s_add_i32 s30, s27, 0xfffffce8
	s_add_i32 s31, s15, -10
	s_add_i32 s33, s29, s11
	s_add_i32 s34, s15, -12
	s_waitcnt lgkmcnt(3)
	v_mul_f32_e32 v4, v4, v1
	s_waitcnt lgkmcnt(2)
	v_fma_f32 v1, -v3, v6, v11
	s_add_i32 s37, s36, s4
	s_add_i32 s38, s15, -16
	s_sub_i32 s42, s15, 18
	s_add_i32 s41, s38, s4
	s_waitcnt lgkmcnt(1)
	v_fma_f32 v1, -v4, v16, v1
	v_lshlrev_b32_e32 v20, 2, v2
	v_or_b32_e32 v2, s19, v0
	s_add_i32 s19, s27, 0xfffffe74
	s_add_i32 s39, s40, 0xfffffc80
	v_mov_b32_e32 v6, s19
	s_lshl_b32 s19, s25, 2
	s_add_i32 s25, s23, s24
	v_mov_b32_e32 v9, s19
	s_lshl_b32 s25, s25, 2
	ds_load_b32 v6, v6
	ds_load_2addr_b32 v[23:24], v9 offset1:1
	v_mov_b32_e32 v11, s25
	v_fma_f32 v9, -v3, v5, v17
	s_waitcnt lgkmcnt(2)
	v_mul_f32_e32 v5, v22, v1
	s_add_i32 s25, s40, 0xfffffdc0
	v_lshlrev_b32_e32 v2, 2, v2
	ds_load_2addr_b32 v[16:17], v11 offset1:1
	v_fma_f32 v9, -v4, v15, v9
	v_or_b32_e32 v11, s25, v0
	s_lshl_b32 s25, s22, 5
	ds_load_b32 v40, v14 offset:4096
	ds_load_b32 v41, v25 offset:4096
	;; [unrolled: 1-line block ×8, first 2 shown]
	s_add_i32 s22, s23, s25
	v_fma_f32 v2, -v5, v21, v9
	v_mov_b32_e32 v9, s28
	s_lshl_b32 s22, s22, 2
	s_add_i32 s28, s23, s12
	s_add_i32 s19, s40, 0xfffffde0
	v_lshlrev_b32_e32 v45, 2, v11
	ds_load_2addr_b32 v[21:22], v9 offset1:1
	s_waitcnt lgkmcnt(11)
	v_mul_f32_e32 v6, v6, v2
	s_waitcnt lgkmcnt(10)
	v_fma_f32 v7, -v3, v24, v26
	v_or_b32_e32 v29, s19, v0
	s_add_i32 s35, s36, s25
	s_delay_alu instid0(SALU_CYCLE_1)
	s_lshl_b32 s35, s35, 2
	s_waitcnt lgkmcnt(9)
	v_fma_f32 v2, -v4, v17, v7
	v_mov_b32_e32 v7, s22
	s_lshl_b32 s22, s28, 2
	s_add_i32 s28, s27, 0xfffffd6c
	v_mov_b32_e32 v9, s22
	s_add_i32 s22, s29, s18
	v_mov_b32_e32 v15, s28
	s_lshl_b32 s22, s22, 2
	v_lshlrev_b32_e32 v1, 2, v29
	v_mov_b32_e32 v17, s22
	s_add_i32 s22, s29, s24
	ds_load_2addr_b32 v[26:27], v7 offset1:1
	ds_load_2addr_b32 v[29:30], v9 offset1:1
	ds_load_b32 v7, v15
	s_lshl_b32 s22, s22, 2
	s_add_i32 s28, s29, s25
	ds_load_2addr_b32 v[31:32], v17 offset1:1
	v_mov_b32_e32 v9, s22
	s_add_i32 s22, s29, s13
	s_waitcnt lgkmcnt(4)
	v_fma_f32 v2, -v5, v22, v2
	s_lshl_b32 s22, s22, 2
	v_fma_f32 v15, -v3, v23, v35
	ds_load_2addr_b32 v[33:34], v9 offset1:1
	v_mov_b32_e32 v9, s22
	s_lshl_b32 s22, s28, 2
	s_lshl_b32 s28, s23, 5
	v_mov_b32_e32 v17, s22
	s_add_i32 s22, s29, s12
	ds_load_2addr_b32 v[22:23], v9 offset1:1
	s_lshl_b32 s22, s22, 2
	s_add_i32 s23, s40, 0xfffffd80
	ds_load_2addr_b32 v[35:36], v17 offset1:1
	v_mov_b32_e32 v9, s22
	v_fma_f32 v17, -v4, v16, v15
	s_add_i32 s22, s29, s28
	s_waitcnt lgkmcnt(6)
	v_fma_f32 v2, -v6, v27, v2
	s_waitcnt lgkmcnt(3)
	v_fma_f32 v24, -v3, v32, v37
	ds_load_2addr_b32 v[15:16], v9 offset1:1
	s_lshl_b32 s22, s22, 2
	v_fma_f32 v17, -v5, v21, v17
	v_mov_b32_e32 v32, s22
	v_or_b32_e32 v11, s23, v0
	s_waitcnt lgkmcnt(3)
	v_fma_f32 v21, -v4, v34, v24
	s_add_i32 s22, s40, 0xfffffda0
	v_fma_f32 v17, -v6, v26, v17
	ds_load_2addr_b32 v[37:38], v32 offset1:1
	v_mul_f32_e32 v9, v30, v2
	v_lshlrev_b32_e32 v53, 2, v11
	s_waitcnt lgkmcnt(3)
	v_fma_f32 v21, -v5, v23, v21
	v_or_b32_e32 v24, s22, v0
	s_add_i32 s23, s40, 0xfffffd60
	v_fma_f32 v17, -v9, v29, v17
	v_or_b32_e32 v46, s23, v0
	s_waitcnt lgkmcnt(2)
	v_fma_f32 v21, -v6, v36, v21
	s_delay_alu instid0(VALU_DEP_3) | instskip(SKIP_2) | instid1(VALU_DEP_3)
	v_dual_mul_f32 v11, v7, v17 :: v_dual_lshlrev_b32 v2, 2, v24
	v_mov_b32_e32 v17, s30
	s_waitcnt lgkmcnt(1)
	v_fma_f32 v7, -v9, v16, v21
	v_fma_f32 v16, -v3, v31, v39
	s_add_i32 s30, s31, s18
	s_delay_alu instid0(SALU_CYCLE_1)
	s_lshl_b32 s30, s30, 2
	ds_load_b32 v36, v17
	v_fma_f32 v16, -v4, v33, v16
	v_mov_b32_e32 v17, s30
	s_add_i32 s30, s31, s24
	s_waitcnt lgkmcnt(1)
	v_fma_f32 v7, -v11, v38, v7
	s_lshl_b32 s30, s30, 2
	v_fma_f32 v23, -v5, v22, v16
	v_mov_b32_e32 v21, s30
	ds_load_2addr_b32 v[16:17], v17 offset1:1
	s_lshl_b32 s30, s33, 2
	s_add_i32 s33, s31, s13
	v_mov_b32_e32 v26, s30
	ds_load_2addr_b32 v[21:22], v21 offset1:1
	s_lshl_b32 s30, s33, 2
	s_add_i32 s33, s31, s25
	v_mov_b32_e32 v24, s30
	s_lshl_b32 s30, s33, 2
	v_fma_f32 v35, -v6, v35, v23
	v_mov_b32_e32 v27, s30
	s_add_i32 s30, s31, s12
	ds_load_2addr_b32 v[23:24], v24 offset1:1
	ds_load_b32 v38, v26
	s_lshl_b32 s30, s30, 2
	s_add_i32 s33, s27, 0xfffffc64
	ds_load_2addr_b32 v[26:27], v27 offset1:1
	v_mov_b32_e32 v29, s30
	s_add_i32 s30, s31, s28
	v_mov_b32_e32 v33, s33
	s_lshl_b32 s30, s30, 2
	s_waitcnt lgkmcnt(4)
	v_fma_f32 v17, -v3, v17, v40
	v_mov_b32_e32 v31, s30
	ds_load_2addr_b32 v[29:30], v29 offset1:1
	s_add_i32 s30, s31, s11
	ds_load_b32 v39, v33
	s_lshl_b32 s33, s30, 2
	s_waitcnt lgkmcnt(5)
	v_fma_f32 v17, -v4, v22, v17
	ds_load_2addr_b32 v[31:32], v31 offset1:1
	v_mov_b32_e32 v22, s33
	s_lshl_b32 s30, s29, 5
	v_fma_f32 v15, -v9, v15, v35
	s_waitcnt lgkmcnt(5)
	v_fma_f32 v17, -v5, v24, v17
	s_add_i32 s29, s31, s30
	ds_load_2addr_b32 v[33:34], v22 offset1:1
	s_lshl_b32 s29, s29, 2
	v_fma_f32 v24, -v3, v16, v41
	v_mov_b32_e32 v22, s29
	s_waitcnt lgkmcnt(4)
	v_fma_f32 v17, -v6, v27, v17
	v_mul_f32_e32 v16, v36, v7
	v_fma_f32 v15, -v11, v37, v15
	v_fma_f32 v21, -v4, v21, v24
	ds_load_2addr_b32 v[35:36], v22 offset1:1
	s_waitcnt lgkmcnt(4)
	v_fma_f32 v17, -v9, v30, v17
	s_add_i32 s33, s27, 0xfffffbe0
	s_add_i32 s29, s40, 0xfffffd40
	v_fma_f32 v15, -v16, v38, v15
	v_fma_f32 v21, -v5, v23, v21
	s_waitcnt lgkmcnt(2)
	v_fma_f32 v22, -v11, v32, v17
	v_mov_b32_e32 v23, s33
	v_lshlrev_b32_e32 v7, 2, v46
	v_or_b32_e32 v46, s29, v0
	s_add_i32 s29, s34, s18
	v_mul_f32_e32 v17, v39, v15
	s_lshl_b32 s29, s29, 2
	v_fma_f32 v15, -v6, v26, v21
	s_waitcnt lgkmcnt(1)
	v_fma_f32 v21, -v16, v34, v22
	ds_load_b32 v22, v23
	v_mov_b32_e32 v23, s29
	s_add_i32 s33, s34, s24
	v_fma_f32 v15, -v9, v29, v15
	s_lshl_b32 s29, s33, 2
	s_add_i32 s33, s31, s10
	v_mov_b32_e32 v26, s29
	ds_load_2addr_b32 v[23:24], v23 offset1:1
	s_add_i32 s29, s34, s13
	s_lshl_b32 s33, s33, 2
	s_lshl_b32 s29, s29, 2
	ds_load_2addr_b32 v[26:27], v26 offset1:1
	v_mov_b32_e32 v29, s29
	s_add_i32 s29, s34, s25
	v_fma_f32 v15, -v11, v31, v15
	v_mov_b32_e32 v31, s33
	s_lshl_b32 s29, s29, 2
	s_addk_i32 s27, 0xfb5c
	v_mov_b32_e32 v32, s29
	ds_load_2addr_b32 v[29:30], v29 offset1:1
	ds_load_b32 v34, v31
	v_mov_b32_e32 v41, s27
	s_add_i32 s27, s34, s12
	s_add_i32 s29, s34, s28
	s_lshl_b32 s27, s27, 2
	ds_load_2addr_b32 v[31:32], v32 offset1:1
	v_mov_b32_e32 v37, s27
	s_lshl_b32 s27, s29, 2
	s_waitcnt lgkmcnt(4)
	v_fma_f32 v24, -v3, v24, v42
	v_fma_f32 v23, -v3, v23, v43
	v_mov_b32_e32 v39, s27
	ds_load_2addr_b32 v[37:38], v37 offset1:1
	s_add_i32 s27, s34, s11
	s_waitcnt lgkmcnt(4)
	v_fma_f32 v24, -v4, v27, v24
	s_lshl_b32 s27, s27, 2
	v_fma_f32 v26, -v4, v26, v23
	v_mov_b32_e32 v27, s27
	s_add_i32 s27, s34, s30
	ds_load_2addr_b32 v[39:40], v39 offset1:1
	ds_load_b32 v47, v41
	s_lshl_b32 s27, s27, 2
	s_waitcnt lgkmcnt(5)
	v_fma_f32 v24, -v5, v30, v24
	v_mov_b32_e32 v30, s27
	ds_load_2addr_b32 v[41:42], v27 offset1:1
	v_fma_f32 v29, -v5, v29, v26
	v_fma_f32 v21, -v17, v36, v21
	v_fma_f32 v15, -v16, v33, v15
	s_waitcnt lgkmcnt(4)
	v_fma_f32 v24, -v6, v32, v24
	ds_load_2addr_b32 v[32:33], v30 offset1:1
	v_fma_f32 v31, -v6, v31, v29
	v_mov_b32_e32 v36, s35
	s_add_i32 s27, s40, 0xfffffd20
	v_mul_f32_e32 v21, v22, v21
	v_fma_f32 v15, -v17, v35, v15
	s_waitcnt lgkmcnt(4)
	v_fma_f32 v22, -v9, v38, v24
	v_fma_f32 v31, -v9, v37, v31
	ds_load_2addr_b32 v[36:37], v36 offset1:1
	v_or_b32_e32 v27, s27, v0
	s_add_i32 s29, s40, 0xfffffd00
	v_fma_f32 v30, -v21, v34, v15
	v_or_b32_e32 v24, s29, v0
	s_lshl_b32 s33, s31, 5
	v_lshlrev_b32_e32 v15, 2, v27
	s_waitcnt lgkmcnt(4)
	v_fma_f32 v27, -v11, v40, v22
	s_add_i32 s29, s34, s10
	s_add_i32 s31, s36, s24
	;; [unrolled: 1-line block ×3, first 2 shown]
	s_lshl_b32 s29, s29, 2
	s_lshl_b32 s31, s31, 2
	;; [unrolled: 1-line block ×3, first 2 shown]
	v_lshlrev_b32_e32 v54, 2, v24
	s_waitcnt lgkmcnt(3)
	v_mul_f32_e32 v22, v47, v30
	s_waitcnt lgkmcnt(2)
	v_fma_f32 v24, -v16, v42, v27
	v_dual_mov_b32 v27, s29 :: v_dual_mov_b32 v30, s31
	v_fma_f32 v39, -v11, v39, v31
	v_mov_b32_e32 v40, s35
	s_add_i32 s29, s36, s18
	s_waitcnt lgkmcnt(1)
	v_fma_f32 v35, -v17, v33, v24
	s_lshl_b32 s29, s29, 2
	ds_load_2addr_b32 v[23:24], v27 offset1:1
	ds_load_2addr_b32 v[29:30], v30 offset1:1
	v_fma_f32 v39, -v16, v41, v39
	ds_load_2addr_b32 v[40:41], v40 offset1:1
	v_mov_b32_e32 v27, s29
	s_add_i32 s31, s36, s13
	s_add_i32 s29, s34, s33
	s_lshl_b32 s31, s31, 2
	s_lshl_b32 s29, s29, 2
	ds_load_2addr_b32 v[26:27], v27 offset1:1
	v_mov_b32_e32 v33, s31
	s_add_i32 s31, s34, s4
	v_mov_b32_e32 v42, s29
	s_lshl_b32 s31, s31, 2
	s_add_i32 s29, s36, s12
	ds_load_2addr_b32 v[33:34], v33 offset1:1
	v_lshlrev_b32_e32 v38, 2, v46
	v_mov_b32_e32 v46, s31
	s_lshl_b32 s31, s29, 2
	s_mul_i32 s29, s15, 0x84
	v_mov_b32_e32 v31, s31
	s_add_i32 s31, s29, 0xfffff9d0
	ds_load_2addr_b32 v[42:43], v42 offset1:1
	s_add_i32 s35, s36, s30
	s_waitcnt lgkmcnt(5)
	v_fma_f32 v24, -v21, v24, v35
	v_fma_f32 v32, -v17, v32, v39
	s_add_i32 s43, s29, 0xfffff7c0
	s_add_i32 s48, s29, 0xfffff3a0
	s_waitcnt lgkmcnt(2)
	v_fma_f32 v27, -v3, v27, v44
	v_mov_b32_e32 v44, s31
	s_add_i32 s31, s36, s11
	v_fma_f32 v23, -v21, v23, v32
	s_lshl_b32 s31, s31, 2
	v_fma_f32 v27, -v4, v30, v27
	ds_load_2addr_b32 v[30:31], v31 offset1:1
	ds_load_2addr_b32 v[46:47], v46 offset1:1
	ds_load_b32 v63, v44
	v_fma_f32 v26, -v3, v26, v52
	s_waitcnt lgkmcnt(4)
	v_fma_f32 v27, -v5, v34, v27
	v_mov_b32_e32 v34, s31
	s_lshl_b32 s31, s35, 2
	s_waitcnt lgkmcnt(3)
	v_fma_f32 v24, -v22, v43, v24
	v_mov_b32_e32 v44, s31
	v_fma_f32 v27, -v6, v37, v27
	ds_load_2addr_b32 v[48:49], v34 offset1:1
	s_add_i32 s31, s40, 0xfffffce0
	s_add_i32 s35, s36, s10
	ds_load_2addr_b32 v[50:51], v44 offset1:1
	s_lshl_b32 s35, s35, 2
	v_fma_f32 v32, -v22, v42, v23
	ds_load_b32 v37, v1 offset:4096
	ds_load_b32 v72, v45 offset:4096
	;; [unrolled: 1-line block ×8, first 2 shown]
	v_fma_f32 v26, -v4, v29, v26
	s_waitcnt lgkmcnt(12)
	v_fma_f32 v27, -v9, v31, v27
	v_or_b32_e32 v31, s31, v0
	s_waitcnt lgkmcnt(11)
	v_mul_f32_e32 v24, v47, v24
	v_fma_f32 v26, -v5, v33, v26
	v_fma_f32 v27, -v11, v41, v27
	v_lshlrev_b32_e32 v23, 2, v31
	v_mov_b32_e32 v31, s35
	s_lshl_b32 s35, s34, 5
	s_add_i32 s34, s36, s33
	v_fma_f32 v64, -v24, v46, v32
	s_lshl_b32 s34, s34, 2
	s_waitcnt lgkmcnt(9)
	v_fma_f32 v27, -v16, v49, v27
	v_mov_b32_e32 v46, s34
	s_lshl_b32 s34, s37, 2
	s_add_i32 s37, s36, s35
	v_mov_b32_e32 v49, s34
	s_lshl_b32 s34, s37, 2
	s_add_i32 s37, s36, s20
	;; [unrolled: 3-line block ×3, first 2 shown]
	v_mov_b32_e32 v41, s37
	s_add_i32 s37, s29, 0xfffff8c8
	s_lshl_b32 s34, s34, 2
	ds_load_2addr_b32 v[31:32], v31 offset1:1
	v_mov_b32_e32 v29, s37
	v_mov_b32_e32 v43, s34
	s_add_i32 s34, s38, s24
	ds_load_2addr_b32 v[41:42], v41 offset1:1
	ds_load_b32 v74, v29
	ds_load_2addr_b32 v[43:44], v43 offset1:1
	s_lshl_b32 s34, s34, 2
	s_waitcnt lgkmcnt(12)
	v_fma_f32 v27, -v17, v51, v27
	v_mov_b32_e32 v29, s34
	s_add_i32 s34, s38, s13
	ds_load_2addr_b32 v[46:47], v46 offset1:1
	ds_load_2addr_b32 v[51:52], v49 offset1:1
	;; [unrolled: 1-line block ×3, first 2 shown]
	s_lshl_b32 s34, s34, 2
	v_fma_f32 v26, -v6, v36, v26
	ds_load_2addr_b32 v[55:56], v29 offset1:1
	v_mov_b32_e32 v29, s34
	s_add_i32 s37, s38, s25
	v_or_b32_e32 v96, s35, v0
	s_lshl_b32 s34, s37, 2
	v_fma_f32 v26, -v9, v30, v26
	v_mov_b32_e32 v33, s34
	ds_load_2addr_b32 v[29:30], v29 offset1:1
	s_add_i32 s34, s38, s12
	s_waitcnt lgkmcnt(8)
	v_fma_f32 v27, -v21, v32, v27
	s_lshl_b32 s34, s34, 2
	ds_load_2addr_b32 v[32:33], v33 offset1:1
	v_mov_b32_e32 v36, s34
	s_add_i32 s34, s38, s28
	s_waitcnt lgkmcnt(6)
	v_fma_f32 v25, -v3, v44, v25
	s_lshl_b32 s34, s34, 2
	v_fma_f32 v26, -v11, v40, v26
	ds_load_2addr_b32 v[57:58], v36 offset1:1
	v_mov_b32_e32 v40, s34
	s_add_i32 s34, s38, s11
	s_waitcnt lgkmcnt(3)
	v_fma_f32 v25, -v4, v56, v25
	s_lshl_b32 s34, s34, 2
	s_add_i32 s37, s38, s30
	v_fma_f32 v27, -v22, v47, v27
	v_fma_f32 v26, -v16, v48, v26
	ds_load_2addr_b32 v[47:48], v40 offset1:1
	v_mov_b32_e32 v36, s34
	s_lshl_b32 s34, s37, 2
	s_waitcnt lgkmcnt(3)
	v_fma_f32 v25, -v5, v30, v25
	v_mov_b32_e32 v30, s34
	s_add_i32 s34, s38, s10
	ds_load_2addr_b32 v[59:60], v36 offset1:1
	s_lshl_b32 s34, s34, 2
	s_waitcnt lgkmcnt(3)
	v_fma_f32 v25, -v6, v33, v25
	v_mov_b32_e32 v33, s34
	v_fma_f32 v26, -v17, v50, v26
	ds_load_2addr_b32 v[61:62], v30 offset1:1
	s_add_i32 s34, s38, s33
	s_waitcnt lgkmcnt(3)
	v_fma_f32 v25, -v9, v58, v25
	ds_load_2addr_b32 v[49:50], v33 offset1:1
	v_fma_f32 v33, -v21, v31, v26
	s_lshl_b32 s34, s34, 2
	v_mul_f32_e32 v26, v63, v64
	v_mov_b32_e32 v30, s34
	v_fma_f32 v27, -v24, v52, v27
	v_fma_f32 v33, -v22, v46, v33
	s_waitcnt lgkmcnt(3)
	v_fma_f32 v25, -v11, v48, v25
	s_add_i32 s37, s40, 0xfffffcc0
	ds_load_2addr_b32 v[30:31], v30 offset1:1
	v_fma_f32 v27, -v26, v54, v27
	v_fma_f32 v33, -v24, v51, v33
	s_waitcnt lgkmcnt(3)
	v_fma_f32 v25, -v16, v60, v25
	s_add_i32 s34, s40, 0xfffffca0
	v_or_b32_e32 v36, s37, v0
	v_mul_f32_e32 v27, v42, v27
	v_fma_f32 v33, -v26, v53, v33
	v_or_b32_e32 v40, s34, v0
	s_waitcnt lgkmcnt(2)
	v_fma_f32 v42, -v17, v62, v25
	s_lshl_b32 s37, s36, 5
	s_lshl_b32 s36, s41, 2
	v_fma_f32 v75, -v27, v41, v33
	v_mov_b32_e32 v33, s36
	s_add_i32 s36, s38, s35
	v_lshlrev_b32_e32 v25, 2, v40
	s_lshl_b32 s36, s36, 2
	s_waitcnt lgkmcnt(1)
	v_fma_f32 v40, -v21, v50, v42
	v_mov_b32_e32 v44, s36
	s_add_i32 s36, s38, s21
	v_fma_f32 v28, -v3, v43, v28
	s_lshl_b32 s36, s36, 2
	s_waitcnt lgkmcnt(0)
	v_fma_f32 v31, -v22, v31, v40
	v_mov_b32_e32 v40, s36
	s_add_i32 s36, s42, s18
	v_fma_f32 v28, -v4, v55, v28
	s_lshl_b32 s36, s36, 2
	s_delay_alu instid0(SALU_CYCLE_1) | instskip(SKIP_1) | instid1(VALU_DEP_2)
	v_dual_mov_b32 v42, s43 :: v_dual_mov_b32 v43, s36
	s_add_i32 s36, s42, s24
	v_fma_f32 v28, -v5, v29, v28
	s_lshl_b32 s36, s36, 2
	ds_load_2addr_b32 v[40:41], v40 offset1:1
	ds_load_b32 v76, v42
	ds_load_2addr_b32 v[42:43], v43 offset1:1
	v_mov_b32_e32 v29, s36
	s_add_i32 s43, s42, s13
	s_add_i32 s41, s38, s20
	s_lshl_b32 s36, s43, 2
	s_lshl_b32 s41, s41, 2
	ds_load_2addr_b32 v[50:51], v29 offset1:1
	v_mov_b32_e32 v48, s36
	v_mov_b32_e32 v46, s41
	s_add_i32 s41, s38, s37
	v_fma_f32 v58, -v6, v32, v28
	s_lshl_b32 s41, s41, 2
	ds_load_2addr_b32 v[28:29], v33 offset1:1
	ds_load_2addr_b32 v[32:33], v48 offset1:1
	s_add_i32 s36, s42, s25
	v_mov_b32_e32 v56, s41
	s_lshl_b32 s36, s36, 2
	ds_load_2addr_b32 v[52:53], v44 offset1:1
	ds_load_2addr_b32 v[54:55], v46 offset1:1
	;; [unrolled: 1-line block ×3, first 2 shown]
	v_mov_b32_e32 v44, s36
	s_add_i32 s36, s42, s12
	v_fma_f32 v46, -v9, v57, v58
	s_lshl_b32 s36, s36, 2
	s_waitcnt lgkmcnt(6)
	v_fma_f32 v37, -v3, v43, v37
	ds_load_2addr_b32 v[43:44], v44 offset1:1
	v_mov_b32_e32 v48, s36
	s_add_i32 s41, s42, s28
	v_fma_f32 v56, -v11, v47, v46
	s_lshl_b32 s36, s41, 2
	s_waitcnt lgkmcnt(6)
	v_fma_f32 v37, -v4, v51, v37
	ds_load_2addr_b32 v[46:47], v48 offset1:1
	v_mov_b32_e32 v57, s36
	s_add_i32 s36, s42, s11
	s_waitcnt lgkmcnt(6)
	v_fma_f32 v29, -v24, v29, v31
	s_lshl_b32 s36, s36, 2
	v_fma_f32 v31, -v16, v59, v56
	ds_load_2addr_b32 v[56:57], v57 offset1:1
	s_waitcnt lgkmcnt(6)
	v_fma_f32 v33, -v5, v33, v37
	v_mov_b32_e32 v37, s36
	s_add_i32 s41, s42, s30
	v_fma_f32 v31, -v17, v61, v31
	s_lshl_b32 s36, s41, 2
	s_add_i32 s41, s42, s35
	v_mov_b32_e32 v48, s36
	ds_load_2addr_b32 v[58:59], v37 offset1:1
	s_add_i32 s36, s42, s10
	s_waitcnt lgkmcnt(3)
	v_fma_f32 v33, -v6, v44, v33
	s_lshl_b32 s36, s36, 2
	v_fma_f32 v31, -v21, v49, v31
	v_mov_b32_e32 v37, s36
	ds_load_2addr_b32 v[48:49], v48 offset1:1
	s_add_i32 s36, s42, s33
	s_waitcnt lgkmcnt(3)
	v_fma_f32 v33, -v9, v47, v33
	s_lshl_b32 s36, s36, 2
	v_fma_f32 v44, -v26, v53, v29
	v_mov_b32_e32 v29, s36
	ds_load_2addr_b32 v[60:61], v37 offset1:1
	s_add_i32 s36, s42, s4
	v_fma_f32 v30, -v22, v30, v31
	s_lshl_b32 s36, s36, 2
	ds_load_2addr_b32 v[64:65], v29 offset1:1
	s_waitcnt lgkmcnt(4)
	v_fma_f32 v31, -v11, v57, v33
	v_mov_b32_e32 v29, s36
	s_lshl_b32 s36, s41, 2
	v_fma_f32 v28, -v24, v28, v30
	v_mov_b32_e32 v33, s36
	s_waitcnt lgkmcnt(3)
	v_fma_f32 v31, -v16, v59, v31
	ds_load_2addr_b32 v[66:67], v29 offset1:1
	s_add_i32 s36, s42, s20
	v_fma_f32 v28, -v26, v52, v28
	ds_load_2addr_b32 v[68:69], v33 offset1:1
	s_lshl_b32 s36, s36, 2
	s_waitcnt lgkmcnt(4)
	v_fma_f32 v29, -v17, v49, v31
	v_mov_b32_e32 v31, s36
	s_add_i32 s36, s42, s37
	v_fma_f32 v28, -v27, v54, v28
	s_lshl_b32 s36, s36, 2
	s_waitcnt lgkmcnt(3)
	v_fma_f32 v30, -v21, v61, v29
	v_mov_b32_e32 v33, s36
	ds_load_2addr_b32 v[70:71], v31 offset1:1
	v_mul_f32_e32 v29, v74, v75
	s_sub_i32 s41, s15, 20
	s_waitcnt lgkmcnt(3)
	v_fma_f32 v30, -v22, v65, v30
	ds_load_2addr_b32 v[51:52], v33 offset1:1
	v_fma_f32 v31, -v27, v55, v44
	v_or_b32_e32 v33, s39, v0
	s_add_i32 s39, s40, 0xfffffc40
	s_waitcnt lgkmcnt(3)
	v_fma_f32 v37, -v24, v67, v30
	s_add_i32 s44, s41, s13
	v_fma_f32 v31, -v29, v63, v31
	v_lshlrev_b32_e32 v79, 2, v33
	s_add_i32 s36, s40, 0xfffffc60
	s_waitcnt lgkmcnt(2)
	v_fma_f32 v33, -v26, v69, v37
	v_or_b32_e32 v37, s39, v0
	v_mul_f32_e32 v30, v41, v31
	v_fma_f32 v31, -v29, v62, v28
	s_lshl_b32 s39, s38, 5
	s_add_i32 s38, s41, s18
	v_or_b32_e32 v44, s36, v0
	s_waitcnt lgkmcnt(1)
	v_fma_f32 v33, -v27, v71, v33
	v_fma_f32 v31, -v30, v40, v31
	;; [unrolled: 1-line block ×3, first 2 shown]
	s_lshl_b32 s38, s38, 2
	v_lshlrev_b32_e32 v28, 2, v44
	s_waitcnt lgkmcnt(0)
	v_fma_f32 v74, -v29, v52, v33
	s_add_i32 s43, s42, s21
	v_fma_f32 v33, -v4, v50, v40
	v_mov_b32_e32 v40, s38
	s_add_i32 s38, s41, s24
	s_lshl_b32 s43, s43, 2
	s_lshl_b32 s38, s38, 2
	v_fma_f32 v32, -v5, v32, v33
	v_mov_b32_e32 v33, s38
	s_lshl_b32 s38, s44, 2
	ds_load_2addr_b32 v[40:41], v40 offset1:1
	v_mov_b32_e32 v42, s38
	s_add_i32 s38, s41, s25
	v_fma_f32 v32, -v6, v43, v32
	s_lshl_b32 s38, s38, 2
	s_delay_alu instid0(SALU_CYCLE_1)
	v_dual_mul_f32 v31, v76, v31 :: v_dual_mov_b32 v44, s38
	ds_load_2addr_b32 v[42:43], v42 offset1:1
	v_fma_f32 v32, -v9, v46, v32
	s_add_i32 s38, s41, s12
	v_lshlrev_b32_e32 v36, 2, v36
	ds_load_2addr_b32 v[46:47], v44 offset1:1
	ds_load_2addr_b32 v[49:50], v33 offset1:1
	v_fma_f32 v32, -v11, v56, v32
	s_lshl_b32 s38, s38, 2
	s_delay_alu instid0(SALU_CYCLE_1) | instskip(SKIP_1) | instid1(VALU_DEP_2)
	v_dual_mov_b32 v33, s43 :: v_dual_mov_b32 v44, s38
	s_add_i32 s38, s41, s28
	v_fma_f32 v32, -v16, v58, v32
	s_add_i32 s43, s41, s30
	s_waitcnt lgkmcnt(3)
	v_fma_f32 v41, -v3, v41, v73
	s_lshl_b32 s38, s38, 2
	s_lshl_b32 s43, s43, 2
	v_mov_b32_e32 v54, s38
	ds_load_2addr_b32 v[52:53], v44 offset1:1
	v_fma_f32 v32, -v17, v48, v32
	v_mov_b32_e32 v48, s43
	s_add_i32 s38, s41, s11
	ds_load_2addr_b32 v[54:55], v54 offset1:1
	s_lshl_b32 s38, s38, 2
	v_fma_f32 v32, -v21, v60, v32
	s_add_i32 s43, s41, s10
	s_waitcnt lgkmcnt(2)
	v_fma_f32 v41, -v4, v50, v41
	s_lshl_b32 s43, s43, 2
	v_fma_f32 v34, -v3, v40, v34
	v_fma_f32 v32, -v22, v64, v32
	v_or_b32_e32 v103, s39, v0
	v_fma_f32 v41, -v5, v43, v41
	v_lshlrev_b32_e32 v101, 2, v96
	s_delay_alu instid0(VALU_DEP_4) | instskip(NEXT) | instid1(VALU_DEP_3)
	v_fma_f32 v32, -v24, v66, v32
	v_fma_f32 v41, -v6, v47, v41
	ds_load_2addr_b32 v[47:48], v48 offset1:1
	v_mov_b32_e32 v44, s38
	s_add_i32 s38, s42, s39
	s_delay_alu instid0(SALU_CYCLE_1)
	s_lshl_b32 s38, s38, 2
	s_waitcnt lgkmcnt(2)
	v_fma_f32 v41, -v9, v53, v41
	ds_load_2addr_b32 v[43:44], v44 offset1:1
	v_mov_b32_e32 v50, s38
	s_add_i32 s38, s42, s19
	v_mov_b32_e32 v53, s43
	s_lshl_b32 s38, s38, 2
	s_waitcnt lgkmcnt(2)
	v_fma_f32 v41, -v11, v55, v41
	v_mov_b32_e32 v63, s38
	s_add_i32 s38, s41, s33
	ds_load_2addr_b32 v[55:56], v53 offset1:1
	s_lshl_b32 s38, s38, 2
	s_add_i32 s43, s41, s4
	v_fma_f32 v53, -v26, v68, v32
	s_waitcnt lgkmcnt(1)
	v_fma_f32 v41, -v16, v44, v41
	v_mov_b32_e32 v44, s38
	s_lshl_b32 s38, s43, 2
	s_add_i32 s43, s41, s37
	v_mov_b32_e32 v32, s38
	s_add_i32 s38, s41, s35
	ds_load_2addr_b32 v[57:58], v44 offset1:1
	s_lshl_b32 s38, s38, 2
	v_fma_f32 v41, -v17, v48, v41
	ds_load_2addr_b32 v[59:60], v32 offset1:1
	v_mov_b32_e32 v44, s38
	s_add_i32 s38, s41, s20
	ds_load_2addr_b32 v[32:33], v33 offset1:1
	ds_load_2addr_b32 v[61:62], v50 offset1:1
	;; [unrolled: 1-line block ×3, first 2 shown]
	s_lshl_b32 s38, s38, 2
	s_waitcnt lgkmcnt(5)
	v_fma_f32 v41, -v21, v56, v41
	ds_load_2addr_b32 v[65:66], v44 offset1:1
	v_mov_b32_e32 v44, s38
	s_lshl_b32 s38, s43, 2
	s_add_i32 s43, s29, 0xfffff6b8
	v_mov_b32_e32 v50, s38
	s_add_i32 s38, s41, s21
	ds_load_2addr_b32 v[67:68], v44 offset1:1
	s_lshl_b32 s38, s38, 2
	v_fma_f32 v48, -v27, v70, v53
	ds_load_2addr_b32 v[69:70], v50 offset1:1
	v_mov_b32_e32 v44, s43
	s_waitcnt lgkmcnt(7)
	v_fma_f32 v41, -v22, v58, v41
	v_mov_b32_e32 v53, s38
	s_add_i32 s38, s41, s39
	v_fma_f32 v48, -v29, v51, v48
	s_lshl_b32 s38, s38, 2
	s_waitcnt lgkmcnt(6)
	v_fma_f32 v41, -v24, v60, v41
	ds_load_2addr_b32 v[71:72], v53 offset1:1
	ds_load_b32 v44, v44
	v_mov_b32_e32 v50, s38
	s_waitcnt lgkmcnt(7)
	v_fma_f32 v33, -v30, v33, v74
	s_waitcnt lgkmcnt(4)
	v_fma_f32 v41, -v26, v66, v41
	v_fma_f32 v32, -v30, v32, v48
	s_add_i32 s38, s40, 0xfffffc20
	ds_load_2addr_b32 v[50:51], v50 offset1:1
	v_fma_f32 v33, -v31, v62, v33
	s_waitcnt lgkmcnt(4)
	v_fma_f32 v41, -v27, v68, v41
	v_or_b32_e32 v48, s38, v0
	v_fma_f32 v53, -v31, v61, v32
	s_addk_i32 s40, 0xfc00
	v_mul_f32_e32 v33, v64, v33
	v_or_b32_e32 v56, s40, v0
	s_lshl_b32 s40, s42, 5
	s_sub_i32 s42, s15, 22
	s_waitcnt lgkmcnt(3)
	v_fma_f32 v41, -v29, v70, v41
	v_lshlrev_b32_e32 v32, 2, v48
	v_fma_f32 v40, -v33, v63, v53
	v_fma_f32 v48, -v4, v49, v34
	s_add_i32 s44, s42, s18
	s_waitcnt lgkmcnt(2)
	v_fma_f32 v41, -v30, v72, v41
	s_lshl_b32 s44, s44, 2
	s_waitcnt lgkmcnt(1)
	v_mul_f32_e32 v34, v44, v40
	v_fma_f32 v40, -v5, v42, v48
	v_mov_b32_e32 v42, s44
	s_add_i32 s43, s41, s19
	s_add_i32 s44, s41, s40
	s_lshl_b32 s43, s43, 2
	v_fma_f32 v40, -v6, v46, v40
	ds_load_2addr_b32 v[60:61], v42 offset1:1
	s_waitcnt lgkmcnt(1)
	v_fma_f32 v44, -v31, v51, v41
	v_mov_b32_e32 v41, s43
	s_add_i32 s43, s42, s24
	v_fma_f32 v46, -v9, v52, v40
	s_lshl_b32 s43, s43, 2
	s_add_i32 s45, s42, s25
	ds_load_2addr_b32 v[40:41], v41 offset1:1
	v_mov_b32_e32 v42, s43
	s_lshl_b32 s43, s44, 2
	s_add_i32 s44, s42, s13
	v_lshlrev_b32_e32 v80, 2, v56
	s_lshl_b32 s44, s44, 2
	ds_load_2addr_b32 v[52:53], v42 offset1:1
	v_fma_f32 v42, -v11, v54, v46
	v_mov_b32_e32 v46, s44
	s_lshl_b32 s44, s45, 2
	s_add_i32 s45, s42, s11
	v_mov_b32_e32 v48, s43
	v_fma_f32 v42, -v16, v43, v42
	v_mov_b32_e32 v43, s44
	ds_load_2addr_b32 v[62:63], v46 offset1:1
	s_add_i32 s44, s42, s12
	s_waitcnt lgkmcnt(3)
	v_fma_f32 v35, -v3, v61, v35
	s_lshl_b32 s44, s44, 2
	ds_load_2addr_b32 v[72:73], v43 offset1:1
	v_mov_b32_e32 v43, s44
	s_add_i32 s44, s42, s28
	v_fma_f32 v42, -v17, v47, v42
	s_lshl_b32 s44, s44, 2
	s_add_i32 s43, s41, s22
	s_waitcnt lgkmcnt(3)
	v_fma_f32 v41, -v33, v41, v44
	s_lshl_b32 s43, s43, 2
	s_waitcnt lgkmcnt(2)
	v_fma_f32 v35, -v4, v53, v35
	ds_load_2addr_b32 v[53:54], v43 offset1:1
	v_mov_b32_e32 v43, s44
	s_lshl_b32 s44, s45, 2
	v_fma_f32 v42, -v21, v55, v42
	v_mov_b32_e32 v46, s44
	s_add_i32 s44, s42, s30
	ds_load_2addr_b32 v[55:56], v43 offset1:1
	s_lshl_b32 s44, s44, 2
	v_fma_f32 v42, -v22, v57, v42
	ds_load_2addr_b32 v[57:58], v46 offset1:1
	s_waitcnt lgkmcnt(4)
	v_fma_f32 v35, -v5, v63, v35
	v_mov_b32_e32 v43, s44
	s_add_i32 s44, s42, s10
	v_fma_f32 v42, -v24, v59, v42
	s_lshl_b32 s44, s44, 2
	s_waitcnt lgkmcnt(3)
	v_fma_f32 v35, -v6, v73, v35
	ds_load_2addr_b32 v[63:64], v43 offset1:1
	v_mov_b32_e32 v43, s44
	s_add_i32 s44, s42, s33
	v_fma_f32 v42, -v26, v65, v42
	s_lshl_b32 s44, s44, 2
	s_waitcnt lgkmcnt(3)
	v_fma_f32 v35, -v9, v54, v35
	ds_load_2addr_b32 v[65:66], v43 offset1:1
	v_mov_b32_e32 v43, s44
	s_add_i32 s44, s42, s4
	v_fma_f32 v42, -v27, v67, v42
	s_lshl_b32 s44, s44, 2
	s_waitcnt lgkmcnt(3)
	v_fma_f32 v35, -v11, v56, v35
	v_mov_b32_e32 v46, s44
	ds_load_2addr_b32 v[67:68], v43 offset1:1
	s_add_i32 s44, s42, s35
	v_fma_f32 v42, -v29, v69, v42
	s_lshl_b32 s44, s44, 2
	s_waitcnt lgkmcnt(3)
	v_fma_f32 v35, -v16, v58, v35
	ds_load_2addr_b32 v[58:59], v46 offset1:1
	v_mov_b32_e32 v46, s43
	s_add_i32 s43, s29, 0xfffff5b0
	v_mov_b32_e32 v43, s44
	v_mov_b32_e32 v49, s43
	s_add_i32 s43, s42, s20
	s_waitcnt lgkmcnt(3)
	v_fma_f32 v35, -v17, v64, v35
	s_lshl_b32 s43, s43, 2
	v_fma_f32 v47, -v30, v71, v42
	ds_load_2addr_b32 v[69:70], v43 offset1:1
	ds_load_2addr_b32 v[42:43], v48 offset1:1
	ds_load_2addr_b32 v[73:74], v46 offset1:1
	ds_load_b32 v54, v49
	v_mov_b32_e32 v46, s43
	s_add_i32 s44, s42, s37
	s_waitcnt lgkmcnt(6)
	v_fma_f32 v35, -v21, v66, v35
	s_lshl_b32 s43, s44, 2
	v_fma_f32 v44, -v31, v50, v47
	v_mov_b32_e32 v47, s43
	ds_load_2addr_b32 v[49:50], v46 offset1:1
	s_add_i32 s43, s42, s21
	s_waitcnt lgkmcnt(6)
	v_fma_f32 v35, -v22, v68, v35
	s_lshl_b32 s43, s43, 2
	ds_load_2addr_b32 v[75:76], v47 offset1:1
	s_add_i32 s44, s42, s39
	v_mov_b32_e32 v46, s43
	s_lshl_b32 s43, s44, 2
	s_waitcnt lgkmcnt(6)
	v_fma_f32 v35, -v24, v59, v35
	v_mov_b32_e32 v47, s43
	s_add_i32 s43, s42, s19
	s_add_i32 s44, s42, s40
	s_lshl_b32 s43, s43, 2
	s_delay_alu instid0(SALU_CYCLE_1)
	v_dual_mov_b32 v66, s43 :: v_dual_lshlrev_b32 v37, 2, v37
	s_lshl_b32 s43, s44, 2
	s_waitcnt lgkmcnt(4)
	v_fma_f32 v43, -v34, v43, v41
	v_fma_f32 v35, -v26, v70, v35
	v_mov_b32_e32 v68, s43
	v_fma_f32 v44, -v33, v40, v44
	ds_load_2addr_b32 v[70:71], v46 offset1:1
	ds_load_2addr_b32 v[77:78], v47 offset1:1
	ds_load_b32 v90, v23 offset:4096
	ds_load_b32 v46, v36 offset:4096
	;; [unrolled: 1-line block ×8, first 2 shown]
	s_waitcnt lgkmcnt(13)
	v_mul_f32_e32 v36, v74, v43
	s_waitcnt lgkmcnt(11)
	v_fma_f32 v35, -v27, v50, v35
	v_or_b32_e32 v50, s24, v0
	v_fma_f32 v43, -v34, v42, v44
	s_add_i32 s44, s42, s23
	v_fma_f32 v45, -v3, v60, v45
	s_waitcnt lgkmcnt(10)
	v_fma_f32 v35, -v29, v76, v35
	v_lshlrev_b32_e32 v42, 2, v50
	v_fma_f32 v50, -v36, v73, v43
	s_lshl_b32 s43, s44, 2
	v_or_b32_e32 v44, s25, v0
	s_waitcnt lgkmcnt(9)
	v_fma_f32 v59, -v30, v71, v35
	v_or_b32_e32 v56, s28, v0
	v_dual_mul_f32 v35, v54, v50 :: v_dual_mov_b32 v54, s43
	s_sub_i32 s43, s15, 24
	s_add_i32 s45, s29, 0xfffff4a8
	s_add_i32 s46, s43, s18
	v_fma_f32 v45, -v4, v52, v45
	v_mov_b32_e32 v52, s45
	s_lshl_b32 s45, s46, 2
	s_add_i32 s46, s43, s24
	v_lshlrev_b32_e32 v43, 2, v44
	v_lshlrev_b32_e32 v44, 2, v56
	v_mov_b32_e32 v56, s45
	s_lshl_b32 s45, s46, 2
	s_waitcnt lgkmcnt(8)
	v_fma_f32 v50, -v31, v78, v59
	v_fma_f32 v45, -v5, v62, v45
	v_mov_b32_e32 v64, s45
	ds_load_2addr_b32 v[59:60], v54 offset1:1
	ds_load_b32 v91, v52
	ds_load_2addr_b32 v[61:62], v56 offset1:1
	s_add_i32 s45, s43, s13
	s_add_i32 s46, s43, s25
	s_lshl_b32 s45, s45, 2
	v_fma_f32 v45, -v6, v72, v45
	ds_load_2addr_b32 v[71:72], v64 offset1:1
	v_mov_b32_e32 v52, s45
	s_add_i32 s44, s42, s22
	s_lshl_b32 s45, s46, 2
	s_lshl_b32 s44, s44, 2
	v_mov_b32_e32 v54, s45
	ds_load_2addr_b32 v[73:74], v52 offset1:1
	v_fma_f32 v45, -v9, v53, v45
	v_mov_b32_e32 v76, s44
	s_add_i32 s44, s43, s12
	ds_load_2addr_b32 v[52:53], v54 offset1:1
	s_lshl_b32 s44, s44, 2
	v_fma_f32 v45, -v11, v55, v45
	v_mov_b32_e32 v56, s44
	s_add_i32 s44, s43, s28
	s_lshl_b32 s41, s41, 5
	s_lshl_b32 s44, s44, 2
	s_waitcnt lgkmcnt(3)
	v_fma_f32 v39, -v3, v62, v39
	ds_load_2addr_b32 v[54:55], v56 offset1:1
	v_mov_b32_e32 v56, s44
	v_fma_f32 v45, -v16, v57, v45
	s_add_i32 s45, s42, s41
	s_waitcnt lgkmcnt(3)
	v_fma_f32 v39, -v4, v72, v39
	s_lshl_b32 s44, s45, 2
	ds_load_2addr_b32 v[56:57], v56 offset1:1
	v_fma_f32 v45, -v17, v63, v45
	v_mov_b32_e32 v82, s44
	s_add_i32 s44, s43, s11
	s_waitcnt lgkmcnt(3)
	v_fma_f32 v39, -v5, v74, v39
	s_lshl_b32 s44, s44, 2
	v_fma_f32 v45, -v21, v65, v45
	v_mov_b32_e32 v62, s44
	s_add_i32 s44, s43, s30
	s_waitcnt lgkmcnt(2)
	v_fma_f32 v39, -v6, v53, v39
	s_lshl_b32 s44, s44, 2
	v_fma_f32 v45, -v22, v67, v45
	v_mov_b32_e32 v53, s44
	ds_load_2addr_b32 v[62:63], v62 offset1:1
	s_add_i32 s44, s43, s10
	s_waitcnt lgkmcnt(2)
	v_fma_f32 v39, -v9, v55, v39
	s_lshl_b32 s44, s44, 2
	ds_load_2addr_b32 v[64:65], v53 offset1:1
	v_mov_b32_e32 v53, s44
	v_fma_f32 v45, -v24, v58, v45
	s_add_i32 s44, s43, s33
	s_waitcnt lgkmcnt(2)
	v_fma_f32 v39, -v11, v57, v39
	s_lshl_b32 s44, s44, 2
	ds_load_2addr_b32 v[57:58], v53 offset1:1
	v_mov_b32_e32 v53, s44
	v_fma_f32 v45, -v26, v69, v45
	s_add_i32 s44, s43, s4
	ds_load_2addr_b32 v[66:67], v66 offset1:1
	ds_load_2addr_b32 v[78:79], v68 offset1:1
	;; [unrolled: 1-line block ×4, first 2 shown]
	s_lshl_b32 s44, s44, 2
	ds_load_2addr_b32 v[68:69], v53 offset1:1
	v_fma_f32 v45, -v27, v49, v45
	v_mov_b32_e32 v49, s44
	s_add_i32 s44, s43, s35
	s_waitcnt lgkmcnt(7)
	v_fma_f32 v39, -v16, v63, v39
	s_lshl_b32 s44, s44, 2
	s_add_i32 s45, s43, s20
	ds_load_2addr_b32 v[84:85], v49 offset1:1
	v_mov_b32_e32 v49, s44
	s_lshl_b32 s44, s45, 2
	s_waitcnt lgkmcnt(7)
	v_fma_f32 v39, -v17, v65, v39
	v_fma_f32 v45, -v29, v75, v45
	v_mov_b32_e32 v53, s44
	ds_load_2addr_b32 v[74:75], v49 offset1:1
	s_add_i32 s44, s43, s37
	s_waitcnt lgkmcnt(7)
	v_fma_f32 v39, -v21, v58, v39
	s_lshl_b32 s44, s44, 2
	ds_load_2addr_b32 v[86:87], v53 offset1:1
	s_waitcnt lgkmcnt(7)
	v_fma_f32 v49, -v33, v67, v50
	v_mov_b32_e32 v50, s44
	s_add_i32 s44, s43, s21
	v_fma_f32 v45, -v30, v70, v45
	s_lshl_b32 s44, s44, 2
	s_waitcnt lgkmcnt(3)
	v_fma_f32 v39, -v22, v69, v39
	ds_load_2addr_b32 v[69:70], v50 offset1:1
	v_mov_b32_e32 v50, s44
	s_add_i32 s45, s43, s39
	v_fma_f32 v45, -v31, v77, v45
	s_lshl_b32 s44, s45, 2
	s_waitcnt lgkmcnt(3)
	v_fma_f32 v39, -v24, v85, v39
	v_mov_b32_e32 v53, s44
	ds_load_2addr_b32 v[88:89], v50 offset1:1
	s_add_i32 s44, s43, s19
	v_fma_f32 v49, -v34, v79, v49
	s_lshl_b32 s44, s44, 2
	s_waitcnt lgkmcnt(3)
	v_fma_f32 v39, -v26, v75, v39
	ds_load_2addr_b32 v[75:76], v53 offset1:1
	v_mov_b32_e32 v50, s44
	v_fma_f32 v45, -v33, v66, v45
	v_fma_f32 v49, -v36, v81, v49
	s_waitcnt lgkmcnt(3)
	v_fma_f32 v39, -v27, v87, v39
	v_or_b32_e32 v53, s30, v0
	ds_load_2addr_b32 v[65:66], v50 offset1:1
	v_fma_f32 v45, -v34, v78, v45
	v_fma_f32 v49, -v35, v83, v49
	s_waitcnt lgkmcnt(3)
	v_fma_f32 v39, -v29, v70, v39
	v_fma_f32 v55, -v3, v61, v38
	s_add_i32 s44, s43, s40
	v_fma_f32 v45, -v36, v80, v45
	v_mul_f32_e32 v38, v60, v49
	v_lshlrev_b32_e32 v49, 2, v53
	s_waitcnt lgkmcnt(2)
	v_fma_f32 v39, -v30, v89, v39
	v_fma_f32 v53, -v4, v71, v55
	;; [unrolled: 1-line block ×3, first 2 shown]
	s_lshl_b32 s44, s44, 2
	s_lshl_b32 s42, s42, 5
	v_mov_b32_e32 v50, s44
	s_waitcnt lgkmcnt(1)
	v_fma_f32 v39, -v31, v76, v39
	v_fma_f32 v45, -v38, v59, v45
	;; [unrolled: 1-line block ×3, first 2 shown]
	s_add_i32 s44, s43, s22
	ds_load_2addr_b32 v[77:78], v50 offset1:1
	s_waitcnt lgkmcnt(1)
	v_fma_f32 v55, -v33, v66, v39
	s_lshl_b32 s44, s44, 2
	v_mul_f32_e32 v39, v91, v45
	v_fma_f32 v45, -v6, v52, v53
	v_mov_b32_e32 v58, s44
	s_add_i32 s44, s43, s41
	s_add_i32 s45, s43, s23
	s_lshl_b32 s44, s44, 2
	v_fma_f32 v45, -v9, v54, v45
	v_mov_b32_e32 v70, s44
	s_add_i32 s44, s43, s27
	ds_load_2addr_b32 v[52:53], v58 offset1:1
	s_lshl_b32 s44, s44, 2
	v_fma_f32 v45, -v11, v56, v45
	v_mov_b32_e32 v54, s44
	s_sub_i32 s44, s15, 26
	v_mov_b32_e32 v56, s48
	s_add_i32 s47, s44, s18
	v_fma_f32 v45, -v16, v62, v45
	s_lshl_b32 s47, s47, 2
	s_lshl_b32 s45, s45, 2
	v_mov_b32_e32 v58, s47
	s_add_i32 s47, s44, s24
	s_add_i32 s46, s43, s42
	s_lshl_b32 s47, s47, 2
	s_waitcnt lgkmcnt(1)
	v_fma_f32 v76, -v34, v78, v55
	v_fma_f32 v45, -v17, v64, v45
	ds_load_2addr_b32 v[54:55], v54 offset1:1
	ds_load_b32 v87, v56
	ds_load_2addr_b32 v[58:59], v58 offset1:1
	v_mov_b32_e32 v56, s47
	v_mov_b32_e32 v64, s45
	s_lshl_b32 s45, s46, 2
	s_add_i32 s46, s44, s13
	v_fma_f32 v45, -v21, v57, v45
	s_lshl_b32 s46, s46, 2
	ds_load_2addr_b32 v[56:57], v56 offset1:1
	v_mov_b32_e32 v60, s46
	s_add_i32 s47, s44, s25
	v_fma_f32 v45, -v22, v68, v45
	s_lshl_b32 s46, s47, 2
	v_mov_b32_e32 v68, s45
	v_mov_b32_e32 v62, s46
	ds_load_2addr_b32 v[60:61], v60 offset1:1
	s_add_i32 s46, s44, s12
	s_add_i32 s45, s44, s28
	s_lshl_b32 s46, s46, 2
	ds_load_2addr_b32 v[62:63], v62 offset1:1
	v_mov_b32_e32 v66, s46
	s_lshl_b32 s45, s45, 2
	v_fma_f32 v45, -v24, v84, v45
	s_waitcnt lgkmcnt(3)
	v_fma_f32 v59, -v3, v59, v90
	s_add_i32 s46, s44, s33
	ds_load_2addr_b32 v[66:67], v66 offset1:1
	ds_load_2addr_b32 v[70:71], v70 offset1:1
	;; [unrolled: 1-line block ×4, first 2 shown]
	v_mov_b32_e32 v64, s45
	s_add_i32 s45, s44, s11
	s_waitcnt lgkmcnt(6)
	v_fma_f32 v57, -v4, v57, v59
	s_lshl_b32 s45, s45, 2
	v_fma_f32 v45, -v26, v74, v45
	ds_load_2addr_b32 v[80:81], v64 offset1:1
	v_mov_b32_e32 v59, s45
	s_add_i32 s45, s44, s30
	s_waitcnt lgkmcnt(6)
	v_fma_f32 v57, -v5, v61, v57
	s_lshl_b32 s45, s45, 2
	v_fma_f32 v45, -v27, v86, v45
	ds_load_2addr_b32 v[82:83], v59 offset1:1
	v_mov_b32_e32 v59, s45
	s_add_i32 s45, s44, s10
	s_waitcnt lgkmcnt(6)
	v_fma_f32 v57, -v6, v63, v57
	s_lshl_b32 s45, s45, 2
	v_fma_f32 v45, -v29, v69, v45
	ds_load_2addr_b32 v[63:64], v59 offset1:1
	v_mov_b32_e32 v59, s45
	s_lshl_b32 s45, s46, 2
	s_waitcnt lgkmcnt(6)
	v_fma_f32 v57, -v9, v67, v57
	v_fma_f32 v45, -v30, v88, v45
	v_mov_b32_e32 v61, s45
	ds_load_2addr_b32 v[67:68], v59 offset1:1
	s_add_i32 s45, s44, s4
	s_waitcnt lgkmcnt(3)
	v_fma_f32 v57, -v11, v81, v57
	s_lshl_b32 s45, s45, 2
	v_fma_f32 v45, -v31, v75, v45
	ds_load_2addr_b32 v[74:75], v61 offset1:1
	v_mov_b32_e32 v59, s45
	s_add_i32 s46, s44, s35
	v_fma_f32 v53, -v36, v53, v76
	s_lshl_b32 s45, s46, 2
	s_waitcnt lgkmcnt(3)
	v_fma_f32 v57, -v16, v83, v57
	v_mov_b32_e32 v61, s45
	ds_load_2addr_b32 v[83:84], v59 offset1:1
	s_add_i32 s45, s44, s20
	v_fma_f32 v53, -v35, v71, v53
	s_lshl_b32 s45, s45, 2
	v_fma_f32 v45, -v33, v65, v45
	s_waitcnt lgkmcnt(3)
	v_fma_f32 v57, -v17, v64, v57
	ds_load_2addr_b32 v[64:65], v61 offset1:1
	v_mov_b32_e32 v59, s45
	s_add_i32 s45, s44, s37
	v_fma_f32 v45, -v34, v77, v45
	s_lshl_b32 s45, s45, 2
	s_waitcnt lgkmcnt(3)
	v_fma_f32 v57, -v21, v68, v57
	v_fma_f32 v61, -v38, v73, v53
	v_mov_b32_e32 v53, s45
	ds_load_2addr_b32 v[68:69], v59 offset1:1
	s_add_i32 s45, s44, s21
	v_fma_f32 v45, -v36, v52, v45
	s_lshl_b32 s45, s45, 2
	ds_load_2addr_b32 v[52:53], v53 offset1:1
	s_waitcnt lgkmcnt(4)
	v_fma_f32 v57, -v22, v75, v57
	v_mov_b32_e32 v59, s45
	s_add_i32 s46, s44, s39
	v_fma_f32 v45, -v35, v70, v45
	s_lshl_b32 s45, s46, 2
	s_waitcnt lgkmcnt(3)
	v_fma_f32 v57, -v24, v84, v57
	v_mov_b32_e32 v71, s45
	ds_load_2addr_b32 v[75:76], v59 offset1:1
	s_add_i32 s45, s44, s19
	s_add_i32 s46, s44, s41
	s_lshl_b32 s45, s45, 2
	ds_load_2addr_b32 v[84:85], v71 offset1:1
	s_waitcnt lgkmcnt(4)
	v_fma_f32 v57, -v26, v65, v57
	v_mov_b32_e32 v59, s45
	s_add_i32 s45, s44, s40
	v_fma_f32 v46, -v3, v58, v46
	s_lshl_b32 s45, s45, 2
	s_waitcnt lgkmcnt(3)
	v_fma_f32 v57, -v27, v69, v57
	v_mov_b32_e32 v65, s45
	ds_load_2addr_b32 v[69:70], v59 offset1:1
	s_add_i32 s45, s44, s22
	v_fma_f32 v59, -v39, v79, v61
	s_lshl_b32 s45, s45, 2
	v_fma_f32 v61, -v38, v72, v45
	s_waitcnt lgkmcnt(3)
	v_fma_f32 v45, -v29, v53, v57
	ds_load_2addr_b32 v[71:72], v65 offset1:1
	v_mov_b32_e32 v53, s45
	s_lshl_b32 s45, s46, 2
	v_fma_f32 v46, -v4, v56, v46
	s_waitcnt lgkmcnt(3)
	v_fma_f32 v45, -v30, v76, v45
	v_mov_b32_e32 v57, s45
	ds_load_2addr_b32 v[76:77], v53 offset1:1
	s_add_i32 s45, s44, s23
	v_fma_f32 v46, -v5, v60, v46
	s_lshl_b32 s45, s45, 2
	ds_load_2addr_b32 v[57:58], v57 offset1:1
	s_waitcnt lgkmcnt(4)
	v_fma_f32 v45, -v31, v85, v45
	v_mov_b32_e32 v53, s45
	s_add_i32 s45, s44, s42
	v_fma_f32 v46, -v6, v62, v46
	s_lshl_b32 s45, s45, 2
	s_waitcnt lgkmcnt(3)
	v_fma_f32 v65, -v33, v70, v45
	v_mov_b32_e32 v56, s45
	ds_load_2addr_b32 v[85:86], v53 offset1:1
	v_mul_f32_e32 v45, v55, v59
	s_sub_i32 s46, s15, 28
	s_waitcnt lgkmcnt(3)
	v_fma_f32 v59, -v34, v72, v65
	ds_load_2addr_b32 v[55:56], v56 offset1:1
	v_fma_f32 v53, -v39, v78, v61
	v_fma_f32 v46, -v9, v66, v46
	s_add_i32 s45, s46, s18
	s_add_i32 s47, s46, s13
	s_lshl_b32 s45, s45, 2
	v_fma_f32 v60, -v45, v54, v53
	s_waitcnt lgkmcnt(3)
	v_fma_f32 v53, -v36, v77, v59
	v_mov_b32_e32 v54, s45
	s_add_i32 s45, s46, s24
	s_lshl_b32 s47, s47, 2
	s_lshl_b32 s45, s45, 2
	s_waitcnt lgkmcnt(2)
	v_fma_f32 v53, -v35, v58, v53
	v_fma_f32 v58, -v11, v80, v46
	v_dual_mul_f32 v46, v87, v60 :: v_dual_mov_b32 v61, s45
	s_add_i32 s48, s46, s25
	s_waitcnt lgkmcnt(1)
	v_fma_f32 v59, -v38, v86, v53
	ds_load_2addr_b32 v[53:54], v54 offset1:1
	v_fma_f32 v60, -v16, v82, v58
	s_add_i32 s45, s44, s27
	s_lshl_b32 s43, s43, 5
	s_waitcnt lgkmcnt(1)
	v_fma_f32 v88, -v39, v56, v59
	ds_load_2addr_b32 v[58:59], v61 offset1:1
	v_fma_f32 v56, -v17, v63, v60
	v_mov_b32_e32 v60, s47
	s_lshl_b32 s47, s48, 2
	s_lshl_b32 s45, s45, 2
	v_mov_b32_e32 v62, s47
	v_fma_f32 v56, -v21, v67, v56
	ds_load_2addr_b32 v[60:61], v60 offset1:1
	v_mov_b32_e32 v86, s45
	s_add_i32 s45, s46, s12
	ds_load_2addr_b32 v[62:63], v62 offset1:1
	v_fma_f32 v56, -v22, v74, v56
	s_lshl_b32 s45, s45, 2
	s_add_i32 s47, s46, s11
	s_add_i32 s48, s46, s33
	s_waitcnt lgkmcnt(3)
	v_fma_f32 v51, -v3, v54, v51
	v_fma_f32 v54, -v24, v83, v56
	v_mov_b32_e32 v56, s45
	s_add_i32 s45, s46, s28
	v_fma_f32 v48, -v3, v53, v48
	s_lshl_b32 s45, s45, 2
	s_waitcnt lgkmcnt(2)
	v_fma_f32 v51, -v4, v59, v51
	ds_load_2addr_b32 v[65:66], v56 offset1:1
	v_mov_b32_e32 v56, s45
	s_lshl_b32 s45, s47, 2
	v_fma_f32 v54, -v26, v64, v54
	v_mov_b32_e32 v59, s45
	s_add_i32 s45, s46, s30
	ds_load_2addr_b32 v[72:73], v56 offset1:1
	s_waitcnt lgkmcnt(3)
	v_fma_f32 v51, -v5, v61, v51
	s_lshl_b32 s45, s45, 2
	ds_load_2addr_b32 v[77:78], v59 offset1:1
	v_mov_b32_e32 v56, s45
	s_add_i32 s45, s46, s10
	s_waitcnt lgkmcnt(3)
	v_fma_f32 v51, -v6, v63, v51
	s_lshl_b32 s45, s45, 2
	v_fma_f32 v54, -v27, v68, v54
	ds_load_2addr_b32 v[63:64], v56 offset1:1
	v_mov_b32_e32 v56, s45
	s_lshl_b32 s45, s48, 2
	s_add_i32 s47, s44, s43
	v_mov_b32_e32 v59, s45
	s_waitcnt lgkmcnt(3)
	v_fma_f32 v51, -v9, v66, v51
	s_add_i32 s45, s46, s4
	ds_load_2addr_b32 v[66:67], v56 offset1:1
	s_lshl_b32 s45, s45, 2
	v_fma_f32 v52, -v29, v52, v54
	v_mov_b32_e32 v54, s45
	s_waitcnt lgkmcnt(3)
	v_fma_f32 v51, -v11, v73, v51
	s_lshl_b32 s45, s47, 2
	s_add_i32 s47, s46, s35
	v_fma_f32 v52, -v30, v75, v52
	s_lshl_b32 s47, s47, 2
	s_waitcnt lgkmcnt(2)
	v_fma_f32 v51, -v16, v78, v51
	ds_load_2addr_b32 v[78:79], v54 offset1:1
	v_mov_b32_e32 v54, s47
	ds_load_2addr_b32 v[73:74], v59 offset1:1
	s_add_i32 s47, s46, s20
	s_waitcnt lgkmcnt(3)
	v_fma_f32 v51, -v17, v64, v51
	s_lshl_b32 s47, s47, 2
	ds_load_2addr_b32 v[80:81], v54 offset1:1
	v_dual_mov_b32 v54, s47 :: v_dual_mov_b32 v59, s45
	s_add_i32 s47, s46, s37
	s_waitcnt lgkmcnt(3)
	v_fma_f32 v51, -v21, v67, v51
	s_add_i32 s48, s44, s31
	ds_load_2addr_b32 v[67:68], v54 offset1:1
	s_lshl_b32 s47, s47, 2
	v_fma_f32 v52, -v31, v84, v52
	s_lshl_b32 s45, s48, 2
	s_delay_alu instid0(SALU_CYCLE_1)
	v_dual_mov_b32 v54, s47 :: v_dual_mov_b32 v61, s45
	s_add_i32 s47, s46, s21
	s_add_i32 s48, s46, s39
	s_lshl_b32 s47, s47, 2
	v_fma_f32 v52, -v33, v69, v52
	s_waitcnt lgkmcnt(2)
	v_fma_f32 v51, -v22, v74, v51
	ds_load_2addr_b32 v[69:70], v54 offset1:1
	s_lshl_b32 s48, s48, 2
	v_mov_b32_e32 v54, s47
	v_mov_b32_e32 v56, s48
	v_fma_f32 v51, -v24, v79, v51
	v_fma_f32 v52, -v34, v71, v52
	s_add_i32 s45, s46, s19
	s_add_i32 s47, s29, 0xfffff298
	s_lshl_b32 s45, s45, 2
	s_waitcnt lgkmcnt(2)
	v_fma_f32 v51, -v26, v81, v51
	ds_load_2addr_b32 v[74:75], v54 offset1:1
	ds_load_2addr_b32 v[81:82], v56 offset1:1
	v_fma_f32 v64, -v36, v76, v52
	v_mov_b32_e32 v56, s45
	s_add_i32 s45, s46, s40
	s_waitcnt lgkmcnt(3)
	v_fma_f32 v54, -v27, v68, v51
	ds_load_2addr_b32 v[51:52], v86 offset1:1
	s_lshl_b32 s45, s45, 2
	v_fma_f32 v64, -v35, v57, v64
	ds_load_2addr_b32 v[56:57], v56 offset1:1
	v_mov_b32_e32 v76, s45
	v_mov_b32_e32 v68, s47
	s_add_i32 s47, s46, s22
	s_waitcnt lgkmcnt(4)
	v_fma_f32 v54, -v29, v70, v54
	s_lshl_b32 s45, s47, 2
	ds_load_2addr_b32 v[70:71], v59 offset1:1
	ds_load_2addr_b32 v[83:84], v61 offset1:1
	ds_load_b32 v59, v68
	v_mov_b32_e32 v61, s45
	ds_load_2addr_b32 v[86:87], v76 offset1:1
	s_add_i32 s45, s46, s41
	s_add_i32 s47, s46, s42
	s_lshl_b32 s45, s45, 2
	s_waitcnt lgkmcnt(7)
	v_fma_f32 v54, -v30, v75, v54
	v_mov_b32_e32 v68, s45
	ds_load_2addr_b32 v[75:76], v61 offset1:1
	s_add_i32 s45, s46, s23
	v_fma_f32 v48, -v4, v58, v48
	s_lshl_b32 s45, s45, 2
	s_waitcnt lgkmcnt(6)
	v_fma_f32 v52, -v45, v52, v88
	ds_load_2addr_b32 v[88:89], v68 offset1:1
	v_fma_f32 v61, -v38, v85, v64
	v_fma_f32 v54, -v31, v82, v54
	v_mov_b32_e32 v64, s45
	s_lshl_b32 s45, s47, 2
	s_waitcnt lgkmcnt(5)
	v_fma_f32 v52, -v46, v71, v52
	s_lshl_b32 s44, s44, 5
	v_fma_f32 v54, -v33, v57, v54
	v_mov_b32_e32 v57, s45
	ds_load_2addr_b32 v[90:91], v64 offset1:1
	s_add_i32 s45, s46, s27
	v_or_b32_e32 v50, s33, v0
	s_lshl_b32 s45, s45, 2
	ds_load_2addr_b32 v[92:93], v57 offset1:1
	s_waitcnt lgkmcnt(4)
	v_fma_f32 v54, -v34, v87, v54
	v_mov_b32_e32 v64, s45
	s_add_i32 s45, s46, s43
	v_fma_f32 v57, -v39, v55, v61
	s_lshl_b32 s45, s45, 2
	s_waitcnt lgkmcnt(3)
	v_fma_f32 v61, -v36, v76, v54
	ds_load_2addr_b32 v[54:55], v64 offset1:1
	v_mov_b32_e32 v68, s45
	v_fma_f32 v57, -v45, v51, v57
	v_mul_f32_e32 v51, v84, v52
	s_waitcnt lgkmcnt(3)
	v_fma_f32 v61, -v35, v89, v61
	s_add_i32 s45, s46, s31
	ds_load_2addr_b32 v[94:95], v68 offset1:1
	v_fma_f32 v52, -v46, v70, v57
	v_fma_f32 v57, -v5, v60, v48
	s_waitcnt lgkmcnt(3)
	v_fma_f32 v53, -v38, v91, v61
	s_lshl_b32 s45, s45, 2
	v_or_b32_e32 v64, s37, v0
	v_fma_f32 v52, -v51, v83, v52
	v_lshlrev_b32_e32 v50, 2, v50
	s_waitcnt lgkmcnt(2)
	v_fma_f32 v53, -v39, v93, v53
	v_lshlrev_b32_e32 v102, 2, v64
	v_mul_f32_e32 v48, v59, v52
	s_waitcnt lgkmcnt(1)
	s_delay_alu instid0(VALU_DEP_3)
	v_fma_f32 v52, -v45, v55, v53
	v_mov_b32_e32 v55, s45
	s_sub_i32 s45, s15, 30
	v_fma_f32 v53, -v6, v62, v57
	s_add_i32 s47, s45, s18
	s_add_i32 s48, s45, s13
	s_lshl_b32 s47, s47, 2
	s_waitcnt lgkmcnt(0)
	v_fma_f32 v93, -v46, v95, v52
	v_fma_f32 v57, -v9, v65, v53
	ds_load_2addr_b32 v[52:53], v55 offset1:1
	v_mov_b32_e32 v55, s47
	s_add_i32 s47, s45, s24
	s_add_i32 s49, s45, s35
	v_fma_f32 v61, -v11, v72, v57
	s_lshl_b32 s47, s47, 2
	ds_load_2addr_b32 v[57:58], v55 offset1:1
	v_mov_b32_e32 v55, s47
	s_lshl_b32 s47, s48, 2
	s_add_i32 s48, s46, s44
	v_mov_b32_e32 v62, s47
	s_add_i32 s47, s45, s25
	ds_load_2addr_b32 v[59:60], v55 offset1:1
	s_lshl_b32 s47, s47, 2
	s_lshl_b32 s48, s48, 2
	v_mov_b32_e32 v64, s47
	s_add_i32 s47, s45, s12
	s_delay_alu instid0(SALU_CYCLE_1) | instskip(NEXT) | instid1(SALU_CYCLE_1)
	s_lshl_b32 s47, s47, 2
	v_mov_b32_e32 v65, s47
	s_add_i32 s47, s45, s28
	s_delay_alu instid0(SALU_CYCLE_1) | instskip(SKIP_4) | instid1(SALU_CYCLE_1)
	s_lshl_b32 s47, s47, 2
	s_waitcnt lgkmcnt(1)
	v_fma_f32 v47, -v3, v58, v47
	v_mov_b32_e32 v58, s47
	s_add_i32 s47, s45, s11
	s_lshl_b32 s47, s47, 2
	ds_load_2addr_b32 v[70:71], v58 offset1:1
	v_fma_f32 v55, -v16, v77, v61
	ds_load_2addr_b32 v[61:62], v62 offset1:1
	s_waitcnt lgkmcnt(2)
	v_fma_f32 v47, -v4, v60, v47
	v_mov_b32_e32 v60, s47
	s_add_i32 s47, s45, s30
	v_fma_f32 v55, -v17, v63, v55
	ds_load_2addr_b32 v[63:64], v64 offset1:1
	s_lshl_b32 s47, s47, 2
	v_mov_b32_e32 v58, s48
	s_add_i32 s48, s45, s4
	v_fma_f32 v55, -v21, v66, v55
	ds_load_2addr_b32 v[65:66], v65 offset1:1
	s_lshl_b32 s48, s48, 2
	v_fma_f32 v55, -v22, v73, v55
	ds_load_2addr_b32 v[72:73], v60 offset1:1
	v_mov_b32_e32 v60, s47
	s_add_i32 s47, s45, s10
	v_fma_f32 v55, -v24, v78, v55
	s_waitcnt lgkmcnt(3)
	v_fma_f32 v47, -v5, v62, v47
	s_lshl_b32 s47, s47, 2
	ds_load_2addr_b32 v[76:77], v60 offset1:1
	v_mov_b32_e32 v60, s47
	v_fma_f32 v55, -v26, v80, v55
	s_waitcnt lgkmcnt(3)
	v_fma_f32 v47, -v6, v64, v47
	s_add_i32 s47, s45, s33
	s_delay_alu instid0(SALU_CYCLE_1)
	s_lshl_b32 s47, s47, 2
	v_fma_f32 v55, -v27, v67, v55
	s_waitcnt lgkmcnt(2)
	v_fma_f32 v47, -v9, v66, v47
	ds_load_2addr_b32 v[66:67], v60 offset1:1
	v_mov_b32_e32 v60, s47
	s_add_i32 s47, s46, s34
	v_fma_f32 v55, -v29, v69, v55
	v_fma_f32 v47, -v11, v71, v47
	s_lshl_b32 s47, s47, 2
	ds_load_2addr_b32 v[68:69], v60 offset1:1
	v_mov_b32_e32 v60, s48
	s_lshl_b32 s48, s49, 2
	s_waitcnt lgkmcnt(3)
	v_fma_f32 v47, -v16, v73, v47
	v_fma_f32 v55, -v30, v74, v55
	v_mov_b32_e32 v62, s48
	ds_load_2addr_b32 v[73:74], v60 offset1:1
	s_add_i32 s48, s45, s20
	s_waitcnt lgkmcnt(3)
	v_fma_f32 v47, -v17, v77, v47
	s_lshl_b32 s48, s48, 2
	ds_load_2addr_b32 v[77:78], v62 offset1:1
	v_fma_f32 v55, -v31, v81, v55
	v_mov_b32_e32 v62, s48
	v_mov_b32_e32 v60, s47
	s_add_i32 s47, s45, s37
	s_waitcnt lgkmcnt(3)
	v_fma_f32 v47, -v21, v67, v47
	v_fma_f32 v64, -v33, v56, v55
	ds_load_2addr_b32 v[55:56], v62 offset1:1
	s_lshl_b32 s47, s47, 2
	s_add_i32 s48, s45, s21
	v_mov_b32_e32 v62, s47
	s_waitcnt lgkmcnt(3)
	v_fma_f32 v47, -v22, v69, v47
	s_lshl_b32 s47, s48, 2
	v_fma_f32 v64, -v34, v86, v64
	v_mov_b32_e32 v67, s47
	s_add_i32 s47, s45, s39
	ds_load_2addr_b32 v[79:80], v62 offset1:1
	s_lshl_b32 s47, s47, 2
	s_waitcnt lgkmcnt(3)
	v_fma_f32 v47, -v24, v74, v47
	v_fma_f32 v62, -v36, v75, v64
	v_mov_b32_e32 v64, s47
	s_add_i32 s47, s45, s19
	ds_load_2addr_b32 v[74:75], v67 offset1:1
	s_lshl_b32 s47, s47, 2
	s_waitcnt lgkmcnt(3)
	v_fma_f32 v47, -v26, v78, v47
	ds_load_2addr_b32 v[81:82], v64 offset1:1
	v_mov_b32_e32 v64, s47
	s_add_i32 s47, s45, s40
	v_fma_f32 v62, -v35, v88, v62
	s_lshl_b32 s47, s47, 2
	s_waitcnt lgkmcnt(3)
	v_fma_f32 v47, -v27, v56, v47
	v_mov_b32_e32 v56, s47
	s_add_i32 s47, s45, s22
	ds_load_2addr_b32 v[83:84], v64 offset1:1
	s_lshl_b32 s47, s47, 2
	v_fma_f32 v62, -v38, v90, v62
	ds_load_2addr_b32 v[85:86], v56 offset1:1
	v_mov_b32_e32 v64, s47
	s_add_i32 s47, s45, s41
	s_waitcnt lgkmcnt(4)
	v_fma_f32 v47, -v29, v80, v47
	s_lshl_b32 s47, s47, 2
	v_fma_f32 v56, -v39, v92, v62
	v_mov_b32_e32 v62, s47
	ds_load_2addr_b32 v[87:88], v64 offset1:1
	s_waitcnt lgkmcnt(4)
	v_fma_f32 v47, -v30, v75, v47
	s_add_i32 s47, s29, 0xfffff190
	ds_load_2addr_b32 v[91:92], v58 offset1:1
	ds_load_2addr_b32 v[89:90], v62 offset1:1
	v_mov_b32_e32 v64, s47
	s_add_i32 s47, s45, s23
	s_waitcnt lgkmcnt(5)
	v_fma_f32 v47, -v31, v82, v47
	s_lshl_b32 s47, s47, 2
	v_fma_f32 v54, -v45, v54, v56
	v_mov_b32_e32 v62, s47
	s_add_i32 s47, s45, s42
	s_waitcnt lgkmcnt(4)
	v_fma_f32 v47, -v33, v84, v47
	s_lshl_b32 s47, s47, 2
	ds_load_2addr_b32 v[95:96], v60 offset1:1
	ds_load_b32 v56, v64
	ds_load_2addr_b32 v[97:98], v62 offset1:1
	v_fma_f32 v58, -v51, v53, v93
	v_mov_b32_e32 v53, s47
	s_add_i32 s47, s45, s27
	s_add_i32 s48, s45, s43
	s_lshl_b32 s47, s47, 2
	s_waitcnt lgkmcnt(6)
	v_fma_f32 v47, -v34, v86, v47
	v_fma_f32 v60, -v46, v94, v54
	s_lshl_b32 s48, s48, 2
	ds_load_2addr_b32 v[53:54], v53 offset1:1
	v_mov_b32_e32 v62, s47
	v_mov_b32_e32 v64, s48
	s_waitcnt lgkmcnt(6)
	v_fma_f32 v47, -v36, v88, v47
	s_waitcnt lgkmcnt(5)
	v_fma_f32 v58, -v48, v92, v58
	ds_load_2addr_b32 v[92:93], v62 offset1:1
	ds_load_2addr_b32 v[99:100], v64 offset1:1
	v_fma_f32 v52, -v51, v52, v60
	s_waitcnt lgkmcnt(6)
	v_fma_f32 v47, -v35, v90, v47
	ds_store_b32 v8, v3 offset:4096
	ds_store_b32 v10, v5 offset:4096
	;; [unrolled: 1-line block ×8, first 2 shown]
	s_waitcnt lgkmcnt(13)
	v_mul_f32_e32 v14, v96, v58
	v_lshlrev_b32_e32 v8, 2, v103
	v_fma_f32 v10, -v48, v91, v52
	s_waitcnt lgkmcnt(11)
	v_fma_f32 v47, -v38, v98, v47
	ds_store_b32 v42, v4 offset:4096
	ds_store_b32 v43, v6 offset:4096
	;; [unrolled: 1-line block ×8, first 2 shown]
	s_add_i32 s47, s45, s36
	s_add_i32 s49, s29, 0xfffff088
	v_fma_f32 v8, -v14, v95, v10
	s_lshl_b32 s47, s47, 2
	v_mov_b32_e32 v18, s49
	s_waitcnt lgkmcnt(18)
	v_fma_f32 v12, -v39, v54, v47
	s_add_i32 s48, s45, s31
	v_mul_f32_e32 v82, v56, v8
	s_lshl_b32 s46, s46, 5
	s_lshl_b32 s48, s48, 2
	s_waitcnt lgkmcnt(17)
	v_fma_f32 v10, -v45, v93, v12
	v_fma_f32 v12, -v3, v57, v41
	v_mov_b32_e32 v69, s48
	v_or_b32_e32 v47, s40, v0
	v_or_b32_e32 v52, s41, v0
	s_waitcnt lgkmcnt(16)
	v_fma_f32 v8, -v46, v100, v10
	v_fma_f32 v10, -v4, v59, v12
	v_mov_b32_e32 v12, s47
	s_sub_i32 s47, s15, 32
	s_delay_alu instid0(SALU_CYCLE_1)
	s_add_i32 s18, s47, s18
	s_add_i32 s24, s47, s24
	s_lshl_b32 s18, s18, 2
	s_add_i32 s13, s47, s13
	v_mov_b32_e32 v19, s18
	s_lshl_b32 s18, s24, 2
	ds_load_2addr_b32 v[12:13], v12 offset1:1
	ds_load_b32 v84, v18
	ds_load_2addr_b32 v[18:19], v19 offset1:1
	v_mov_b32_e32 v20, s18
	v_fma_f32 v10, -v5, v61, v10
	s_lshl_b32 s13, s13, 2
	s_add_i32 s24, s47, s25
	s_add_i32 s11, s47, s11
	ds_load_2addr_b32 v[41:42], v20 offset1:1
	v_mov_b32_e32 v20, s13
	v_fma_f32 v10, -v6, v63, v10
	s_lshl_b32 s13, s24, 2
	s_lshl_b32 s11, s11, 2
	v_mov_b32_e32 v49, s13
	ds_load_2addr_b32 v[43:44], v20 offset1:1
	s_add_i32 s12, s47, s12
	v_fma_f32 v10, -v9, v65, v10
	s_lshl_b32 s12, s12, 2
	ds_load_2addr_b32 v[49:50], v49 offset1:1
	s_add_i32 s10, s47, s10
	s_add_i32 s4, s47, s4
	v_fma_f32 v10, -v11, v70, v10
	s_waitcnt lgkmcnt(3)
	v_fma_f32 v40, -v3, v19, v40
	s_lshl_b32 s10, s10, 2
	s_lshl_b32 s4, s4, 2
	s_add_i32 s18, s45, s44
	v_fma_f32 v10, -v16, v72, v10
	s_lshl_b32 s13, s18, 2
	s_waitcnt lgkmcnt(2)
	v_fma_f32 v40, -v4, v42, v40
	v_mov_b32_e32 v42, s11
	s_add_i32 s11, s47, s30
	v_fma_f32 v10, -v17, v76, v10
	s_lshl_b32 s11, s11, 2
	v_fma_f32 v3, -v3, v18, v37
	ds_load_2addr_b32 v[58:59], v42 offset1:1
	v_mov_b32_e32 v20, s12
	s_add_i32 s12, s47, s28
	s_waitcnt lgkmcnt(2)
	v_fma_f32 v40, -v5, v44, v40
	s_lshl_b32 s12, s12, 2
	v_mov_b32_e32 v44, s11
	ds_load_2addr_b32 v[19:20], v20 offset1:1
	v_mov_b32_e32 v54, s12
	v_fma_f32 v10, -v21, v66, v10
	s_waitcnt lgkmcnt(2)
	v_fma_f32 v40, -v6, v50, v40
	ds_load_2addr_b32 v[60:61], v44 offset1:1
	v_mov_b32_e32 v44, s10
	ds_load_2addr_b32 v[56:57], v54 offset1:1
	s_add_i32 s10, s47, s33
	v_fma_f32 v10, -v22, v68, v10
	s_lshl_b32 s10, s10, 2
	s_add_i32 s11, s45, s34
	ds_load_2addr_b32 v[62:63], v44 offset1:1
	v_mov_b32_e32 v50, s4
	v_fma_f32 v10, -v24, v73, v10
	s_add_i32 s4, s47, s20
	v_mov_b32_e32 v42, s13
	s_lshl_b32 s4, s4, 2
	s_delay_alu instid0(VALU_DEP_2)
	v_fma_f32 v10, -v26, v77, v10
	s_waitcnt lgkmcnt(3)
	v_fma_f32 v20, -v9, v20, v40
	v_mov_b32_e32 v40, s10
	s_lshl_b32 s10, s11, 2
	v_fma_f32 v10, -v27, v55, v10
	s_add_i32 s11, s45, s46
	ds_load_2addr_b32 v[64:65], v40 offset1:1
	v_mov_b32_e32 v40, s10
	s_add_i32 s10, s47, s35
	s_waitcnt lgkmcnt(2)
	v_fma_f32 v20, -v11, v57, v20
	s_lshl_b32 s10, s10, 2
	s_lshl_b32 s11, s11, 2
	v_mov_b32_e32 v57, s10
	ds_load_2addr_b32 v[54:55], v50 offset1:1
	ds_load_2addr_b32 v[66:67], v57 offset1:1
	v_fma_f32 v20, -v16, v59, v20
	s_add_i32 s10, s47, s37
	v_mov_b32_e32 v44, s11
	v_mov_b32_e32 v50, s4
	s_lshl_b32 s4, s10, 2
	v_fma_f32 v20, -v17, v61, v20
	ds_load_2addr_b32 v[68:69], v69 offset1:1
	ds_load_2addr_b32 v[70:71], v42 offset1:1
	;; [unrolled: 1-line block ×4, first 2 shown]
	v_mov_b32_e32 v40, s4
	s_add_i32 s4, s47, s21
	v_fma_f32 v10, -v29, v79, v10
	s_waitcnt lgkmcnt(7)
	v_fma_f32 v20, -v21, v63, v20
	ds_load_2addr_b32 v[77:78], v50 offset1:1
	ds_load_2addr_b32 v[79:80], v40 offset1:1
	v_fma_f32 v40, -v4, v41, v3
	s_lshl_b32 s4, s4, 2
	s_waitcnt lgkmcnt(8)
	v_fma_f32 v20, -v22, v65, v20
	s_add_i32 s10, s47, s39
	v_mov_b32_e32 v18, s4
	s_lshl_b32 s4, s10, 2
	v_fma_f32 v5, -v5, v43, v40
	v_mov_b32_e32 v37, s4
	s_waitcnt lgkmcnt(7)
	v_fma_f32 v20, -v24, v55, v20
	s_add_i32 s4, s47, s19
	ds_load_2addr_b32 v[3:4], v18 offset1:1
	s_lshl_b32 s4, s4, 2
	ds_load_2addr_b32 v[40:41], v37 offset1:1
	v_fma_f32 v37, -v6, v49, v5
	s_waitcnt lgkmcnt(8)
	v_fma_f32 v18, -v26, v67, v20
	v_mov_b32_e32 v20, s4
	s_add_i32 s4, s47, s40
	v_fma_f32 v10, -v30, v74, v10
	s_lshl_b32 s4, s4, 2
	v_fma_f32 v9, -v9, v19, v37
	v_mov_b32_e32 v19, s4
	ds_load_2addr_b32 v[5:6], v20 offset1:1
	s_waitcnt lgkmcnt(8)
	v_fma_f32 v20, -v51, v69, v8
	v_fma_f32 v10, -v31, v81, v10
	;; [unrolled: 1-line block ×3, first 2 shown]
	ds_load_2addr_b32 v[8:9], v19 offset1:1
	s_waitcnt lgkmcnt(5)
	v_fma_f32 v18, -v27, v78, v18
	s_add_i32 s4, s47, s22
	v_fma_f32 v10, -v33, v83, v10
	v_fma_f32 v11, -v16, v58, v11
	s_lshl_b32 s4, s4, 2
	s_waitcnt lgkmcnt(4)
	v_fma_f32 v18, -v29, v80, v18
	v_mov_b32_e32 v16, s4
	v_fma_f32 v10, -v34, v85, v10
	v_fma_f32 v17, -v17, v60, v11
	s_add_i32 s4, s47, s41
	s_waitcnt lgkmcnt(3)
	v_fma_f32 v4, -v30, v4, v18
	s_lshl_b32 s4, s4, 2
	v_fma_f32 v10, -v36, v87, v10
	s_add_i32 s10, s47, s23
	v_fma_f32 v37, -v48, v71, v20
	s_waitcnt lgkmcnt(2)
	v_fma_f32 v4, -v31, v41, v4
	s_add_i32 s11, s47, s46
	v_fma_f32 v18, -v35, v89, v10
	ds_load_2addr_b32 v[10:11], v16 offset1:1
	v_mov_b32_e32 v16, s4
	s_waitcnt lgkmcnt(2)
	v_fma_f32 v4, -v33, v6, v4
	v_fma_f32 v6, -v21, v62, v17
	s_lshl_b32 s4, s10, 2
	s_add_i32 s10, s47, s42
	v_mov_b32_e32 v19, s4
	ds_load_2addr_b32 v[16:17], v16 offset1:1
	v_fma_f32 v6, -v22, v64, v6
	s_lshl_b32 s4, s10, 2
	v_fma_f32 v20, -v38, v97, v18
	ds_load_2addr_b32 v[18:19], v19 offset1:1
	v_mov_b32_e32 v21, s4
	v_fma_f32 v6, -v24, v54, v6
	s_waitcnt lgkmcnt(3)
	v_fma_f32 v4, -v34, v9, v4
	s_add_i32 s4, s47, s27
	v_fma_f32 v9, -v39, v53, v20
	ds_load_2addr_b32 v[20:21], v21 offset1:1
	v_fma_f32 v6, -v26, v66, v6
	s_lshl_b32 s4, s4, 2
	s_waitcnt lgkmcnt(3)
	v_fma_f32 v4, -v36, v11, v4
	v_mov_b32_e32 v11, s4
	s_add_i32 s10, s47, s43
	v_fma_f32 v6, -v27, v77, v6
	s_lshl_b32 s4, s10, 2
	v_fma_f32 v9, -v45, v92, v9
	v_mov_b32_e32 v22, s4
	ds_load_2addr_b32 v[26:27], v11 offset1:1
	v_fma_f32 v6, -v29, v79, v6
	s_waitcnt lgkmcnt(3)
	v_fma_f32 v11, -v35, v17, v4
	s_add_i32 s4, s47, s31
	s_add_i32 s10, s47, s44
	s_lshl_b32 s4, s4, 2
	v_fma_f32 v6, -v30, v3, v6
	ds_load_2addr_b32 v[3:4], v22 offset1:1
	s_waitcnt lgkmcnt(3)
	v_fma_f32 v11, -v38, v19, v11
	s_lshl_b32 s10, s10, 2
	v_fma_f32 v9, -v46, v99, v9
	v_fma_f32 v6, -v31, v40, v6
	v_mov_b32_e32 v19, s10
	s_waitcnt lgkmcnt(2)
	v_fma_f32 v11, -v39, v21, v11
	s_add_i32 s10, s47, s34
	v_fma_f32 v21, -v51, v68, v9
	v_fma_f32 v5, -v33, v5, v6
	v_mov_b32_e32 v6, s4
	s_lshl_b32 s10, s10, 2
	v_fma_f32 v17, -v14, v73, v37
	s_waitcnt lgkmcnt(1)
	v_fma_f32 v11, -v45, v27, v11
	v_fma_f32 v22, -v34, v8, v5
	ds_load_2addr_b32 v[5:6], v6 offset1:1
	ds_load_2addr_b32 v[8:9], v19 offset1:1
	s_lshl_b32 s4, s45, 5
	v_fma_f32 v24, -v82, v76, v17
	v_fma_f32 v19, -v48, v70, v21
	;; [unrolled: 1-line block ×3, first 2 shown]
	s_waitcnt lgkmcnt(2)
	v_fma_f32 v4, -v46, v4, v11
	v_mov_b32_e32 v11, s10
	s_lshl_b32 s10, s11, 2
	s_add_i32 s11, s47, s36
	v_fma_f32 v10, -v35, v16, v10
	v_mov_b32_e32 v17, s10
	s_lshl_b32 s10, s11, 2
	v_fma_f32 v21, -v14, v72, v19
	v_mul_f32_e32 v13, v13, v24
	v_fma_f32 v16, -v38, v18, v10
	ds_load_2addr_b32 v[10:11], v11 offset1:1
	v_fma_f32 v18, -v39, v20, v16
	ds_load_2addr_b32 v[16:17], v17 offset1:1
	s_waitcnt lgkmcnt(3)
	v_fma_f32 v4, -v51, v6, v4
	v_mov_b32_e32 v6, s10
	s_add_i32 s10, s47, s4
	v_fma_f32 v20, -v45, v26, v18
	s_lshl_b32 s10, s10, 2
	s_waitcnt lgkmcnt(2)
	v_fma_f32 v9, -v48, v9, v4
	v_mov_b32_e32 v22, s10
	ds_load_2addr_b32 v[18:19], v6 offset1:1
	v_fma_f32 v6, -v46, v3, v20
	s_add_i32 s10, s47, s38
	v_fma_f32 v20, -v82, v75, v21
	ds_load_2addr_b32 v[3:4], v22 offset1:1
	s_lshl_b32 s10, s10, 2
	v_fma_f32 v5, -v51, v5, v6
	v_mov_b32_e32 v6, s10
	s_waitcnt lgkmcnt(3)
	v_fma_f32 v9, -v14, v11, v9
	v_fma_f32 v12, -v13, v12, v20
	s_add_i32 s10, s29, 0xffffef80
	v_fma_f32 v8, -v48, v8, v5
	ds_load_2addr_b32 v[5:6], v6 offset1:1
	s_waitcnt lgkmcnt(3)
	v_fma_f32 v9, -v82, v17, v9
	v_dual_mul_f32 v12, v84, v12 :: v_dual_lshlrev_b32 v11, 2, v47
	v_fma_f32 v8, -v14, v10, v8
	v_or_b32_e32 v10, s42, v0
	v_or_b32_e32 v20, s4, v0
	v_lshlrev_b32_e32 v17, 2, v52
	s_waitcnt lgkmcnt(2)
	v_fma_f32 v9, -v13, v19, v9
	v_fma_f32 v8, -v82, v16, v8
	v_mov_b32_e32 v16, s10
	v_or_b32_e32 v19, s43, v0
	v_lshlrev_b32_e32 v10, 2, v10
	s_waitcnt lgkmcnt(1)
	v_fma_f32 v4, -v12, v4, v9
	v_fma_f32 v8, -v13, v18, v8
	ds_load_b32 v9, v16
	v_or_b32_e32 v16, s44, v0
	v_or_b32_e32 v18, s46, v0
	s_sub_i32 s4, s15, 33
	v_fma_f32 v3, -v12, v3, v8
	s_waitcnt lgkmcnt(1)
	v_mul_f32_e32 v4, v6, v4
	v_lshlrev_b32_e32 v6, 2, v19
	v_lshlrev_b32_e32 v8, 2, v16
	;; [unrolled: 1-line block ×4, first 2 shown]
	v_fma_f32 v3, -v4, v5, v3
	v_lshlrev_b32_e32 v5, 2, v0
	ds_store_b32 v1, v33 offset:4096
	ds_store_b32 v2, v36 offset:4096
	;; [unrolled: 1-line block ×8, first 2 shown]
	v_lshl_or_b32 v2, s47, 7, v5
	s_waitcnt lgkmcnt(8)
	v_mul_f32_e32 v1, v9, v3
	ds_store_b32 v11, v34 offset:4096
	ds_store_b32 v17, v35 offset:4096
	ds_store_b32 v10, v39 offset:4096
	ds_store_b32 v6, v46 offset:4096
	ds_store_b32 v8, v48 offset:4096
	ds_store_b32 v16, v82 offset:4096
	ds_store_b32 v18, v12 offset:4096
	ds_store_b32 v2, v1 offset:4096
.LBB36_41:
	s_cmp_gt_i32 s4, -1
	s_cbranch_scc0 .LBB36_60
; %bb.42:
	s_cmp_lt_u32 s4, 27
	s_cbranch_scc1 .LBB36_47
; %bb.43:
	s_lshl_b32 s10, s4, 5
	s_cmp_le_i32 s26, s4
	v_or_b32_e32 v1, s10, v0
	s_delay_alu instid0(VALU_DEP_1) | instskip(NEXT) | instid1(VALU_DEP_1)
	v_lshlrev_b32_e32 v29, 2, v1
	v_add_nc_u32_e32 v1, 0xe00, v29
	v_add_nc_u32_e32 v2, 0xc00, v29
	;; [unrolled: 1-line block ×7, first 2 shown]
	ds_load_2addr_b32 v[27:28], v1 offset0:96 offset1:128
	ds_load_2addr_b32 v[25:26], v2 offset0:160 offset1:192
	;; [unrolled: 1-line block ×14, first 2 shown]
	s_cbranch_scc1 .LBB36_46
; %bb.44:
	s_lshl_b32 s11, s15, 7
	s_lshl_b32 s12, s4, 2
	v_lshl_or_b32 v30, v0, 2, s11
	s_add_i32 s11, s11, s12
	s_mov_b32 s12, s26
	s_addk_i32 s11, 0xff14
	s_delay_alu instid0(VALU_DEP_1)
	v_add_nc_u32_e32 v30, 0xf80, v30
.LBB36_45:                              ; =>This Inner Loop Header: Depth=1
	v_mov_b32_e32 v57, s11
	ds_load_b32 v59, v30
	v_add_nc_u32_e32 v30, 0xffffff80, v30
	s_add_i32 s12, s12, -1
	s_addk_i32 s11, 0xff80
	ds_load_2addr_b32 v[31:32], v57 offset0:26 offset1:27
	ds_load_2addr_b32 v[33:34], v57 offset0:24 offset1:25
	;; [unrolled: 1-line block ×13, first 2 shown]
	ds_load_2addr_b32 v[57:58], v57 offset1:1
	s_cmp_gt_i32 s12, s4
	s_waitcnt lgkmcnt(13)
	v_fma_f32 v28, -v59, v32, v28
	v_fma_f32 v27, -v59, v31, v27
	s_waitcnt lgkmcnt(12)
	v_fma_f32 v26, -v59, v34, v26
	v_fma_f32 v25, -v59, v33, v25
	;; [unrolled: 3-line block ×14, first 2 shown]
	s_cbranch_scc1 .LBB36_45
.LBB36_46:
	s_add_i32 s13, s4, -1
	s_add_i32 s19, s4, -3
	s_add_i32 s12, s13, s10
	s_mul_i32 s11, s4, 0x84
	s_lshl_b32 s18, s12, 2
	s_delay_alu instid0(SALU_CYCLE_1)
	v_dual_mov_b32 v30, s18 :: v_dual_add_nc_u32 v29, 0x1000, v29
	s_add_i32 s21, s19, s10
	s_add_i32 s18, s11, 0xffffff7c
	s_lshl_b32 s13, s13, 5
	s_lshl_b32 s21, s21, 2
	ds_load_2addr_b32 v[30:31], v30 offset1:1
	v_dual_mov_b32 v32, s18 :: v_dual_mov_b32 v33, s21
	s_add_i32 s20, s4, -5
	s_add_i32 s18, s19, s13
	s_add_i32 s21, s20, s10
	s_lshl_b32 s18, s18, 2
	s_sub_i32 s12, s10, 64
	ds_load_b32 v40, v32
	ds_load_2addr_b32 v[32:33], v33 offset1:1
	s_lshl_b32 s21, s21, 2
	s_delay_alu instid0(SALU_CYCLE_1)
	v_dual_mov_b32 v34, s18 :: v_dual_mov_b32 v39, s21
	s_add_i32 s22, s19, s12
	s_add_i32 s23, s11, 0xfffffe74
	s_lshl_b32 s18, s22, 2
	ds_load_2addr_b32 v[34:35], v34 offset1:1
	v_mov_b32_e32 v36, s18
	s_add_i32 s18, s20, s13
	s_add_i32 s21, s20, s12
	s_lshl_b32 s18, s18, 2
	v_mov_b32_e32 v38, s23
	s_waitcnt lgkmcnt(3)
	v_mul_f32_e32 v28, v31, v28
	ds_load_2addr_b32 v[36:37], v36 offset1:1
	v_mov_b32_e32 v31, s18
	ds_load_b32 v41, v38
	ds_load_2addr_b32 v[38:39], v39 offset1:1
	v_fma_f32 v27, -v28, v30, v27
	s_lshl_b32 s21, s21, 2
	ds_load_2addr_b32 v[30:31], v31 offset1:1
	s_waitcnt lgkmcnt(5)
	v_fma_f32 v33, -v28, v33, v26
	v_fma_f32 v25, -v28, v32, v25
	v_mul_f32_e32 v26, v40, v27
	v_mov_b32_e32 v32, s21
	s_add_i32 s18, s10, 0xffffff80
	s_lshl_b32 s19, s19, 5
	s_add_i32 s22, s4, -7
	s_waitcnt lgkmcnt(4)
	v_fma_f32 v27, -v26, v35, v33
	ds_load_2addr_b32 v[32:33], v32 offset1:1
	v_fma_f32 v34, -v26, v34, v25
	s_add_i32 s23, s20, s18
	s_add_i32 s21, s20, s19
	;; [unrolled: 1-line block ×3, first 2 shown]
	s_waitcnt lgkmcnt(4)
	v_mul_f32_e32 v25, v37, v27
	s_lshl_b32 s23, s23, 2
	s_lshl_b32 s21, s21, 2
	s_waitcnt lgkmcnt(2)
	v_fma_f32 v24, -v28, v39, v24
	s_lshl_b32 s20, s20, 5
	v_fma_f32 v27, -v25, v36, v34
	v_mov_b32_e32 v36, s23
	v_mov_b32_e32 v34, s21
	s_add_i32 s21, s11, 0xfffffd6c
	s_lshl_b32 s23, s24, 2
	s_add_i32 s24, s4, -9
	v_mov_b32_e32 v39, s23
	s_waitcnt lgkmcnt(1)
	v_fma_f32 v31, -v26, v31, v24
	v_dual_mul_f32 v24, v41, v27 :: v_dual_mov_b32 v27, s21
	s_add_i32 s21, s22, s13
	s_add_i32 s23, s22, s19
	s_lshl_b32 s21, s21, 2
	s_waitcnt lgkmcnt(0)
	v_fma_f32 v33, -v25, v33, v31
	v_mov_b32_e32 v41, s21
	s_add_i32 s21, s22, s12
	v_fma_f32 v23, -v28, v38, v23
	s_lshl_b32 s21, s21, 2
	s_add_i32 s25, s24, s13
	v_mov_b32_e32 v31, s21
	ds_load_2addr_b32 v[34:35], v34 offset1:1
	ds_load_2addr_b32 v[36:37], v36 offset1:1
	ds_load_b32 v27, v27
	ds_load_2addr_b32 v[39:40], v39 offset1:1
	ds_load_2addr_b32 v[41:42], v41 offset1:1
	s_lshl_b32 s21, s23, 2
	ds_load_2addr_b32 v[43:44], v31 offset1:1
	s_add_i32 s23, s24, s10
	v_fma_f32 v23, -v26, v30, v23
	s_lshl_b32 s23, s23, 2
	s_add_i32 s27, s4, -11
	s_add_i32 s35, s11, 0xfffff844
	s_add_i32 s28, s27, s13
	;; [unrolled: 1-line block ×3, first 2 shown]
	v_or_b32_e32 v52, s19, v0
	s_sub_i32 s36, s4, 19
	s_sub_i32 s38, s4, 21
	s_add_i32 s37, s36, s12
	s_add_i32 s39, s38, s12
	s_sub_i32 s41, s4, 23
	s_waitcnt lgkmcnt(5)
	v_fma_f32 v35, -v24, v35, v33
	v_mov_b32_e32 v38, s21
	s_add_i32 s21, s22, s18
	s_add_i32 s42, s11, 0xfffff52c
	s_lshl_b32 s21, s21, 2
	s_add_i32 s43, s11, 0xfffff424
	ds_load_2addr_b32 v[45:46], v38 offset1:1
	v_mov_b32_e32 v31, s21
	s_add_i32 s21, s22, s20
	s_waitcnt lgkmcnt(3)
	v_fma_f32 v22, -v28, v40, v22
	s_lshl_b32 s21, s21, 2
	v_fma_f32 v40, -v25, v32, v23
	v_dual_mul_f32 v23, v37, v35 :: v_dual_mov_b32 v38, s21
	ds_load_2addr_b32 v[30:31], v31 offset1:1
	s_add_i32 s21, s11, 0xfffffce8
	v_fma_f32 v34, -v24, v34, v40
	v_fma_f32 v21, -v28, v39, v21
	ds_load_2addr_b32 v[32:33], v38 offset1:1
	s_waitcnt lgkmcnt(4)
	v_fma_f32 v22, -v26, v42, v22
	v_fma_f32 v34, -v23, v36, v34
	;; [unrolled: 1-line block ×3, first 2 shown]
	s_waitcnt lgkmcnt(3)
	s_delay_alu instid0(VALU_DEP_3) | instskip(NEXT) | instid1(VALU_DEP_2)
	v_fma_f32 v22, -v25, v44, v22
	v_fma_f32 v21, -v25, v43, v21
	s_waitcnt lgkmcnt(2)
	s_delay_alu instid0(VALU_DEP_2) | instskip(SKIP_2) | instid1(VALU_DEP_2)
	v_fma_f32 v35, -v24, v46, v22
	v_mul_f32_e32 v22, v27, v34
	s_waitcnt lgkmcnt(1)
	v_fma_f32 v27, -v23, v31, v35
	v_mov_b32_e32 v31, s21
	s_add_i32 s21, s10, 0xffffff40
	v_fma_f32 v21, -v24, v45, v21
	s_waitcnt lgkmcnt(0)
	v_fma_f32 v27, -v22, v33, v27
	v_mov_b32_e32 v33, s23
	s_lshl_b32 s23, s25, 2
	s_add_i32 s25, s22, s21
	v_mov_b32_e32 v35, s23
	s_add_i32 s23, s24, s12
	ds_load_2addr_b32 v[33:34], v33 offset1:1
	s_lshl_b32 s23, s23, 2
	ds_load_b32 v31, v31
	ds_load_2addr_b32 v[35:36], v35 offset1:1
	s_lshl_b32 s25, s25, 2
	v_mov_b32_e32 v37, s23
	s_add_i32 s23, s24, s19
	v_mov_b32_e32 v39, s25
	s_lshl_b32 s23, s23, 2
	s_add_i32 s25, s11, 0xfffffc64
	v_mov_b32_e32 v40, s23
	v_mov_b32_e32 v44, s25
	ds_load_2addr_b32 v[37:38], v37 offset1:1
	ds_load_b32 v43, v39
	s_add_i32 s23, s24, s18
	v_fma_f32 v21, -v23, v30, v21
	s_lshl_b32 s23, s23, 2
	ds_load_2addr_b32 v[39:40], v40 offset1:1
	v_mov_b32_e32 v41, s23
	s_add_i32 s23, s24, s20
	ds_load_b32 v47, v44
	s_lshl_b32 s23, s23, 2
	s_waitcnt lgkmcnt(6)
	v_fma_f32 v20, -v28, v34, v20
	v_mov_b32_e32 v34, s23
	ds_load_2addr_b32 v[41:42], v41 offset1:1
	s_add_i32 s23, s24, s21
	v_fma_f32 v21, -v22, v32, v21
	s_lshl_b32 s23, s23, 2
	s_waitcnt lgkmcnt(5)
	v_fma_f32 v36, -v26, v36, v20
	v_mov_b32_e32 v32, s23
	s_add_i32 s23, s11, 0xfffffbe0
	v_mul_f32_e32 v20, v31, v27
	ds_load_2addr_b32 v[30:31], v34 offset1:1
	s_lshl_b32 s22, s22, 5
	s_waitcnt lgkmcnt(5)
	v_fma_f32 v27, -v25, v38, v36
	s_add_i32 s25, s24, s22
	s_waitcnt lgkmcnt(4)
	v_fma_f32 v21, -v20, v43, v21
	s_lshl_b32 s25, s25, 2
	s_waitcnt lgkmcnt(3)
	v_fma_f32 v27, -v24, v40, v27
	v_mov_b32_e32 v34, s25
	ds_load_2addr_b32 v[43:44], v32 offset1:1
	ds_load_2addr_b32 v[45:46], v34 offset1:1
	s_waitcnt lgkmcnt(3)
	v_fma_f32 v27, -v23, v42, v27
	v_fma_f32 v32, -v28, v33, v19
	s_add_i32 s25, s27, s10
	v_mul_f32_e32 v19, v47, v21
	s_lshl_b32 s25, s25, 2
	v_mov_b32_e32 v21, s23
	s_add_i32 s23, s10, 0xffffff00
	s_waitcnt lgkmcnt(2)
	v_fma_f32 v27, -v22, v31, v27
	v_fma_f32 v31, -v26, v35, v32
	v_mov_b32_e32 v32, s25
	s_lshl_b32 s25, s28, 2
	s_add_i32 s28, s24, s23
	v_mov_b32_e32 v33, s25
	v_fma_f32 v31, -v25, v37, v31
	s_lshl_b32 s28, s28, 2
	s_add_i32 s25, s27, s12
	v_mov_b32_e32 v37, s28
	ds_load_2addr_b32 v[33:34], v33 offset1:1
	v_fma_f32 v35, -v24, v39, v31
	ds_load_2addr_b32 v[31:32], v32 offset1:1
	s_lshl_b32 s25, s25, 2
	s_add_i32 s28, s27, s18
	ds_load_b32 v21, v21
	s_lshl_b32 s28, s28, 2
	s_delay_alu instid0(SALU_CYCLE_1)
	v_dual_mov_b32 v36, s25 :: v_dual_mov_b32 v39, s28
	s_add_i32 s25, s27, s19
	v_fma_f32 v49, -v23, v41, v35
	s_lshl_b32 s25, s25, 2
	ds_load_2addr_b32 v[35:36], v36 offset1:1
	ds_load_b32 v51, v37
	v_mov_b32_e32 v38, s25
	s_lshl_b32 s28, s29, 2
	ds_load_2addr_b32 v[39:40], v39 offset1:1
	s_add_i32 s29, s4, -13
	s_add_i32 s25, s11, 0xfffffb5c
	ds_load_2addr_b32 v[37:38], v38 offset1:1
	s_add_i32 s30, s29, s10
	s_waitcnt lgkmcnt(8)
	v_fma_f32 v27, -v20, v44, v27
	s_lshl_b32 s30, s30, 2
	s_waitcnt lgkmcnt(5)
	v_fma_f32 v18, -v28, v32, v18
	v_mov_b32_e32 v32, s28
	s_add_i32 s28, s27, s21
	v_fma_f32 v30, -v22, v30, v49
	s_lshl_b32 s28, s28, 2
	v_fma_f32 v18, -v26, v34, v18
	v_mov_b32_e32 v34, s28
	ds_load_2addr_b32 v[41:42], v32 offset1:1
	s_add_i32 s28, s27, s22
	v_fma_f32 v27, -v19, v46, v27
	s_waitcnt lgkmcnt(4)
	v_fma_f32 v18, -v25, v36, v18
	ds_load_2addr_b32 v[47:48], v34 offset1:1
	v_mov_b32_e32 v32, s25
	s_lshl_b32 s25, s28, 2
	v_fma_f32 v30, -v20, v43, v30
	v_mov_b32_e32 v36, s25
	s_waitcnt lgkmcnt(2)
	v_fma_f32 v18, -v24, v38, v18
	ds_store_b32 v29, v28
	v_fma_f32 v17, -v28, v31, v17
	s_add_i32 s31, s29, s13
	ds_load_2addr_b32 v[49:50], v36 offset1:1
	v_fma_f32 v34, -v23, v40, v18
	v_mul_f32_e32 v18, v21, v27
	v_fma_f32 v21, -v19, v45, v30
	v_or_b32_e32 v36, s13, v0
	v_fma_f32 v17, -v26, v33, v17
	s_lshl_b32 s24, s24, 5
	s_waitcnt lgkmcnt(3)
	v_fma_f32 v30, -v22, v42, v34
	s_add_i32 s25, s27, s23
	s_add_i32 s28, s27, s24
	s_lshl_b32 s25, s25, 2
	v_lshlrev_b32_e32 v57, 2, v36
	s_waitcnt lgkmcnt(2)
	v_fma_f32 v29, -v20, v48, v30
	s_lshl_b32 s28, s28, 2
	v_mov_b32_e32 v36, s25
	s_add_i32 s25, s10, 0xfffffec0
	v_fma_f32 v17, -v25, v35, v17
	v_mov_b32_e32 v38, s28
	s_add_i32 s28, s27, s25
	v_or_b32_e32 v64, s23, v0
	s_waitcnt lgkmcnt(0)
	v_fma_f32 v48, -v19, v50, v29
	v_mov_b32_e32 v29, s30
	ds_load_b32 v32, v32
	s_lshl_b32 s30, s31, 2
	s_lshl_b32 s28, s28, 2
	v_mov_b32_e32 v31, s30
	s_add_i32 s30, s29, s12
	ds_load_2addr_b32 v[29:30], v29 offset1:1
	s_lshl_b32 s30, s30, 2
	v_fma_f32 v17, -v24, v37, v17
	v_mov_b32_e32 v33, s30
	v_fma_f32 v21, -v18, v51, v21
	s_add_i32 s30, s29, s20
	v_or_b32_e32 v27, s12, v0
	v_fma_f32 v17, -v23, v39, v17
	ds_load_2addr_b32 v[33:34], v33 offset1:1
	v_lshlrev_b32_e32 v27, 2, v27
	v_fma_f32 v17, -v22, v41, v17
	s_waitcnt lgkmcnt(2)
	v_mul_f32_e32 v21, v32, v21
	ds_load_2addr_b32 v[31:32], v31 offset1:1
	v_mov_b32_e32 v40, s28
	s_add_i32 s28, s29, s19
	v_fma_f32 v17, -v20, v47, v17
	s_lshl_b32 s28, s28, 2
	s_waitcnt lgkmcnt(2)
	v_fma_f32 v16, -v28, v30, v16
	v_mov_b32_e32 v42, s28
	s_add_i32 s28, s29, s18
	v_fma_f32 v15, -v28, v29, v15
	s_lshl_b32 s28, s28, 2
	v_fma_f32 v17, -v19, v49, v17
	v_mov_b32_e32 v43, s28
	ds_load_2addr_b32 v[35:36], v36 offset1:1
	ds_load_2addr_b32 v[37:38], v38 offset1:1
	;; [unrolled: 1-line block ×4, first 2 shown]
	s_lshl_b32 s28, s30, 2
	s_add_i32 s30, s11, 0xfffffa54
	v_mov_b32_e32 v30, s28
	ds_load_2addr_b32 v[43:44], v43 offset1:1
	s_add_i32 s28, s29, s21
	s_delay_alu instid0(SALU_CYCLE_1)
	s_lshl_b32 s28, s28, 2
	s_waitcnt lgkmcnt(5)
	v_fma_f32 v16, -v26, v32, v16
	v_mov_b32_e32 v32, s28
	ds_load_2addr_b32 v[45:46], v30 offset1:1
	s_add_i32 s28, s29, s22
	v_fma_f32 v15, -v26, v31, v15
	v_fma_f32 v16, -v25, v34, v16
	ds_load_2addr_b32 v[50:51], v32 offset1:1
	v_mov_b32_e32 v30, s30
	s_lshl_b32 s28, s28, 2
	v_or_b32_e32 v34, s20, v0
	v_mov_b32_e32 v32, s28
	s_add_i32 s28, s29, s23
	ds_load_b32 v56, v30
	s_waitcnt lgkmcnt(4)
	v_fma_f32 v16, -v24, v42, v16
	v_fma_f32 v30, -v18, v36, v48
	ds_load_2addr_b32 v[47:48], v32 offset1:1
	v_or_b32_e32 v32, s18, v0
	s_lshl_b32 s28, s28, 2
	s_waitcnt lgkmcnt(4)
	v_fma_f32 v16, -v23, v44, v16
	v_fma_f32 v30, -v21, v38, v30
	;; [unrolled: 1-line block ×3, first 2 shown]
	v_lshlrev_b32_e32 v59, 2, v32
	v_lshlrev_b32_e32 v60, 2, v34
	s_waitcnt lgkmcnt(3)
	v_fma_f32 v32, -v22, v46, v16
	v_mul_f32_e32 v16, v40, v30
	v_fma_f32 v15, -v25, v33, v15
	v_fma_f32 v17, -v21, v37, v17
	s_waitcnt lgkmcnt(2)
	v_fma_f32 v30, -v20, v51, v32
	v_mov_b32_e32 v32, s28
	s_lshl_b32 s28, s27, 5
	s_add_i32 s27, s29, s24
	s_add_i32 s31, s29, s28
	s_lshl_b32 s27, s27, 2
	s_lshl_b32 s33, s31, 2
	v_mov_b32_e32 v40, s27
	s_add_i32 s27, s29, s25
	s_add_i32 s31, s4, -15
	s_lshl_b32 s30, s27, 2
	s_add_i32 s27, s10, 0xfffffe80
	v_mov_b32_e32 v42, s30
	s_add_i32 s30, s29, s27
	s_add_i32 s34, s31, s13
	s_lshl_b32 s30, s30, 2
	ds_load_2addr_b32 v[34:35], v32 offset1:1
	v_mov_b32_e32 v29, s30
	s_add_i32 s30, s11, 0xfffff94c
	s_lshl_b32 s34, s34, 2
	v_mov_b32_e32 v31, s30
	s_add_i32 s30, s31, s10
	s_waitcnt lgkmcnt(1)
	v_fma_f32 v46, -v19, v48, v30
	s_lshl_b32 s30, s30, 2
	s_delay_alu instid0(SALU_CYCLE_1)
	v_dual_mov_b32 v33, s34 :: v_dual_mov_b32 v32, s30
	ds_load_2addr_b32 v[29:30], v29 offset1:1
	ds_load_b32 v61, v31
	ds_load_2addr_b32 v[31:32], v32 offset1:1
	s_add_i32 s30, s31, s12
	ds_load_2addr_b32 v[36:37], v33 offset1:1
	s_lshl_b32 s30, s30, 2
	v_fma_f32 v17, -v16, v39, v17
	v_mov_b32_e32 v38, s30
	s_add_i32 s30, s31, s19
	v_fma_f32 v15, -v24, v41, v15
	s_lshl_b32 s30, s30, 2
	s_waitcnt lgkmcnt(4)
	v_fma_f32 v35, -v18, v35, v46
	ds_load_2addr_b32 v[38:39], v38 offset1:1
	v_mov_b32_e32 v33, s30
	s_add_i32 s30, s31, s18
	v_fma_f32 v15, -v23, v43, v15
	s_lshl_b32 s30, s30, 2
	s_delay_alu instid0(SALU_CYCLE_1)
	v_dual_mov_b32 v44, s33 :: v_dual_mov_b32 v51, s30
	s_add_i32 s30, s31, s20
	ds_load_2addr_b32 v[40:41], v40 offset1:1
	ds_load_2addr_b32 v[42:43], v42 offset1:1
	;; [unrolled: 1-line block ×3, first 2 shown]
	s_lshl_b32 s30, s30, 2
	s_waitcnt lgkmcnt(5)
	v_fma_f32 v14, -v28, v32, v14
	v_mov_b32_e32 v46, s30
	s_add_i32 s30, s31, s21
	v_fma_f32 v15, -v22, v45, v15
	s_lshl_b32 s30, s30, 2
	ds_load_2addr_b32 v[44:45], v33 offset1:1
	s_waitcnt lgkmcnt(5)
	v_fma_f32 v14, -v26, v37, v14
	v_mov_b32_e32 v37, s30
	s_add_i32 s33, s31, s22
	v_fma_f32 v15, -v20, v50, v15
	s_lshl_b32 s30, s33, 2
	v_lshlrev_b32_e32 v58, 2, v52
	ds_load_2addr_b32 v[52:53], v37 offset1:1
	ds_load_2addr_b32 v[32:33], v51 offset1:1
	v_fma_f32 v13, -v28, v31, v13
	v_mov_b32_e32 v31, s35
	ds_load_2addr_b32 v[50:51], v46 offset1:1
	s_waitcnt lgkmcnt(7)
	v_fma_f32 v14, -v25, v39, v14
	v_mov_b32_e32 v39, s30
	v_fma_f32 v15, -v19, v47, v15
	s_add_i32 s30, s31, s23
	s_waitcnt lgkmcnt(6)
	v_fma_f32 v35, -v21, v41, v35
	s_lshl_b32 s30, s30, 2
	s_add_i32 s33, s31, s27
	v_mov_b32_e32 v37, s30
	s_waitcnt lgkmcnt(3)
	v_fma_f32 v14, -v24, v45, v14
	v_fma_f32 v15, -v18, v34, v15
	ds_load_2addr_b32 v[45:46], v39 offset1:1
	s_add_i32 s30, s31, s24
	ds_load_2addr_b32 v[54:55], v37 offset1:1
	s_lshl_b32 s30, s30, 2
	v_fma_f32 v35, -v16, v43, v35
	v_or_b32_e32 v37, s21, v0
	s_waitcnt lgkmcnt(3)
	v_fma_f32 v33, -v23, v33, v14
	v_mul_f32_e32 v14, v56, v17
	v_fma_f32 v15, -v21, v40, v15
	v_dual_mov_b32 v39, s30 :: v_dual_lshlrev_b32 v62, 2, v37
	s_waitcnt lgkmcnt(2)
	v_fma_f32 v17, -v22, v51, v33
	v_fma_f32 v35, -v14, v49, v35
	;; [unrolled: 1-line block ×3, first 2 shown]
	ds_load_2addr_b32 v[33:34], v39 offset1:1
	s_add_i32 s30, s31, s25
	v_fma_f32 v17, -v20, v53, v17
	s_lshl_b32 s30, s30, 2
	v_mul_f32_e32 v15, v30, v35
	v_fma_f32 v30, -v14, v48, v37
	v_mov_b32_e32 v35, s30
	s_waitcnt lgkmcnt(2)
	v_fma_f32 v17, -v19, v46, v17
	s_add_i32 s30, s31, s28
	s_lshl_b32 s29, s29, 5
	v_fma_f32 v65, -v15, v29, v30
	ds_load_2addr_b32 v[29:30], v35 offset1:1
	v_or_b32_e32 v39, s22, v0
	s_lshl_b32 s30, s30, 2
	s_waitcnt lgkmcnt(2)
	v_fma_f32 v17, -v18, v55, v17
	s_lshl_b32 s33, s33, 2
	v_fma_f32 v13, -v26, v36, v13
	v_lshlrev_b32_e32 v63, 2, v39
	v_mov_b32_e32 v39, s30
	s_add_i32 s30, s10, 0xfffffe40
	v_mov_b32_e32 v41, s33
	s_add_i32 s34, s31, s30
	s_add_i32 s33, s31, s29
	s_lshl_b32 s34, s34, 2
	s_waitcnt lgkmcnt(1)
	v_fma_f32 v17, -v21, v34, v17
	s_lshl_b32 s33, s33, 2
	v_mov_b32_e32 v34, s34
	s_sub_i32 s34, s4, 17
	v_mov_b32_e32 v43, s33
	s_add_i32 s33, s34, s10
	v_fma_f32 v13, -v25, v38, v13
	s_lshl_b32 s33, s33, 2
	s_add_i32 s35, s34, s19
	v_mov_b32_e32 v37, s33
	s_add_i32 s33, s34, s13
	ds_load_2addr_b32 v[34:35], v34 offset1:1
	ds_load_b32 v66, v31
	ds_load_2addr_b32 v[36:37], v37 offset1:1
	s_lshl_b32 s33, s33, 2
	ds_load_2addr_b32 v[39:40], v39 offset1:1
	ds_load_2addr_b32 v[41:42], v41 offset1:1
	;; [unrolled: 1-line block ×3, first 2 shown]
	v_mov_b32_e32 v31, s33
	s_add_i32 s33, s34, s12
	v_fma_f32 v13, -v24, v44, v13
	s_lshl_b32 s33, s33, 2
	s_waitcnt lgkmcnt(6)
	v_fma_f32 v17, -v16, v30, v17
	ds_load_2addr_b32 v[48:49], v31 offset1:1
	v_mov_b32_e32 v31, s33
	s_lshl_b32 s33, s35, 2
	v_fma_f32 v13, -v23, v32, v13
	v_mov_b32_e32 v38, s33
	s_add_i32 s33, s34, s18
	ds_load_2addr_b32 v[43:44], v31 offset1:1
	s_lshl_b32 s33, s33, 2
	v_fma_f32 v13, -v22, v50, v13
	v_mov_b32_e32 v32, s33
	s_add_i32 s33, s34, s20
	s_add_i32 s35, s34, s22
	s_lshl_b32 s33, s33, 2
	s_waitcnt lgkmcnt(5)
	v_fma_f32 v12, -v28, v37, v12
	s_waitcnt lgkmcnt(4)
	v_fma_f32 v17, -v14, v40, v17
	v_mov_b32_e32 v40, s33
	s_add_i32 s33, s34, s21
	v_fma_f32 v13, -v20, v52, v13
	s_lshl_b32 s33, s33, 2
	s_waitcnt lgkmcnt(3)
	v_fma_f32 v17, -v15, v42, v17
	s_waitcnt lgkmcnt(1)
	v_fma_f32 v12, -v26, v49, v12
	ds_load_2addr_b32 v[49:50], v40 offset1:1
	ds_load_2addr_b32 v[30:31], v38 offset1:1
	;; [unrolled: 1-line block ×3, first 2 shown]
	v_mov_b32_e32 v32, s33
	s_lshl_b32 s33, s35, 2
	s_waitcnt lgkmcnt(3)
	v_fma_f32 v12, -v25, v44, v12
	v_mov_b32_e32 v40, s33
	s_add_i32 s33, s34, s23
	ds_load_2addr_b32 v[55:56], v32 offset1:1
	s_lshl_b32 s33, s33, 2
	v_fma_f32 v13, -v19, v45, v13
	v_mov_b32_e32 v44, s33
	s_add_i32 s33, s34, s24
	s_add_i32 s35, s34, s29
	s_lshl_b32 s33, s33, 2
	v_fma_f32 v13, -v18, v54, v13
	ds_load_2addr_b32 v[51:52], v44 offset1:1
	v_fma_f32 v11, -v28, v36, v11
	s_lshl_b32 s31, s31, 5
	v_fma_f32 v13, -v21, v33, v13
	s_waitcnt lgkmcnt(3)
	v_fma_f32 v12, -v24, v31, v12
	v_fma_f32 v11, -v26, v48, v11
	s_delay_alu instid0(VALU_DEP_3) | instskip(SKIP_1) | instid1(VALU_DEP_3)
	v_fma_f32 v13, -v16, v29, v13
	s_waitcnt lgkmcnt(2)
	v_fma_f32 v12, -v23, v38, v12
	v_mov_b32_e32 v38, s33
	s_add_i32 s33, s34, s25
	v_fma_f32 v11, -v25, v43, v11
	s_lshl_b32 s33, s33, 2
	v_fma_f32 v12, -v22, v50, v12
	ds_load_2addr_b32 v[44:45], v38 offset1:1
	ds_load_2addr_b32 v[31:32], v40 offset1:1
	v_mov_b32_e32 v38, s33
	s_add_i32 s33, s34, s28
	v_fma_f32 v13, -v14, v39, v13
	s_lshl_b32 s33, s33, 2
	v_fma_f32 v11, -v24, v30, v11
	ds_load_2addr_b32 v[53:54], v38 offset1:1
	s_waitcnt lgkmcnt(4)
	v_fma_f32 v40, -v20, v56, v12
	v_mov_b32_e32 v50, s33
	s_add_i32 s33, s34, s27
	v_fma_f32 v42, -v15, v41, v13
	s_lshl_b32 s33, s33, 2
	v_mul_f32_e32 v12, v61, v65
	v_fma_f32 v11, -v23, v37, v11
	v_or_b32_e32 v61, s29, v0
	s_delay_alu instid0(VALU_DEP_3) | instskip(NEXT) | instid1(VALU_DEP_3)
	v_fma_f32 v17, -v12, v47, v17
	v_fma_f32 v11, -v22, v49, v11
	v_or_b32_e32 v47, s24, v0
	s_waitcnt lgkmcnt(1)
	v_fma_f32 v38, -v19, v32, v40
	ds_load_2addr_b32 v[32:33], v50 offset1:1
	v_mul_f32_e32 v13, v35, v17
	v_fma_f32 v17, -v12, v46, v42
	v_fma_f32 v11, -v20, v55, v11
	;; [unrolled: 1-line block ×3, first 2 shown]
	v_mov_b32_e32 v38, s33
	s_lshl_b32 s33, s35, 2
	s_add_i32 s35, s36, s10
	v_mov_b32_e32 v40, s33
	v_fma_f32 v29, -v21, v45, v29
	ds_load_2addr_b32 v[38:39], v38 offset1:1
	s_add_i32 s33, s34, s30
	s_lshl_b32 s35, s35, 2
	ds_load_2addr_b32 v[40:41], v40 offset1:1
	s_waitcnt lgkmcnt(3)
	v_fma_f32 v29, -v16, v54, v29
	s_lshl_b32 s33, s33, 2
	s_delay_alu instid0(SALU_CYCLE_1)
	v_dual_mov_b32 v48, s33 :: v_dual_lshlrev_b32 v45, 2, v64
	s_add_i32 s33, s36, s19
	ds_store_b32 v57, v26 offset:4096
	ds_store_b32 v27, v25 offset:4096
	;; [unrolled: 1-line block ×8, first 2 shown]
	s_waitcnt lgkmcnt(10)
	v_fma_f32 v29, -v14, v33, v29
	s_lshl_b32 s33, s33, 2
	v_fma_f32 v17, -v13, v34, v17
	v_mov_b32_e32 v42, s33
	s_add_i32 s33, s36, s18
	v_or_b32_e32 v58, s25, v0
	s_lshl_b32 s33, s33, 2
	v_fma_f32 v11, -v19, v31, v11
	v_mov_b32_e32 v37, s33
	s_add_i32 s33, s36, s20
	s_waitcnt lgkmcnt(9)
	v_fma_f32 v29, -v15, v39, v29
	s_lshl_b32 s33, s33, 2
	v_lshlrev_b32_e32 v65, 2, v58
	ds_load_2addr_b32 v[45:46], v37 offset1:1
	v_fma_f32 v11, -v18, v51, v11
	s_waitcnt lgkmcnt(9)
	v_fma_f32 v39, -v12, v41, v29
	v_mov_b32_e32 v29, s35
	s_add_i32 s35, s36, s13
	v_lshlrev_b32_e32 v27, 2, v47
	s_lshl_b32 s35, s35, 2
	v_fma_f32 v11, -v21, v44, v11
	ds_load_2addr_b32 v[33:34], v29 offset1:1
	v_mov_b32_e32 v29, s35
	s_lshl_b32 s35, s37, 2
	s_add_i32 s37, s36, s23
	v_mov_b32_e32 v41, s35
	s_add_i32 s35, s34, s31
	ds_load_2addr_b32 v[35:36], v29 offset1:1
	s_lshl_b32 s37, s37, 2
	v_fma_f32 v11, -v16, v53, v11
	ds_load_2addr_b32 v[29:30], v41 offset1:1
	v_mov_b32_e32 v44, s37
	s_add_i32 s37, s36, s25
	v_mul_f32_e32 v17, v66, v17
	v_fma_f32 v52, -v14, v32, v11
	v_lshlrev_b32_e32 v68, 2, v61
	s_waitcnt lgkmcnt(2)
	v_fma_f32 v10, -v28, v34, v10
	v_mov_b32_e32 v34, s33
	s_add_i32 s33, s36, s21
	v_fma_f32 v9, -v28, v33, v9
	s_lshl_b32 s33, s33, 2
	s_waitcnt lgkmcnt(1)
	v_fma_f32 v10, -v26, v36, v10
	ds_load_2addr_b32 v[36:37], v34 offset1:1
	ds_load_2addr_b32 v[41:42], v42 offset1:1
	v_mov_b32_e32 v43, s33
	s_lshl_b32 s33, s35, 2
	s_waitcnt lgkmcnt(2)
	v_fma_f32 v10, -v25, v30, v10
	s_add_i32 s35, s36, s22
	v_mov_b32_e32 v34, s33
	ds_load_2addr_b32 v[30:31], v43 offset1:1
	s_lshl_b32 s35, s35, 2
	s_add_i32 s33, s10, 0xfffffe00
	v_mov_b32_e32 v43, s35
	s_add_i32 s35, s34, s33
	v_fma_f32 v33, -v26, v35, v9
	s_lshl_b32 s35, s35, 2
	s_lshl_b32 s34, s34, 5
	s_waitcnt lgkmcnt(1)
	v_fma_f32 v10, -v24, v42, v10
	ds_load_2addr_b32 v[42:43], v43 offset1:1
	v_fma_f32 v10, -v23, v46, v10
	ds_load_2addr_b32 v[46:47], v44 offset1:1
	v_fma_f32 v10, -v22, v37, v10
	v_mov_b32_e32 v37, s35
	s_add_i32 s35, s36, s24
	s_delay_alu instid0(SALU_CYCLE_1)
	s_lshl_b32 s35, s35, 2
	s_waitcnt lgkmcnt(2)
	v_fma_f32 v10, -v20, v31, v10
	v_mov_b32_e32 v31, s35
	s_lshl_b32 s35, s37, 2
	s_add_i32 s37, s36, s29
	v_mov_b32_e32 v11, s35
	s_add_i32 s35, s36, s28
	ds_load_2addr_b32 v[31:32], v31 offset1:1
	s_waitcnt lgkmcnt(2)
	v_fma_f32 v53, -v19, v43, v10
	s_lshl_b32 s35, s35, 2
	ds_load_2addr_b32 v[43:44], v11 offset1:1
	ds_load_2addr_b32 v[10:11], v48 offset1:1
	;; [unrolled: 1-line block ×4, first 2 shown]
	v_mov_b32_e32 v54, s35
	s_add_i32 s35, s36, s27
	s_waitcnt lgkmcnt(5)
	v_fma_f32 v47, -v18, v47, v53
	s_lshl_b32 s35, s35, 2
	v_fma_f32 v34, -v15, v38, v52
	v_mov_b32_e32 v52, s35
	s_lshl_b32 s35, s37, 2
	s_add_i32 s37, s11, 0xfffff73c
	ds_load_2addr_b32 v[37:38], v54 offset1:1
	v_fma_f32 v34, -v12, v40, v34
	ds_load_2addr_b32 v[52:53], v52 offset1:1
	v_mov_b32_e32 v54, s35
	s_add_i32 s35, s36, s30
	v_or_b32_e32 v40, s28, v0
	s_lshl_b32 s35, s35, 2
	s_waitcnt lgkmcnt(6)
	v_fma_f32 v32, -v21, v32, v47
	v_mov_b32_e32 v47, s37
	s_waitcnt lgkmcnt(4)
	v_fma_f32 v11, -v13, v11, v39
	v_fma_f32 v34, -v13, v10, v34
	v_mov_b32_e32 v56, s35
	s_add_i32 s35, s36, s31
	ds_load_b32 v47, v47
	s_waitcnt lgkmcnt(4)
	v_fma_f32 v11, -v17, v49, v11
	s_lshl_b32 s35, s35, 2
	v_fma_f32 v32, -v16, v44, v32
	v_mov_b32_e32 v44, s35
	s_add_i32 s35, s36, s33
	s_waitcnt lgkmcnt(3)
	v_mul_f32_e32 v10, v51, v11
	v_fma_f32 v11, -v17, v48, v34
	s_lshl_b32 s35, s35, 2
	s_waitcnt lgkmcnt(2)
	v_fma_f32 v32, -v14, v38, v32
	ds_load_2addr_b32 v[38:39], v44 offset1:1
	ds_load_2addr_b32 v[56:57], v56 offset1:1
	v_fma_f32 v11, -v10, v50, v11
	s_add_i32 s37, s38, s10
	s_waitcnt lgkmcnt(3)
	v_fma_f32 v32, -v15, v53, v32
	s_lshl_b32 s37, s37, 2
	v_lshlrev_b32_e32 v66, 2, v40
	v_or_b32_e32 v44, s27, v0
	s_waitcnt lgkmcnt(2)
	v_mul_f32_e32 v9, v47, v11
	v_mov_b32_e32 v47, s35
	ds_load_2addr_b32 v[54:55], v54 offset1:1
	v_fma_f32 v11, -v25, v29, v33
	v_mov_b32_e32 v29, s37
	s_add_i32 s37, s38, s13
	s_add_i32 s35, s38, s19
	s_lshl_b32 s37, s37, 2
	v_fma_f32 v11, -v24, v41, v11
	s_lshl_b32 s35, s35, 2
	v_lshlrev_b32_e32 v67, 2, v44
	s_delay_alu instid0(VALU_DEP_2) | instskip(NEXT) | instid1(VALU_DEP_1)
	v_fma_f32 v11, -v23, v45, v11
	v_fma_f32 v11, -v22, v36, v11
	s_waitcnt lgkmcnt(0)
	v_fma_f32 v32, -v12, v55, v32
	s_delay_alu instid0(VALU_DEP_2) | instskip(NEXT) | instid1(VALU_DEP_2)
	v_fma_f32 v11, -v20, v30, v11
	v_fma_f32 v32, -v13, v57, v32
	s_delay_alu instid0(VALU_DEP_2) | instskip(NEXT) | instid1(VALU_DEP_2)
	v_fma_f32 v11, -v19, v42, v11
	v_fma_f32 v62, -v17, v39, v32
	ds_load_2addr_b32 v[32:33], v29 offset1:1
	v_mov_b32_e32 v29, s37
	s_lshl_b32 s37, s39, 2
	s_add_i32 s39, s38, s23
	v_mov_b32_e32 v39, s37
	s_add_i32 s37, s36, s34
	ds_load_2addr_b32 v[34:35], v29 offset1:1
	v_fma_f32 v11, -v18, v46, v11
	s_lshl_b32 s39, s39, 2
	ds_load_2addr_b32 v[39:40], v39 offset1:1
	v_mov_b32_e32 v29, s35
	s_add_i32 s35, s38, s18
	v_fma_f32 v11, -v21, v31, v11
	s_lshl_b32 s35, s35, 2
	s_delay_alu instid0(SALU_CYCLE_1)
	v_mov_b32_e32 v36, s35
	s_add_i32 s35, s38, s20
	ds_load_2addr_b32 v[29:30], v29 offset1:1
	s_lshl_b32 s35, s35, 2
	v_fma_f32 v11, -v16, v43, v11
	s_waitcnt lgkmcnt(3)
	v_fma_f32 v8, -v28, v33, v8
	v_mov_b32_e32 v33, s35
	s_add_i32 s35, s38, s21
	v_fma_f32 v7, -v28, v32, v7
	s_lshl_b32 s35, s35, 2
	v_fma_f32 v11, -v14, v37, v11
	v_dual_mov_b32 v44, s35 :: v_dual_mov_b32 v37, s39
	s_lshl_b32 s35, s37, 2
	s_add_i32 s37, s38, s22
	s_waitcnt lgkmcnt(2)
	v_fma_f32 v8, -v26, v35, v8
	s_lshl_b32 s37, s37, 2
	ds_load_2addr_b32 v[44:45], v44 offset1:1
	v_mov_b32_e32 v31, s37
	ds_load_2addr_b32 v[41:42], v36 offset1:1
	ds_load_2addr_b32 v[35:36], v33 offset1:1
	s_waitcnt lgkmcnt(4)
	v_fma_f32 v8, -v25, v40, v8
	v_mov_b32_e32 v33, s35
	s_add_i32 s35, s10, 0xfffffdc0
	s_add_i32 s39, s38, s25
	;; [unrolled: 1-line block ×3, first 2 shown]
	s_waitcnt lgkmcnt(3)
	v_fma_f32 v8, -v24, v30, v8
	s_lshl_b32 s37, s37, 2
	ds_load_2addr_b32 v[30:31], v31 offset1:1
	v_mov_b32_e32 v40, s37
	s_add_i32 s37, s38, s24
	v_fma_f32 v11, -v15, v52, v11
	s_lshl_b32 s37, s37, 2
	v_fma_f32 v7, -v26, v34, v7
	s_delay_alu instid0(VALU_DEP_2) | instskip(NEXT) | instid1(VALU_DEP_2)
	v_fma_f32 v11, -v12, v54, v11
	v_fma_f32 v7, -v25, v39, v7
	s_waitcnt lgkmcnt(2)
	v_fma_f32 v8, -v23, v42, v8
	s_delay_alu instid0(VALU_DEP_3) | instskip(NEXT) | instid1(VALU_DEP_3)
	v_fma_f32 v11, -v13, v56, v11
	v_fma_f32 v7, -v24, v29, v7
	s_waitcnt lgkmcnt(1)
	s_delay_alu instid0(VALU_DEP_3)
	v_fma_f32 v8, -v22, v36, v8
	ds_load_2addr_b32 v[36:37], v37 offset1:1
	v_mov_b32_e32 v42, s37
	s_lshl_b32 s37, s39, 2
	s_add_i32 s39, s38, s29
	v_fma_f32 v8, -v20, v45, v8
	v_mov_b32_e32 v45, s37
	ds_load_2addr_b32 v[42:43], v42 offset1:1
	s_add_i32 s37, s38, s28
	v_fma_f32 v11, -v17, v38, v11
	s_lshl_b32 s37, s37, 2
	ds_load_2addr_b32 v[45:46], v45 offset1:1
	s_waitcnt lgkmcnt(3)
	v_fma_f32 v8, -v19, v31, v8
	v_mov_b32_e32 v31, s37
	s_add_i32 s37, s38, s27
	ds_load_2addr_b32 v[47:48], v47 offset1:1
	ds_load_2addr_b32 v[49:50], v33 offset1:1
	;; [unrolled: 1-line block ×3, first 2 shown]
	s_lshl_b32 s37, s37, 2
	v_fma_f32 v7, -v23, v41, v7
	ds_load_2addr_b32 v[53:54], v31 offset1:1
	v_mov_b32_e32 v31, s37
	s_lshl_b32 s37, s39, 2
	s_waitcnt lgkmcnt(6)
	v_fma_f32 v8, -v18, v37, v8
	v_mov_b32_e32 v33, s37
	s_add_i32 s37, s38, s30
	ds_load_2addr_b32 v[55:56], v31 offset1:1
	s_lshl_b32 s37, s37, 2
	s_add_i32 s39, s11, 0xfffff634
	ds_load_2addr_b32 v[57:58], v33 offset1:1
	s_waitcnt lgkmcnt(7)
	v_fma_f32 v8, -v21, v43, v8
	v_fma_f32 v7, -v22, v35, v7
	s_waitcnt lgkmcnt(6)
	s_delay_alu instid0(VALU_DEP_2)
	v_fma_f32 v8, -v16, v46, v8
	v_or_b32_e32 v46, s31, v0
	v_mov_b32_e32 v37, s37
	s_add_i32 s37, s38, s31
	s_waitcnt lgkmcnt(5)
	v_fma_f32 v40, -v10, v48, v62
	s_lshl_b32 s37, s37, 2
	s_waitcnt lgkmcnt(2)
	v_fma_f32 v8, -v14, v54, v8
	ds_load_2addr_b32 v[59:60], v37 offset1:1
	v_mov_b32_e32 v31, s39
	v_mov_b32_e32 v33, s37
	v_fma_f32 v11, -v10, v47, v11
	s_lshl_b32 s37, s36, 5
	s_add_i32 s36, s38, s33
	ds_load_b32 v31, v31
	ds_load_2addr_b32 v[37:38], v33 offset1:1
	v_fma_f32 v33, -v9, v50, v40
	v_or_b32_e32 v40, s30, v0
	s_lshl_b32 s36, s36, 2
	s_waitcnt lgkmcnt(4)
	v_fma_f32 v43, -v15, v56, v8
	v_fma_f32 v11, -v9, v49, v11
	v_mul_f32_e32 v8, v52, v33
	v_or_b32_e32 v33, s33, v0
	v_lshlrev_b32_e32 v56, 2, v40
	v_mov_b32_e32 v40, s36
	s_add_i32 s36, s38, s34
	v_fma_f32 v11, -v8, v51, v11
	s_lshl_b32 s36, s36, 2
	s_delay_alu instid0(SALU_CYCLE_1)
	v_dual_mov_b32 v48, s36 :: v_dual_lshlrev_b32 v69, 2, v33
	s_add_i32 s36, s10, 0xfffffd80
	s_waitcnt lgkmcnt(3)
	v_fma_f32 v43, -v12, v58, v43
	s_add_i32 s40, s38, s36
	s_add_i32 s39, s38, s35
	s_lshl_b32 s40, s40, 2
	s_lshl_b32 s39, s39, 2
	s_waitcnt lgkmcnt(1)
	v_dual_mul_f32 v11, v31, v11 :: v_dual_mov_b32 v50, s39
	v_mov_b32_e32 v31, s40
	s_add_i32 s40, s41, s10
	v_fma_f32 v33, -v13, v60, v43
	s_lshl_b32 s40, s40, 2
	s_add_i32 s39, s38, s37
	v_mov_b32_e32 v34, s40
	s_add_i32 s40, s41, s13
	s_waitcnt lgkmcnt(0)
	v_fma_f32 v43, -v17, v38, v33
	s_lshl_b32 s40, s40, 2
	s_delay_alu instid0(SALU_CYCLE_1)
	v_dual_mov_b32 v33, s42 :: v_dual_mov_b32 v38, s40
	s_lshl_b32 s39, s39, 2
	ds_load_2addr_b32 v[31:32], v31 offset1:1
	ds_load_b32 v70, v33
	ds_load_2addr_b32 v[33:34], v34 offset1:1
	v_mov_b32_e32 v52, s39
	s_add_i32 s39, s41, s12
	ds_load_2addr_b32 v[38:39], v38 offset1:1
	s_lshl_b32 s39, s39, 2
	v_lshlrev_b32_e32 v58, 2, v46
	ds_load_2addr_b32 v[46:47], v40 offset1:1
	v_mov_b32_e32 v29, s39
	s_add_i32 s39, s41, s19
	v_fma_f32 v7, -v20, v44, v7
	s_lshl_b32 s39, s39, 2
	s_add_i32 s40, s41, s20
	ds_load_2addr_b32 v[40:41], v29 offset1:1
	v_mov_b32_e32 v29, s39
	s_add_i32 s39, s41, s18
	ds_load_2addr_b32 v[48:49], v48 offset1:1
	ds_load_2addr_b32 v[50:51], v50 offset1:1
	ds_load_2addr_b32 v[60:61], v52 offset1:1
	s_lshl_b32 s39, s39, 2
	v_fma_f32 v7, -v19, v30, v7
	ds_load_2addr_b32 v[62:63], v29 offset1:1
	v_mov_b32_e32 v29, s39
	s_lshl_b32 s39, s40, 2
	s_waitcnt lgkmcnt(7)
	v_fma_f32 v6, -v28, v34, v6
	v_mov_b32_e32 v44, s39
	s_add_i32 s39, s41, s21
	v_fma_f32 v7, -v18, v36, v7
	s_lshl_b32 s39, s39, 2
	s_waitcnt lgkmcnt(6)
	v_fma_f32 v6, -v26, v39, v6
	v_mov_b32_e32 v36, s39
	ds_load_2addr_b32 v[34:35], v29 offset1:1
	ds_load_2addr_b32 v[29:30], v44 offset1:1
	s_waitcnt lgkmcnt(7)
	v_fma_f32 v39, -v10, v47, v43
	s_add_i32 s39, s41, s22
	s_waitcnt lgkmcnt(6)
	v_fma_f32 v6, -v25, v41, v6
	ds_load_2addr_b32 v[43:44], v36 offset1:1
	s_lshl_b32 s39, s39, 2
	s_add_i32 s40, s41, s23
	v_mov_b32_e32 v36, s39
	s_lshl_b32 s39, s40, 2
	s_waitcnt lgkmcnt(3)
	v_fma_f32 v6, -v24, v63, v6
	v_mov_b32_e32 v47, s39
	s_add_i32 s39, s41, s24
	v_fma_f32 v39, -v9, v49, v39
	s_lshl_b32 s39, s39, 2
	v_fma_f32 v7, -v21, v42, v7
	v_mov_b32_e32 v49, s39
	s_add_i32 s39, s41, s25
	ds_load_2addr_b32 v[41:42], v36 offset1:1
	s_lshl_b32 s39, s39, 2
	s_waitcnt lgkmcnt(3)
	v_fma_f32 v6, -v23, v35, v6
	v_fma_f32 v7, -v16, v45, v7
	s_add_i32 s40, s41, s33
	s_lshl_b32 s38, s38, 5
	v_fma_f32 v5, -v28, v33, v5
	s_waitcnt lgkmcnt(2)
	v_fma_f32 v6, -v22, v30, v6
	v_mov_b32_e32 v30, s39
	ds_load_2addr_b32 v[63:64], v49 offset1:1
	v_fma_f32 v7, -v14, v53, v7
	s_add_i32 s39, s41, s28
	s_waitcnt lgkmcnt(2)
	v_fma_f32 v6, -v20, v44, v6
	ds_load_2addr_b32 v[44:45], v30 offset1:1
	ds_load_2addr_b32 v[35:36], v47 offset1:1
	s_lshl_b32 s39, s39, 2
	v_fma_f32 v7, -v15, v55, v7
	v_mov_b32_e32 v47, s39
	s_add_i32 s39, s41, s27
	v_fma_f32 v30, -v8, v51, v39
	s_waitcnt lgkmcnt(3)
	v_fma_f32 v6, -v19, v42, v6
	s_lshl_b32 s39, s39, 2
	v_fma_f32 v7, -v12, v57, v7
	v_fma_f32 v5, -v26, v38, v5
	v_fma_f32 v30, -v11, v61, v30
	s_delay_alu instid0(VALU_DEP_3) | instskip(NEXT) | instid1(VALU_DEP_3)
	v_fma_f32 v7, -v13, v59, v7
	v_fma_f32 v5, -v25, v40, v5
	s_delay_alu instid0(VALU_DEP_2) | instskip(NEXT) | instid1(VALU_DEP_2)
	v_fma_f32 v7, -v17, v37, v7
	v_fma_f32 v5, -v24, v62, v5
	s_waitcnt lgkmcnt(0)
	v_fma_f32 v6, -v18, v36, v6
	v_mov_b32_e32 v36, s39
	ds_load_2addr_b32 v[51:52], v47 offset1:1
	s_add_i32 s39, s41, s29
	v_fma_f32 v7, -v10, v46, v7
	s_lshl_b32 s39, s39, 2
	ds_load_2addr_b32 v[53:54], v36 offset1:1
	v_mov_b32_e32 v39, s39
	v_fma_f32 v6, -v21, v64, v6
	s_add_i32 s39, s41, s30
	v_fma_f32 v7, -v9, v48, v7
	s_lshl_b32 s39, s39, 2
	ds_load_2addr_b32 v[36:37], v39 offset1:1
	v_fma_f32 v6, -v16, v45, v6
	v_mov_b32_e32 v39, s39
	s_add_i32 s39, s41, s31
	v_fma_f32 v7, -v8, v50, v7
	s_lshl_b32 s39, s39, 2
	v_fma_f32 v5, -v23, v34, v5
	s_waitcnt lgkmcnt(2)
	v_fma_f32 v6, -v14, v52, v6
	s_delay_alu instid0(VALU_DEP_2) | instskip(SKIP_1) | instid1(VALU_DEP_2)
	v_fma_f32 v5, -v22, v29, v5
	s_waitcnt lgkmcnt(1)
	v_fma_f32 v6, -v15, v54, v6
	s_delay_alu instid0(VALU_DEP_2) | instskip(SKIP_1) | instid1(VALU_DEP_2)
	v_fma_f32 v5, -v20, v43, v5
	s_waitcnt lgkmcnt(0)
	v_fma_f32 v37, -v12, v37, v6
	v_mul_f32_e32 v6, v32, v30
	ds_load_2addr_b32 v[45:46], v39 offset1:1
	v_mov_b32_e32 v39, s39
	s_lshl_b32 s39, s40, 2
	s_add_i32 s40, s41, s37
	v_mov_b32_e32 v42, s39
	s_add_i32 s39, s41, s34
	ds_load_2addr_b32 v[47:48], v39 offset1:1
	s_lshl_b32 s39, s39, 2
	s_lshl_b32 s40, s40, 2
	ds_load_2addr_b32 v[49:50], v42 offset1:1
	v_dual_mov_b32 v39, s39 :: v_dual_mov_b32 v32, s40
	v_fma_f32 v30, -v11, v60, v7
	s_add_i32 s39, s41, s35
	v_or_b32_e32 v42, s34, v0
	ds_load_2addr_b32 v[54:55], v39 offset1:1
	ds_store_b32 v27, v21 offset:4096
	ds_store_b32 v65, v16 offset:4096
	;; [unrolled: 1-line block ×8, first 2 shown]
	s_lshl_b32 s39, s39, 2
	s_add_i32 s40, s41, s38
	v_fma_f32 v34, -v19, v41, v5
	s_waitcnt lgkmcnt(11)
	v_fma_f32 v7, -v13, v46, v37
	v_fma_f32 v46, -v6, v31, v30
	v_mov_b32_e32 v30, s39
	s_add_i32 s39, s41, s36
	s_lshl_b32 s40, s40, 2
	s_lshl_b32 s39, s39, 2
	s_waitcnt lgkmcnt(10)
	v_fma_f32 v27, -v17, v48, v7
	v_mov_b32_e32 v39, s39
	s_add_i32 s39, s10, 0xfffffd40
	v_dual_mov_b32 v42, s40 :: v_dual_lshlrev_b32 v7, 2, v42
	s_waitcnt lgkmcnt(9)
	v_fma_f32 v27, -v10, v50, v27
	s_add_i32 s42, s41, s39
	s_sub_i32 s40, s4, 25
	s_lshl_b32 s42, s42, 2
	v_or_b32_e32 v66, s35, v0
	s_waitcnt lgkmcnt(8)
	v_fma_f32 v27, -v9, v55, v27
	ds_load_2addr_b32 v[30:31], v30 offset1:1
	ds_load_2addr_b32 v[55:56], v32 offset1:1
	v_mov_b32_e32 v32, s42
	s_add_i32 s42, s40, s10
	s_lshl_b32 s41, s41, 5
	s_lshl_b32 s42, s42, 2
	s_delay_alu instid0(SALU_CYCLE_1)
	v_dual_mov_b32 v37, s43 :: v_dual_mov_b32 v38, s42
	s_add_i32 s42, s40, s13
	ds_load_2addr_b32 v[32:33], v32 offset1:1
	ds_load_b32 v67, v37
	ds_load_2addr_b32 v[37:38], v38 offset1:1
	s_lshl_b32 s42, s42, 2
	ds_load_2addr_b32 v[39:40], v39 offset1:1
	ds_load_2addr_b32 v[57:58], v42 offset1:1
	v_mov_b32_e32 v48, s42
	s_add_i32 s42, s40, s12
	s_add_i32 s43, s40, s18
	s_lshl_b32 s42, s42, 2
	s_waitcnt lgkmcnt(6)
	v_fma_f32 v27, -v8, v31, v27
	v_mov_b32_e32 v31, s42
	ds_load_2addr_b32 v[59:60], v48 offset1:1
	s_add_i32 s42, s40, s19
	s_delay_alu instid0(SALU_CYCLE_1)
	s_lshl_b32 s42, s42, 2
	ds_load_2addr_b32 v[61:62], v31 offset1:1
	v_mov_b32_e32 v29, s42
	s_lshl_b32 s42, s43, 2
	s_waitcnt lgkmcnt(7)
	v_fma_f32 v27, -v11, v56, v27
	v_mul_f32_e32 v56, v70, v46
	s_add_i32 s43, s40, s29
	ds_load_2addr_b32 v[42:43], v29 offset1:1
	v_mov_b32_e32 v31, s42
	s_add_i32 s42, s40, s20
	s_waitcnt lgkmcnt(5)
	v_fma_f32 v29, -v28, v38, v4
	s_lshl_b32 s42, s42, 2
	s_waitcnt lgkmcnt(4)
	v_fma_f32 v27, -v6, v40, v27
	v_mov_b32_e32 v38, s42
	ds_load_2addr_b32 v[4:5], v31 offset1:1
	s_add_i32 s42, s40, s21
	v_fma_f32 v3, -v28, v37, v3
	s_lshl_b32 s42, s42, 2
	ds_load_2addr_b32 v[64:65], v38 offset1:1
	s_waitcnt lgkmcnt(4)
	v_fma_f32 v29, -v26, v60, v29
	v_mov_b32_e32 v31, s42
	s_add_i32 s42, s40, s22
	v_fma_f32 v38, -v18, v35, v34
	s_lshl_b32 s42, s42, 2
	s_waitcnt lgkmcnt(3)
	v_fma_f32 v29, -v25, v62, v29
	v_mov_b32_e32 v41, s42
	ds_load_2addr_b32 v[34:35], v31 offset1:1
	s_add_i32 s42, s40, s23
	v_fma_f32 v31, -v21, v63, v38
	s_lshl_b32 s42, s42, 2
	s_waitcnt lgkmcnt(3)
	v_fma_f32 v29, -v24, v43, v29
	v_mov_b32_e32 v38, s42
	ds_load_2addr_b32 v[62:63], v41 offset1:1
	s_add_i32 s42, s40, s24
	v_fma_f32 v31, -v16, v44, v31
	s_lshl_b32 s42, s42, 2
	s_waitcnt lgkmcnt(3)
	v_fma_f32 v5, -v23, v5, v29
	ds_load_2addr_b32 v[43:44], v38 offset1:1
	v_mov_b32_e32 v29, s42
	s_add_i32 s42, s40, s25
	v_fma_f32 v31, -v14, v51, v31
	s_lshl_b32 s42, s42, 2
	s_waitcnt lgkmcnt(3)
	v_fma_f32 v5, -v22, v65, v5
	ds_load_2addr_b32 v[50:51], v29 offset1:1
	v_mov_b32_e32 v29, s42
	s_add_i32 s42, s40, s28
	v_fma_f32 v31, -v15, v53, v31
	s_lshl_b32 s42, s42, 2
	s_waitcnt lgkmcnt(3)
	v_fma_f32 v5, -v20, v35, v5
	v_mov_b32_e32 v35, s42
	ds_load_2addr_b32 v[52:53], v29 offset1:1
	v_fma_f32 v29, -v12, v36, v31
	s_add_i32 s42, s40, s27
	s_waitcnt lgkmcnt(3)
	v_fma_f32 v5, -v19, v63, v5
	ds_load_2addr_b32 v[35:36], v35 offset1:1
	s_lshl_b32 s42, s42, 2
	v_fma_f32 v29, -v13, v45, v29
	v_mov_b32_e32 v31, s42
	s_waitcnt lgkmcnt(3)
	v_fma_f32 v5, -v18, v44, v5
	s_lshl_b32 s42, s43, 2
	s_add_i32 s43, s40, s33
	v_mov_b32_e32 v38, s42
	ds_load_2addr_b32 v[40:41], v31 offset1:1
	s_add_i32 s42, s40, s30
	s_waitcnt lgkmcnt(3)
	v_fma_f32 v5, -v21, v51, v5
	s_lshl_b32 s42, s42, 2
	v_fma_f32 v29, -v17, v47, v29
	v_mov_b32_e32 v31, s42
	ds_load_2addr_b32 v[44:45], v38 offset1:1
	s_add_i32 s42, s40, s31
	s_waitcnt lgkmcnt(3)
	v_fma_f32 v5, -v16, v53, v5
	s_lshl_b32 s42, s42, 2
	ds_load_2addr_b32 v[46:47], v31 offset1:1
	v_mov_b32_e32 v31, s42
	s_lshl_b32 s42, s43, 2
	v_fma_f32 v29, -v10, v49, v29
	s_waitcnt lgkmcnt(3)
	v_fma_f32 v5, -v14, v36, v5
	v_mov_b32_e32 v36, s42
	s_add_i32 s42, s40, s34
	ds_load_2addr_b32 v[48:49], v31 offset1:1
	s_lshl_b32 s42, s42, 2
	v_fma_f32 v29, -v9, v54, v29
	v_mov_b32_e32 v38, s42
	s_waitcnt lgkmcnt(3)
	v_fma_f32 v5, -v15, v41, v5
	s_add_i32 s42, s40, s35
	v_fma_f32 v3, -v26, v59, v3
	s_lshl_b32 s42, s42, 2
	ds_load_2addr_b32 v[53:54], v38 offset1:1
	v_fma_f32 v31, -v8, v30, v29
	ds_load_2addr_b32 v[29:30], v36 offset1:1
	s_waitcnt lgkmcnt(4)
	v_fma_f32 v5, -v12, v45, v5
	v_mov_b32_e32 v36, s42
	s_add_i32 s42, s40, s37
	v_fma_f32 v27, -v56, v58, v27
	s_lshl_b32 s42, s42, 2
	s_waitcnt lgkmcnt(3)
	v_fma_f32 v5, -v13, v47, v5
	v_mov_b32_e32 v38, s42
	ds_load_2addr_b32 v[36:37], v36 offset1:1
	s_add_i32 s42, s40, s36
	v_fma_f32 v3, -v25, v61, v3
	s_lshl_b32 s42, s42, 2
	ds_load_2addr_b32 v[58:59], v38 offset1:1
	s_waitcnt lgkmcnt(4)
	v_fma_f32 v5, -v17, v49, v5
	v_mov_b32_e32 v41, s42
	v_fma_f32 v38, -v11, v55, v31
	v_fma_f32 v3, -v24, v42, v3
	s_add_i32 s42, s40, s38
	v_mul_f32_e32 v51, v33, v27
	s_lshl_b32 s42, s42, 2
	s_waitcnt lgkmcnt(2)
	v_fma_f32 v5, -v10, v30, v5
	ds_load_2addr_b32 v[30:31], v41 offset1:1
	v_fma_f32 v38, -v6, v39, v38
	v_fma_f32 v41, -v23, v4, v3
	v_mov_b32_e32 v39, s42
	v_fma_f32 v5, -v9, v54, v5
	s_sub_i32 s42, s4, 27
	v_fma_f32 v27, -v56, v57, v38
	v_fma_f32 v33, -v22, v64, v41
	ds_load_2addr_b32 v[3:4], v39 offset1:1
	s_waitcnt lgkmcnt(3)
	v_fma_f32 v5, -v8, v37, v5
	s_add_i32 s44, s42, s10
	v_fma_f32 v27, -v51, v32, v27
	v_fma_f32 v32, -v20, v34, v33
	s_lshl_b32 s44, s44, 2
	s_waitcnt lgkmcnt(2)
	v_fma_f32 v5, -v11, v59, v5
	s_add_i32 s13, s42, s13
	v_mul_f32_e32 v57, v67, v27
	v_fma_f32 v27, -v19, v62, v32
	s_lshl_b32 s13, s13, 2
	v_or_b32_e32 v37, s37, v0
	s_waitcnt lgkmcnt(1)
	v_fma_f32 v5, -v6, v31, v5
	v_mov_b32_e32 v31, s44
	v_fma_f32 v27, -v18, v43, v27
	v_mov_b32_e32 v33, s13
	s_add_i32 s12, s42, s12
	v_lshlrev_b32_e32 v55, 2, v37
	ds_load_2addr_b32 v[31:32], v31 offset1:1
	s_lshl_b32 s12, s12, 2
	ds_load_2addr_b32 v[33:34], v33 offset1:1
	v_fma_f32 v27, -v21, v50, v27
	v_mov_b32_e32 v37, s12
	s_add_i32 s12, s42, s19
	s_add_i32 s18, s42, s18
	s_lshl_b32 s12, s12, 2
	v_fma_f32 v27, -v16, v52, v27
	s_waitcnt lgkmcnt(2)
	v_fma_f32 v52, -v56, v4, v5
	ds_load_2addr_b32 v[4:5], v37 offset1:1
	s_lshl_b32 s18, s18, 2
	s_add_i32 s19, s42, s22
	v_fma_f32 v27, -v14, v35, v27
	v_mov_b32_e32 v35, s12
	s_add_i32 s12, s10, 0xfffffd00
	s_add_i32 s43, s40, s39
	s_addk_i32 s10, 0xfcc0
	v_fma_f32 v27, -v15, v40, v27
	ds_load_2addr_b32 v[37:38], v35 offset1:1
	s_waitcnt lgkmcnt(3)
	v_fma_f32 v2, -v28, v32, v2
	v_mov_b32_e32 v32, s18
	s_add_i32 s18, s42, s20
	v_fma_f32 v27, -v12, v44, v27
	s_lshl_b32 s18, s18, 2
	s_waitcnt lgkmcnt(2)
	v_fma_f32 v2, -v26, v34, v2
	v_mov_b32_e32 v39, s18
	s_add_i32 s18, s42, s21
	ds_load_2addr_b32 v[34:35], v32 offset1:1
	s_lshl_b32 s18, s18, 2
	s_waitcnt lgkmcnt(2)
	v_fma_f32 v2, -v25, v5, v2
	v_mov_b32_e32 v5, s18
	v_fma_f32 v27, -v13, v46, v27
	s_lshl_b32 s18, s19, 2
	ds_load_2addr_b32 v[39:40], v39 offset1:1
	s_add_i32 s19, s42, s25
	ds_load_2addr_b32 v[41:42], v5 offset1:1
	v_mov_b32_e32 v32, s18
	s_add_i32 s18, s42, s23
	v_fma_f32 v27, -v17, v48, v27
	s_lshl_b32 s18, s18, 2
	s_lshl_b32 s19, s19, 2
	v_mov_b32_e32 v5, s18
	s_add_i32 s18, s42, s24
	v_fma_f32 v27, -v10, v29, v27
	s_lshl_b32 s18, s18, 2
	s_waitcnt lgkmcnt(3)
	v_fma_f32 v2, -v24, v38, v2
	v_mov_b32_e32 v29, s18
	ds_load_2addr_b32 v[43:44], v32 offset1:1
	ds_load_2addr_b32 v[45:46], v5 offset1:1
	v_fma_f32 v1, -v28, v31, v1
	s_waitcnt lgkmcnt(4)
	v_fma_f32 v2, -v23, v35, v2
	ds_load_2addr_b32 v[47:48], v29 offset1:1
	v_fma_f32 v5, -v9, v53, v27
	v_mov_b32_e32 v27, s19
	s_add_i32 s19, s42, s28
	s_add_i32 s18, s40, s12
	s_lshl_b32 s19, s19, 2
	v_fma_f32 v5, -v8, v36, v5
	v_mov_b32_e32 v29, s19
	ds_load_2addr_b32 v[35:36], v27 offset1:1
	s_lshl_b32 s18, s18, 2
	v_fma_f32 v1, -v26, v33, v1
	v_fma_f32 v5, -v11, v58, v5
	ds_load_2addr_b32 v[49:50], v29 offset1:1
	s_waitcnt lgkmcnt(6)
	v_fma_f32 v2, -v22, v40, v2
	v_mov_b32_e32 v32, s18
	s_add_i32 s18, s42, s27
	s_add_i32 s19, s42, s29
	s_lshl_b32 s18, s18, 2
	s_waitcnt lgkmcnt(5)
	v_fma_f32 v2, -v20, v42, v2
	s_lshl_b32 s19, s19, 2
	v_fma_f32 v25, -v25, v4, v1
	v_fma_f32 v38, -v6, v30, v5
	v_mov_b32_e32 v5, s18
	s_waitcnt lgkmcnt(4)
	v_fma_f32 v2, -v19, v44, v2
	v_mov_b32_e32 v26, s19
	v_fma_f32 v24, -v24, v37, v25
	s_lshl_b32 s13, s43, 2
	s_add_i32 s18, s42, s31
	s_waitcnt lgkmcnt(3)
	v_fma_f32 v2, -v18, v46, v2
	v_mov_b32_e32 v59, s13
	v_fma_f32 v33, -v23, v34, v24
	s_add_i32 s13, s40, s41
	v_lshlrev_b32_e32 v54, 2, v66
	s_waitcnt lgkmcnt(2)
	v_fma_f32 v2, -v21, v48, v2
	s_lshl_b32 s13, s13, 2
	v_fma_f32 v22, -v22, v39, v33
	v_mov_b32_e32 v27, s13
	s_add_i32 s13, s11, 0xfffff31c
	s_waitcnt lgkmcnt(1)
	v_fma_f32 v31, -v16, v36, v2
	ds_load_2addr_b32 v[1:2], v5 offset1:1
	ds_load_2addr_b32 v[4:5], v26 offset1:1
	v_fma_f32 v20, -v20, v41, v22
	v_mov_b32_e32 v29, s13
	s_add_i32 s13, s42, s30
	s_waitcnt lgkmcnt(2)
	v_fma_f32 v34, -v14, v50, v31
	s_lshl_b32 s13, s13, 2
	ds_load_2addr_b32 v[23:24], v59 offset1:1
	ds_load_2addr_b32 v[25:26], v27 offset1:1
	;; [unrolled: 1-line block ×3, first 2 shown]
	ds_load_b32 v36, v29
	v_mov_b32_e32 v30, s13
	s_lshl_b32 s13, s18, 2
	s_add_i32 s18, s42, s34
	v_mov_b32_e32 v32, s13
	s_add_i32 s13, s42, s33
	ds_load_2addr_b32 v[29:30], v30 offset1:1
	s_lshl_b32 s13, s13, 2
	s_addk_i32 s11, 0xf214
	ds_load_2addr_b32 v[31:32], v32 offset1:1
	v_mov_b32_e32 v22, s13
	s_lshl_b32 s13, s18, 2
	s_add_i32 s18, s42, s41
	s_waitcnt lgkmcnt(7)
	v_fma_f32 v2, -v15, v2, v34
	v_fma_f32 v34, -v19, v43, v20
	ds_load_2addr_b32 v[19:20], v22 offset1:1
	v_mov_b32_e32 v33, s13
	s_add_i32 s13, s42, s35
	s_waitcnt lgkmcnt(7)
	v_fma_f32 v2, -v12, v5, v2
	v_fma_f32 v5, -v18, v45, v34
	s_lshl_b32 s13, s13, 2
	ds_load_2addr_b32 v[33:34], v33 offset1:1
	v_mov_b32_e32 v18, s13
	s_add_i32 s13, s42, s37
	v_fma_f32 v5, -v21, v47, v5
	s_lshl_b32 s13, s13, 2
	s_waitcnt lgkmcnt(7)
	v_fma_f32 v24, -v51, v24, v52
	ds_load_2addr_b32 v[21:22], v18 offset1:1
	s_waitcnt lgkmcnt(4)
	v_fma_f32 v2, -v13, v30, v2
	v_fma_f32 v5, -v16, v35, v5
	v_mov_b32_e32 v18, s13
	v_fma_f32 v16, -v56, v3, v38
	s_add_i32 s13, s42, s36
	s_waitcnt lgkmcnt(3)
	v_fma_f32 v30, -v17, v32, v2
	v_fma_f32 v5, -v14, v49, v5
	ds_load_2addr_b32 v[2:3], v18 offset1:1
	s_lshl_b32 s13, s13, 2
	v_fma_f32 v23, -v51, v23, v16
	s_waitcnt lgkmcnt(3)
	v_fma_f32 v14, -v10, v20, v30
	v_fma_f32 v1, -v15, v1, v5
	v_mov_b32_e32 v18, s13
	s_add_i32 s13, s42, s38
	v_fma_f32 v20, -v57, v26, v24
	s_lshl_b32 s13, s13, 2
	v_fma_f32 v1, -v12, v4, v1
	s_waitcnt lgkmcnt(2)
	v_fma_f32 v5, -v9, v34, v14
	ds_load_2addr_b32 v[14:15], v18 offset1:1
	v_mov_b32_e32 v4, s13
	s_add_i32 s13, s42, s39
	v_fma_f32 v1, -v13, v29, v1
	s_lshl_b32 s13, s13, 2
	s_waitcnt lgkmcnt(2)
	v_fma_f32 v12, -v8, v22, v5
	ds_load_2addr_b32 v[4:5], v4 offset1:1
	v_mov_b32_e32 v13, s13
	v_fma_f32 v1, -v17, v31, v1
	s_lshl_b32 s13, s18, 2
	s_add_i32 s18, s42, s12
	v_mov_b32_e32 v16, s13
	s_lshl_b32 s18, s18, 2
	v_fma_f32 v1, -v10, v19, v1
	v_mov_b32_e32 v10, s18
	s_waitcnt lgkmcnt(2)
	v_fma_f32 v3, -v11, v3, v12
	ds_load_2addr_b32 v[12:13], v13 offset1:1
	ds_load_2addr_b32 v[16:17], v16 offset1:1
	s_lshl_b32 s13, s40, 5
	v_fma_f32 v1, -v9, v33, v1
	ds_load_2addr_b32 v[18:19], v10 offset1:1
	s_add_i32 s19, s42, s13
	s_waitcnt lgkmcnt(4)
	v_fma_f32 v3, -v6, v15, v3
	s_lshl_b32 s18, s19, 2
	v_fma_f32 v1, -v8, v21, v1
	v_mov_b32_e32 v15, s18
	s_add_i32 s18, s42, s10
	s_waitcnt lgkmcnt(3)
	v_fma_f32 v3, -v56, v5, v3
	s_lshl_b32 s18, s18, 2
	v_fma_f32 v10, -v11, v2, v1
	v_mov_b32_e32 v5, s18
	ds_load_2addr_b32 v[1:2], v15 offset1:1
	s_sub_i32 s4, s4, 28
	v_fma_f32 v10, -v6, v14, v10
	s_waitcnt lgkmcnt(3)
	v_fma_f32 v3, -v51, v13, v3
	ds_load_2addr_b32 v[13:14], v5 offset1:1
	v_fma_f32 v4, -v56, v4, v10
	v_mov_b32_e32 v10, s11
	s_waitcnt lgkmcnt(3)
	v_fma_f32 v3, -v57, v17, v3
	v_or_b32_e32 v17, s39, v0
	v_fma_f32 v4, -v51, v12, v4
	ds_load_b32 v10, v10
	v_mul_f32_e32 v15, v28, v20
	v_fma_f32 v20, -v57, v25, v23
	v_or_b32_e32 v12, s36, v0
	v_fma_f32 v4, -v57, v16, v4
	v_or_b32_e32 v16, s38, v0
	s_waitcnt lgkmcnt(3)
	v_fma_f32 v3, -v15, v19, v3
	v_fma_f32 v5, -v15, v27, v20
	v_lshlrev_b32_e32 v12, 2, v12
	v_lshlrev_b32_e32 v17, 2, v17
	s_delay_alu instid0(VALU_DEP_3) | instskip(SKIP_1) | instid1(VALU_DEP_1)
	v_dual_mul_f32 v5, v36, v5 :: v_dual_lshlrev_b32 v16, 2, v16
	s_waitcnt lgkmcnt(2)
	v_fma_f32 v2, -v5, v2, v3
	v_fma_f32 v3, -v15, v18, v4
	v_or_b32_e32 v4, s41, v0
	v_or_b32_e32 v18, s10, v0
	s_waitcnt lgkmcnt(1)
	v_mul_f32_e32 v2, v14, v2
	v_fma_f32 v1, -v5, v1, v3
	v_or_b32_e32 v14, s13, v0
	v_lshlrev_b32_e32 v3, 2, v4
	v_or_b32_e32 v4, s12, v0
	v_lshlrev_b32_e32 v18, 2, v18
	v_fma_f32 v1, -v2, v13, v1
	v_lshlrev_b32_e32 v13, 2, v0
	v_lshlrev_b32_e32 v14, 2, v14
	;; [unrolled: 1-line block ×3, first 2 shown]
	ds_store_b32 v7, v9 offset:4096
	ds_store_b32 v54, v8 offset:4096
	ds_store_b32 v55, v11 offset:4096
	ds_store_b32 v12, v6 offset:4096
	ds_store_b32 v16, v56 offset:4096
	ds_store_b32 v17, v51 offset:4096
	ds_store_b32 v3, v57 offset:4096
	ds_store_b32 v4, v15 offset:4096
	s_waitcnt lgkmcnt(8)
	v_mul_f32_e32 v1, v10, v1
	v_lshl_or_b32 v10, s42, 7, v13
	ds_store_b32 v14, v5 offset:4096
	ds_store_b32 v18, v2 offset:4096
	;; [unrolled: 1-line block ×3, first 2 shown]
.LBB36_47:
	s_cmp_lt_i32 s4, 0
	s_cbranch_scc1 .LBB36_60
; %bb.48:
	s_bitcmp1_b32 s4, 0
	s_cselect_b32 s10, -1, 0
	s_delay_alu instid0(SALU_CYCLE_1)
	s_and_b32 vcc_lo, exec_lo, s10
	s_mov_b32 s10, s4
	s_cbranch_vccnz .LBB36_53
; %bb.49:
	v_lshlrev_b32_e32 v1, 2, v0
	s_cmp_le_i32 s26, s4
	s_delay_alu instid0(VALU_DEP_1)
	v_lshl_or_b32 v2, s4, 7, v1
	ds_load_b32 v1, v2 offset:4096
	s_cbranch_scc1 .LBB36_52
; %bb.50:
	s_lshl_b32 s10, s15, 7
	s_lshl_b32 s11, s4, 2
	v_lshl_or_b32 v3, v0, 2, s10
	s_add_i32 s10, s10, s11
	s_mov_b32 s11, s26
	s_addk_i32 s10, 0xff80
	s_delay_alu instid0(VALU_DEP_1)
	v_add_nc_u32_e32 v3, 0xf80, v3
.LBB36_51:                              ; =>This Inner Loop Header: Depth=1
	v_mov_b32_e32 v4, s10
	s_add_i32 s11, s11, -1
	s_addk_i32 s10, 0xff80
	s_cmp_gt_i32 s11, s4
	ds_load_b32 v5, v3
	ds_load_b32 v4, v4
	v_add_nc_u32_e32 v3, 0xffffff80, v3
	s_waitcnt lgkmcnt(0)
	v_fma_f32 v1, -v5, v4, v1
	s_cbranch_scc1 .LBB36_51
.LBB36_52:
	s_mul_i32 s10, s4, 0x84
	s_delay_alu instid0(SALU_CYCLE_1)
	v_dual_mov_b32 v3, s10 :: v_dual_add_nc_u32 v2, 0x1000, v2
	s_add_i32 s10, s4, -1
	ds_load_b32 v3, v3
	s_waitcnt lgkmcnt(0)
	v_mul_f32_e32 v1, v3, v1
	ds_store_b32 v2, v1
.LBB36_53:
	s_cmp_eq_u32 s4, 0
	s_cbranch_scc1 .LBB36_60
; %bb.54:
	s_lshl_b32 s4, s15, 7
	s_lshl_b32 s11, s10, 2
	v_lshl_or_b32 v1, v0, 2, s4
	v_lshlrev_b32_e32 v2, 2, v0
	s_add_i32 s11, s4, s11
	s_delay_alu instid0(SALU_CYCLE_1) | instskip(NEXT) | instid1(VALU_DEP_2)
	s_add_i32 s4, s11, 0xffffff80
	v_add_nc_u32_e32 v1, 0xf80, v1
	s_addk_i32 s11, 0xff7c
	s_branch .LBB36_56
.LBB36_55:                              ;   in Loop: Header=BB36_56 Depth=1
	s_addk_i32 s12, 0xff7c
	v_add_nc_u32_e32 v3, 0x1000, v5
	v_mov_b32_e32 v5, s12
	s_add_i32 s12, s10, -2
	s_add_i32 s4, s4, -8
	;; [unrolled: 1-line block ×3, first 2 shown]
	s_cmp_lt_i32 s10, 2
	ds_load_b32 v5, v5
	s_mov_b32 s10, s12
	s_waitcnt lgkmcnt(0)
	v_mul_f32_e32 v4, v5, v4
	ds_store_b32 v3, v4
	s_cbranch_scc1 .LBB36_60
.LBB36_56:                              ; =>This Loop Header: Depth=1
                                        ;     Child Loop BB36_57 Depth 2
                                        ;     Child Loop BB36_59 Depth 2
	v_lshl_or_b32 v4, s10, 7, v2
	s_delay_alu instid0(VALU_DEP_2)
	v_mov_b32_e32 v5, v1
	s_cmp_le_i32 s26, s10
	s_mov_b32 s12, s4
	s_mov_b32 s13, s26
	ds_load_b32 v3, v4 offset:4096
	s_cbranch_scc1 .LBB36_58
.LBB36_57:                              ;   Parent Loop BB36_56 Depth=1
                                        ; =>  This Inner Loop Header: Depth=2
	v_mov_b32_e32 v6, s12
	s_add_i32 s13, s13, -1
	s_addk_i32 s12, 0xff80
	s_cmp_gt_i32 s13, s10
	ds_load_b32 v7, v5
	ds_load_b32 v6, v6
	v_add_nc_u32_e32 v5, 0xffffff80, v5
	s_waitcnt lgkmcnt(0)
	v_fma_f32 v3, -v7, v6, v3
	s_cbranch_scc1 .LBB36_57
.LBB36_58:                              ;   in Loop: Header=BB36_56 Depth=1
	s_mul_i32 s12, s10, 0x84
	v_add_nc_u32_e32 v6, 0x1000, v4
	v_mov_b32_e32 v4, s12
	s_lshl_b32 s13, s10, 7
	s_mov_b32 s18, s15
	s_addk_i32 s13, 0xff80
	s_cmp_lt_i32 s26, s10
	ds_load_b32 v7, v4
	v_lshl_or_b32 v5, v0, 2, s13
	s_mov_b32 s13, s11
	ds_load_b32 v4, v5 offset:4096
	s_waitcnt lgkmcnt(1)
	v_mul_f32_e32 v7, v7, v3
	v_mov_b32_e32 v3, v1
	ds_store_b32 v6, v7
	s_cbranch_scc1 .LBB36_55
.LBB36_59:                              ;   Parent Loop BB36_56 Depth=1
                                        ; =>  This Inner Loop Header: Depth=2
	v_mov_b32_e32 v6, s13
	s_add_i32 s18, s18, -1
	s_addk_i32 s13, 0xff80
	s_cmp_gt_i32 s18, s10
	ds_load_b32 v7, v3
	ds_load_b32 v6, v6
	v_add_nc_u32_e32 v3, 0xffffff80, v3
	s_waitcnt lgkmcnt(0)
	v_fma_f32 v4, -v7, v6, v4
	s_cbranch_scc1 .LBB36_59
	s_branch .LBB36_55
.LBB36_60:
	s_waitcnt vmcnt(0) lgkmcnt(0)
	s_waitcnt_vscnt null, 0x0
	; wave barrier
	s_waitcnt lgkmcnt(0)
	buffer_gl0_inv
	s_and_saveexec_b32 s4, s14
	s_cbranch_execz .LBB36_67
; %bb.61:
	s_cmp_lt_i32 s6, 8
	s_mov_b32 s4, 0
	s_cbranch_scc1 .LBB36_64
; %bb.62:
	v_mad_i64_i32 v[1:2], null, s16, v0, 0
	v_lshl_or_b32 v3, v0, 2, 0x1000
	s_lshl_b32 s4, s15, 2
	s_delay_alu instid0(VALU_DEP_2) | instskip(NEXT) | instid1(VALU_DEP_1)
	v_lshlrev_b64 v[1:2], 2, v[1:2]
	v_add_co_u32 v1, vcc_lo, s5, v1
	s_delay_alu instid0(VALU_DEP_2)
	v_add_co_ci_u32_e32 v2, vcc_lo, s7, v2, vcc_lo
	s_and_b32 s5, s4, 0xe0
	s_mov_b32 s4, 0
	s_mov_b64 s[6:7], 0
	.p2align	6
.LBB36_63:                              ; =>This Inner Loop Header: Depth=1
	ds_load_2addr_b32 v[4:5], v3 offset1:32
	ds_load_2addr_b32 v[6:7], v3 offset0:64 offset1:96
	ds_load_2addr_b32 v[8:9], v3 offset0:128 offset1:160
	;; [unrolled: 1-line block ×3, first 2 shown]
	v_add_co_u32 v12, vcc_lo, v1, s6
	v_add_co_ci_u32_e32 v13, vcc_lo, s7, v2, vcc_lo
	s_add_i32 s4, s4, 8
	v_add_nc_u32_e32 v3, 0x400, v3
	s_add_u32 s6, s6, 32
	s_addc_u32 s7, s7, 0
	s_cmp_lg_u32 s5, s6
	s_waitcnt lgkmcnt(2)
	global_store_b128 v[12:13], v[4:7], off
	s_waitcnt lgkmcnt(0)
	global_store_b128 v[12:13], v[8:11], off offset:16
	s_cbranch_scc1 .LBB36_63
.LBB36_64:
	s_and_b32 s6, s15, 7
	s_mov_b32 s5, 0
	s_cmp_eq_u32 s6, 0
	s_cbranch_scc1 .LBB36_67
; %bb.65:
	v_lshlrev_b32_e32 v2, 2, v0
	s_lshl_b64 s[8:9], s[8:9], 2
	s_lshl_b64 s[10:11], s[4:5], 2
	s_delay_alu instid0(SALU_CYCLE_1) | instskip(NEXT) | instid1(VALU_DEP_1)
	s_add_u32 s2, s2, s10
	v_add_co_u32 v3, s5, s8, v2
	s_delay_alu instid0(VALU_DEP_1) | instskip(SKIP_3) | instid1(VALU_DEP_1)
	v_add_co_ci_u32_e64 v4, null, s9, 0, s5
	s_addc_u32 s3, s3, s11
	s_add_u32 s0, s2, s0
	s_addc_u32 s1, s3, s1
	v_mul_lo_u32 v4, v4, s16
	v_mad_u64_u32 v[0:1], null, v3, s16, s[0:1]
	v_mul_lo_u32 v3, v3, s17
	v_lshl_or_b32 v2, s4, 7, v2
	s_delay_alu instid0(VALU_DEP_1) | instskip(NEXT) | instid1(VALU_DEP_3)
	v_add_nc_u32_e32 v2, 0x1000, v2
	v_add3_u32 v1, v4, v1, v3
.LBB36_66:                              ; =>This Inner Loop Header: Depth=1
	ds_load_b32 v3, v2
	v_add_nc_u32_e32 v2, 0x80, v2
	s_add_i32 s6, s6, -1
	s_delay_alu instid0(SALU_CYCLE_1)
	s_cmp_lg_u32 s6, 0
	s_waitcnt lgkmcnt(0)
	global_store_b32 v[0:1], v3, off
	v_add_co_u32 v0, vcc_lo, v0, 4
	v_add_co_ci_u32_e32 v1, vcc_lo, 0, v1, vcc_lo
	s_cbranch_scc1 .LBB36_66
.LBB36_67:
	s_nop 0
	s_sendmsg sendmsg(MSG_DEALLOC_VGPRS)
	s_endpgm
	.section	.rodata,"a",@progbits
	.p2align	6, 0x0
	.amdhsa_kernel _ZL38rocblas_trsm_small_left_device_sharedBILi32ELi32ELb0EffPKPKfPKPfEv13rocblas_fill_18rocblas_operation_17rocblas_diagonal_iiT3_T4_lilT5_lili
		.amdhsa_group_segment_fixed_size 8192
		.amdhsa_private_segment_fixed_size 0
		.amdhsa_kernarg_size 352
		.amdhsa_user_sgpr_count 14
		.amdhsa_user_sgpr_dispatch_ptr 0
		.amdhsa_user_sgpr_queue_ptr 0
		.amdhsa_user_sgpr_kernarg_segment_ptr 1
		.amdhsa_user_sgpr_dispatch_id 0
		.amdhsa_user_sgpr_private_segment_size 0
		.amdhsa_wavefront_size32 1
		.amdhsa_uses_dynamic_stack 0
		.amdhsa_enable_private_segment 0
		.amdhsa_system_sgpr_workgroup_id_x 1
		.amdhsa_system_sgpr_workgroup_id_y 0
		.amdhsa_system_sgpr_workgroup_id_z 1
		.amdhsa_system_sgpr_workgroup_info 0
		.amdhsa_system_vgpr_workitem_id 0
		.amdhsa_next_free_vgpr 203
		.amdhsa_next_free_sgpr 50
		.amdhsa_reserve_vcc 1
		.amdhsa_float_round_mode_32 0
		.amdhsa_float_round_mode_16_64 0
		.amdhsa_float_denorm_mode_32 3
		.amdhsa_float_denorm_mode_16_64 3
		.amdhsa_dx10_clamp 1
		.amdhsa_ieee_mode 1
		.amdhsa_fp16_overflow 0
		.amdhsa_workgroup_processor_mode 1
		.amdhsa_memory_ordered 1
		.amdhsa_forward_progress 0
		.amdhsa_shared_vgpr_count 0
		.amdhsa_exception_fp_ieee_invalid_op 0
		.amdhsa_exception_fp_denorm_src 0
		.amdhsa_exception_fp_ieee_div_zero 0
		.amdhsa_exception_fp_ieee_overflow 0
		.amdhsa_exception_fp_ieee_underflow 0
		.amdhsa_exception_fp_ieee_inexact 0
		.amdhsa_exception_int_div_zero 0
	.end_amdhsa_kernel
	.section	.text._ZL38rocblas_trsm_small_left_device_sharedBILi32ELi32ELb0EffPKPKfPKPfEv13rocblas_fill_18rocblas_operation_17rocblas_diagonal_iiT3_T4_lilT5_lili,"axG",@progbits,_ZL38rocblas_trsm_small_left_device_sharedBILi32ELi32ELb0EffPKPKfPKPfEv13rocblas_fill_18rocblas_operation_17rocblas_diagonal_iiT3_T4_lilT5_lili,comdat
.Lfunc_end36:
	.size	_ZL38rocblas_trsm_small_left_device_sharedBILi32ELi32ELb0EffPKPKfPKPfEv13rocblas_fill_18rocblas_operation_17rocblas_diagonal_iiT3_T4_lilT5_lili, .Lfunc_end36-_ZL38rocblas_trsm_small_left_device_sharedBILi32ELi32ELb0EffPKPKfPKPfEv13rocblas_fill_18rocblas_operation_17rocblas_diagonal_iiT3_T4_lilT5_lili
                                        ; -- End function
	.section	.AMDGPU.csdata,"",@progbits
; Kernel info:
; codeLenInByte = 36088
; NumSgprs: 52
; NumVgprs: 203
; ScratchSize: 0
; MemoryBound: 0
; FloatMode: 240
; IeeeMode: 1
; LDSByteSize: 8192 bytes/workgroup (compile time only)
; SGPRBlocks: 6
; VGPRBlocks: 25
; NumSGPRsForWavesPerEU: 52
; NumVGPRsForWavesPerEU: 203
; Occupancy: 4
; WaveLimiterHint : 1
; COMPUTE_PGM_RSRC2:SCRATCH_EN: 0
; COMPUTE_PGM_RSRC2:USER_SGPR: 14
; COMPUTE_PGM_RSRC2:TRAP_HANDLER: 0
; COMPUTE_PGM_RSRC2:TGID_X_EN: 1
; COMPUTE_PGM_RSRC2:TGID_Y_EN: 0
; COMPUTE_PGM_RSRC2:TGID_Z_EN: 1
; COMPUTE_PGM_RSRC2:TIDIG_COMP_CNT: 0
	.section	.text._ZL30rocblas_trsm_small_left_deviceILi32ELi32ELb0EffPKPKfPKPfEv13rocblas_fill_18rocblas_operation_17rocblas_diagonal_iiT3_T4_lilT5_lili,"axG",@progbits,_ZL30rocblas_trsm_small_left_deviceILi32ELi32ELb0EffPKPKfPKPfEv13rocblas_fill_18rocblas_operation_17rocblas_diagonal_iiT3_T4_lilT5_lili,comdat
	.globl	_ZL30rocblas_trsm_small_left_deviceILi32ELi32ELb0EffPKPKfPKPfEv13rocblas_fill_18rocblas_operation_17rocblas_diagonal_iiT3_T4_lilT5_lili ; -- Begin function _ZL30rocblas_trsm_small_left_deviceILi32ELi32ELb0EffPKPKfPKPfEv13rocblas_fill_18rocblas_operation_17rocblas_diagonal_iiT3_T4_lilT5_lili
	.p2align	8
	.type	_ZL30rocblas_trsm_small_left_deviceILi32ELi32ELb0EffPKPKfPKPfEv13rocblas_fill_18rocblas_operation_17rocblas_diagonal_iiT3_T4_lilT5_lili,@function
_ZL30rocblas_trsm_small_left_deviceILi32ELi32ELb0EffPKPKfPKPfEv13rocblas_fill_18rocblas_operation_17rocblas_diagonal_iiT3_T4_lilT5_lili: ; @_ZL30rocblas_trsm_small_left_deviceILi32ELi32ELb0EffPKPKfPKPfEv13rocblas_fill_18rocblas_operation_17rocblas_diagonal_iiT3_T4_lilT5_lili
; %bb.0:
	s_clause 0x1
	s_load_b128 s[8:11], s[0:1], 0x38
	s_load_b128 s[4:7], s[0:1], 0x4
	s_mov_b32 s2, s15
	s_mov_b32 s3, 0
	s_delay_alu instid0(SALU_CYCLE_1)
	s_lshl_b64 s[22:23], s[2:3], 3
	s_waitcnt lgkmcnt(0)
	s_add_u32 s8, s8, s22
	s_addc_u32 s9, s9, s23
	s_load_b32 s15, s[0:1], 0x14
	s_load_b64 s[12:13], s[8:9], 0x0
	s_min_i32 s2, s6, 32
	s_mov_b32 s9, exec_lo
	s_add_i32 s8, s2, -1
	v_cmpx_gt_i32_e64 s2, v0
	s_cbranch_execz .LBB37_10
; %bb.1:
	s_clause 0x1
	s_load_b32 s20, s[0:1], 0x28
	s_load_b128 s[16:19], s[0:1], 0x18
	v_lshlrev_b32_e32 v3, 2, v0
	s_waitcnt lgkmcnt(0)
	s_ashr_i32 s21, s20, 31
	s_add_u32 s16, s16, s22
	s_addc_u32 s17, s17, s23
	s_cmp_lt_u32 s8, 3
	s_load_b64 s[16:17], s[16:17], 0x0
	s_cbranch_scc1 .LBB37_4
; %bb.2:
	s_lshl_b64 s[22:23], s[18:19], 2
	v_mov_b32_e32 v4, v3
	s_waitcnt lgkmcnt(0)
	s_add_u32 s3, s16, s22
	s_addc_u32 s22, s17, s23
	v_add_co_u32 v1, s3, s3, v3
	s_delay_alu instid0(VALU_DEP_1)
	v_add_co_ci_u32_e64 v2, null, s22, 0, s3
	s_and_b32 s3, s2, -4
	s_mul_hi_i32 s28, s20, 12
	s_mul_i32 s29, s20, 12
	s_lshl_b64 s[22:23], s[20:21], 4
	s_lshl_b64 s[24:25], s[20:21], 3
	;; [unrolled: 1-line block ×3, first 2 shown]
	s_mov_b32 s30, 0
	.p2align	6
.LBB37_3:                               ; =>This Inner Loop Header: Depth=1
	v_add_co_u32 v5, vcc_lo, v1, s26
	v_add_co_ci_u32_e32 v6, vcc_lo, s27, v2, vcc_lo
	v_add_co_u32 v7, vcc_lo, v1, s24
	v_add_co_ci_u32_e32 v8, vcc_lo, s25, v2, vcc_lo
	;; [unrolled: 2-line block ×3, first 2 shown]
	s_clause 0x3
	global_load_b32 v11, v[1:2], off
	global_load_b32 v5, v[5:6], off
	;; [unrolled: 1-line block ×4, first 2 shown]
	v_add_co_u32 v1, vcc_lo, v1, s22
	v_add_co_ci_u32_e32 v2, vcc_lo, s23, v2, vcc_lo
	s_add_i32 s30, s30, 4
	s_waitcnt vmcnt(2)
	ds_store_2addr_b32 v4, v11, v5 offset1:32
	s_waitcnt vmcnt(0)
	ds_store_2addr_b32 v4, v6, v7 offset0:64 offset1:96
	v_add_nc_u32_e32 v4, 0x200, v4
	s_cmp_eq_u32 s3, s30
	s_cbranch_scc0 .LBB37_3
.LBB37_4:
	s_and_b32 s22, s2, 3
	s_delay_alu instid0(SALU_CYCLE_1)
	s_cmp_eq_u32 s22, 0
	s_cbranch_scc1 .LBB37_7
; %bb.5:
	s_mul_i32 s23, s21, s3
	s_mul_hi_u32 s25, s20, s3
	s_mul_i32 s24, s20, s3
	s_add_i32 s25, s25, s23
	s_lshl_b64 s[18:19], s[18:19], 2
	s_lshl_b64 s[24:25], s[24:25], 2
	v_lshl_or_b32 v4, s3, 7, v3
	s_add_u32 s3, s24, s18
	s_addc_u32 s18, s25, s19
	s_waitcnt lgkmcnt(0)
	s_add_u32 s3, s16, s3
	s_addc_u32 s16, s17, s18
	v_add_co_u32 v1, s3, s3, v3
	s_delay_alu instid0(VALU_DEP_1)
	v_add_co_ci_u32_e64 v2, null, s16, 0, s3
	s_lshl_b64 s[16:17], s[20:21], 2
.LBB37_6:                               ; =>This Inner Loop Header: Depth=1
	global_load_b32 v3, v[1:2], off
	v_add_co_u32 v1, vcc_lo, v1, s16
	v_add_co_ci_u32_e32 v2, vcc_lo, s17, v2, vcc_lo
	s_add_i32 s22, s22, -1
	s_delay_alu instid0(SALU_CYCLE_1)
	s_cmp_lg_u32 s22, 0
	s_waitcnt vmcnt(0)
	ds_store_b32 v4, v3
	v_add_nc_u32_e32 v4, 0x80, v4
	s_cbranch_scc1 .LBB37_6
.LBB37_7:
	v_mul_u32_u24_e32 v1, 33, v0
	s_cmpk_lg_i32 s5, 0x84
	s_delay_alu instid0(VALU_DEP_1)
	v_dual_mov_b32 v2, 1.0 :: v_dual_lshlrev_b32 v1, 2, v1
	s_cbranch_scc0 .LBB37_9
; %bb.8:
	ds_load_b32 v2, v1
	s_waitcnt lgkmcnt(0)
	v_div_scale_f32 v3, null, v2, v2, 1.0
	s_delay_alu instid0(VALU_DEP_1) | instskip(SKIP_2) | instid1(VALU_DEP_1)
	v_rcp_f32_e32 v4, v3
	s_waitcnt_depctr 0xfff
	v_fma_f32 v5, -v3, v4, 1.0
	v_fmac_f32_e32 v4, v5, v4
	v_div_scale_f32 v5, vcc_lo, 1.0, v2, 1.0
	s_delay_alu instid0(VALU_DEP_1) | instskip(NEXT) | instid1(VALU_DEP_1)
	v_mul_f32_e32 v6, v5, v4
	v_fma_f32 v7, -v3, v6, v5
	s_delay_alu instid0(VALU_DEP_1) | instskip(NEXT) | instid1(VALU_DEP_1)
	v_fmac_f32_e32 v6, v7, v4
	v_fma_f32 v3, -v3, v6, v5
	s_delay_alu instid0(VALU_DEP_1) | instskip(NEXT) | instid1(VALU_DEP_1)
	v_div_fmas_f32 v3, v3, v4, v6
	v_div_fixup_f32 v2, v3, v2, 1.0
.LBB37_9:
	ds_store_b32 v1, v2
.LBB37_10:
	s_or_b32 exec_lo, exec_lo, s9
	s_load_b32 s3, s[0:1], 0x60
	s_lshl_b32 s5, s14, 5
	s_waitcnt lgkmcnt(0)
	s_sub_i32 s7, s7, s5
	; wave barrier
	buffer_gl0_inv
	s_add_i32 s3, s3, -1
	s_delay_alu instid0(SALU_CYCLE_1) | instskip(SKIP_1) | instid1(SALU_CYCLE_1)
	s_cmp_ge_u32 s14, s3
	s_cselect_b32 s3, s7, 32
	v_cmp_gt_i32_e32 vcc_lo, s3, v0
	s_mov_b32 s3, -1
	s_and_saveexec_b32 s7, vcc_lo
	s_cbranch_execz .LBB37_61
; %bb.11:
	s_load_b32 s0, s[0:1], 0x48
	v_add_nc_u32_e32 v2, s5, v0
	s_waitcnt lgkmcnt(0)
	s_delay_alu instid0(VALU_DEP_1) | instskip(SKIP_1) | instid1(SALU_CYCLE_1)
	v_mad_i64_i32 v[0:1], null, s0, v2, 0
	s_lshl_b64 s[0:1], s[10:11], 2
	s_add_u32 s5, s12, s0
	s_addc_u32 s7, s13, s1
	s_cmpk_eq_i32 s4, 0x6f
	s_delay_alu instid0(VALU_DEP_1) | instskip(NEXT) | instid1(VALU_DEP_1)
	v_lshlrev_b64 v[106:107], 2, v[0:1]
	v_add_co_u32 v104, vcc_lo, s5, v106
	s_delay_alu instid0(VALU_DEP_2)
	v_add_co_ci_u32_e32 v105, vcc_lo, s7, v107, vcc_lo
	s_cbranch_scc1 .LBB37_35
; %bb.12:
	s_cmp_lt_i32 s6, 32
	s_mov_b32 s4, 0
	s_cselect_b32 s3, -1, 0
	s_cmp_gt_i32 s6, 31
	s_cbranch_scc0 .LBB37_14
; %bb.13:
	s_clause 0x7
	global_load_b128 v[0:3], v[104:105], off
	global_load_b128 v[60:63], v[104:105], off offset:16
	global_load_b128 v[52:55], v[104:105], off offset:32
	;; [unrolled: 1-line block ×7, first 2 shown]
	v_mov_b32_e32 v110, 0
	s_mov_b32 s4, 32
	ds_load_b32 v13, v110
	ds_load_b64 v[11:12], v110 offset:128
	ds_load_b96 v[8:10], v110 offset:256
	ds_load_b128 v[76:79], v110 offset:384
	ds_load_b128 v[28:31], v110 offset:512
	ds_load_b32 v111, v110 offset:528
	ds_load_b128 v[32:35], v110 offset:640
	ds_load_b64 v[108:109], v110 offset:656
	ds_load_b128 v[36:39], v110 offset:768
	ds_load_b128 v[44:47], v110 offset:896
	;; [unrolled: 1-line block ×7, first 2 shown]
	s_waitcnt vmcnt(7)
	v_mul_f32_e32 v0, s15, v0
	s_waitcnt lgkmcnt(14)
	s_delay_alu instid0(VALU_DEP_1) | instskip(SKIP_1) | instid1(VALU_DEP_1)
	v_mul_f32_e32 v0, v13, v0
	s_waitcnt lgkmcnt(13)
	v_mul_f32_e32 v11, v0, v11
	s_waitcnt lgkmcnt(12)
	v_mul_f32_e32 v8, v0, v8
	ds_load_b128 v[80:83], v110 offset:1424
	ds_load_b128 v[100:103], v110 offset:1536
	;; [unrolled: 1-line block ×11, first 2 shown]
	v_fma_f32 v1, v1, s15, -v11
	v_fma_f32 v2, v2, s15, -v8
	ds_load_b128 v[132:135], v110 offset:2560
	ds_load_b128 v[136:139], v110 offset:2688
	;; [unrolled: 1-line block ×8, first 2 shown]
	v_mul_f32_e32 v1, v12, v1
	s_delay_alu instid0(VALU_DEP_1) | instskip(SKIP_1) | instid1(VALU_DEP_1)
	v_fma_f32 v2, -v1, v9, v2
	s_waitcnt lgkmcnt(30)
	v_dual_mul_f32 v11, v0, v76 :: v_dual_mul_f32 v2, v10, v2
	s_delay_alu instid0(VALU_DEP_1)
	v_fma_f32 v3, v3, s15, -v11
	ds_load_b128 v[164:167], v110 offset:3584
	ds_load_b128 v[168:171], v110 offset:3712
	;; [unrolled: 1-line block ×6, first 2 shown]
	ds_load_b96 v[180:182], v110 offset:784
	ds_load_b64 v[183:184], v110 offset:1184
	v_fma_f32 v3, -v1, v77, v3
	s_delay_alu instid0(VALU_DEP_1) | instskip(SKIP_1) | instid1(VALU_DEP_1)
	v_fma_f32 v3, -v2, v78, v3
	s_waitcnt lgkmcnt(37)
	v_dual_mul_f32 v3, v79, v3 :: v_dual_mul_f32 v28, v0, v28
	s_waitcnt lgkmcnt(33)
	v_mul_f32_e32 v36, v0, v36
	s_waitcnt lgkmcnt(32)
	v_mul_f32_e32 v44, v0, v44
	;; [unrolled: 2-line block ×3, first 2 shown]
	v_mul_f32_e32 v32, v0, v32
	s_waitcnt vmcnt(6)
	v_fma_f32 v28, v60, s15, -v28
	v_fma_f32 v36, v62, s15, -v36
	s_waitcnt lgkmcnt(27)
	v_mul_f32_e32 v60, v0, v72
	s_waitcnt lgkmcnt(24)
	v_mul_f32_e32 v62, v0, v96
	v_fma_f32 v44, v63, s15, -v44
	s_waitcnt lgkmcnt(23)
	v_mul_f32_e32 v63, v0, v92
	s_waitcnt vmcnt(5)
	v_fma_f32 v52, v52, s15, -v56
	v_fma_f32 v92, v55, s15, -v60
	s_waitcnt lgkmcnt(20)
	v_mul_f32_e32 v55, v0, v120
	s_waitcnt vmcnt(4)
	v_fma_f32 v96, v49, s15, -v62
	s_waitcnt lgkmcnt(17)
	v_mul_f32_e32 v49, v0, v128
	v_mul_f32_e32 v56, v0, v124
	s_waitcnt lgkmcnt(4)
	v_mul_f32_e32 v8, v0, v8
	s_waitcnt vmcnt(3)
	v_fma_f32 v120, v41, s15, -v55
	v_mul_f32_e32 v41, v0, v148
	v_fma_f32 v128, v43, s15, -v49
	v_mul_f32_e32 v43, v0, v160
	v_mul_f32_e32 v64, v0, v64
	;; [unrolled: 1-line block ×3, first 2 shown]
	s_waitcnt vmcnt(1)
	v_fma_f32 v148, v20, s15, -v41
	v_mul_f32_e32 v20, v0, v164
	v_fma_f32 v160, v22, s15, -v43
	v_fma_f32 v22, -v1, v29, v28
	v_fma_f32 v32, v61, s15, -v32
	v_mul_f32_e32 v61, v0, v100
	s_waitcnt vmcnt(0)
	v_fma_f32 v164, v16, s15, -v20
	v_fma_f32 v100, v50, s15, -v63
	v_fma_f32 v16, -v2, v30, v22
	v_mul_f32_e32 v50, v0, v132
	v_fma_f32 v124, v42, s15, -v56
	v_mul_f32_e32 v42, v0, v152
	v_fma_f32 v55, v19, s15, -v8
	v_fma_f32 v8, -v1, v37, v36
	v_fma_f32 v20, -v3, v31, v16
	;; [unrolled: 1-line block ×3, first 2 shown]
	v_fma_f32 v72, v53, s15, -v64
	v_fma_f32 v68, v54, s15, -v68
	;; [unrolled: 1-line block ×3, first 2 shown]
	s_waitcnt lgkmcnt(3)
	v_mul_f32_e32 v24, v0, v172
	v_fma_f32 v152, v21, s15, -v42
	v_mul_f32_e32 v21, v0, v168
	v_mul_f32_e32 v12, v0, v12
	v_fma_f32 v8, -v2, v38, v8
	v_fma_f32 v16, -v2, v46, v16
	v_fma_f32 v172, v23, s15, -v24
	v_fma_f32 v168, v17, s15, -v21
	;; [unrolled: 1-line block ×3, first 2 shown]
	v_fma_f32 v12, -v1, v33, v32
	v_fma_f32 v22, -v3, v39, v8
	;; [unrolled: 1-line block ×6, first 2 shown]
	v_mul_f32_e32 v53, v0, v112
	v_fma_f32 v48, v48, s15, -v61
	ds_load_b128 v[61:64], v110 offset:912
	v_fma_f32 v12, -v2, v34, v12
	v_fma_f32 v8, -v2, v66, v8
	;; [unrolled: 1-line block ×4, first 2 shown]
	v_mul_f32_e32 v54, v0, v116
	v_fma_f32 v112, v51, s15, -v53
	v_fma_f32 v21, -v3, v35, v12
	v_fma_f32 v12, -v1, v57, v52
	;; [unrolled: 1-line block ×8, first 2 shown]
	v_mul_f32_e32 v20, v111, v20
	v_mul_f32_e32 v51, v0, v136
	;; [unrolled: 1-line block ×3, first 2 shown]
	v_fma_f32 v116, v40, s15, -v54
	v_mul_f32_e32 v40, v0, v144
	v_fma_f32 v12, -v2, v58, v12
	v_fma_f32 v8, -v2, v102, v8
	;; [unrolled: 1-line block ×6, first 2 shown]
	v_fma_f32 v136, v25, s15, -v51
	v_fma_f32 v140, v26, s15, -v53
	;; [unrolled: 1-line block ×3, first 2 shown]
	ds_load_b128 v[76:79], v110 offset:1440
	ds_load_b32 v60, v110 offset:1584
	ds_load_b64 v[53:54], v110 offset:1712
	ds_load_b96 v[42:44], v110 offset:1840
	ds_load_b128 v[32:35], v110 offset:1968
	ds_load_b64 v[51:52], v110 offset:2240
	v_fma_f32 v185, -v3, v59, v12
	ds_load_b128 v[28:31], v110 offset:2496
	ds_load_b32 v12, v110 offset:2640
	ds_load_b64 v[49:50], v110 offset:2768
	ds_load_b96 v[39:41], v110 offset:2896
	ds_load_b128 v[24:27], v110 offset:3024
	ds_load_b64 v[47:48], v110 offset:3296
	v_fma_f32 v186, -v3, v103, v8
	v_fma_f32 v187, -v3, v99, v16
	ds_load_b128 v[16:19], v110 offset:3552
	ds_load_b32 v8, v110 offset:3696
	v_fma_f32 v58, -v2, v114, v36
	v_fma_f32 v188, -v3, v95, v37
	ds_load_b64 v[45:46], v110 offset:3824
	ds_load_b96 v[36:38], v110 offset:3952
	ds_load_b128 v[65:68], v110 offset:1040
	s_waitcnt lgkmcnt(19)
	v_fma_f32 v22, -v20, v180, v22
	v_mul_f32_e32 v21, v109, v21
	s_waitcnt lgkmcnt(17)
	v_fma_f32 v23, -v20, v61, v23
	ds_load_b128 v[69:72], v110 offset:1296
	v_fma_f32 v109, -v1, v141, v140
	v_fma_f32 v57, -v1, v117, v116
	;; [unrolled: 1-line block ×7, first 2 shown]
	v_mul_f32_e32 v22, v182, v22
	ds_load_b32 v124, v110 offset:1056
	v_fma_f32 v61, -v2, v142, v109
	v_fma_f32 v57, -v2, v118, v57
	;; [unrolled: 1-line block ×8, first 2 shown]
	ds_load_b96 v[57:59], v110 offset:1312
	v_mul_f32_e32 v23, v64, v23
	s_waitcnt lgkmcnt(3)
	v_fma_f32 v65, -v20, v65, v185
	v_fma_f32 v4, -v20, v4, v73
	v_fma_f32 v92, -v1, v129, v128
	v_fma_f32 v94, -v1, v133, v132
	v_fma_f32 v192, -v3, v127, v93
	v_fma_f32 v61, -v21, v66, v65
	s_waitcnt lgkmcnt(2)
	v_fma_f32 v65, -v20, v69, v74
	v_fma_f32 v4, -v21, v5, v4
	;; [unrolled: 1-line block ×14, first 2 shown]
	s_waitcnt lgkmcnt(1)
	v_mul_f32_e32 v4, v124, v5
	v_fma_f32 v5, -v1, v145, v144
	v_fma_f32 v73, -v23, v72, v69
	;; [unrolled: 1-line block ×6, first 2 shown]
	s_waitcnt lgkmcnt(0)
	v_fma_f32 v57, -v4, v57, v73
	ds_load_b128 v[92:95], v110 offset:1552
	ds_load_b128 v[115:118], v110 offset:1808
	;; [unrolled: 1-line block ×3, first 2 shown]
	v_mul_f32_e32 v5, v184, v7
	v_fma_f32 v7, -v1, v149, v148
	v_fma_f32 v111, -v2, v138, v100
	ds_load_b128 v[100:103], v110 offset:1680
	ds_load_b128 v[61:64], v110 offset:1936
	;; [unrolled: 1-line block ×3, first 2 shown]
	v_fma_f32 v57, -v5, v58, v57
	v_fma_f32 v58, -v4, v76, v6
	;; [unrolled: 1-line block ×3, first 2 shown]
	ds_load_b128 v[123:126], v110 offset:2064
	ds_load_b128 v[69:72], v110 offset:2080
	v_mul_f32_e32 v6, v59, v57
	v_fma_f32 v57, -v5, v77, v58
	v_fma_f32 v59, -v3, v151, v7
	;; [unrolled: 1-line block ×6, first 2 shown]
	ds_load_b128 v[96:99], v110 offset:1568
	v_fma_f32 v78, -v2, v162, v7
	v_fma_f32 v194, -v3, v139, v111
	ds_load_b128 v[111:114], v110 offset:1696
	v_mul_f32_e32 v7, v79, v57
	v_fma_f32 v79, -v1, v169, v168
	ds_load_b128 v[80:83], v110 offset:2096
	ds_load_b32 v183, v110 offset:2112
	v_fma_f32 v58, -v2, v154, v131
	ds_load_b128 v[131:134], v110 offset:2320
	ds_load_b128 v[135:138], v110 offset:2336
	v_fma_f32 v77, -v1, v173, v172
	v_fma_f32 v57, -v1, v165, v164
	;; [unrolled: 1-line block ×3, first 2 shown]
	s_waitcnt lgkmcnt(13)
	v_fma_f32 v92, -v20, v92, v186
	s_waitcnt lgkmcnt(9)
	v_fma_f32 v61, -v20, v61, v189
	v_fma_f32 v77, -v2, v174, v77
	;; [unrolled: 1-line block ×10, first 2 shown]
	s_waitcnt lgkmcnt(7)
	v_fma_f32 v115, -v20, v123, v190
	v_fma_f32 v92, -v22, v94, v92
	;; [unrolled: 1-line block ×9, first 2 shown]
	ds_load_b128 v[127:130], v110 offset:2208
	ds_load_b128 v[73:76], v110 offset:2224
	v_fma_f32 v58, -v3, v155, v58
	ds_load_b128 v[139:142], v110 offset:2352
	ds_load_b96 v[180:182], v110 offset:2368
	v_fma_f32 v78, -v3, v163, v78
	ds_load_b128 v[143:146], v110 offset:2576
	ds_load_b128 v[147:150], v110 offset:2592
	;; [unrolled: 1-line block ×4, first 2 shown]
	v_fma_f32 v57, -v22, v102, v57
	v_fma_f32 v155, -v23, v95, v92
	ds_load_b128 v[92:95], v110 offset:2704
	s_waitcnt lgkmcnt(10)
	v_fma_f32 v123, -v20, v131, v192
	v_fma_f32 v84, -v22, v125, v84
	v_fma_f32 v77, -v21, v177, v77
	v_fma_f32 v57, -v23, v103, v57
	ds_load_b128 v[100:103], v110 offset:2720
	v_fma_f32 v61, -v22, v63, v61
	v_fma_f32 v164, -v23, v118, v62
	v_fma_f32 v79, -v21, v85, v79
	v_fma_f32 v85, -v20, v88, v193
	v_fma_f32 v88, -v21, v132, v123
	v_fma_f32 v169, -v23, v126, v84
	ds_load_b128 v[123:126], v110 offset:3088
	v_fma_f32 v77, -v22, v178, v77
	v_fma_f32 v168, -v23, v64, v61
	;; [unrolled: 1-line block ×8, first 2 shown]
	ds_load_b128 v[84:87], v110 offset:3344
	v_fma_f32 v57, -v5, v112, v57
	v_fma_f32 v65, -v4, v65, v168
	;; [unrolled: 1-line block ×3, first 2 shown]
	ds_load_b128 v[115:118], v110 offset:2848
	ds_load_b128 v[61:64], v110 offset:2976
	s_waitcnt lgkmcnt(9)
	v_fma_f32 v108, -v20, v143, v108
	v_fma_f32 v88, -v22, v133, v88
	s_waitcnt lgkmcnt(5)
	v_fma_f32 v92, -v20, v92, v194
	v_fma_f32 v109, -v20, v151, v109
	;; [unrolled: 1-line block ×13, first 2 shown]
	ds_load_b128 v[119:122], v110 offset:3120
	s_waitcnt lgkmcnt(4)
	v_fma_f32 v59, -v20, v123, v59
	v_fma_f32 v123, -v21, v161, v151
	ds_load_b128 v[131:134], v110 offset:2464
	v_fma_f32 v93, -v22, v145, v108
	v_fma_f32 v109, -v21, v152, v109
	;; [unrolled: 1-line block ×12, first 2 shown]
	ds_load_b128 v[160:163], v110 offset:3360
	s_waitcnt lgkmcnt(5)
	v_fma_f32 v78, -v20, v84, v78
	v_fma_f32 v84, -v4, v96, v155
	;; [unrolled: 1-line block ×6, first 2 shown]
	ds_load_b128 v[151:154], v110 offset:3104
	v_fma_f32 v58, -v21, v157, v58
	v_fma_f32 v96, -v5, v97, v84
	;; [unrolled: 1-line block ×12, first 2 shown]
	ds_load_b128 v[127:130], v110 offset:3232
	v_fma_f32 v57, -v5, v101, v57
	ds_load_b128 v[88:91], v110 offset:2480
	v_fma_f32 v59, -v22, v125, v59
	v_fma_f32 v58, -v23, v159, v58
	;; [unrolled: 1-line block ×3, first 2 shown]
	s_waitcnt lgkmcnt(4)
	v_fma_f32 v108, -v4, v131, v108
	v_fma_f32 v57, -v6, v102, v57
	;; [unrolled: 1-line block ×7, first 2 shown]
	v_mul_f32_e32 v57, v60, v159
	v_fma_f32 v168, -v7, v68, v65
	ds_load_b128 v[65:68], v110 offset:3136
	v_fma_f32 v108, -v6, v133, v108
	s_waitcnt lgkmcnt(3)
	v_fma_f32 v59, -v4, v151, v59
	v_fma_f32 v53, -v57, v53, v77
	;; [unrolled: 1-line block ×5, first 2 shown]
	ds_load_b128 v[131:134], v110 offset:3248
	v_fma_f32 v59, -v5, v152, v59
	s_waitcnt lgkmcnt(3)
	v_fma_f32 v60, -v4, v127, v58
	v_mul_f32_e32 v58, v54, v53
	v_fma_f32 v32, -v57, v32, v168
	ds_load_b128 v[143:146], v110 offset:2608
	ds_load_b128 v[92:95], v110 offset:2624
	v_fma_f32 v59, -v6, v153, v59
	v_fma_f32 v53, -v5, v128, v60
	;; [unrolled: 1-line block ×3, first 2 shown]
	ds_load_b128 v[123:126], v110 offset:2736
	ds_load_b128 v[155:158], v110 offset:2752
	v_fma_f32 v78, -v22, v86, v78
	v_fma_f32 v185, -v7, v154, v59
	;; [unrolled: 1-line block ×4, first 2 shown]
	v_mul_f32_e32 v59, v44, v42
	v_fma_f32 v78, -v23, v87, v78
	ds_load_b128 v[84:87], v110 offset:2864
	ds_load_b128 v[164:167], v110 offset:2880
	;; [unrolled: 1-line block ×4, first 2 shown]
	v_fma_f32 v69, -v6, v71, v69
	v_fma_f32 v109, -v4, v115, v109
	;; [unrolled: 1-line block ×9, first 2 shown]
	v_mul_f32_e32 v60, v35, v32
	v_fma_f32 v101, -v5, v116, v109
	v_fma_f32 v61, -v5, v62, v61
	;; [unrolled: 1-line block ×14, first 2 shown]
	s_waitcnt lgkmcnt(10)
	v_fma_f32 v81, -v57, v88, v108
	v_fma_f32 v108, -v60, v76, v53
	s_waitcnt lgkmcnt(7)
	v_fma_f32 v53, -v57, v143, v109
	v_fma_f32 v109, -v60, v142, v54
	;; [unrolled: 3-line block ×3, first 2 shown]
	v_fma_f32 v81, -v58, v89, v81
	v_fma_f32 v53, -v58, v144, v53
	s_waitcnt lgkmcnt(3)
	v_fma_f32 v88, -v57, v84, v179
	s_waitcnt lgkmcnt(1)
	v_fma_f32 v89, -v57, v96, v184
	v_fma_f32 v54, -v58, v124, v54
	ds_load_b128 v[115:118], v110 offset:3376
	ds_load_b128 v[61:64], v110 offset:3392
	v_fma_f32 v43, -v60, v83, v43
	v_fma_f32 v53, -v59, v145, v53
	;; [unrolled: 1-line block ×10, first 2 shown]
	v_mul_f32_e32 v96, v183, v43
	v_fma_f32 v81, -v59, v90, v81
	v_fma_f32 v44, -v7, v163, v44
	;; [unrolled: 1-line block ×7, first 2 shown]
	s_waitcnt lgkmcnt(1)
	v_fma_f32 v44, -v57, v115, v44
	v_fma_f32 v42, -v58, v132, v42
	v_mul_f32_e32 v97, v52, v51
	v_fma_f32 v28, -v96, v28, v163
	v_fma_f32 v43, -v2, v10, v9
	;; [unrolled: 1-line block ×8, first 2 shown]
	ds_load_b128 v[135:138], v110 offset:3264
	ds_load_b128 v[100:103], v110 offset:3280
	v_mul_f32_e32 v98, v182, v51
	v_fma_f32 v86, -v60, v87, v53
	v_fma_f32 v10, -v58, v120, v10
	;; [unrolled: 1-line block ×13, first 2 shown]
	v_mul_f32_e32 v99, v31, v28
	v_fma_f32 v10, -v60, v122, v10
	v_fma_f32 v28, -v96, v111, v87
	;; [unrolled: 1-line block ×5, first 2 shown]
	ds_load_b128 v[69:72], v110 offset:3152
	ds_load_b32 v178, v110 offset:3168
	ds_load_b128 v[151:154], v110 offset:3488
	ds_load_b128 v[77:80], v110 offset:3504
	v_fma_f32 v10, -v96, v65, v10
	v_fma_f32 v51, -v97, v112, v28
	;; [unrolled: 1-line block ×4, first 2 shown]
	v_mul_f32_e32 v28, v12, v44
	s_waitcnt lgkmcnt(5)
	v_fma_f32 v29, -v96, v135, v29
	v_fma_f32 v12, -v96, v61, v30
	;; [unrolled: 1-line block ×6, first 2 shown]
	ds_load_b128 v[159:162], v110 offset:3600
	ds_load_b128 v[73:76], v110 offset:3616
	v_fma_f32 v44, -v97, v136, v29
	v_fma_f32 v10, -v98, v67, v10
	;; [unrolled: 1-line block ×4, first 2 shown]
	v_mul_f32_e32 v29, v50, v42
	ds_load_b128 v[147:150], v110 offset:3408
	ds_load_b96 v[168:170], v110 offset:3424
	v_fma_f32 v13, -v1, v13, v56
	v_fma_f32 v39, -v98, v137, v44
	;; [unrolled: 1-line block ×6, first 2 shown]
	s_waitcnt lgkmcnt(5)
	v_fma_f32 v14, -v4, v151, v176
	v_fma_f32 v12, -v97, v62, v12
	;; [unrolled: 1-line block ×5, first 2 shown]
	v_mul_f32_e32 v30, v41, v30
	v_fma_f32 v14, -v5, v152, v14
	v_fma_f32 v12, -v98, v63, v12
	;; [unrolled: 1-line block ×5, first 2 shown]
	s_waitcnt lgkmcnt(3)
	v_fma_f32 v9, -v20, v159, v172
	v_fma_f32 v14, -v6, v153, v14
	;; [unrolled: 1-line block ×5, first 2 shown]
	v_mul_f32_e32 v31, v27, v24
	ds_load_b128 v[81:84], v110 offset:3728
	ds_load_b128 v[88:91], v110 offset:3744
	v_fma_f32 v14, -v7, v154, v14
	s_waitcnt lgkmcnt(3)
	v_fma_f32 v12, -v28, v147, v12
	v_fma_f32 v9, -v21, v160, v9
	;; [unrolled: 1-line block ×4, first 2 shown]
	ds_load_b128 v[32:35], v110 offset:3520
	ds_load_b128 v[127:130], v110 offset:3536
	;; [unrolled: 1-line block ×4, first 2 shown]
	v_fma_f32 v14, -v57, v77, v14
	v_fma_f32 v12, -v29, v148, v12
	;; [unrolled: 1-line block ×4, first 2 shown]
	v_mul_f32_e32 v9, v178, v10
	ds_load_b128 v[53:56], v110 offset:3984
	v_fma_f32 v14, -v58, v78, v14
	v_fma_f32 v12, -v30, v149, v12
	;; [unrolled: 1-line block ×6, first 2 shown]
	ds_load_b128 v[139:142], v110 offset:3632
	v_fma_f32 v24, -v4, v73, v10
	s_waitcnt lgkmcnt(7)
	v_fma_f32 v25, -v20, v81, v171
	v_mul_f32_e32 v10, v48, v15
	v_fma_f32 v12, -v31, v150, v12
	v_fma_f32 v14, -v60, v80, v14
	;; [unrolled: 1-line block ×6, first 2 shown]
	s_waitcnt lgkmcnt(5)
	v_fma_f32 v14, -v96, v32, v14
	v_fma_f32 v15, -v6, v75, v15
	s_waitcnt lgkmcnt(3)
	v_fma_f32 v13, -v20, v123, v13
	v_fma_f32 v25, -v22, v83, v11
	;; [unrolled: 1-line block ×7, first 2 shown]
	v_mul_f32_e32 v11, v170, v12
	ds_load_b128 v[12:15], v110 offset:4000
	s_waitcnt lgkmcnt(2)
	v_fma_f32 v40, -v20, v53, v24
	ds_load_b128 v[24:27], v110 offset:3648
	v_fma_f32 v43, -v22, v125, v39
	s_waitcnt lgkmcnt(2)
	v_fma_f32 v33, -v57, v139, v33
	v_fma_f32 v47, -v4, v88, v41
	;; [unrolled: 1-line block ×3, first 2 shown]
	ds_load_b128 v[39:42], v110 offset:3760
	v_fma_f32 v43, -v23, v126, v43
	v_fma_f32 v32, -v98, v34, v32
	;; [unrolled: 1-line block ×6, first 2 shown]
	ds_load_b128 v[47:50], v110 offset:3888
	ds_load_b128 v[61:64], v110 offset:3904
	v_fma_f32 v34, -v23, v56, v34
	v_fma_f32 v55, -v99, v35, v32
	;; [unrolled: 1-line block ×5, first 2 shown]
	s_waitcnt lgkmcnt(4)
	v_fma_f32 v12, -v4, v12, v34
	ds_load_b128 v[32:35], v110 offset:4016
	ds_load_b128 v[65:68], v110 offset:4032
	v_fma_f32 v44, -v7, v91, v44
	v_fma_f32 v56, -v60, v142, v51
	;; [unrolled: 1-line block ×4, first 2 shown]
	ds_load_b128 v[51:54], v110 offset:3776
	s_waitcnt lgkmcnt(5)
	v_fma_f32 v13, -v57, v39, v44
	v_fma_f32 v24, -v96, v24, v56
	;; [unrolled: 1-line block ×7, first 2 shown]
	s_waitcnt lgkmcnt(4)
	v_fma_f32 v40, -v57, v47, v43
	v_fma_f32 v25, -v7, v15, v12
	;; [unrolled: 1-line block ×4, first 2 shown]
	ds_load_b128 v[12:15], v110 offset:3664
	v_fma_f32 v40, -v58, v48, v40
	s_waitcnt lgkmcnt(3)
	v_fma_f32 v25, -v57, v32, v25
	v_fma_f32 v24, -v98, v26, v24
	;; [unrolled: 1-line block ×6, first 2 shown]
	ds_load_b128 v[39:42], v110 offset:3792
	s_waitcnt lgkmcnt(2)
	v_fma_f32 v26, -v96, v51, v32
	v_fma_f32 v43, -v31, v130, v43
	;; [unrolled: 1-line block ×6, first 2 shown]
	ds_load_b128 v[24:27], v110 offset:3920
	v_fma_f32 v48, -v96, v61, v32
	v_fma_f32 v49, -v60, v35, v33
	ds_load_b128 v[32:35], v110 offset:3680
	v_fma_f32 v51, -v98, v53, v47
	s_waitcnt lgkmcnt(3)
	v_fma_f32 v12, -v28, v12, v44
	v_fma_f32 v44, -v97, v62, v48
	;; [unrolled: 1-line block ×3, first 2 shown]
	ds_load_b128 v[47:50], v110 offset:4048
	v_fma_f32 v56, -v99, v54, v51
	v_fma_f32 v12, -v29, v13, v12
	;; [unrolled: 1-line block ×4, first 2 shown]
	ds_load_b128 v[51:54], v110 offset:3808
	s_waitcnt lgkmcnt(4)
	v_fma_f32 v39, -v28, v39, v56
	v_fma_f32 v12, -v30, v14, v12
	v_fma_f32 v13, -v99, v64, v13
	v_fma_f32 v14, -v98, v67, v44
	ds_load_b128 v[61:64], v110 offset:3936
	v_fma_f32 v39, -v29, v40, v39
	v_fma_f32 v12, -v31, v15, v12
	s_waitcnt lgkmcnt(4)
	v_fma_f32 v13, -v28, v24, v13
	v_fma_f32 v40, -v99, v68, v14
	;; [unrolled: 1-line block ×4, first 2 shown]
	s_waitcnt lgkmcnt(3)
	v_fma_f32 v12, -v9, v32, v12
	v_fma_f32 v25, -v29, v25, v13
	ds_load_b128 v[13:16], v110 offset:4064
	s_waitcnt lgkmcnt(3)
	v_fma_f32 v40, -v28, v47, v40
	v_fma_f32 v17, -v10, v17, v24
	;; [unrolled: 1-line block ×4, first 2 shown]
	s_delay_alu instid0(VALU_DEP_4) | instskip(NEXT) | instid1(VALU_DEP_4)
	v_fma_f32 v26, -v29, v48, v40
	v_fma_f32 v17, -v11, v18, v17
	;; [unrolled: 1-line block ×3, first 2 shown]
	s_waitcnt lgkmcnt(2)
	v_fma_f32 v24, -v9, v51, v24
	v_fma_f32 v25, -v31, v27, v25
	;; [unrolled: 1-line block ×3, first 2 shown]
	v_mul_f32_e32 v12, v19, v17
	v_fma_f32 v17, -v11, v34, v18
	v_fma_f32 v18, -v10, v52, v24
	s_waitcnt lgkmcnt(1)
	v_fma_f32 v19, -v9, v61, v25
	v_fma_f32 v24, -v31, v50, v26
	;; [unrolled: 1-line block ×4, first 2 shown]
	s_delay_alu instid0(VALU_DEP_4)
	v_fma_f32 v19, -v10, v62, v19
	s_waitcnt lgkmcnt(0)
	v_fma_f32 v32, -v9, v13, v24
	ds_load_b128 v[24:27], v110 offset:4080
	v_mul_f32_e32 v13, v8, v17
	v_fma_f32 v8, -v12, v54, v18
	v_fma_f32 v17, -v11, v63, v19
	;; [unrolled: 1-line block ×3, first 2 shown]
	s_delay_alu instid0(VALU_DEP_3) | instskip(NEXT) | instid1(VALU_DEP_3)
	v_fma_f32 v8, -v13, v45, v8
	v_fma_f32 v17, -v12, v64, v17
	s_delay_alu instid0(VALU_DEP_3) | instskip(NEXT) | instid1(VALU_DEP_3)
	v_fma_f32 v15, -v11, v15, v14
	v_mul_f32_e32 v14, v46, v8
	s_delay_alu instid0(VALU_DEP_3) | instskip(NEXT) | instid1(VALU_DEP_3)
	v_fma_f32 v8, -v13, v36, v17
	v_fma_f32 v15, -v12, v16, v15
	s_delay_alu instid0(VALU_DEP_2) | instskip(SKIP_1) | instid1(VALU_DEP_2)
	v_fma_f32 v8, -v14, v37, v8
	s_waitcnt lgkmcnt(0)
	v_fma_f32 v16, -v13, v24, v15
	s_delay_alu instid0(VALU_DEP_2) | instskip(NEXT) | instid1(VALU_DEP_2)
	v_mul_f32_e32 v15, v38, v8
	v_fma_f32 v8, -v14, v25, v16
	s_delay_alu instid0(VALU_DEP_1) | instskip(NEXT) | instid1(VALU_DEP_1)
	v_fma_f32 v8, -v15, v26, v8
	v_mul_f32_e32 v16, v27, v8
	s_clause 0x7
	global_store_b128 v[104:105], v[0:3], off
	global_store_b128 v[104:105], v[20:23], off offset:16
	global_store_b128 v[104:105], v[4:7], off offset:32
	;; [unrolled: 1-line block ×7, first 2 shown]
.LBB37_14:
	s_cmp_lt_i32 s4, s2
	s_cbranch_scc0 .LBB37_34
; %bb.15:
	s_or_b32 s5, s4, 27
	s_delay_alu instid0(SALU_CYCLE_1)
	s_cmp_ge_u32 s5, s2
	s_cbranch_scc1 .LBB37_23
; %bb.16:
	s_lshl_b32 s7, s4, 2
	s_mov_b32 s9, 0
	v_add_co_u32 v14, vcc_lo, v104, s7
	v_add_co_ci_u32_e32 v15, vcc_lo, 0, v105, vcc_lo
	s_and_not1_b32 vcc_lo, exec_lo, s3
	s_clause 0x6
	global_load_b128 v[0:3], v[14:15], off
	global_load_b128 v[4:7], v[14:15], off offset:16
	global_load_b128 v[8:11], v[14:15], off offset:32
	;; [unrolled: 1-line block ×6, first 2 shown]
	s_waitcnt vmcnt(6)
	v_dual_mul_f32 v17, s15, v0 :: v_dual_mul_f32 v16, s15, v1
	v_dual_mul_f32 v38, s15, v2 :: v_dual_mul_f32 v37, s15, v3
	s_waitcnt vmcnt(5)
	v_dual_mul_f32 v36, s15, v4 :: v_dual_mul_f32 v35, s15, v5
	s_waitcnt vmcnt(4)
	v_dual_mul_f32 v34, s15, v6 :: v_dual_mul_f32 v33, s15, v8
	v_dual_mul_f32 v32, s15, v7 :: v_dual_mul_f32 v9, s15, v9
	s_waitcnt vmcnt(3)
	v_dual_mul_f32 v8, s15, v10 :: v_dual_mul_f32 v13, s15, v21
	;; [unrolled: 3-line block ×3, first 2 shown]
	v_mul_f32_e32 v30, s15, v20
	v_dual_mul_f32 v28, s15, v23 :: v_dual_mul_f32 v27, s15, v24
	s_waitcnt vmcnt(0)
	v_dual_mul_f32 v26, s15, v25 :: v_dual_mul_f32 v21, s15, v43
	v_dual_mul_f32 v25, s15, v39 :: v_dual_mul_f32 v24, s15, v40
	;; [unrolled: 1-line block ×4, first 2 shown]
	v_mul_f32_e32 v18, s15, v46
	s_cbranch_vccnz .LBB37_18
; %bb.17:
	s_lshl_b32 s3, s5, 5
	s_branch .LBB37_19
.LBB37_18:
	s_mov_b32 s9, -1
                                        ; implicit-def: $sgpr3
.LBB37_19:
	s_delay_alu instid0(SALU_CYCLE_1)
	s_and_not1_b32 vcc_lo, exec_lo, s9
	s_cbranch_vccnz .LBB37_22
; %bb.20:
	v_dual_mov_b32 v0, v104 :: v_dual_mov_b32 v1, v105
	s_lshl_b32 s3, s5, 5
	s_lshl_b32 s9, s4, 7
	s_mov_b32 s10, 0
.LBB37_21:                              ; =>This Inner Loop Header: Depth=1
	global_load_b32 v31, v[0:1], off
	v_mov_b32_e32 v39, s9
	v_add_nc_u32_e64 v47, 0x400, s9
	v_add_nc_u32_e64 v55, 0x800, s9
	;; [unrolled: 1-line block ×3, first 2 shown]
	ds_load_2addr_b32 v[2:3], v39 offset1:32
	ds_load_2addr_b32 v[4:5], v39 offset0:64 offset1:96
	ds_load_2addr_b32 v[6:7], v39 offset0:128 offset1:160
	ds_load_2addr_b32 v[39:40], v39 offset0:192 offset1:224
	ds_load_2addr_b32 v[41:42], v47 offset1:32
	ds_load_2addr_b32 v[43:44], v47 offset0:64 offset1:96
	ds_load_2addr_b32 v[45:46], v47 offset0:128 offset1:160
	ds_load_2addr_b32 v[47:48], v47 offset0:192 offset1:224
	;; [unrolled: 4-line block ×3, first 2 shown]
	ds_load_2addr_b32 v[57:58], v59 offset1:32
	ds_load_2addr_b32 v[59:60], v59 offset0:64 offset1:96
	v_add_co_u32 v0, vcc_lo, v0, 4
	v_add_co_ci_u32_e32 v1, vcc_lo, 0, v1, vcc_lo
	s_add_i32 s10, s10, 1
	s_add_i32 s9, s9, 4
	s_cmp_lt_u32 s10, s4
	s_waitcnt vmcnt(0) lgkmcnt(13)
	v_fma_f32 v17, -v31, v2, v17
	v_fma_f32 v16, -v31, v3, v16
	s_waitcnt lgkmcnt(12)
	v_fma_f32 v38, -v31, v4, v38
	v_fma_f32 v37, -v31, v5, v37
	s_waitcnt lgkmcnt(11)
	;; [unrolled: 3-line block ×13, first 2 shown]
	v_fma_f32 v19, -v31, v59, v19
	v_fma_f32 v18, -v31, v60, v18
	s_cbranch_scc1 .LBB37_21
.LBB37_22:
	s_lshl_b32 s9, s4, 5
	s_mul_i32 s11, s4, 0x84
	s_add_i32 s9, s4, s9
	v_add_nc_u32_e64 v40, 0x400, s11
	s_lshl_b32 s10, s9, 2
	s_lshl_b32 s9, s4, 7
	v_add_nc_u32_e64 v90, 0x400, s10
	s_or_b32 s9, s9, s7
	s_add_i32 s3, s3, s4
	s_or_b32 s14, s9, 0x100
	s_delay_alu instid0(SALU_CYCLE_1)
	v_dual_mov_b32 v39, s11 :: v_dual_mov_b32 v0, s14
	s_or_b32 s11, s9, 0x200
	v_mov_b32_e32 v31, s10
	s_or_b32 s18, s9, 0x600
	ds_load_2addr_b32 v[6:7], v39 offset1:132
	ds_load_b96 v[71:73], v0
	s_or_b32 s14, s9, 0x300
	ds_load_b128 v[41:44], v31 offset:384
	v_mov_b32_e32 v0, s11
	ds_load_2addr_b64 v[2:5], v31 offset0:16 offset1:82
	s_or_b32 s16, s9, 0x400
	s_delay_alu instid0(SALU_CYCLE_1)
	v_dual_mov_b32 v61, s14 :: v_dual_mov_b32 v74, s16
	ds_load_b128 v[45:48], v0
	ds_load_2addr_b32 v[84:85], v39 offset0:198 offset1:231
	ds_load_b128 v[49:52], v31 offset:640
	s_or_b32 s17, s9, 0x500
	s_or_b32 s11, s9, 0x700
	s_lshl_b32 s3, s3, 2
	s_waitcnt lgkmcnt(6)
	v_dual_mov_b32 v93, s18 :: v_dual_mul_f32 v0, v6, v17
	s_waitcnt lgkmcnt(3)
	s_delay_alu instid0(VALU_DEP_1)
	v_fma_f32 v1, -v0, v2, v16
	v_mov_b32_e32 v92, s17
	v_fma_f32 v2, -v0, v71, v38
	ds_load_2addr_b32 v[86:87], v40 offset0:8 offset1:41
	ds_load_b128 v[53:56], v61
	ds_load_b64 v[16:17], v31 offset:3296
	ds_load_b128 v[57:60], v31 offset:896
	ds_load_b96 v[81:83], v31 offset:912
	ds_load_b64 v[88:89], v61 offset:16
	ds_load_b128 v[61:64], v74
	v_mul_f32_e32 v1, v3, v1
	v_fma_f32 v3, -v0, v41, v37
	s_waitcnt lgkmcnt(9)
	v_fma_f32 v6, -v0, v45, v36
	s_waitcnt lgkmcnt(7)
	v_fma_f32 v41, -v0, v49, v35
	v_fma_f32 v2, -v1, v72, v2
	;; [unrolled: 1-line block ×4, first 2 shown]
	ds_load_b128 v[65:68], v31 offset:1152
	ds_load_b128 v[69:72], v31 offset:1168
	v_fma_f32 v41, -v1, v50, v41
	v_mul_f32_e32 v2, v73, v2
	ds_load_b128 v[73:76], v74 offset:16
	ds_load_b128 v[77:80], v92
	ds_load_2addr_b32 v[90:91], v90 offset0:40 offset1:172
	ds_load_b128 v[35:38], v31 offset:1408
	v_fma_f32 v3, -v2, v43, v3
	s_waitcnt lgkmcnt(9)
	v_fma_f32 v32, -v0, v57, v32
	v_fma_f32 v34, -v0, v53, v34
	s_waitcnt lgkmcnt(6)
	v_fma_f32 v33, -v0, v61, v33
	v_mul_f32_e32 v3, v44, v3
	v_fma_f32 v6, -v2, v47, v6
	v_fma_f32 v34, -v1, v54, v34
	;; [unrolled: 1-line block ×4, first 2 shown]
	s_delay_alu instid0(VALU_DEP_4) | instskip(NEXT) | instid1(VALU_DEP_4)
	v_fma_f32 v6, -v3, v48, v6
	v_fma_f32 v34, -v2, v55, v34
	s_delay_alu instid0(VALU_DEP_4)
	v_fma_f32 v41, -v3, v52, v41
	ds_load_b128 v[49:52], v31 offset:1424
	s_waitcnt lgkmcnt(6)
	v_fma_f32 v9, -v0, v65, v9
	v_mul_f32_e32 v6, v7, v6
	v_fma_f32 v7, -v1, v62, v33
	v_fma_f32 v32, -v2, v59, v32
	;; [unrolled: 1-line block ×3, first 2 shown]
	s_waitcnt lgkmcnt(3)
	v_fma_f32 v8, -v0, v77, v8
	v_fma_f32 v4, -v6, v4, v41
	;; [unrolled: 1-line block ×5, first 2 shown]
	ds_load_b128 v[41:44], v92 offset:16
	ds_load_b128 v[45:48], v93
	v_mul_f32_e32 v7, v5, v4
	v_fma_f32 v33, -v6, v88, v33
	v_fma_f32 v4, -v2, v67, v9
	;; [unrolled: 1-line block ×4, first 2 shown]
	s_waitcnt lgkmcnt(3)
	v_fma_f32 v10, -v0, v35, v10
	v_fma_f32 v32, -v7, v89, v33
	;; [unrolled: 1-line block ×6, first 2 shown]
	v_mul_f32_e32 v8, v84, v32
	v_fma_f32 v32, -v2, v79, v33
	v_fma_f32 v33, -v6, v69, v4
	v_fma_f32 v34, -v7, v74, v5
	ds_load_b64 v[4:5], v92 offset:32
	v_fma_f32 v9, -v8, v83, v9
	v_fma_f32 v32, -v3, v80, v32
	;; [unrolled: 1-line block ×4, first 2 shown]
	s_delay_alu instid0(VALU_DEP_4)
	v_dual_mov_b32 v66, s11 :: v_dual_mul_f32 v9, v85, v9
	v_fma_f32 v34, -v8, v75, v34
	s_waitcnt lgkmcnt(2)
	v_fma_f32 v32, -v6, v41, v32
	v_fma_f32 v41, -v8, v71, v33
	s_or_b32 s11, s4, 16
	v_fma_f32 v36, -v2, v37, v36
	v_fma_f32 v53, -v9, v76, v34
	;; [unrolled: 1-line block ×3, first 2 shown]
	ds_load_b128 v[32:35], v31 offset:1664
	s_lshl_b32 s14, s11, 7
	v_fma_f32 v41, -v9, v72, v41
	s_waitcnt lgkmcnt(2)
	v_fma_f32 v11, -v0, v45, v11
	s_or_b32 s14, s14, s7
	s_delay_alu instid0(SALU_CYCLE_1)
	v_dual_mul_f32 v10, v86, v53 :: v_dual_mov_b32 v67, s14
	ds_load_2addr_b32 v[64:65], v40 offset0:74 offset1:107
	ds_load_b128 v[53:56], v93 offset:16
	v_fma_f32 v42, -v8, v43, v42
	v_fma_f32 v36, -v3, v38, v36
	;; [unrolled: 1-line block ×4, first 2 shown]
	s_or_b32 s14, s9, 0x900
	v_fma_f32 v57, -v9, v44, v42
	v_fma_f32 v49, -v6, v49, v36
	v_mul_f32_e32 v11, v87, v45
	ds_load_b128 v[41:44], v66
	ds_load_b96 v[36:38], v31 offset:1440
	v_fma_f32 v45, -v2, v47, v46
	s_waitcnt lgkmcnt(5)
	v_fma_f32 v4, -v10, v4, v57
	v_fma_f32 v46, -v7, v50, v49
	s_waitcnt lgkmcnt(4)
	v_fma_f32 v12, -v0, v32, v12
	ds_load_b128 v[57:60], v31 offset:1680
	v_fma_f32 v32, -v3, v48, v45
	v_fma_f32 v4, -v11, v5, v4
	;; [unrolled: 1-line block ×4, first 2 shown]
	ds_load_b128 v[45:48], v93 offset:32
	s_waitcnt lgkmcnt(4)
	v_fma_f32 v32, -v6, v53, v32
	v_mul_f32_e32 v12, v64, v4
	v_fma_f32 v4, -v9, v52, v5
	v_fma_f32 v5, -v2, v34, v33
	ds_load_b128 v[61:64], v31 offset:1696
	v_fma_f32 v32, -v7, v54, v32
	ds_load_b128 v[49:52], v66 offset:16
	s_mulk_i32 s11, 0x84
	v_fma_f32 v5, -v3, v35, v5
	s_waitcnt lgkmcnt(4)
	v_fma_f32 v4, -v10, v36, v4
	v_fma_f32 v36, -v8, v55, v32
	ds_load_b128 v[32:35], v31 offset:1920
	v_fma_f32 v30, -v0, v41, v30
	s_waitcnt lgkmcnt(4)
	v_fma_f32 v5, -v6, v57, v5
	v_fma_f32 v4, -v11, v37, v4
	;; [unrolled: 1-line block ×3, first 2 shown]
	ds_load_b128 v[53:56], v31 offset:1936
	v_fma_f32 v30, -v1, v42, v30
	v_fma_f32 v37, -v7, v58, v5
	;; [unrolled: 1-line block ×3, first 2 shown]
	s_waitcnt lgkmcnt(4)
	v_fma_f32 v36, -v10, v45, v36
	ds_load_2addr_b32 v[4:5], v40 offset0:140 offset1:173
	v_fma_f32 v30, -v2, v43, v30
	v_fma_f32 v37, -v8, v59, v37
	ds_load_b128 v[40:43], v66 offset:32
	v_fma_f32 v30, -v3, v44, v30
	s_waitcnt lgkmcnt(3)
	v_fma_f32 v13, -v0, v32, v13
	v_fma_f32 v32, -v11, v46, v36
	v_fma_f32 v36, -v9, v60, v37
	ds_load_b128 v[57:60], v67
	v_fma_f32 v33, -v1, v33, v13
	v_mul_f32_e32 v13, v65, v38
	v_fma_f32 v36, -v10, v61, v36
	v_fma_f32 v32, -v12, v47, v32
	ds_load_b128 v[44:47], v67 offset:16
	v_fma_f32 v33, -v2, v34, v33
	v_fma_f32 v34, -v11, v62, v36
	;; [unrolled: 1-line block ×3, first 2 shown]
	s_delay_alu instid0(VALU_DEP_3) | instskip(NEXT) | instid1(VALU_DEP_3)
	v_fma_f32 v33, -v3, v35, v33
	v_fma_f32 v38, -v12, v63, v34
	ds_load_b128 v[34:37], v31 offset:1952
	v_fma_f32 v30, -v6, v49, v30
	s_waitcnt lgkmcnt(4)
	v_mul_f32_e32 v32, v4, v32
	v_fma_f32 v4, -v6, v53, v33
	v_fma_f32 v33, -v13, v64, v38
	;; [unrolled: 1-line block ×3, first 2 shown]
	s_delay_alu instid0(VALU_DEP_3) | instskip(NEXT) | instid1(VALU_DEP_3)
	v_fma_f32 v4, -v7, v54, v4
	v_fma_f32 v33, -v32, v91, v33
	s_delay_alu instid0(VALU_DEP_3) | instskip(NEXT) | instid1(VALU_DEP_3)
	v_fma_f32 v30, -v8, v51, v30
	v_fma_f32 v4, -v8, v55, v4
	s_delay_alu instid0(VALU_DEP_3) | instskip(NEXT) | instid1(VALU_DEP_3)
	v_mul_f32_e32 v33, v5, v33
	v_fma_f32 v30, -v9, v52, v30
	s_delay_alu instid0(VALU_DEP_3) | instskip(SKIP_1) | instid1(VALU_DEP_2)
	v_fma_f32 v4, -v9, v56, v4
	s_waitcnt lgkmcnt(3)
	v_fma_f32 v30, -v10, v40, v30
	s_waitcnt lgkmcnt(2)
	;; [unrolled: 2-line block ×3, first 2 shown]
	v_fma_f32 v4, -v10, v34, v4
	v_fma_f32 v38, -v11, v41, v30
	ds_load_b128 v[48:51], v31 offset:2176
	ds_load_b64 v[29:30], v66 offset:48
	v_fma_f32 v40, -v1, v58, v40
	v_mov_b32_e32 v66, s14
	v_fma_f32 v4, -v11, v35, v4
	v_fma_f32 v38, -v12, v42, v38
	s_delay_alu instid0(VALU_DEP_4) | instskip(NEXT) | instid1(VALU_DEP_3)
	v_fma_f32 v5, -v2, v59, v40
	v_fma_f32 v4, -v12, v36, v4
	s_delay_alu instid0(VALU_DEP_3)
	v_fma_f32 v42, -v13, v43, v38
	ds_load_b32 v43, v39 offset:1848
	ds_load_b128 v[38:41], v31 offset:1968
	v_fma_f32 v5, -v3, v60, v5
	ds_load_b128 v[52:55], v67 offset:32
	ds_load_b128 v[56:59], v31 offset:2192
	v_fma_f32 v4, -v13, v37, v4
	v_fma_f32 v5, -v6, v44, v5
	s_waitcnt lgkmcnt(5)
	v_fma_f32 v28, -v0, v48, v28
	s_waitcnt lgkmcnt(4)
	v_fma_f32 v29, -v32, v29, v42
	v_fma_f32 v5, -v7, v45, v5
	s_delay_alu instid0(VALU_DEP_3) | instskip(NEXT) | instid1(VALU_DEP_3)
	v_fma_f32 v28, -v1, v49, v28
	v_fma_f32 v29, -v33, v30, v29
	s_delay_alu instid0(VALU_DEP_3) | instskip(NEXT) | instid1(VALU_DEP_3)
	v_fma_f32 v5, -v8, v46, v5
	v_fma_f32 v28, -v2, v50, v28
	s_waitcnt lgkmcnt(2)
	v_fma_f32 v4, -v32, v38, v4
	s_delay_alu instid0(VALU_DEP_3)
	v_fma_f32 v5, -v9, v47, v5
	v_mul_f32_e32 v34, v43, v29
	ds_load_b128 v[35:38], v67 offset:48
	v_fma_f32 v28, -v3, v51, v28
	v_mov_b32_e32 v51, s11
	ds_load_b128 v[60:63], v66
	v_fma_f32 v4, -v33, v39, v4
	s_waitcnt lgkmcnt(3)
	v_fma_f32 v5, -v10, v52, v5
	ds_load_b128 v[42:45], v31 offset:2208
	s_waitcnt lgkmcnt(3)
	v_fma_f32 v28, -v6, v56, v28
	ds_load_b128 v[46:49], v66 offset:16
	v_fma_f32 v4, -v34, v40, v4
	ds_load_b32 v40, v51
	v_fma_f32 v5, -v11, v53, v5
	v_fma_f32 v39, -v7, v57, v28
	s_or_b32 s11, s4, 20
	ds_load_b96 v[76:78], v66 offset:64
	s_lshl_b32 s14, s11, 7
	v_fma_f32 v5, -v12, v54, v5
	v_fma_f32 v39, -v8, v58, v39
	s_or_b32 s14, s14, s7
	s_delay_alu instid0(VALU_DEP_2) | instskip(NEXT) | instid1(VALU_DEP_2)
	v_fma_f32 v5, -v13, v55, v5
	v_fma_f32 v39, -v9, v59, v39
	s_waitcnt lgkmcnt(4)
	v_fma_f32 v50, -v0, v60, v27
	ds_load_b128 v[27:30], v31 offset:2432
	ds_load_b128 v[54:57], v66 offset:32
	v_fma_f32 v5, -v32, v35, v5
	s_waitcnt lgkmcnt(5)
	v_fma_f32 v35, -v10, v42, v39
	v_fma_f32 v50, -v1, v61, v50
	s_delay_alu instid0(VALU_DEP_3) | instskip(NEXT) | instid1(VALU_DEP_2)
	v_fma_f32 v5, -v33, v36, v5
	v_fma_f32 v50, -v2, v62, v50
	s_delay_alu instid0(VALU_DEP_1)
	v_fma_f32 v58, -v3, v63, v50
	ds_load_b128 v[50:53], v31 offset:2224
	s_waitcnt lgkmcnt(5)
	v_fma_f32 v39, -v6, v46, v58
	s_waitcnt lgkmcnt(2)
	v_fma_f32 v26, -v0, v27, v26
	v_fma_f32 v27, -v11, v43, v35
	v_mul_f32_e32 v35, v41, v4
	ds_load_b128 v[58:61], v31 offset:2448
	v_fma_f32 v36, -v7, v47, v39
	v_fma_f32 v26, -v1, v28, v26
	v_fma_f32 v27, -v12, v44, v27
	v_fma_f32 v5, -v34, v37, v5
	s_delay_alu instid0(VALU_DEP_4) | instskip(NEXT) | instid1(VALU_DEP_4)
	v_fma_f32 v4, -v8, v48, v36
	v_fma_f32 v26, -v2, v29, v26
	s_delay_alu instid0(VALU_DEP_4) | instskip(NEXT) | instid1(VALU_DEP_4)
	v_fma_f32 v27, -v13, v45, v27
	v_fma_f32 v5, -v35, v38, v5
	ds_load_b128 v[36:39], v31 offset:2464
	v_fma_f32 v4, -v9, v49, v4
	v_add_nc_u32_e64 v49, 0x800, s10
	s_mul_i32 s10, s11, 0x84
	s_or_b32 s11, s9, 0xb00
	s_delay_alu instid0(SALU_CYCLE_1)
	v_dual_mov_b32 v74, s14 :: v_dual_mov_b32 v79, s11
	s_waitcnt lgkmcnt(2)
	v_fma_f32 v41, -v32, v50, v27
	v_fma_f32 v30, -v3, v30, v26
	v_mul_f32_e32 v40, v40, v5
	ds_load_b128 v[62:65], v74
	ds_load_b128 v[26:29], v66 offset:48
	v_fma_f32 v5, -v33, v51, v41
	ds_load_b128 v[41:44], v74 offset:16
	s_waitcnt lgkmcnt(4)
	v_fma_f32 v30, -v6, v58, v30
	ds_load_b128 v[45:48], v31 offset:2496
	ds_load_b128 v[66:69], v31 offset:2688
	v_fma_f32 v4, -v10, v54, v4
	v_fma_f32 v5, -v34, v52, v5
	ds_load_2addr_b64 v[49:52], v49 offset0:24 offset1:90
	v_fma_f32 v30, -v7, v59, v30
	v_fma_f32 v4, -v11, v55, v4
	v_fma_f32 v5, -v35, v53, v5
	s_delay_alu instid0(VALU_DEP_3) | instskip(NEXT) | instid1(VALU_DEP_3)
	v_fma_f32 v30, -v8, v60, v30
	v_fma_f32 v4, -v12, v56, v4
	ds_load_b128 v[53:56], v31 offset:2480
	v_fma_f32 v30, -v9, v61, v30
	s_waitcnt lgkmcnt(6)
	v_fma_f32 v25, -v0, v62, v25
	v_fma_f32 v4, -v13, v57, v4
	ds_load_b128 v[57:60], v74 offset:32
	v_fma_f32 v30, -v10, v36, v30
	v_fma_f32 v25, -v1, v63, v25
	s_waitcnt lgkmcnt(3)
	v_fma_f32 v24, -v0, v66, v24
	v_fma_f32 v4, -v32, v26, v4
	s_waitcnt lgkmcnt(2)
	v_fma_f32 v5, -v40, v49, v5
	v_mov_b32_e32 v36, s10
	v_fma_f32 v25, -v2, v64, v25
	v_fma_f32 v24, -v1, v67, v24
	;; [unrolled: 1-line block ×4, first 2 shown]
	s_or_b32 s10, s4, 24
	v_fma_f32 v25, -v3, v65, v25
	s_lshl_b32 s11, s10, 7
	v_fma_f32 v26, -v12, v38, v26
	v_fma_f32 v4, -v34, v28, v4
	s_or_b32 s7, s11, s7
	v_fma_f32 v25, -v6, v41, v25
	v_mul_f32_e32 v41, v50, v5
	ds_load_b32 v80, v36
	ds_load_b128 v[61:64], v79
	ds_load_b128 v[70:73], v31 offset:2704
	v_fma_f32 v5, -v2, v68, v24
	v_fma_f32 v4, -v35, v29, v4
	;; [unrolled: 1-line block ×4, first 2 shown]
	s_or_b32 s4, s4, 28
	v_fma_f32 v5, -v3, v69, v5
	v_fma_f32 v4, -v40, v76, v4
	;; [unrolled: 1-line block ×3, first 2 shown]
	s_waitcnt lgkmcnt(4)
	v_fma_f32 v28, -v32, v53, v28
	s_delay_alu instid0(VALU_DEP_3) | instskip(NEXT) | instid1(VALU_DEP_3)
	v_fma_f32 v4, -v41, v77, v4
	v_fma_f32 v30, -v9, v44, v25
	ds_load_b128 v[24:27], v74 offset:48
	ds_load_b128 v[36:39], v31 offset:2720
	;; [unrolled: 1-line block ×3, first 2 shown]
	v_fma_f32 v28, -v33, v54, v28
	v_mul_f32_e32 v42, v78, v4
	s_waitcnt lgkmcnt(6)
	v_fma_f32 v30, -v10, v57, v30
	s_waitcnt lgkmcnt(4)
	v_fma_f32 v23, -v0, v61, v23
	s_waitcnt lgkmcnt(3)
	v_fma_f32 v5, -v6, v70, v5
	v_fma_f32 v28, -v34, v55, v28
	v_fma_f32 v30, -v11, v58, v30
	;; [unrolled: 1-line block ×3, first 2 shown]
	s_delay_alu instid0(VALU_DEP_4) | instskip(NEXT) | instid1(VALU_DEP_4)
	v_fma_f32 v5, -v7, v71, v5
	v_fma_f32 v28, -v35, v56, v28
	s_delay_alu instid0(VALU_DEP_4) | instskip(NEXT) | instid1(VALU_DEP_4)
	v_fma_f32 v29, -v12, v59, v30
	v_fma_f32 v23, -v2, v63, v23
	s_delay_alu instid0(VALU_DEP_4) | instskip(NEXT) | instid1(VALU_DEP_3)
	v_fma_f32 v5, -v8, v72, v5
	v_fma_f32 v29, -v13, v60, v29
	ds_load_b128 v[57:60], v74 offset:64
	v_fma_f32 v23, -v3, v64, v23
	ds_load_b128 v[61:64], v79 offset:32
	ds_load_b128 v[69:72], v31 offset:2944
	v_fma_f32 v5, -v9, v73, v5
	ds_load_b128 v[73:76], v31 offset:2736
	s_waitcnt lgkmcnt(6)
	v_fma_f32 v24, -v32, v24, v29
	s_waitcnt lgkmcnt(4)
	v_fma_f32 v23, -v6, v65, v23
	v_fma_f32 v5, -v10, v36, v5
	s_delay_alu instid0(VALU_DEP_3) | instskip(NEXT) | instid1(VALU_DEP_3)
	v_fma_f32 v24, -v33, v25, v24
	v_fma_f32 v23, -v7, v66, v23
	s_delay_alu instid0(VALU_DEP_3) | instskip(NEXT) | instid1(VALU_DEP_3)
	;; [unrolled: 3-line block ×4, first 2 shown]
	v_fma_f32 v43, -v35, v27, v24
	v_fma_f32 v36, -v9, v68, v23
	s_waitcnt lgkmcnt(1)
	v_fma_f32 v22, -v0, v69, v22
	v_fma_f32 v5, -v13, v39, v5
	s_delay_alu instid0(VALU_DEP_3) | instskip(NEXT) | instid1(VALU_DEP_3)
	v_fma_f32 v44, -v10, v61, v36
	v_fma_f32 v22, -v1, v70, v22
	s_waitcnt lgkmcnt(0)
	s_delay_alu instid0(VALU_DEP_3) | instskip(NEXT) | instid1(VALU_DEP_3)
	v_fma_f32 v5, -v32, v73, v5
	v_fma_f32 v44, -v11, v62, v44
	s_delay_alu instid0(VALU_DEP_3) | instskip(NEXT) | instid1(VALU_DEP_3)
	v_fma_f32 v22, -v2, v71, v22
	v_fma_f32 v5, -v33, v74, v5
	v_mov_b32_e32 v74, s3
	s_mul_i32 s3, s10, 0x84
	s_delay_alu instid0(VALU_DEP_3)
	v_fma_f32 v22, -v3, v72, v22
	v_mov_b32_e32 v72, s7
	s_or_b32 s7, s9, 0xd00
	v_fma_f32 v5, -v34, v75, v5
	v_mov_b32_e32 v73, s7
	v_fma_f32 v25, -v40, v45, v28
	v_fma_f32 v43, -v40, v57, v43
	s_delay_alu instid0(VALU_DEP_4) | instskip(NEXT) | instid1(VALU_DEP_3)
	v_fma_f32 v5, -v35, v76, v5
	v_fma_f32 v4, -v41, v46, v25
	ds_load_b128 v[23:26], v31 offset:2752
	ds_load_b128 v[27:30], v31 offset:2960
	;; [unrolled: 1-line block ×3, first 2 shown]
	v_fma_f32 v49, -v41, v58, v43
	v_fma_f32 v43, -v12, v63, v44
	;; [unrolled: 1-line block ×3, first 2 shown]
	ds_load_b128 v[44:47], v79 offset:64
	ds_load_b128 v[53:56], v31 offset:2976
	ds_load_b96 v[65:67], v79 offset:80
	v_fma_f32 v43, -v13, v64, v43
	s_waitcnt lgkmcnt(5)
	v_fma_f32 v5, -v40, v23, v5
	s_waitcnt lgkmcnt(4)
	;; [unrolled: 2-line block ×3, first 2 shown]
	v_fma_f32 v27, -v32, v36, v43
	v_mul_f32_e32 v43, v48, v4
	ds_load_b128 v[61:64], v72
	v_fma_f32 v5, -v41, v24, v5
	v_fma_f32 v4, -v7, v28, v22
	v_fma_f32 v22, -v33, v37, v27
	v_fma_f32 v27, -v42, v59, v49
	s_delay_alu instid0(VALU_DEP_4) | instskip(NEXT) | instid1(VALU_DEP_4)
	v_fma_f32 v5, -v42, v25, v5
	v_fma_f32 v4, -v8, v29, v4
	s_delay_alu instid0(VALU_DEP_4) | instskip(NEXT) | instid1(VALU_DEP_4)
	v_fma_f32 v22, -v34, v38, v22
	v_fma_f32 v23, -v43, v60, v27
	;; [unrolled: 3-line block ×3, first 2 shown]
	s_delay_alu instid0(VALU_DEP_4)
	v_fma_f32 v24, -v35, v39, v22
	ds_load_b128 v[36:39], v72 offset:16
	v_mul_f32_e32 v22, v80, v23
	ds_load_b128 v[27:30], v31 offset:2992
	s_waitcnt lgkmcnt(4)
	v_fma_f32 v4, -v10, v53, v4
	v_fma_f32 v23, -v40, v44, v24
	s_waitcnt lgkmcnt(2)
	v_fma_f32 v21, -v0, v61, v21
	v_fma_f32 v5, -v22, v51, v5
	;; [unrolled: 1-line block ×4, first 2 shown]
	ds_load_b128 v[48:51], v72 offset:32
	v_fma_f32 v21, -v1, v62, v21
	v_fma_f32 v4, -v12, v55, v4
	;; [unrolled: 1-line block ×3, first 2 shown]
	v_mul_f32_e32 v23, v52, v5
	ds_load_b128 v[52:55], v73
	v_fma_f32 v21, -v2, v63, v21
	v_fma_f32 v4, -v13, v56, v4
	;; [unrolled: 1-line block ×3, first 2 shown]
	ds_load_b128 v[44:47], v31 offset:3200
	ds_load_b128 v[60:63], v31 offset:3216
	v_fma_f32 v21, -v3, v64, v21
	s_waitcnt lgkmcnt(4)
	v_fma_f32 v4, -v32, v27, v4
	v_fma_f32 v5, -v22, v65, v5
	ds_load_b128 v[56:59], v31 offset:3008
	v_fma_f32 v21, -v6, v36, v21
	v_fma_f32 v4, -v33, v28, v4
	ds_load_b128 v[25:28], v74
	v_fma_f32 v5, -v23, v66, v5
	v_fma_f32 v21, -v7, v37, v21
	;; [unrolled: 1-line block ×3, first 2 shown]
	s_delay_alu instid0(VALU_DEP_3)
	v_mul_f32_e32 v24, v67, v5
	s_waitcnt lgkmcnt(4)
	v_fma_f32 v19, -v0, v52, v19
	v_fma_f32 v21, -v8, v38, v21
	;; [unrolled: 1-line block ×3, first 2 shown]
	ds_load_b128 v[64:67], v31 offset:3024
	s_waitcnt lgkmcnt(4)
	v_fma_f32 v20, -v0, v44, v20
	v_fma_f32 v30, -v1, v53, v19
	;; [unrolled: 1-line block ×3, first 2 shown]
	ds_load_b128 v[36:39], v73 offset:16
	v_fma_f32 v20, -v1, v45, v20
	v_fma_f32 v30, -v2, v54, v30
	s_waitcnt lgkmcnt(3)
	v_fma_f32 v4, -v40, v56, v4
	v_fma_f32 v5, -v10, v48, v5
	s_waitcnt lgkmcnt(2)
	v_fma_f32 v25, -v0, v25, v18
	v_fma_f32 v29, -v2, v46, v20
	ds_load_b128 v[18:21], v74 offset:16
	ds_load_b128 v[68:71], v72 offset:48
	v_fma_f32 v4, -v41, v57, v4
	v_fma_f32 v5, -v11, v49, v5
	;; [unrolled: 1-line block ×4, first 2 shown]
	ds_load_b128 v[44:47], v31 offset:3232
	v_fma_f32 v4, -v42, v58, v4
	v_fma_f32 v5, -v12, v50, v5
	;; [unrolled: 1-line block ×5, first 2 shown]
	ds_load_b128 v[52:55], v73 offset:32
	v_fma_f32 v4, -v43, v59, v4
	ds_load_b128 v[56:59], v72 offset:80
	v_fma_f32 v26, -v7, v61, v26
	s_waitcnt lgkmcnt(5)
	v_fma_f32 v27, -v6, v36, v29
	v_fma_f32 v29, -v3, v28, v25
	;; [unrolled: 1-line block ×3, first 2 shown]
	ds_load_b128 v[48:51], v72 offset:64
	v_fma_f32 v30, -v8, v62, v26
	v_fma_f32 v36, -v7, v37, v27
	ds_load_b128 v[25:28], v74 offset:32
	s_waitcnt lgkmcnt(6)
	v_fma_f32 v18, -v6, v18, v29
	s_waitcnt lgkmcnt(5)
	v_fma_f32 v5, -v32, v68, v5
	v_fma_f32 v29, -v9, v63, v30
	;; [unrolled: 1-line block ×3, first 2 shown]
	ds_load_b128 v[60:63], v31 offset:3248
	v_fma_f32 v18, -v7, v19, v18
	v_fma_f32 v5, -v33, v69, v5
	s_waitcnt lgkmcnt(5)
	v_fma_f32 v19, -v10, v44, v29
	v_fma_f32 v29, -v9, v39, v30
	ds_load_b128 v[36:39], v73 offset:48
	v_fma_f32 v18, -v8, v20, v18
	v_fma_f32 v5, -v34, v70, v5
	;; [unrolled: 1-line block ×3, first 2 shown]
	s_waitcnt lgkmcnt(5)
	v_fma_f32 v20, -v10, v52, v29
	v_fma_f32 v4, -v22, v64, v4
	;; [unrolled: 1-line block ×7, first 2 shown]
	s_waitcnt lgkmcnt(2)
	v_fma_f32 v25, -v10, v25, v18
	ds_load_b128 v[18:21], v74 offset:48
	v_fma_f32 v29, -v13, v47, v29
	v_fma_f32 v30, -v12, v54, v30
	ds_load_b128 v[44:47], v31 offset:3264
	v_fma_f32 v25, -v11, v26, v25
	v_fma_f32 v5, -v40, v48, v5
	s_waitcnt lgkmcnt(3)
	v_fma_f32 v26, -v32, v60, v29
	v_fma_f32 v29, -v13, v55, v30
	ds_load_b128 v[52:55], v73 offset:64
	v_fma_f32 v25, -v12, v27, v25
	v_fma_f32 v5, -v41, v49, v5
	;; [unrolled: 1-line block ×3, first 2 shown]
	s_waitcnt lgkmcnt(3)
	v_fma_f32 v27, -v32, v36, v29
	v_fma_f32 v4, -v24, v66, v4
	v_fma_f32 v29, -v13, v28, v25
	v_fma_f32 v5, -v42, v50, v5
	v_fma_f32 v30, -v34, v62, v26
	v_fma_f32 v36, -v33, v37, v27
	ds_load_b128 v[25:28], v74 offset:64
	s_waitcnt lgkmcnt(3)
	v_fma_f32 v18, -v32, v18, v29
	v_fma_f32 v29, -v35, v63, v30
	;; [unrolled: 1-line block ×3, first 2 shown]
	ds_load_b128 v[60:63], v31 offset:3280
	v_fma_f32 v5, -v43, v51, v5
	v_fma_f32 v18, -v33, v19, v18
	s_waitcnt lgkmcnt(3)
	v_fma_f32 v19, -v40, v44, v29
	v_fma_f32 v29, -v35, v39, v30
	ds_load_b128 v[36:39], v73 offset:80
	v_fma_f32 v18, -v34, v20, v18
	v_fma_f32 v19, -v41, v45, v19
	v_mov_b32_e32 v20, s3
	s_waitcnt lgkmcnt(3)
	v_fma_f32 v29, -v40, v52, v29
	s_mul_i32 s3, s5, 0x84
	v_fma_f32 v18, -v35, v21, v18
	v_fma_f32 v30, -v42, v46, v19
	ds_load_b32 v44, v20
	v_fma_f32 v29, -v41, v53, v29
	s_waitcnt lgkmcnt(3)
	v_fma_f32 v25, -v40, v25, v18
	ds_load_b128 v[18:21], v74 offset:80
	v_fma_f32 v30, -v43, v47, v30
	v_fma_f32 v29, -v42, v54, v29
	;; [unrolled: 1-line block ×3, first 2 shown]
	v_mul_f32_e32 v25, v67, v4
	v_fma_f32 v5, -v22, v56, v5
	s_waitcnt lgkmcnt(3)
	v_fma_f32 v30, -v22, v60, v30
	v_fma_f32 v29, -v43, v55, v29
	;; [unrolled: 1-line block ×4, first 2 shown]
	s_delay_alu instid0(VALU_DEP_4)
	v_fma_f32 v26, -v23, v61, v30
	s_waitcnt lgkmcnt(2)
	v_fma_f32 v27, -v22, v36, v29
	ds_load_b96 v[29:31], v73 offset:96
	v_fma_f32 v4, -v43, v28, v4
	v_fma_f32 v5, -v24, v58, v5
	;; [unrolled: 1-line block ×4, first 2 shown]
	s_waitcnt lgkmcnt(1)
	v_fma_f32 v4, -v22, v18, v4
	v_fma_f32 v5, -v25, v59, v5
	s_delay_alu instid0(VALU_DEP_2) | instskip(NEXT) | instid1(VALU_DEP_2)
	v_fma_f32 v4, -v23, v19, v4
	v_mul_f32_e32 v18, v44, v5
	v_fma_f32 v5, -v25, v63, v36
	v_fma_f32 v36, -v24, v38, v37
	s_delay_alu instid0(VALU_DEP_4) | instskip(SKIP_1) | instid1(VALU_DEP_4)
	v_fma_f32 v4, -v24, v20, v4
	v_mov_b32_e32 v20, s3
	v_fma_f32 v5, -v18, v16, v5
	s_delay_alu instid0(VALU_DEP_4) | instskip(NEXT) | instid1(VALU_DEP_4)
	v_fma_f32 v16, -v25, v39, v36
	v_fma_f32 v4, -v25, v21, v4
	s_delay_alu instid0(VALU_DEP_3)
	v_mul_f32_e32 v19, v17, v5
	ds_load_b96 v[26:28], v74 offset:96
	s_waitcnt lgkmcnt(1)
	v_fma_f32 v5, -v18, v29, v16
	ds_load_b32 v16, v20
	s_clause 0x1
	global_store_b128 v[14:15], v[0:3], off
	global_store_b128 v[14:15], v[6:9], off offset:16
	v_fma_f32 v5, -v19, v30, v5
	s_delay_alu instid0(VALU_DEP_1) | instskip(SKIP_2) | instid1(VALU_DEP_1)
	v_mul_f32_e32 v20, v31, v5
	s_waitcnt lgkmcnt(1)
	v_fma_f32 v4, -v18, v26, v4
	v_fma_f32 v4, -v19, v27, v4
	s_delay_alu instid0(VALU_DEP_1) | instskip(SKIP_1) | instid1(VALU_DEP_1)
	v_fma_f32 v4, -v20, v28, v4
	s_waitcnt lgkmcnt(0)
	v_mul_f32_e32 v21, v16, v4
	s_clause 0x4
	global_store_b128 v[14:15], v[10:13], off offset:32
	global_store_b128 v[14:15], v[32:35], off offset:48
	;; [unrolled: 1-line block ×5, first 2 shown]
.LBB37_23:
	s_cmp_ge_i32 s4, s2
	s_cbranch_scc1 .LBB37_34
; %bb.24:
	s_add_i32 s3, s4, -1
	s_lshl_b32 s7, s4, 7
	s_add_u32 s5, s12, s0
	s_addc_u32 s9, s13, s1
	v_add_co_u32 v6, vcc_lo, s5, v106
	v_add_co_ci_u32_e32 v7, vcc_lo, s9, v107, vcc_lo
	s_mov_b32 s11, 0
	s_delay_alu instid0(VALU_DEP_2) | instskip(NEXT) | instid1(VALU_DEP_2)
	v_add_co_u32 v0, vcc_lo, v6, 28
	v_add_co_ci_u32_e32 v1, vcc_lo, 0, v7, vcc_lo
	s_mov_b32 s14, s4
	s_mov_b32 s9, 0
	s_branch .LBB37_26
.LBB37_25:                              ;   in Loop: Header=BB37_26 Depth=1
	s_mul_i32 s5, s4, 0x84
	v_add_nc_u16 v5, s14, 1
	v_mov_b32_e32 v4, s5
	s_add_i32 s4, s4, 1
	s_add_i32 s9, s9, 1
	s_addk_i32 s7, 0x80
	v_readfirstlane_b32 s14, v5
	ds_load_b32 v4, v4
	s_cmp_ge_i32 s4, s2
	s_waitcnt lgkmcnt(0)
	v_mul_f32_e32 v4, v4, v8
	global_store_b32 v[2:3], v4, off
	s_cbranch_scc1 .LBB37_34
.LBB37_26:                              ; =>This Loop Header: Depth=1
                                        ;     Child Loop BB37_29 Depth 2
                                        ;     Child Loop BB37_33 Depth 2
	s_ashr_i32 s5, s4, 31
	s_delay_alu instid0(SALU_CYCLE_1)
	s_lshl_b64 s[16:17], s[4:5], 2
	s_cmp_eq_u32 s4, 0
	v_add_co_u32 v2, vcc_lo, v104, s16
	v_add_co_ci_u32_e32 v3, vcc_lo, s17, v105, vcc_lo
	global_load_b32 v4, v[2:3], off
	s_waitcnt vmcnt(0)
	v_mul_f32_e32 v8, s15, v4
	s_cbranch_scc1 .LBB37_25
; %bb.27:                               ;   in Loop: Header=BB37_26 Depth=1
	s_add_i32 s5, s3, s9
	s_delay_alu instid0(SALU_CYCLE_1)
	s_cmp_lt_u32 s5, 7
	s_cbranch_scc1 .LBB37_31
; %bb.28:                               ;   in Loop: Header=BB37_26 Depth=1
	v_dual_mov_b32 v5, v1 :: v_dual_mov_b32 v4, v0
	s_and_b32 s10, s4, -8
	s_mov_b32 s5, 0
	s_mov_b32 s16, s7
	.p2align	6
.LBB37_29:                              ;   Parent Loop BB37_26 Depth=1
                                        ; =>  This Inner Loop Header: Depth=2
	s_clause 0x1
	global_load_b128 v[9:12], v[4:5], off offset:-28
	global_load_b128 v[13:16], v[4:5], off offset:-12
	v_mov_b32_e32 v21, s16
	v_add_co_u32 v4, vcc_lo, v4, 32
	v_add_co_ci_u32_e32 v5, vcc_lo, 0, v5, vcc_lo
	ds_load_b128 v[17:20], v21
	ds_load_b128 v[21:24], v21 offset:16
	s_add_i32 s5, s5, 8
	s_add_i32 s16, s16, 32
	s_cmp_lg_u32 s10, s5
	s_waitcnt vmcnt(1) lgkmcnt(1)
	v_fma_f32 v8, -v9, v17, v8
	s_delay_alu instid0(VALU_DEP_1) | instskip(NEXT) | instid1(VALU_DEP_1)
	v_fma_f32 v8, -v10, v18, v8
	v_fma_f32 v8, -v11, v19, v8
	s_delay_alu instid0(VALU_DEP_1) | instskip(SKIP_1) | instid1(VALU_DEP_1)
	v_fma_f32 v8, -v12, v20, v8
	s_waitcnt vmcnt(0) lgkmcnt(0)
	v_fma_f32 v8, -v13, v21, v8
	s_delay_alu instid0(VALU_DEP_1) | instskip(NEXT) | instid1(VALU_DEP_1)
	v_fma_f32 v8, -v14, v22, v8
	v_fma_f32 v8, -v15, v23, v8
	s_delay_alu instid0(VALU_DEP_1)
	v_fma_f32 v8, -v16, v24, v8
	s_cbranch_scc1 .LBB37_29
; %bb.30:                               ;   in Loop: Header=BB37_26 Depth=1
	s_and_b32 s5, s4, 7
	s_delay_alu instid0(SALU_CYCLE_1)
	s_cmp_eq_u32 s5, 0
	s_cbranch_scc0 .LBB37_32
	s_branch .LBB37_25
.LBB37_31:                              ;   in Loop: Header=BB37_26 Depth=1
	s_mov_b32 s10, 0
	s_and_b32 s5, s4, 7
	s_delay_alu instid0(SALU_CYCLE_1)
	s_cmp_eq_u32 s5, 0
	s_cbranch_scc1 .LBB37_25
.LBB37_32:                              ;   in Loop: Header=BB37_26 Depth=1
	s_lshl_b64 s[16:17], s[10:11], 2
	s_and_b32 s5, s14, 7
	v_add_co_u32 v4, vcc_lo, v6, s16
	v_add_co_ci_u32_e32 v5, vcc_lo, s17, v7, vcc_lo
	s_lshl_b32 s10, s10, 2
.LBB37_33:                              ;   Parent Loop BB37_26 Depth=1
                                        ; =>  This Inner Loop Header: Depth=2
	global_load_b32 v9, v[4:5], off
	s_add_i32 s16, s7, s10
	v_add_co_u32 v4, vcc_lo, v4, 4
	v_mov_b32_e32 v10, s16
	v_add_co_ci_u32_e32 v5, vcc_lo, 0, v5, vcc_lo
	s_add_i32 s5, s5, -1
	s_add_i32 s10, s10, 4
	ds_load_b32 v10, v10
	s_cmp_lg_u32 s5, 0
	s_waitcnt vmcnt(0) lgkmcnt(0)
	v_fma_f32 v8, -v9, v10, v8
	s_cbranch_scc1 .LBB37_33
	s_branch .LBB37_25
.LBB37_34:
	s_mov_b32 s3, 0
.LBB37_35:
	s_delay_alu instid0(SALU_CYCLE_1)
	s_and_b32 vcc_lo, exec_lo, s3
	s_cbranch_vccz .LBB37_61
; %bb.36:
	s_cmp_gt_i32 s6, 31
	s_mov_b32 s4, s8
	s_cbranch_scc0 .LBB37_38
; %bb.37:
	s_ashr_i32 s9, s8, 31
	s_mov_b32 s3, 0
	s_lshl_b64 s[4:5], s[8:9], 2
	s_lshl_b64 s[10:11], s[2:3], 2
	v_add_co_u32 v31, vcc_lo, v104, s4
	v_add_co_ci_u32_e32 v32, vcc_lo, s5, v105, vcc_lo
	v_add_co_u32 v24, vcc_lo, v104, s10
	v_add_co_ci_u32_e32 v25, vcc_lo, s11, v105, vcc_lo
	global_load_b32 v15, v[31:32], off
	s_mul_i32 s6, s8, 0x84
	s_add_i32 s7, s2, -2
	s_clause 0x4
	global_load_b96 v[12:14], v[24:25], off offset:-16
	global_load_b128 v[0:3], v[24:25], off offset:-48
	global_load_b128 v[8:11], v[24:25], off offset:-32
	;; [unrolled: 1-line block ×4, first 2 shown]
	s_lshl_b32 s5, s8, 5
	s_add_i32 s23, s2, -4
	s_add_i32 s25, s2, -6
	s_add_i32 s31, s7, s5
	s_add_i32 s33, s6, 0xffffff7c
	;; [unrolled: 1-line block ×3, first 2 shown]
	s_lshl_b32 s22, s7, 5
	s_add_i32 s35, s6, 0xfffffe74
	s_add_i32 s36, s25, s5
	s_lshl_b32 s20, s23, 5
	s_lshl_b32 s3, s2, 5
	s_add_i32 s27, s2, -8
	s_add_i32 s28, s2, -10
	;; [unrolled: 1-line block ×3, first 2 shown]
	s_mul_i32 s4, s2, 0x84
	s_add_i32 s30, s2, -14
	s_add_i32 s42, s6, 0xfffffbe0
	s_lshl_b32 s31, s31, 2
	v_dual_mov_b32 v30, s33 :: v_dual_mov_b32 v33, s35
	s_lshl_b32 s33, s34, 2
	s_add_i32 s34, s23, s22
	s_lshl_b32 s35, s36, 2
	s_add_i32 s36, s25, s22
	s_add_i32 s53, s25, s20
	s_sub_i32 s26, s2, 18
	s_add_i32 s21, s3, 0xffffffa0
	s_add_i32 s19, s3, 0xffffff60
	;; [unrolled: 1-line block ×4, first 2 shown]
	s_lshl_b32 s18, s25, 5
	s_add_i32 s39, s6, 0xfffffce8
	s_add_i32 s17, s3, 0xffffff20
	s_add_i32 s40, s6, 0xfffffc64
	s_add_i32 s41, s28, s5
	s_lshl_b32 s16, s27, 5
	s_add_i32 s14, s3, 0xfffffee0
	s_add_i32 s43, s6, 0xfffffb5c
	;; [unrolled: 1-line block ×3, first 2 shown]
	s_lshl_b32 s11, s28, 5
	s_add_i32 s45, s6, 0xfffffad8
	s_add_i32 s10, s3, 0xfffffea0
	;; [unrolled: 1-line block ×4, first 2 shown]
	s_lshl_b32 s9, s29, 5
	s_add_i32 s7, s3, 0xfffffe60
	v_dual_mov_b32 v36, s42 :: v_dual_mov_b32 v39, s31
	s_lshl_b32 s31, s34, 2
	s_lshl_b32 s34, s36, 2
	;; [unrolled: 1-line block ×3, first 2 shown]
	s_add_i32 s24, s2, -16
	s_lshl_b32 s6, s30, 5
	s_add_i32 s50, s26, s5
	s_add_i32 s51, s23, s21
	;; [unrolled: 1-line block ×4, first 2 shown]
	v_dual_mov_b32 v52, s37 :: v_dual_mov_b32 v35, s40
	s_lshl_b32 s37, s38, 2
	s_add_i32 s38, s27, s22
	s_add_i32 s55, s27, s21
	;; [unrolled: 1-line block ×5, first 2 shown]
	v_dual_mov_b32 v34, s39 :: v_dual_mov_b32 v37, s43
	s_add_i32 s39, s27, s17
	s_lshl_b32 s40, s41, 2
	s_add_i32 s41, s28, s22
	s_add_i32 s59, s28, s21
	;; [unrolled: 1-line block ×8, first 2 shown]
	s_lshl_b32 s42, s44, 2
	s_add_i32 s43, s29, s22
	s_add_i32 s44, s29, s21
	;; [unrolled: 1-line block ×9, first 2 shown]
	v_dual_mov_b32 v38, s45 :: v_dual_mov_b32 v53, s37
	s_add_i32 s29, s29, s10
	s_lshl_b32 s45, s47, 2
	s_delay_alu instid0(SALU_CYCLE_1)
	v_dual_mov_b32 v100, s46 :: v_dual_mov_b32 v101, s45
	s_add_i32 s46, s30, s22
	s_add_i32 s47, s30, s21
	;; [unrolled: 1-line block ×12, first 2 shown]
	v_mov_b32_e32 v48, s36
	s_add_i32 s48, s4, 0xfffff8c8
	s_add_i32 s49, s24, s5
	s_add_i32 s82, s24, s20
	s_add_i32 s87, s24, s14
	s_add_i32 s89, s24, s10
	s_lshl_b32 s50, s50, 2
	s_add_i32 s23, s26, s22
	v_dual_mov_b32 v40, s33 :: v_dual_mov_b32 v41, s31
	s_lshl_b32 s33, s51, 2
	s_delay_alu instid0(SALU_CYCLE_1)
	v_dual_mov_b32 v42, s35 :: v_dual_mov_b32 v43, s33
	s_lshl_b32 s35, s52, 2
	s_lshl_b32 s51, s54, 2
	s_lshl_b32 s37, s38, 2
	s_lshl_b32 s38, s55, 2
	s_lshl_b32 s52, s56, 2
	s_lshl_b32 s53, s57, 2
	s_lshl_b32 s54, s58, 2
	s_lshl_b32 s39, s39, 2
	s_delay_alu instid0(SALU_CYCLE_1)
	v_dual_mov_b32 v64, s40 :: v_dual_mov_b32 v65, s39
	s_lshl_b32 s40, s41, 2
	s_lshl_b32 s41, s59, 2
	s_lshl_b32 s55, s60, 2
	s_lshl_b32 s56, s61, 2
	s_lshl_b32 s57, s62, 2
	s_lshl_b32 s58, s63, 2
	s_lshl_b32 s59, s64, 2
	;; [unrolled: 10-line block ×3, first 2 shown]
	s_lshl_b32 s65, s70, 2
	s_lshl_b32 s66, s71, 2
	;; [unrolled: 1-line block ×15, first 2 shown]
	v_mov_b32_e32 v130, s48
	s_lshl_b32 s48, s49, 2
	s_lshl_b32 s75, s82, 2
	v_mov_b32_e32 v131, s48
	s_lshl_b32 s80, s87, 2
	s_lshl_b32 s82, s89, 2
	v_dual_mov_b32 v146, s50 :: v_dual_mov_b32 v103, s45
	v_dual_mov_b32 v44, s34 :: v_dual_mov_b32 v147, s80
	;; [unrolled: 1-line block ×3, first 2 shown]
	v_mov_b32_e32 v54, s37
	v_mov_b32_e32 v56, s38
	;; [unrolled: 1-line block ×32, first 2 shown]
	s_lshl_b32 s23, s23, 2
	v_mov_b32_e32 v86, s44
	s_clause 0x1
	global_load_b128 v[4:7], v[24:25], off offset:-128
	global_load_b128 v[20:23], v[24:25], off offset:-96
	s_add_i32 s49, s24, s22
	s_add_i32 s81, s24, s21
	s_lshl_b32 s48, s49, 2
	s_lshl_b32 s49, s81, 2
	v_mov_b32_e32 v132, s48
	v_mov_b32_e32 v134, s49
	;; [unrolled: 1-line block ×3, first 2 shown]
	s_add_i32 s83, s24, s19
	s_add_i32 s84, s24, s18
	;; [unrolled: 1-line block ×3, first 2 shown]
	s_lshl_b32 s76, s83, 2
	s_add_i32 s86, s24, s16
	s_lshl_b32 s77, s84, 2
	s_lshl_b32 s78, s85, 2
	;; [unrolled: 1-line block ×3, first 2 shown]
	v_mov_b32_e32 v140, s77
	v_mov_b32_e32 v142, s78
	;; [unrolled: 1-line block ×3, first 2 shown]
	s_add_i32 s88, s24, s11
	s_add_i32 s90, s24, s9
	s_lshl_b32 s81, s88, 2
	s_lshl_b32 s83, s90, 2
	v_mov_b32_e32 v148, s81
	v_mov_b32_e32 v150, s83
	s_add_i32 s25, s26, s21
	s_add_i32 s27, s26, s20
	;; [unrolled: 1-line block ×3, first 2 shown]
	s_sub_i32 s34, s2, 24
	s_lshl_b32 s28, s91, 2
	s_add_i32 s35, s34, s22
	s_add_i32 s31, s4, 0xfffff5b0
	s_lshl_b32 s35, s35, 2
	s_add_i32 s36, s34, s21
	s_sub_i32 s38, s2, 26
	s_sub_i32 s37, s2, 28
	s_add_i32 s41, s4, 0xfffff190
	s_add_i32 s39, s37, s14
	s_waitcnt vmcnt(7)
	v_dual_mul_f32 v15, s15, v15 :: v_dual_mov_b32 v50, s51
	ds_load_b32 v151, v34
	ds_load_b32 v152, v35
	;; [unrolled: 1-line block ×5, first 2 shown]
	ds_load_2addr_b32 v[34:35], v39 offset1:1
	ds_load_b32 v30, v30
	ds_load_2addr_b32 v[36:37], v40 offset1:1
	ds_load_2addr_b32 v[38:39], v41 offset1:1
	;; [unrolled: 1-line block ×3, first 2 shown]
	ds_load_b32 v156, v33
	ds_load_2addr_b32 v[42:43], v42 offset1:1
	ds_load_2addr_b32 v[44:45], v44 offset1:1
	;; [unrolled: 1-line block ×5, first 2 shown]
	ds_load_b32 v157, v52
	ds_load_2addr_b32 v[52:53], v53 offset1:1
	ds_load_2addr_b32 v[54:55], v54 offset1:1
	;; [unrolled: 1-line block ×6, first 2 shown]
	ds_load_b32 v158, v65
	ds_load_2addr_b32 v[64:65], v64 offset1:1
	ds_load_2addr_b32 v[66:67], v66 offset1:1
	;; [unrolled: 1-line block ×8, first 2 shown]
	ds_load_b32 v159, v81
	ds_load_2addr_b32 v[80:81], v80 offset1:1
	ds_load_2addr_b32 v[82:83], v82 offset1:1
	;; [unrolled: 1-line block ×10, first 2 shown]
	ds_load_b32 v160, v102
	ds_load_b32 v161, v100
	ds_load_2addr_b32 v[100:101], v101 offset1:1
	ds_load_2addr_b32 v[102:103], v103 offset1:1
	;; [unrolled: 1-line block ×13, first 2 shown]
	ds_load_b32 v162, v130
	ds_load_2addr_b32 v[130:131], v131 offset1:1
	ds_load_2addr_b32 v[132:133], v132 offset1:1
	;; [unrolled: 1-line block ×4, first 2 shown]
	s_waitcnt lgkmcnt(57)
	v_dual_mul_f32 v33, v35, v15 :: v_dual_mov_b32 v138, s76
	ds_load_2addr_b32 v[138:139], v138 offset1:1
	ds_load_2addr_b32 v[140:141], v140 offset1:1
	;; [unrolled: 1-line block ×4, first 2 shown]
	v_mul_f32_e32 v15, v33, v34
	s_waitcnt lgkmcnt(59)
	v_mul_f32_e32 v34, v33, v37
	v_mul_f32_e32 v35, v33, v36
	s_waitcnt lgkmcnt(55)
	v_mul_f32_e32 v36, v33, v43
	s_waitcnt lgkmcnt(49)
	v_mul_f32_e32 v43, v33, v52
	s_waitcnt vmcnt(6)
	v_fma_f32 v14, v14, s15, -v15
	v_fma_f32 v13, v13, s15, -v34
	s_waitcnt lgkmcnt(42)
	v_mul_f32_e32 v52, v33, v65
	s_waitcnt lgkmcnt(33)
	v_mul_f32_e32 v65, v33, v80
	;; [unrolled: 2-line block ×3, first 2 shown]
	v_mul_f32_e32 v30, v30, v14
	v_fma_f32 v12, v12, s15, -v35
	v_mul_f32_e32 v37, v33, v42
	s_waitcnt vmcnt(4)
	v_fma_f32 v11, v11, s15, -v36
	s_waitcnt vmcnt(3)
	v_fma_f32 v14, v29, s15, -v80
	v_fma_f32 v13, -v30, v39, v13
	v_fma_f32 v12, -v30, v38, v12
	v_mul_f32_e32 v42, v33, v53
	v_mul_f32_e32 v53, v33, v64
	;; [unrolled: 1-line block ×5, first 2 shown]
	v_fma_f32 v10, v10, s15, -v37
	v_fma_f32 v3, v3, s15, -v52
	v_fma_f32 v11, -v30, v45, v11
	v_fma_f32 v12, -v29, v40, v12
	v_fma_f32 v9, v9, s15, -v42
	v_fma_f32 v15, v28, s15, -v81
	v_fma_f32 v10, -v30, v44, v10
	v_fma_f32 v13, -v30, v67, v3
	;; [unrolled: 1-line block ×3, first 2 shown]
	v_mul_f32_e32 v28, v156, v12
	v_fma_f32 v8, v8, s15, -v43
	v_fma_f32 v2, v2, s15, -v53
	v_fma_f32 v9, -v30, v55, v9
	v_fma_f32 v10, -v29, v46, v10
	;; [unrolled: 1-line block ×7, first 2 shown]
	v_mul_f32_e32 v3, v51, v3
	s_waitcnt lgkmcnt(7)
	v_mul_f32_e32 v100, v33, v131
	v_fma_f32 v1, v1, s15, -v64
	v_fma_f32 v11, -v30, v103, v14
	v_fma_f32 v12, -v30, v102, v15
	;; [unrolled: 1-line block ×6, first 2 shown]
	v_fma_f32 v0, v0, s15, -v65
	v_fma_f32 v27, v27, s15, -v100
	v_fma_f32 v1, -v30, v83, v1
	v_fma_f32 v13, -v29, v69, v13
	;; [unrolled: 1-line block ×5, first 2 shown]
	v_mul_f32_e32 v2, v157, v9
	v_fma_f32 v0, -v30, v82, v0
	s_waitcnt lgkmcnt(6)
	v_fma_f32 v14, -v30, v133, v27
	v_fma_f32 v1, -v29, v85, v1
	;; [unrolled: 1-line block ×7, first 2 shown]
	s_waitcnt lgkmcnt(5)
	v_fma_f32 v12, -v29, v135, v14
	v_fma_f32 v14, -v28, v70, v15
	;; [unrolled: 1-line block ×5, first 2 shown]
	v_mul_f32_e32 v1, v151, v11
	v_fma_f32 v11, -v28, v86, v0
	v_fma_f32 v0, -v3, v72, v14
	;; [unrolled: 1-line block ×9, first 2 shown]
	v_mul_f32_e32 v0, v152, v8
	s_waitcnt lgkmcnt(4)
	v_fma_f32 v8, -v28, v137, v12
	v_fma_f32 v11, -v3, v88, v11
	;; [unrolled: 1-line block ×9, first 2 shown]
	v_mul_f32_e32 v11, v153, v13
	v_fma_f32 v9, -v3, v112, v9
	v_fma_f32 v10, -v2, v115, v10
	;; [unrolled: 1-line block ×6, first 2 shown]
	v_mul_f32_e32 v101, v33, v130
	v_fma_f32 v15, -v1, v117, v10
	v_fma_f32 v13, -v0, v94, v13
	;; [unrolled: 1-line block ×3, first 2 shown]
	v_mul_f32_e32 v10, v154, v14
	v_fma_f32 v9, -v1, v116, v9
	v_fma_f32 v36, v26, s15, -v101
	s_waitcnt lgkmcnt(3)
	v_fma_f32 v8, -v3, v139, v8
	v_fma_f32 v14, -v0, v119, v15
	;; [unrolled: 1-line block ×5, first 2 shown]
	ds_load_2addr_b32 v[12:13], v147 offset1:1
	v_fma_f32 v14, -v11, v121, v14
	v_fma_f32 v15, -v10, v98, v15
	v_mul_f32_e32 v9, v155, v26
	s_waitcnt lgkmcnt(3)
	v_fma_f32 v8, -v2, v141, v8
	v_fma_f32 v34, -v11, v120, v27
	ds_load_2addr_b32 v[26:27], v148 offset1:1
	v_fma_f32 v14, -v10, v123, v14
	v_fma_f32 v15, -v9, v160, v15
	s_waitcnt lgkmcnt(3)
	v_fma_f32 v37, -v1, v143, v8
	v_fma_f32 v38, -v10, v122, v34
	ds_load_2addr_b32 v[34:35], v149 offset1:1
	v_fma_f32 v14, -v9, v125, v14
	v_mul_f32_e32 v8, v161, v15
	s_waitcnt lgkmcnt(3)
	v_fma_f32 v39, -v0, v145, v37
	v_fma_f32 v38, -v9, v124, v38
	;; [unrolled: 1-line block ×3, first 2 shown]
	ds_load_2addr_b32 v[36:37], v150 offset1:1
	v_fma_f32 v14, -v8, v127, v14
	v_mov_b32_e32 v48, s28
	s_waitcnt lgkmcnt(3)
	v_fma_f32 v13, -v11, v13, v39
	v_fma_f32 v41, -v8, v126, v38
	ds_load_2addr_b32 v[38:39], v146 offset1:1
	v_fma_f32 v40, -v29, v134, v15
	v_mul_f32_e32 v15, v129, v14
	s_add_i32 s28, s26, s18
	s_waitcnt lgkmcnt(3)
	v_fma_f32 v13, -v10, v27, v13
	v_mov_b32_e32 v27, s23
	v_fma_f32 v14, -v28, v136, v40
	s_lshl_b32 s23, s25, 2
	v_fma_f32 v42, -v15, v128, v41
	s_lshl_b32 s25, s27, 2
	ds_load_2addr_b32 v[40:41], v27 offset1:1
	v_fma_f32 v43, -v3, v138, v14
	s_waitcnt lgkmcnt(3)
	v_fma_f32 v35, -v9, v35, v13
	v_mov_b32_e32 v13, s23
	v_dual_mov_b32 v27, s25 :: v_dual_mul_f32 v14, v162, v42
	v_fma_f32 v46, -v2, v140, v43
	ds_load_2addr_b32 v[42:43], v13 offset1:1
	ds_load_2addr_b32 v[44:45], v27 offset1:1
	s_add_i32 s23, s24, s6
	s_waitcnt lgkmcnt(3)
	v_mul_f32_e32 v13, v33, v39
	s_lshl_b32 s25, s23, 2
	s_add_i32 s23, s3, 0xfffffe20
	v_fma_f32 v27, -v1, v142, v46
	s_add_i32 s27, s24, s23
	s_waitcnt vmcnt(2)
	v_fma_f32 v13, v19, s15, -v13
	v_mov_b32_e32 v19, s25
	s_lshl_b32 s25, s27, 2
	s_add_i32 s27, s26, s19
	v_fma_f32 v27, -v0, v144, v27
	s_lshl_b32 s27, s27, 2
	s_waitcnt lgkmcnt(2)
	v_fma_f32 v13, -v30, v41, v13
	v_mov_b32_e32 v39, s27
	s_lshl_b32 s27, s28, 2
	v_fma_f32 v27, -v11, v12, v27
	v_dual_mov_b32 v46, s27 :: v_dual_mov_b32 v41, s25
	s_waitcnt lgkmcnt(1)
	v_fma_f32 v43, -v29, v43, v13
	ds_load_2addr_b32 v[12:13], v39 offset1:1
	s_add_i32 s25, s26, s17
	ds_load_2addr_b32 v[46:47], v46 offset1:1
	s_lshl_b32 s25, s25, 2
	s_add_i32 s27, s26, s16
	v_mov_b32_e32 v39, s25
	s_lshl_b32 s25, s27, 2
	ds_load_2addr_b32 v[48:49], v48 offset1:1
	ds_load_2addr_b32 v[50:51], v19 offset1:1
	;; [unrolled: 1-line block ×3, first 2 shown]
	v_mov_b32_e32 v19, s25
	s_add_i32 s25, s26, s14
	ds_load_2addr_b32 v[54:55], v39 offset1:1
	s_lshl_b32 s25, s25, 2
	v_fma_f32 v39, -v10, v26, v27
	s_waitcnt lgkmcnt(6)
	v_fma_f32 v41, -v28, v45, v43
	ds_load_2addr_b32 v[26:27], v19 offset1:1
	v_mov_b32_e32 v19, s25
	s_add_i32 s27, s26, s11
	v_fma_f32 v37, -v8, v37, v35
	s_lshl_b32 s25, s27, 2
	s_add_i32 s27, s4, 0xfffff7c0
	s_waitcnt lgkmcnt(6)
	v_fma_f32 v13, -v3, v13, v41
	v_mov_b32_e32 v41, s25
	ds_load_2addr_b32 v[56:57], v19 offset1:1
	s_add_i32 s25, s26, s10
	v_fma_f32 v39, -v9, v34, v39
	s_lshl_b32 s25, s25, 2
	ds_load_2addr_b32 v[58:59], v41 offset1:1
	s_waitcnt lgkmcnt(7)
	v_fma_f32 v13, -v2, v47, v13
	v_mov_b32_e32 v19, s25
	v_mov_b32_e32 v41, s27
	s_add_i32 s25, s26, s9
	s_add_i32 s27, s26, s23
	s_lshl_b32 s25, s25, 2
	s_waitcnt lgkmcnt(3)
	v_fma_f32 v13, -v1, v55, v13
	ds_load_2addr_b32 v[60:61], v19 offset1:1
	ds_load_b32 v69, v41
	v_mov_b32_e32 v19, s25
	s_add_i32 s25, s26, s7
	s_waitcnt lgkmcnt(4)
	v_fma_f32 v13, -v0, v27, v13
	v_fma_f32 v27, -v8, v36, v39
	s_lshl_b32 s25, s25, 2
	ds_load_2addr_b32 v[34:35], v19 offset1:1
	v_fma_f32 v19, -v15, v49, v37
	s_waitcnt lgkmcnt(4)
	v_fma_f32 v13, -v11, v57, v13
	v_fma_f32 v27, -v15, v48, v27
	s_sub_i32 s28, s2, 20
	s_lshl_b32 s24, s24, 5
	v_fma_f32 v19, -v14, v51, v19
	s_waitcnt lgkmcnt(3)
	v_fma_f32 v36, -v10, v59, v13
	s_add_i32 s29, s26, s24
	s_add_i32 s30, s28, s18
	v_mul_f32_e32 v13, v53, v19
	v_fma_f32 v19, -v14, v50, v27
	s_waitcnt lgkmcnt(2)
	v_fma_f32 v27, -v9, v61, v36
	v_mov_b32_e32 v36, s25
	s_add_i32 s25, s26, s6
	s_delay_alu instid0(SALU_CYCLE_1)
	s_lshl_b32 s25, s25, 2
	v_fma_f32 v70, -v13, v52, v19
	v_mov_b32_e32 v37, s25
	s_waitcnt lgkmcnt(0)
	v_fma_f32 v27, -v8, v35, v27
	ds_load_2addr_b32 v[35:36], v36 offset1:1
	s_lshl_b32 s25, s27, 2
	s_add_i32 s27, s28, s5
	v_mul_f32_e32 v19, v33, v38
	s_lshl_b32 s27, s27, 2
	s_delay_alu instid0(SALU_CYCLE_1) | instskip(SKIP_1) | instid1(VALU_DEP_2)
	v_dual_mov_b32 v41, s25 :: v_dual_mov_b32 v38, s27
	s_lshl_b32 s27, s29, 2
	v_fma_f32 v39, v18, s15, -v19
	s_add_i32 s25, s28, s22
	v_mov_b32_e32 v43, s27
	ds_load_2addr_b32 v[18:19], v38 offset1:1
	s_lshl_b32 s25, s25, 2
	v_fma_f32 v45, -v30, v40, v39
	s_add_i32 s29, s28, s19
	ds_load_2addr_b32 v[37:38], v37 offset1:1
	ds_load_2addr_b32 v[39:40], v41 offset1:1
	;; [unrolled: 1-line block ×3, first 2 shown]
	v_mov_b32_e32 v41, s25
	s_add_i32 s25, s28, s21
	s_add_i32 s27, s28, s20
	s_lshl_b32 s29, s29, 2
	s_waitcnt lgkmcnt(4)
	v_fma_f32 v27, -v15, v36, v27
	v_fma_f32 v36, -v29, v42, v45
	s_lshl_b32 s25, s25, 2
	s_lshl_b32 s27, s27, 2
	v_mov_b32_e32 v43, s25
	s_add_i32 s25, s3, 0xfffffde0
	v_fma_f32 v36, -v28, v44, v36
	v_mov_b32_e32 v45, s27
	s_add_i32 s27, s26, s25
	ds_load_2addr_b32 v[41:42], v41 offset1:1
	s_lshl_b32 s27, s27, 2
	s_waitcnt lgkmcnt(4)
	v_mul_f32_e32 v19, v33, v19
	ds_load_2addr_b32 v[49:50], v45 offset1:1
	v_fma_f32 v12, -v3, v12, v36
	ds_load_2addr_b32 v[43:44], v43 offset1:1
	s_lshl_b32 s26, s26, 5
	v_fma_f32 v17, v17, s15, -v19
	v_mov_b32_e32 v19, s29
	s_lshl_b32 s29, s30, 2
	v_fma_f32 v12, -v2, v46, v12
	v_mov_b32_e32 v36, s29
	s_add_i32 s29, s28, s14
	ds_load_2addr_b32 v[45:46], v19 offset1:1
	v_fma_f32 v12, -v1, v54, v12
	ds_load_2addr_b32 v[51:52], v36 offset1:1
	v_mov_b32_e32 v19, s27
	s_add_i32 s27, s28, s17
	s_delay_alu instid0(SALU_CYCLE_1)
	s_lshl_b32 s27, s27, 2
	v_fma_f32 v12, -v0, v26, v12
	v_mov_b32_e32 v26, s27
	s_add_i32 s27, s28, s16
	ds_load_2addr_b32 v[61:62], v19 offset1:1
	s_lshl_b32 s27, s27, 2
	v_fma_f32 v12, -v11, v56, v12
	ds_load_2addr_b32 v[53:54], v26 offset1:1
	v_mov_b32_e32 v26, s27
	s_lshl_b32 s27, s29, 2
	s_add_i32 s29, s28, s9
	v_mov_b32_e32 v36, s27
	s_add_i32 s27, s28, s11
	ds_load_2addr_b32 v[55:56], v26 offset1:1
	s_lshl_b32 s27, s27, 2
	v_fma_f32 v12, -v10, v58, v12
	v_mov_b32_e32 v19, s27
	s_add_i32 s27, s28, s10
	ds_load_2addr_b32 v[63:64], v36 offset1:1
	s_lshl_b32 s27, s27, 2
	v_fma_f32 v12, -v9, v60, v12
	ds_load_2addr_b32 v[57:58], v19 offset1:1
	v_mov_b32_e32 v19, s27
	s_lshl_b32 s27, s29, 2
	s_add_i32 s29, s28, s25
	v_mov_b32_e32 v26, s27
	s_add_i32 s27, s28, s7
	ds_load_2addr_b32 v[65:66], v19 offset1:1
	s_lshl_b32 s27, s27, 2
	v_fma_f32 v12, -v8, v34, v12
	ds_load_2addr_b32 v[59:60], v26 offset1:1
	v_mov_b32_e32 v19, s27
	s_add_i32 s27, s28, s6
	s_waitcnt lgkmcnt(14)
	v_fma_f32 v26, -v14, v38, v27
	s_lshl_b32 s27, s27, 2
	v_fma_f32 v27, -v15, v35, v12
	ds_load_2addr_b32 v[67:68], v19 offset1:1
	v_dual_mov_b32 v19, s27 :: v_dual_mul_f32 v12, v69, v70
	s_add_i32 s27, s4, 0xfffff6b8
	v_mov_b32_e32 v38, s31
	ds_load_2addr_b32 v[34:35], v19 offset1:1
	s_waitcnt lgkmcnt(13)
	v_fma_f32 v17, -v30, v42, v17
	v_fma_f32 v19, -v13, v40, v26
	v_fma_f32 v26, -v14, v37, v27
	v_mov_b32_e32 v27, s27
	s_add_i32 s27, s28, s23
	s_waitcnt lgkmcnt(11)
	v_fma_f32 v17, -v29, v44, v17
	s_lshl_b32 s27, s27, 2
	v_fma_f32 v19, -v12, v48, v19
	v_fma_f32 v26, -v13, v39, v26
	v_mov_b32_e32 v37, s27
	v_fma_f32 v17, -v28, v50, v17
	s_add_i32 s27, s28, s24
	s_waitcnt lgkmcnt(8)
	v_mul_f32_e32 v19, v62, v19
	s_lshl_b32 s27, s27, 2
	v_fma_f32 v36, -v12, v47, v26
	v_fma_f32 v17, -v3, v46, v17
	v_mov_b32_e32 v39, s27
	s_lshl_b32 s27, s29, 2
	s_add_i32 s29, s28, s26
	v_mov_b32_e32 v42, s27
	v_fma_f32 v17, -v2, v52, v17
	s_add_i32 s27, s3, 0xfffffda0
	s_lshl_b32 s29, s29, 2
	s_add_i32 s30, s28, s27
	s_waitcnt lgkmcnt(7)
	v_fma_f32 v17, -v1, v54, v17
	s_lshl_b32 s30, s30, 2
	s_waitcnt lgkmcnt(6)
	s_delay_alu instid0(VALU_DEP_1) | instskip(SKIP_4) | instid1(VALU_DEP_1)
	v_fma_f32 v17, -v0, v56, v17
	ds_load_b32 v56, v27
	s_waitcnt lgkmcnt(6)
	v_fma_f32 v17, -v11, v64, v17
	s_waitcnt lgkmcnt(5)
	v_fma_f32 v17, -v10, v58, v17
	v_fma_f32 v58, -v19, v61, v36
	s_waitcnt lgkmcnt(4)
	s_delay_alu instid0(VALU_DEP_2) | instskip(SKIP_1) | instid1(VALU_DEP_1)
	v_fma_f32 v17, -v9, v66, v17
	s_waitcnt lgkmcnt(3)
	v_fma_f32 v17, -v8, v60, v17
	s_waitcnt lgkmcnt(2)
	s_delay_alu instid0(VALU_DEP_1) | instskip(SKIP_1) | instid1(VALU_DEP_1)
	v_fma_f32 v17, -v15, v68, v17
	s_waitcnt lgkmcnt(1)
	v_fma_f32 v48, -v14, v35, v17
	ds_load_2addr_b32 v[35:36], v37 offset1:1
	global_load_b128 v[24:27], v[24:25], off offset:-112
	v_mul_f32_e32 v17, v33, v18
	v_mov_b32_e32 v37, s30
	s_sub_i32 s30, s2, 22
	v_mov_b32_e32 v18, s29
	s_add_i32 s29, s30, s5
	v_fma_f32 v16, v16, s15, -v17
	s_lshl_b32 s29, s29, 2
	s_add_i32 s31, s30, s11
	v_mov_b32_e32 v40, s29
	s_add_i32 s29, s30, s22
	v_fma_f32 v41, -v30, v41, v16
	ds_load_2addr_b32 v[16:17], v37 offset1:1
	ds_load_b32 v70, v38
	ds_load_2addr_b32 v[37:38], v40 offset1:1
	s_lshl_b32 s29, s29, 2
	s_delay_alu instid0(SALU_CYCLE_1)
	v_mov_b32_e32 v47, s29
	v_fma_f32 v46, -v29, v43, v41
	s_add_i32 s29, s30, s21
	ds_load_2addr_b32 v[39:40], v39 offset1:1
	ds_load_2addr_b32 v[41:42], v42 offset1:1
	;; [unrolled: 1-line block ×3, first 2 shown]
	s_lshl_b32 s29, s29, 2
	s_waitcnt lgkmcnt(6)
	v_fma_f32 v36, -v13, v36, v48
	v_fma_f32 v18, -v28, v49, v46
	v_mov_b32_e32 v49, s29
	s_add_i32 s29, s30, s20
	ds_load_2addr_b32 v[46:47], v47 offset1:1
	s_lshl_b32 s29, s29, 2
	v_fma_f32 v18, -v3, v45, v18
	v_mov_b32_e32 v45, s29
	s_add_i32 s29, s30, s19
	ds_load_2addr_b32 v[48:49], v49 offset1:1
	s_lshl_b32 s29, s29, 2
	v_fma_f32 v18, -v2, v51, v18
	s_waitcnt lgkmcnt(5)
	v_mul_f32_e32 v38, v33, v38
	v_mov_b32_e32 v52, s29
	s_add_i32 s29, s30, s18
	ds_load_2addr_b32 v[50:51], v45 offset1:1
	s_lshl_b32 s29, s29, 2
	v_fma_f32 v18, -v1, v53, v18
	s_waitcnt vmcnt(1)
	v_fma_f32 v23, v23, s15, -v38
	v_mov_b32_e32 v38, s29
	s_add_i32 s29, s30, s17
	s_waitcnt lgkmcnt(5)
	v_fma_f32 v36, -v12, v40, v36
	s_lshl_b32 s29, s29, 2
	v_fma_f32 v18, -v0, v55, v18
	ds_load_2addr_b32 v[54:55], v38 offset1:1
	v_mov_b32_e32 v38, s29
	s_add_i32 s29, s30, s16
	s_waitcnt lgkmcnt(3)
	v_fma_f32 v23, -v30, v47, v23
	s_lshl_b32 s29, s29, 2
	v_fma_f32 v45, -v11, v63, v18
	v_mov_b32_e32 v47, s29
	s_add_i32 s29, s30, s14
	ds_load_2addr_b32 v[52:53], v52 offset1:1
	s_lshl_b32 s29, s29, 2
	ds_load_2addr_b32 v[60:61], v38 offset1:1
	v_mov_b32_e32 v40, s29
	s_lshl_b32 s29, s31, 2
	s_add_i32 s31, s30, s7
	v_mul_f32_e32 v18, v56, v58
	v_fma_f32 v36, -v19, v42, v36
	ds_load_2addr_b32 v[62:63], v40 offset1:1
	v_fma_f32 v38, -v10, v57, v45
	v_mov_b32_e32 v45, s29
	s_add_i32 s29, s30, s10
	ds_load_2addr_b32 v[56:57], v47 offset1:1
	s_lshl_b32 s29, s29, 2
	v_fma_f32 v38, -v9, v65, v38
	v_mov_b32_e32 v40, s29
	s_add_i32 s29, s30, s9
	s_delay_alu instid0(SALU_CYCLE_1) | instskip(NEXT) | instid1(VALU_DEP_2)
	s_lshl_b32 s29, s29, 2
	v_fma_f32 v38, -v8, v59, v38
	ds_load_2addr_b32 v[58:59], v45 offset1:1
	ds_load_2addr_b32 v[64:65], v40 offset1:1
	v_mov_b32_e32 v40, s29
	s_lshl_b32 s29, s31, 2
	v_fma_f32 v38, -v15, v67, v38
	s_add_i32 s31, s30, s24
	ds_load_2addr_b32 v[66:67], v40 offset1:1
	v_fma_f32 v40, -v18, v44, v36
	v_fma_f32 v34, -v14, v34, v38
	v_mov_b32_e32 v38, s29
	s_add_i32 s29, s30, s6
	s_delay_alu instid0(SALU_CYCLE_1)
	s_lshl_b32 s29, s29, 2
	v_mul_f32_e32 v17, v17, v40
	ds_load_2addr_b32 v[44:45], v38 offset1:1
	s_waitcnt lgkmcnt(10)
	v_fma_f32 v23, -v29, v49, v23
	v_mov_b32_e32 v36, s29
	v_fma_f32 v38, -v13, v35, v34
	s_add_i32 s29, s30, s23
	s_waitcnt lgkmcnt(9)
	v_fma_f32 v23, -v28, v51, v23
	ds_load_2addr_b32 v[34:35], v36 offset1:1
	s_lshl_b32 s29, s29, 2
	v_fma_f32 v38, -v12, v39, v38
	v_mov_b32_e32 v36, s29
	s_waitcnt lgkmcnt(8)
	v_fma_f32 v23, -v3, v53, v23
	s_lshl_b32 s29, s31, 2
	s_delay_alu instid0(SALU_CYCLE_1) | instskip(SKIP_1) | instid1(VALU_DEP_2)
	v_dual_mul_f32 v47, v33, v37 :: v_dual_mov_b32 v42, s29
	s_add_i32 s29, s30, s25
	v_fma_f32 v23, -v2, v55, v23
	s_lshl_b32 s29, s29, 2
	ds_load_2addr_b32 v[68:69], v36 offset1:1
	v_mov_b32_e32 v49, s29
	s_add_i32 s29, s30, s26
	s_waitcnt lgkmcnt(8)
	v_fma_f32 v23, -v1, v61, v23
	s_lshl_b32 s29, s29, 2
	v_fma_f32 v38, -v19, v41, v38
	v_mov_b32_e32 v41, s29
	s_add_i32 s31, s34, s5
	s_waitcnt lgkmcnt(6)
	v_fma_f32 v23, -v0, v57, v23
	s_lshl_b32 s31, s31, 2
	v_fma_f32 v40, -v18, v43, v38
	s_add_i32 s29, s30, s27
	s_delay_alu instid0(VALU_DEP_2) | instskip(SKIP_1) | instid1(VALU_DEP_2)
	v_fma_f32 v23, -v11, v63, v23
	s_lshl_b32 s29, s29, 2
	v_fma_f32 v16, -v17, v16, v40
	v_mov_b32_e32 v43, s29
	s_lshl_b32 s29, s28, 5
	s_waitcnt lgkmcnt(5)
	v_fma_f32 v23, -v10, v59, v23
	s_add_i32 s28, s3, 0xfffffd60
	v_mul_f32_e32 v16, v70, v16
	s_add_i32 s33, s30, s28
	s_waitcnt lgkmcnt(4)
	v_fma_f32 v23, -v9, v65, v23
	s_lshl_b32 s33, s33, 2
	s_delay_alu instid0(SALU_CYCLE_1) | instskip(SKIP_4) | instid1(VALU_DEP_1)
	v_mov_b32_e32 v53, s33
	s_add_i32 s33, s34, s16
	s_waitcnt lgkmcnt(3)
	v_fma_f32 v23, -v8, v67, v23
	s_waitcnt lgkmcnt(2)
	v_fma_f32 v39, -v15, v45, v23
	s_waitcnt lgkmcnt(1)
	s_delay_alu instid0(VALU_DEP_1)
	v_fma_f32 v35, -v14, v35, v39
	ds_load_2addr_b32 v[38:39], v41 offset1:1
	ds_load_2addr_b32 v[36:37], v42 offset1:1
	v_fma_f32 v42, v22, s15, -v47
	ds_load_2addr_b32 v[22:23], v49 offset1:1
	s_waitcnt lgkmcnt(3)
	v_fma_f32 v35, -v13, v69, v35
	v_fma_f32 v42, -v30, v46, v42
	s_delay_alu instid0(VALU_DEP_1) | instskip(NEXT) | instid1(VALU_DEP_1)
	v_fma_f32 v42, -v29, v48, v42
	v_fma_f32 v41, -v28, v50, v42
	s_waitcnt lgkmcnt(1)
	v_fma_f32 v35, -v12, v37, v35
	s_delay_alu instid0(VALU_DEP_2) | instskip(SKIP_1) | instid1(VALU_DEP_2)
	v_fma_f32 v37, -v3, v52, v41
	s_waitcnt lgkmcnt(0)
	v_fma_f32 v23, -v19, v23, v35
	s_delay_alu instid0(VALU_DEP_2)
	v_fma_f32 v35, -v2, v54, v37
	v_mov_b32_e32 v37, s31
	s_add_i32 s31, s30, s29
	s_lshl_b32 s30, s30, 5
	v_fma_f32 v23, -v18, v39, v23
	v_fma_f32 v35, -v1, v60, v35
	ds_load_2addr_b32 v[39:40], v37 offset1:1
	v_mov_b32_e32 v37, s35
	s_lshl_b32 s35, s36, 2
	s_add_i32 s36, s34, s20
	v_mov_b32_e32 v45, s35
	s_lshl_b32 s35, s36, 2
	ds_load_2addr_b32 v[41:42], v37 offset1:1
	v_mov_b32_e32 v37, s35
	s_lshl_b32 s31, s31, 2
	v_fma_f32 v35, -v0, v56, v35
	ds_load_2addr_b32 v[45:46], v45 offset1:1
	ds_load_2addr_b32 v[47:48], v37 offset1:1
	s_add_i32 s35, s38, s20
	s_add_i32 s36, s38, s6
	v_fma_f32 v35, -v11, v62, v35
	s_lshl_b32 s35, s35, 2
	s_delay_alu instid0(VALU_DEP_1)
	v_fma_f32 v35, -v10, v58, v35
	s_waitcnt lgkmcnt(3)
	v_dual_mul_f32 v37, v33, v40 :: v_dual_mov_b32 v40, s31
	s_add_i32 s31, s34, s19
	ds_load_2addr_b32 v[49:50], v43 offset1:1
	ds_load_2addr_b32 v[51:52], v40 offset1:1
	;; [unrolled: 1-line block ×3, first 2 shown]
	s_lshl_b32 s31, s31, 2
	v_fma_f32 v21, v21, s15, -v37
	v_mov_b32_e32 v37, s31
	s_add_i32 s31, s34, s18
	v_fma_f32 v35, -v9, v64, v35
	s_lshl_b32 s31, s31, 2
	s_waitcnt lgkmcnt(5)
	v_fma_f32 v21, -v30, v42, v21
	ds_load_2addr_b32 v[42:43], v37 offset1:1
	v_mov_b32_e32 v37, s31
	s_add_i32 s31, s34, s17
	v_fma_f32 v35, -v8, v66, v35
	s_lshl_b32 s31, s31, 2
	s_waitcnt lgkmcnt(5)
	v_fma_f32 v21, -v29, v46, v21
	ds_load_2addr_b32 v[55:56], v37 offset1:1
	v_mov_b32_e32 v37, s31
	s_lshl_b32 s31, s33, 2
	v_fma_f32 v35, -v15, v44, v35
	v_mov_b32_e32 v40, s31
	s_add_i32 s31, s34, s14
	ds_load_2addr_b32 v[57:58], v37 offset1:1
	s_lshl_b32 s31, s31, 2
	s_waitcnt lgkmcnt(6)
	v_fma_f32 v21, -v28, v48, v21
	ds_load_2addr_b32 v[59:60], v40 offset1:1
	v_mov_b32_e32 v37, s31
	v_fma_f32 v40, -v14, v34, v35
	s_add_i32 s31, s34, s11
	s_add_i32 s33, s34, s7
	s_waitcnt lgkmcnt(3)
	v_fma_f32 v21, -v3, v43, v21
	ds_load_2addr_b32 v[34:35], v37 offset1:1
	s_lshl_b32 s31, s31, 2
	s_lshl_b32 s33, s33, 2
	v_mov_b32_e32 v43, s31
	s_add_i32 s31, s34, s10
	s_waitcnt lgkmcnt(3)
	v_fma_f32 v21, -v2, v56, v21
	s_lshl_b32 s31, s31, 2
	v_fma_f32 v23, -v17, v50, v23
	ds_load_2addr_b32 v[43:44], v43 offset1:1
	v_fma_f32 v37, -v13, v68, v40
	v_mov_b32_e32 v40, s31
	s_waitcnt lgkmcnt(3)
	v_fma_f32 v21, -v1, v58, v21
	s_add_i32 s31, s34, s9
	v_fma_f32 v23, -v16, v52, v23
	s_lshl_b32 s31, s31, 2
	v_fma_f32 v46, -v12, v36, v37
	s_waitcnt lgkmcnt(2)
	v_fma_f32 v21, -v0, v60, v21
	v_mov_b32_e32 v48, s31
	s_add_i32 s31, s4, 0xfffff4a8
	ds_load_2addr_b32 v[36:37], v40 offset1:1
	v_mul_f32_e32 v23, v54, v23
	s_waitcnt lgkmcnt(2)
	v_fma_f32 v21, -v11, v35, v21
	ds_load_2addr_b32 v[60:61], v48 offset1:1
	v_mov_b32_e32 v35, s31
	s_add_i32 s31, s34, s23
	s_delay_alu instid0(SALU_CYCLE_1)
	s_lshl_b32 s31, s31, 2
	ds_load_b32 v35, v35
	v_mov_b32_e32 v40, s33
	s_add_i32 s33, s34, s6
	s_waitcnt lgkmcnt(3)
	v_fma_f32 v21, -v10, v44, v21
	s_lshl_b32 s33, s33, 2
	v_fma_f32 v44, -v19, v22, v46
	v_mov_b32_e32 v48, s33
	ds_load_2addr_b32 v[62:63], v40 offset1:1
	s_add_i32 s33, s34, s26
	v_fma_f32 v38, -v18, v38, v44
	ds_load_2addr_b32 v[64:65], v48 offset1:1
	v_mov_b32_e32 v40, s31
	s_add_i32 s31, s34, s24
	s_waitcnt lgkmcnt(4)
	v_fma_f32 v37, -v9, v37, v21
	s_lshl_b32 s31, s31, 2
	v_fma_f32 v46, -v17, v49, v38
	ds_load_2addr_b32 v[21:22], v40 offset1:1
	v_mov_b32_e32 v40, s31
	s_waitcnt lgkmcnt(4)
	v_fma_f32 v44, -v8, v61, v37
	s_add_i32 s31, s34, s25
	v_mul_f32_e32 v49, v33, v39
	s_lshl_b32 s31, s31, 2
	ds_load_2addr_b32 v[37:38], v40 offset1:1
	v_fma_f32 v20, v20, s15, -v49
	s_waitcnt lgkmcnt(3)
	v_fma_f32 v40, -v15, v63, v44
	v_fma_f32 v44, -v16, v51, v46
	v_mov_b32_e32 v46, s31
	s_lshl_b32 s31, s33, 2
	v_fma_f32 v20, -v30, v41, v20
	s_waitcnt lgkmcnt(2)
	v_fma_f32 v40, -v14, v65, v40
	v_mov_b32_e32 v48, s31
	s_add_i32 s31, s34, s27
	s_add_i32 s33, s34, s28
	s_lshl_b32 s31, s31, 2
	s_waitcnt lgkmcnt(1)
	v_fma_f32 v22, -v13, v22, v40
	ds_load_2addr_b32 v[39:40], v46 offset1:1
	ds_load_2addr_b32 v[48:49], v48 offset1:1
	v_fma_f32 v46, -v23, v53, v44
	v_fma_f32 v20, -v29, v45, v20
	s_waitcnt lgkmcnt(2)
	v_fma_f32 v22, -v12, v38, v22
	v_mov_b32_e32 v38, s31
	s_add_i32 s31, s34, s29
	v_fma_f32 v20, -v28, v47, v20
	s_lshl_b32 s31, s31, 2
	s_delay_alu instid0(SALU_CYCLE_1)
	v_mov_b32_e32 v41, s31
	s_add_i32 s31, s38, s5
	ds_load_2addr_b32 v[44:45], v38 offset1:1
	ds_load_2addr_b32 v[50:51], v41 offset1:1
	s_lshl_b32 s31, s31, 2
	v_fma_f32 v20, -v3, v42, v20
	v_mov_b32_e32 v38, s31
	s_add_i32 s31, s38, s22
	s_waitcnt lgkmcnt(3)
	v_fma_f32 v47, -v19, v40, v22
	s_lshl_b32 s31, s31, 2
	v_mul_f32_e32 v22, v35, v46
	ds_load_2addr_b32 v[40:41], v38 offset1:1
	v_mov_b32_e32 v38, s31
	s_add_i32 s31, s38, s21
	s_waitcnt lgkmcnt(3)
	v_fma_f32 v35, -v18, v49, v47
	s_lshl_b32 s31, s31, 2
	v_fma_f32 v20, -v2, v55, v20
	ds_load_2addr_b32 v[46:47], v38 offset1:1
	v_dual_mov_b32 v42, s31 :: v_dual_mov_b32 v49, s35
	s_lshl_b32 s31, s33, 2
	v_fma_f32 v20, -v1, v57, v20
	s_waitcnt lgkmcnt(3)
	v_fma_f32 v45, -v17, v45, v35
	ds_load_2addr_b32 v[52:53], v42 offset1:1
	ds_load_2addr_b32 v[54:55], v49 offset1:1
	v_mov_b32_e32 v49, s31
	s_add_i32 s31, s38, s19
	v_fma_f32 v20, -v0, v59, v20
	s_lshl_b32 s31, s31, 2
	s_add_i32 s33, s38, s18
	s_waitcnt lgkmcnt(3)
	v_mul_f32_e32 v35, v33, v41
	v_fma_f32 v20, -v11, v34, v20
	s_waitcnt vmcnt(0)
	s_delay_alu instid0(VALU_DEP_2)
	v_fma_f32 v27, v27, s15, -v35
	v_mov_b32_e32 v35, s31
	s_lshl_b32 s31, s33, 2
	v_fma_f32 v20, -v10, v43, v20
	v_mov_b32_e32 v38, s31
	s_add_i32 s31, s38, s17
	ds_load_2addr_b32 v[34:35], v35 offset1:1
	s_lshl_b32 s31, s31, 2
	s_waitcnt lgkmcnt(3)
	v_fma_f32 v27, -v30, v47, v27
	v_mov_b32_e32 v43, s31
	ds_load_2addr_b32 v[41:42], v38 offset1:1
	s_add_i32 s31, s38, s16
	v_fma_f32 v20, -v9, v36, v20
	s_lshl_b32 s31, s31, 2
	ds_load_2addr_b32 v[56:57], v43 offset1:1
	s_waitcnt lgkmcnt(4)
	v_fma_f32 v27, -v29, v53, v27
	v_mov_b32_e32 v36, s31
	s_add_i32 s31, s38, s14
	v_fma_f32 v20, -v8, v60, v20
	s_lshl_b32 s31, s31, 2
	s_waitcnt lgkmcnt(3)
	v_fma_f32 v27, -v28, v55, v27
	ds_load_2addr_b32 v[58:59], v36 offset1:1
	v_mov_b32_e32 v36, s31
	s_add_i32 s31, s38, s11
	v_fma_f32 v20, -v15, v62, v20
	s_lshl_b32 s31, s31, 2
	s_waitcnt lgkmcnt(3)
	v_fma_f32 v27, -v3, v35, v27
	ds_load_2addr_b32 v[35:36], v36 offset1:1
	v_mov_b32_e32 v38, s31
	s_add_i32 s31, s38, s10
	v_fma_f32 v20, -v14, v64, v20
	s_waitcnt lgkmcnt(3)
	v_fma_f32 v27, -v2, v42, v27
	s_lshl_b32 s35, s31, 2
	ds_load_2addr_b32 v[42:43], v38 offset1:1
	v_mov_b32_e32 v38, s35
	s_add_i32 s35, s38, s9
	s_waitcnt lgkmcnt(3)
	v_fma_f32 v27, -v1, v57, v27
	s_add_i32 s33, s34, s30
	s_add_i32 s31, s3, 0xfffffd20
	s_lshl_b32 s35, s35, 2
	ds_load_2addr_b32 v[60:61], v38 offset1:1
	v_mov_b32_e32 v38, s35
	s_lshl_b32 s33, s33, 2
	s_add_i32 s35, s34, s31
	s_waitcnt lgkmcnt(3)
	v_fma_f32 v27, -v0, v59, v27
	v_fma_f32 v47, -v13, v21, v20
	v_mov_b32_e32 v53, s33
	s_lshl_b32 s33, s35, 2
	s_add_i32 s35, s38, s7
	ds_load_2addr_b32 v[20:21], v38 offset1:1
	s_lshl_b32 s35, s35, 2
	s_waitcnt lgkmcnt(3)
	v_fma_f32 v27, -v11, v36, v27
	v_fma_f32 v36, -v12, v37, v47
	v_mov_b32_e32 v37, s35
	s_lshl_b32 s35, s36, 2
	s_lshl_b32 s34, s34, 5
	s_waitcnt lgkmcnt(2)
	v_fma_f32 v27, -v10, v43, v27
	v_fma_f32 v47, -v19, v39, v36
	ds_load_2addr_b32 v[36:37], v37 offset1:1
	v_dual_mov_b32 v38, s35 :: v_dual_mov_b32 v43, s33
	s_add_i32 s33, s38, s23
	s_add_i32 s35, s38, s24
	s_lshl_b32 s33, s33, 2
	ds_load_2addr_b32 v[38:39], v38 offset1:1
	v_mov_b32_e32 v55, s33
	s_lshl_b32 s33, s35, 2
	s_waitcnt lgkmcnt(3)
	v_fma_f32 v27, -v9, v61, v27
	ds_load_2addr_b32 v[61:62], v49 offset1:1
	ds_load_2addr_b32 v[63:64], v53 offset1:1
	;; [unrolled: 1-line block ×3, first 2 shown]
	v_mov_b32_e32 v43, s33
	ds_load_2addr_b32 v[67:68], v55 offset1:1
	s_add_i32 s33, s38, s25
	v_fma_f32 v49, -v18, v48, v47
	s_lshl_b32 s33, s33, 2
	s_waitcnt lgkmcnt(6)
	v_fma_f32 v21, -v8, v21, v27
	ds_load_2addr_b32 v[47:48], v43 offset1:1
	v_mov_b32_e32 v27, s33
	s_add_i32 s35, s38, s26
	s_delay_alu instid0(SALU_CYCLE_1)
	s_lshl_b32 s33, s35, 2
	s_waitcnt lgkmcnt(6)
	v_fma_f32 v21, -v15, v37, v21
	v_mov_b32_e32 v37, s33
	ds_load_2addr_b32 v[69:70], v27 offset1:1
	s_add_i32 s33, s38, s27
	s_add_i32 s35, s4, 0xfffff3a0
	s_lshl_b32 s33, s33, 2
	ds_load_2addr_b32 v[71:72], v37 offset1:1
	s_waitcnt lgkmcnt(7)
	v_fma_f32 v21, -v14, v39, v21
	v_mov_b32_e32 v27, s33
	s_add_i32 s33, s38, s29
	v_fma_f32 v39, -v16, v51, v45
	s_lshl_b32 s33, s33, 2
	s_waitcnt lgkmcnt(3)
	v_fma_f32 v21, -v13, v68, v21
	v_mov_b32_e32 v37, s33
	v_fma_f32 v45, -v17, v44, v49
	ds_load_2addr_b32 v[73:74], v27 offset1:1
	v_mov_b32_e32 v27, s35
	s_waitcnt lgkmcnt(3)
	v_fma_f32 v21, -v12, v48, v21
	ds_load_2addr_b32 v[43:44], v37 offset1:1
	ds_load_b32 v75, v27
	v_fma_f32 v27, -v23, v62, v39
	v_fma_f32 v37, -v16, v50, v45
	s_waitcnt lgkmcnt(4)
	v_fma_f32 v21, -v19, v70, v21
	s_add_i32 s33, s38, s28
	s_add_i32 s35, s38, s30
	v_fma_f32 v27, -v22, v64, v27
	v_fma_f32 v37, -v23, v61, v37
	s_waitcnt lgkmcnt(3)
	v_fma_f32 v39, -v18, v72, v21
	s_lshl_b32 s33, s33, 2
	s_lshl_b32 s35, s35, 2
	v_mul_f32_e32 v21, v66, v27
	v_fma_f32 v27, -v22, v63, v37
	v_mov_b32_e32 v55, s35
	s_add_i32 s35, s37, s5
	s_waitcnt lgkmcnt(2)
	v_fma_f32 v37, -v17, v74, v39
	s_lshl_b32 s35, s35, 2
	v_fma_f32 v76, -v21, v65, v27
	v_dual_mul_f32 v27, v33, v40 :: v_dual_mov_b32 v40, s35
	s_waitcnt lgkmcnt(1)
	v_fma_f32 v63, -v16, v44, v37
	v_mov_b32_e32 v37, s33
	s_add_i32 s33, s3, 0xfffffce0
	v_fma_f32 v26, v26, s15, -v27
	s_add_i32 s36, s38, s33
	s_add_i32 s35, s37, s22
	s_lshl_b32 s36, s36, 2
	s_lshl_b32 s35, s35, 2
	v_fma_f32 v26, -v30, v46, v26
	v_mov_b32_e32 v27, s36
	s_add_i32 s36, s4, 0xfffff298
	v_mov_b32_e32 v45, s35
	v_mov_b32_e32 v39, s36
	v_fma_f32 v44, -v29, v52, v26
	ds_load_2addr_b32 v[26:27], v27 offset1:1
	ds_load_b32 v77, v39
	ds_load_2addr_b32 v[39:40], v40 offset1:1
	s_add_i32 s36, s38, s31
	v_fma_f32 v44, -v28, v54, v44
	s_lshl_b32 s35, s36, 2
	s_add_i32 s36, s37, s19
	v_mov_b32_e32 v57, s35
	s_add_i32 s35, s37, s21
	v_fma_f32 v34, -v3, v34, v44
	s_lshl_b32 s35, s35, 2
	ds_load_2addr_b32 v[44:45], v45 offset1:1
	s_lshl_b32 s36, s36, 2
	v_fma_f32 v34, -v2, v41, v34
	v_mov_b32_e32 v41, s35
	s_add_i32 s35, s37, s20
	s_delay_alu instid0(SALU_CYCLE_1) | instskip(NEXT) | instid1(VALU_DEP_2)
	s_lshl_b32 s35, s35, 2
	v_fma_f32 v34, -v1, v56, v34
	ds_load_2addr_b32 v[48:49], v41 offset1:1
	v_mov_b32_e32 v46, s35
	s_waitcnt lgkmcnt(2)
	v_mul_f32_e32 v50, v33, v40
	s_add_i32 s35, s38, s34
	v_fma_f32 v34, -v0, v58, v34
	s_lshl_b32 s35, s35, 2
	ds_load_2addr_b32 v[40:41], v46 offset1:1
	v_fma_f32 v25, v25, s15, -v50
	v_mov_b32_e32 v46, s36
	s_add_i32 s36, s37, s18
	v_fma_f32 v50, -v11, v35, v34
	s_lshl_b32 s36, s36, 2
	s_waitcnt lgkmcnt(2)
	v_fma_f32 v25, -v30, v45, v25
	v_mov_b32_e32 v45, s36
	s_add_i32 s36, s37, s17
	v_fma_f32 v42, -v10, v42, v50
	s_lshl_b32 s36, s36, 2
	ds_load_2addr_b32 v[34:35], v46 offset1:1
	v_mov_b32_e32 v50, s36
	s_add_i32 s36, s37, s16
	s_waitcnt lgkmcnt(2)
	v_fma_f32 v25, -v29, v49, v25
	s_lshl_b32 s36, s36, 2
	v_fma_f32 v42, -v9, v60, v42
	ds_load_2addr_b32 v[49:50], v50 offset1:1
	v_mov_b32_e32 v59, s35
	s_add_i32 s35, s37, s10
	s_waitcnt lgkmcnt(2)
	v_fma_f32 v25, -v28, v41, v25
	v_mov_b32_e32 v41, s36
	s_lshl_b32 s36, s39, 2
	v_fma_f32 v20, -v8, v20, v42
	v_mov_b32_e32 v51, s36
	s_add_i32 s36, s37, s11
	ds_load_2addr_b32 v[41:42], v41 offset1:1
	s_lshl_b32 s36, s36, 2
	s_lshl_b32 s35, s35, 2
	ds_load_2addr_b32 v[51:52], v51 offset1:1
	ds_load_2addr_b32 v[45:46], v45 offset1:1
	s_waitcnt lgkmcnt(4)
	v_fma_f32 v25, -v3, v35, v25
	v_mov_b32_e32 v35, s36
	v_fma_f32 v20, -v15, v36, v20
	s_add_i32 s36, s37, s6
	s_add_i32 s39, s37, s34
	s_lshl_b32 s38, s38, 5
	ds_load_2addr_b32 v[35:36], v35 offset1:1
	ds_load_2addr_b32 v[53:54], v37 offset1:1
	;; [unrolled: 1-line block ×5, first 2 shown]
	v_fma_f32 v20, -v14, v38, v20
	s_lshl_b32 s39, s39, 2
	s_delay_alu instid0(VALU_DEP_1) | instskip(NEXT) | instid1(VALU_DEP_1)
	v_fma_f32 v20, -v13, v67, v20
	v_fma_f32 v20, -v12, v47, v20
	s_waitcnt lgkmcnt(5)
	v_fma_f32 v25, -v2, v46, v25
	v_mov_b32_e32 v46, s35
	s_add_i32 s35, s37, s9
	s_delay_alu instid0(SALU_CYCLE_1) | instskip(NEXT) | instid1(VALU_DEP_2)
	s_lshl_b32 s35, s35, 2
	v_fma_f32 v25, -v1, v50, v25
	ds_load_2addr_b32 v[37:38], v46 offset1:1
	v_fma_f32 v20, -v19, v69, v20
	v_fma_f32 v25, -v0, v42, v25
	v_mov_b32_e32 v42, s35
	s_add_i32 s35, s37, s7
	s_delay_alu instid0(VALU_DEP_3)
	v_fma_f32 v20, -v18, v71, v20
	s_lshl_b32 s35, s35, 2
	v_fma_f32 v25, -v11, v52, v25
	ds_load_2addr_b32 v[61:62], v42 offset1:1
	v_mov_b32_e32 v42, s35
	s_lshl_b32 s35, s36, 2
	s_add_i32 s36, s37, s24
	s_waitcnt lgkmcnt(6)
	v_fma_f32 v25, -v10, v36, v25
	v_mov_b32_e32 v50, s35
	s_add_i32 s35, s37, s23
	ds_load_2addr_b32 v[46:47], v42 offset1:1
	s_lshl_b32 s35, s35, 2
	s_waitcnt lgkmcnt(6)
	v_fma_f32 v36, -v23, v54, v63
	s_waitcnt lgkmcnt(2)
	v_fma_f32 v25, -v9, v38, v25
	v_mov_b32_e32 v38, s35
	s_lshl_b32 s35, s36, 2
	ds_load_2addr_b32 v[63:64], v50 offset1:1
	s_add_i32 s36, s37, s29
	v_fma_f32 v20, -v17, v73, v20
	ds_load_2addr_b32 v[65:66], v38 offset1:1
	v_mov_b32_e32 v42, s35
	s_add_i32 s35, s37, s25
	v_fma_f32 v36, -v22, v56, v36
	s_lshl_b32 s35, s35, 2
	s_waitcnt lgkmcnt(3)
	v_fma_f32 v25, -v8, v62, v25
	v_mov_b32_e32 v38, s35
	s_add_i32 s35, s37, s26
	ds_load_2addr_b32 v[67:68], v42 offset1:1
	s_lshl_b32 s35, s35, 2
	v_fma_f32 v20, -v16, v43, v20
	ds_load_2addr_b32 v[69:70], v38 offset1:1
	v_mov_b32_e32 v42, s35
	s_add_i32 s35, s37, s27
	s_waitcnt lgkmcnt(4)
	v_fma_f32 v25, -v15, v47, v25
	s_lshl_b32 s35, s35, 2
	v_fma_f32 v36, -v21, v58, v36
	v_mov_b32_e32 v38, s35
	s_lshl_b32 s35, s36, 2
	ds_load_2addr_b32 v[42:43], v42 offset1:1
	v_mov_b32_e32 v47, s35
	s_add_i32 s35, s37, s28
	s_delay_alu instid0(SALU_CYCLE_1)
	s_lshl_b32 s35, s35, 2
	ds_load_2addr_b32 v[73:74], v47 offset1:1
	ds_load_2addr_b32 v[71:72], v38 offset1:1
	v_mov_b32_e32 v38, s35
	v_fma_f32 v47, -v23, v53, v20
	s_add_i32 s35, s37, s30
	v_mul_f32_e32 v20, v75, v76
	s_lshl_b32 s35, s35, 2
	ds_load_2addr_b32 v[52:53], v38 offset1:1
	s_waitcnt lgkmcnt(7)
	v_fma_f32 v25, -v14, v64, v25
	v_mov_b32_e32 v50, s35
	v_fma_f32 v38, -v22, v55, v47
	v_fma_f32 v36, -v20, v60, v36
	s_add_i32 s35, s37, s31
	s_waitcnt lgkmcnt(6)
	v_fma_f32 v25, -v13, v66, v25
	ds_load_2addr_b32 v[54:55], v50 offset1:1
	v_fma_f32 v38, -v21, v57, v38
	v_mul_f32_e32 v27, v27, v36
	s_lshl_b32 s36, s35, 2
	s_waitcnt lgkmcnt(6)
	v_fma_f32 v25, -v12, v68, v25
	s_add_i32 s35, s3, 0xfffffca0
	v_fma_f32 v36, -v20, v59, v38
	v_dual_mul_f32 v38, v33, v39 :: v_dual_mov_b32 v57, s39
	s_waitcnt lgkmcnt(5)
	v_fma_f32 v25, -v19, v70, v25
	s_delay_alu instid0(VALU_DEP_3) | instskip(NEXT) | instid1(VALU_DEP_3)
	v_fma_f32 v26, -v27, v26, v36
	v_fma_f32 v24, v24, s15, -v38
	v_mov_b32_e32 v36, s41
	s_waitcnt lgkmcnt(4)
	v_fma_f32 v25, -v18, v43, v25
	s_delay_alu instid0(VALU_DEP_3) | instskip(SKIP_1) | instid1(VALU_DEP_2)
	v_fma_f32 v24, -v30, v44, v24
	s_waitcnt lgkmcnt(2)
	v_fma_f32 v25, -v17, v72, v25
	s_delay_alu instid0(VALU_DEP_2) | instskip(NEXT) | instid1(VALU_DEP_2)
	v_fma_f32 v24, -v29, v48, v24
	v_fma_f32 v25, -v16, v74, v25
	s_delay_alu instid0(VALU_DEP_2) | instskip(SKIP_1) | instid1(VALU_DEP_2)
	v_fma_f32 v24, -v28, v40, v24
	s_waitcnt lgkmcnt(1)
	v_fma_f32 v25, -v23, v53, v25
	s_delay_alu instid0(VALU_DEP_2) | instskip(SKIP_1) | instid1(VALU_DEP_2)
	v_fma_f32 v34, -v3, v34, v24
	s_waitcnt lgkmcnt(0)
	v_fma_f32 v53, -v22, v55, v25
	v_mov_b32_e32 v55, s36
	s_add_i32 s36, s37, s35
	v_fma_f32 v34, -v2, v45, v34
	s_lshl_b32 s36, s36, 2
	s_delay_alu instid0(SALU_CYCLE_1) | instskip(SKIP_1) | instid1(VALU_DEP_2)
	v_mov_b32_e32 v25, s36
	s_sub_i32 s36, s2, 30
	v_fma_f32 v34, -v1, v49, v34
	s_add_i32 s40, s36, s5
	s_add_i32 s41, s36, s21
	s_lshl_b32 s40, s40, 2
	s_lshl_b32 s41, s41, 2
	v_mov_b32_e32 v38, s40
	ds_load_2addr_b32 v[24:25], v25 offset1:1
	ds_load_b32 v76, v36
	ds_load_2addr_b32 v[38:39], v38 offset1:1
	s_add_i32 s40, s37, s33
	v_fma_f32 v34, -v0, v41, v34
	s_lshl_b32 s39, s40, 2
	s_add_i32 s40, s36, s22
	v_mov_b32_e32 v59, s39
	s_lshl_b32 s40, s40, 2
	v_fma_f32 v34, -v11, v51, v34
	v_mov_b32_e32 v36, s40
	s_add_i32 s40, s37, s38
	s_delay_alu instid0(SALU_CYCLE_1)
	s_lshl_b32 s39, s40, 2
	s_add_i32 s40, s36, s20
	ds_load_2addr_b32 v[43:44], v36 offset1:1
	v_mov_b32_e32 v36, s41
	s_lshl_b32 s40, s40, 2
	s_add_i32 s41, s36, s18
	v_mov_b32_e32 v62, s39
	s_add_i32 s39, s36, s17
	ds_load_2addr_b32 v[40:41], v36 offset1:1
	s_waitcnt lgkmcnt(2)
	v_dual_mul_f32 v36, v33, v39 :: v_dual_mov_b32 v39, s40
	s_add_i32 s40, s36, s19
	s_lshl_b32 s39, s39, 2
	s_lshl_b32 s40, s40, 2
	s_delay_alu instid0(VALU_DEP_1)
	v_fma_f32 v7, v7, s15, -v36
	ds_load_2addr_b32 v[47:48], v39 offset1:1
	v_mov_b32_e32 v36, s40
	s_lshl_b32 s40, s41, 2
	v_fma_f32 v39, -v10, v35, v34
	v_mov_b32_e32 v45, s40
	s_add_i32 s40, s36, s16
	ds_load_2addr_b32 v[34:35], v36 offset1:1
	s_waitcnt lgkmcnt(3)
	v_fma_f32 v7, -v30, v44, v7
	v_fma_f32 v39, -v9, v37, v39
	s_waitcnt lgkmcnt(2)
	s_delay_alu instid0(VALU_DEP_2)
	v_fma_f32 v7, -v29, v41, v7
	v_mov_b32_e32 v41, s39
	s_lshl_b32 s39, s40, 2
	v_fma_f32 v39, -v8, v61, v39
	v_mov_b32_e32 v49, s39
	s_add_i32 s39, s36, s14
	s_add_i32 s40, s36, s6
	s_waitcnt lgkmcnt(1)
	v_fma_f32 v7, -v28, v48, v7
	s_lshl_b32 s39, s39, 2
	ds_load_2addr_b32 v[48:49], v49 offset1:1
	ds_load_2addr_b32 v[36:37], v45 offset1:1
	ds_load_2addr_b32 v[44:45], v41 offset1:1
	v_mov_b32_e32 v41, s39
	s_add_i32 s39, s36, s11
	v_fma_f32 v39, -v15, v46, v39
	s_lshl_b32 s39, s39, 2
	s_waitcnt lgkmcnt(3)
	v_fma_f32 v7, -v3, v35, v7
	ds_load_2addr_b32 v[50:51], v41 offset1:1
	v_mov_b32_e32 v35, s39
	s_add_i32 s39, s36, s10
	ds_load_2addr_b32 v[55:56], v55 offset1:1
	ds_load_2addr_b32 v[57:58], v57 offset1:1
	;; [unrolled: 1-line block ×4, first 2 shown]
	s_lshl_b32 s39, s39, 2
	s_waitcnt lgkmcnt(6)
	v_fma_f32 v7, -v2, v37, v7
	v_fma_f32 v37, -v14, v63, v39
	ds_load_2addr_b32 v[63:64], v35 offset1:1
	v_mov_b32_e32 v35, s39
	s_add_i32 s39, s36, s9
	s_waitcnt lgkmcnt(6)
	v_fma_f32 v7, -v1, v45, v7
	s_lshl_b32 s39, s39, 2
	v_fma_f32 v37, -v13, v65, v37
	v_mov_b32_e32 v39, s39
	ds_load_2addr_b32 v[45:46], v35 offset1:1
	s_add_i32 s39, s36, s7
	v_fma_f32 v7, -v0, v49, v7
	s_lshl_b32 s39, s39, 2
	ds_load_2addr_b32 v[65:66], v39 offset1:1
	v_fma_f32 v35, -v12, v67, v37
	v_mov_b32_e32 v37, s39
	s_lshl_b32 s39, s40, 2
	s_waitcnt lgkmcnt(7)
	v_fma_f32 v7, -v11, v51, v7
	v_mov_b32_e32 v39, s39
	s_add_i32 s39, s36, s23
	ds_load_2addr_b32 v[67:68], v37 offset1:1
	v_fma_f32 v35, -v19, v69, v35
	s_lshl_b32 s39, s39, 2
	ds_load_2addr_b32 v[69:70], v39 offset1:1
	s_waitcnt lgkmcnt(4)
	v_fma_f32 v7, -v10, v64, v7
	v_mov_b32_e32 v37, s39
	s_add_i32 s39, s36, s24
	v_fma_f32 v35, -v18, v42, v35
	s_lshl_b32 s39, s39, 2
	s_waitcnt lgkmcnt(3)
	v_fma_f32 v7, -v9, v46, v7
	v_mov_b32_e32 v39, s39
	ds_load_2addr_b32 v[41:42], v37 offset1:1
	v_fma_f32 v35, -v17, v71, v35
	s_add_i32 s39, s36, s25
	s_waitcnt lgkmcnt(3)
	v_fma_f32 v7, -v8, v66, v7
	ds_load_2addr_b32 v[71:72], v39 offset1:1
	s_lshl_b32 s39, s39, 2
	v_fma_f32 v35, -v16, v73, v35
	v_mov_b32_e32 v39, s39
	s_add_i32 s39, s36, s26
	s_waitcnt lgkmcnt(3)
	v_fma_f32 v7, -v15, v68, v7
	s_lshl_b32 s39, s39, 2
	v_fma_f32 v35, -v23, v52, v35
	v_mov_b32_e32 v46, s39
	s_add_i32 s39, s36, s27
	s_waitcnt lgkmcnt(2)
	v_fma_f32 v7, -v14, v70, v7
	s_lshl_b32 s39, s39, 2
	s_add_i32 s40, s36, s29
	v_fma_f32 v37, -v21, v56, v53
	ds_load_2addr_b32 v[51:52], v39 offset1:1
	v_fma_f32 v35, -v22, v54, v35
	ds_load_2addr_b32 v[53:54], v46 offset1:1
	v_mov_b32_e32 v39, s39
	s_lshl_b32 s39, s40, 2
	s_waitcnt lgkmcnt(3)
	v_fma_f32 v7, -v13, v42, v7
	v_mov_b32_e32 v42, s39
	s_add_i32 s39, s36, s28
	v_fma_f32 v37, -v20, v58, v37
	s_lshl_b32 s39, s39, 2
	s_waitcnt lgkmcnt(2)
	v_fma_f32 v7, -v12, v72, v7
	ds_load_2addr_b32 v[72:73], v39 offset1:1
	v_fma_f32 v35, -v21, v55, v35
	ds_load_2addr_b32 v[55:56], v42 offset1:1
	v_dual_mul_f32 v26, v77, v26 :: v_dual_mov_b32 v39, s39
	s_add_i32 s39, s36, s30
	v_fma_f32 v42, -v27, v60, v37
	s_lshl_b32 s39, s39, 2
	v_fma_f32 v35, -v20, v57, v35
	v_mov_b32_e32 v37, s39
	ds_load_2addr_b32 v[74:75], v39 offset1:1
	s_waitcnt lgkmcnt(4)
	v_fma_f32 v7, -v19, v52, v7
	s_add_i32 s39, s36, s31
	s_add_i32 s40, s36, s34
	ds_load_2addr_b32 v[57:58], v37 offset1:1
	v_mul_f32_e32 v37, v33, v38
	s_lshl_b32 s39, s39, 2
	s_waitcnt lgkmcnt(4)
	v_fma_f32 v7, -v18, v54, v7
	v_mov_b32_e32 v38, s39
	s_lshl_b32 s39, s40, 2
	v_fma_f32 v37, v6, s15, -v37
	v_mov_b32_e32 v46, s39
	s_waitcnt lgkmcnt(3)
	v_fma_f32 v39, -v17, v73, v7
	ds_load_2addr_b32 v[6:7], v38 offset1:1
	s_add_i32 s39, s36, s33
	v_fma_f32 v43, -v30, v43, v37
	s_lshl_b32 s39, s39, 2
	s_waitcnt lgkmcnt(3)
	v_fma_f32 v39, -v16, v56, v39
	v_mov_b32_e32 v49, s39
	ds_load_2addr_b32 v[37:38], v46 offset1:1
	v_fma_f32 v43, -v29, v40, v43
	s_add_i32 s39, s36, s38
	s_waitcnt lgkmcnt(3)
	v_fma_f32 v46, -v23, v75, v39
	s_lshl_b32 s39, s39, 2
	ds_load_2addr_b32 v[39:40], v49 offset1:1
	v_fma_f32 v47, -v28, v47, v43
	v_mov_b32_e32 v49, s39
	v_fma_f32 v52, -v26, v62, v42
	v_fma_f32 v35, -v27, v59, v35
	s_sub_i32 s39, s2, 32
	v_fma_f32 v34, -v3, v34, v47
	s_waitcnt lgkmcnt(3)
	v_fma_f32 v46, -v22, v58, v46
	ds_load_2addr_b32 v[42:43], v49 offset1:1
	v_mul_f32_e32 v25, v25, v52
	v_fma_f32 v35, -v26, v61, v35
	v_fma_f32 v34, -v2, v36, v34
	s_add_i32 s5, s39, s5
	s_waitcnt lgkmcnt(3)
	v_fma_f32 v7, -v21, v7, v46
	s_lshl_b32 s5, s5, 2
	v_fma_f32 v24, -v25, v24, v35
	v_fma_f32 v34, -v1, v44, v34
	v_mov_b32_e32 v35, s5
	s_waitcnt lgkmcnt(2)
	v_fma_f32 v7, -v20, v38, v7
	s_add_i32 s22, s39, s22
	s_add_i32 s5, s36, s35
	v_fma_f32 v36, -v0, v48, v34
	ds_load_2addr_b32 v[34:35], v35 offset1:1
	s_lshl_b32 s22, s22, 2
	s_waitcnt lgkmcnt(2)
	v_fma_f32 v7, -v27, v40, v7
	v_mov_b32_e32 v38, s22
	v_fma_f32 v36, -v11, v50, v36
	s_add_i32 s21, s39, s21
	s_lshl_b32 s40, s5, 2
	s_waitcnt lgkmcnt(1)
	v_fma_f32 v7, -v26, v43, v7
	ds_load_2addr_b32 v[43:44], v38 offset1:1
	s_lshl_b32 s5, s37, 5
	s_add_i32 s20, s39, s20
	s_lshl_b32 s21, s21, 2
	s_add_i32 s37, s36, s5
	v_fma_f32 v36, -v10, v63, v36
	s_lshl_b32 s20, s20, 2
	s_add_i32 s5, s39, s5
	v_mov_b32_e32 v38, s21
	s_add_i32 s16, s39, s16
	s_lshl_b32 s5, s5, 2
	s_waitcnt lgkmcnt(1)
	v_dual_mov_b32 v40, s20 :: v_dual_mul_f32 v35, v33, v35
	s_lshl_b32 s16, s16, 2
	v_fma_f32 v36, -v9, v45, v36
	ds_load_2addr_b32 v[45:46], v38 offset1:1
	ds_load_2addr_b32 v[47:48], v40 offset1:1
	s_add_i32 s19, s39, s19
	v_fma_f32 v5, v5, s15, -v35
	s_lshl_b32 s19, s19, 2
	v_fma_f32 v36, -v8, v65, v36
	s_lshl_b32 s20, s37, 2
	v_mov_b32_e32 v49, s40
	s_waitcnt lgkmcnt(2)
	v_fma_f32 v5, -v30, v44, v5
	v_mov_b32_e32 v44, s16
	s_add_i32 s16, s3, 0xfffffc60
	s_add_i32 s3, s3, s39
	v_fma_f32 v52, -v15, v67, v36
	s_lshl_b32 s3, s3, 2
	v_mov_b32_e32 v38, s20
	s_addk_i32 s3, 0xf080
	v_mov_b32_e32 v40, s19
	s_add_i32 s18, s39, s18
	s_add_i32 s14, s39, s14
	s_lshl_b32 s18, s18, 2
	s_waitcnt lgkmcnt(1)
	v_fma_f32 v5, -v29, v46, v5
	ds_load_2addr_b32 v[35:36], v40 offset1:1
	ds_load_2addr_b32 v[49:50], v49 offset1:1
	;; [unrolled: 1-line block ×3, first 2 shown]
	v_fma_f32 v38, -v14, v69, v52
	s_lshl_b32 s14, s14, 2
	s_waitcnt lgkmcnt(3)
	v_fma_f32 v5, -v28, v48, v5
	v_mov_b32_e32 v40, s18
	s_add_i32 s17, s39, s17
	v_fma_f32 v38, -v13, v41, v38
	s_lshl_b32 s17, s17, 2
	s_add_i32 s11, s39, s11
	ds_load_2addr_b32 v[60:61], v40 offset1:1
	s_lshl_b32 s11, s11, 2
	v_fma_f32 v38, -v12, v71, v38
	s_add_i32 s9, s39, s9
	s_add_i32 s6, s39, s6
	s_lshl_b32 s9, s9, 2
	s_lshl_b32 s6, s6, 2
	ds_load_2addr_b32 v[62:63], v44 offset1:1
	s_add_i32 s7, s39, s7
	s_add_i32 s10, s39, s10
	s_waitcnt lgkmcnt(4)
	v_fma_f32 v5, -v3, v36, v5
	v_fma_f32 v36, -v19, v51, v38
	v_mov_b32_e32 v38, s14
	s_lshl_b32 s7, s7, 2
	s_lshl_b32 s10, s10, 2
	v_mul_f32_e32 v34, v33, v34
	v_fma_f32 v36, -v18, v53, v36
	ds_load_2addr_b32 v[51:52], v38 offset1:1
	v_mov_b32_e32 v40, s17
	v_mov_b32_e32 v38, s11
	s_waitcnt lgkmcnt(2)
	v_fma_f32 v5, -v2, v61, v5
	v_fma_f32 v34, v4, s15, -v34
	v_fma_f32 v36, -v17, v72, v36
	ds_load_2addr_b32 v[40:41], v40 offset1:1
	ds_load_2addr_b32 v[53:54], v38 offset1:1
	v_mov_b32_e32 v38, s9
	v_fma_f32 v34, -v30, v43, v34
	v_fma_f32 v36, -v16, v55, v36
	s_add_i32 s9, s39, s30
	v_fma_f32 v7, -v25, v50, v7
	ds_load_2addr_b32 v[66:67], v38 offset1:1
	v_fma_f32 v34, -v29, v45, v34
	v_fma_f32 v36, -v23, v74, v36
	s_lshl_b32 s9, s9, 2
	s_delay_alu instid0(VALU_DEP_2) | instskip(NEXT) | instid1(VALU_DEP_2)
	v_fma_f32 v34, -v28, v47, v34
	v_fma_f32 v55, -v22, v57, v36
	s_delay_alu instid0(VALU_DEP_2)
	v_fma_f32 v36, -v3, v35, v34
	s_waitcnt lgkmcnt(2)
	v_fma_f32 v5, -v1, v41, v5
	v_mov_b32_e32 v41, s6
	s_add_i32 s6, s39, s23
	v_fma_f32 v36, -v2, v60, v36
	s_lshl_b32 s6, s6, 2
	ds_load_2addr_b32 v[70:71], v41 offset1:1
	v_mov_b32_e32 v38, s7
	s_add_i32 s7, s39, s25
	v_fma_f32 v36, -v1, v40, v36
	s_lshl_b32 s7, s7, 2
	ds_load_2addr_b32 v[68:69], v38 offset1:1
	v_mov_b32_e32 v44, s10
	v_fma_f32 v5, -v0, v63, v5
	v_mov_b32_e32 v38, s6
	s_add_i32 s6, s39, s24
	s_add_i32 s10, s36, s16
	ds_load_2addr_b32 v[64:65], v44 offset1:1
	v_fma_f32 v5, -v11, v52, v5
	s_lshl_b32 s6, s6, 2
	v_fma_f32 v36, -v0, v62, v36
	s_waitcnt lgkmcnt(4)
	s_delay_alu instid0(VALU_DEP_2) | instskip(NEXT) | instid1(VALU_DEP_2)
	v_fma_f32 v5, -v10, v54, v5
	v_fma_f32 v36, -v11, v51, v36
	s_waitcnt lgkmcnt(0)
	s_delay_alu instid0(VALU_DEP_2)
	v_fma_f32 v41, -v9, v65, v5
	ds_load_2addr_b32 v[4:5], v38 offset1:1
	v_mov_b32_e32 v38, s6
	s_lshl_b32 s6, s10, 2
	v_fma_f32 v41, -v8, v67, v41
	v_mov_b32_e32 v48, s6
	ds_load_2addr_b32 v[43:44], v38 offset1:1
	s_add_i32 s6, s39, s26
	v_fma_f32 v38, -v15, v69, v41
	v_mov_b32_e32 v41, s7
	s_lshl_b32 s6, s6, 2
	s_add_i32 s7, s39, s27
	s_delay_alu instid0(VALU_DEP_2)
	v_fma_f32 v38, -v14, v71, v38
	ds_load_2addr_b32 v[34:35], v41 offset1:1
	s_waitcnt lgkmcnt(2)
	v_fma_f32 v5, -v13, v5, v38
	v_mov_b32_e32 v38, s6
	s_lshl_b32 s6, s7, 2
	s_add_i32 s7, s39, s29
	v_mov_b32_e32 v45, s6
	s_lshl_b32 s6, s7, 2
	s_waitcnt lgkmcnt(1)
	v_fma_f32 v5, -v12, v44, v5
	ds_load_2addr_b32 v[40:41], v38 offset1:1
	v_mov_b32_e32 v38, s6
	ds_load_2addr_b32 v[44:45], v45 offset1:1
	ds_load_2addr_b32 v[46:47], v38 offset1:1
	s_add_i32 s7, s39, s28
	v_mov_b32_e32 v38, s9
	s_waitcnt lgkmcnt(3)
	v_fma_f32 v5, -v19, v35, v5
	v_fma_f32 v35, -v10, v53, v36
	s_lshl_b32 s7, s7, 2
	s_add_i32 s6, s4, 0xfffff088
	v_mov_b32_e32 v36, s7
	s_add_i32 s7, s39, s31
	v_fma_f32 v51, -v9, v64, v35
	s_lshl_b32 s7, s7, 2
	v_mul_f32_e32 v24, v76, v24
	ds_load_2addr_b32 v[35:36], v36 offset1:1
	v_fma_f32 v53, -v8, v66, v51
	ds_load_2addr_b32 v[51:52], v38 offset1:1
	s_waitcnt lgkmcnt(4)
	v_fma_f32 v5, -v18, v41, v5
	v_mov_b32_e32 v41, s7
	s_add_i32 s7, s39, s34
	v_fma_f32 v38, -v15, v68, v53
	s_lshl_b32 s7, s7, 2
	s_waitcnt lgkmcnt(3)
	v_fma_f32 v5, -v17, v45, v5
	ds_load_2addr_b32 v[53:54], v41 offset1:1
	v_mov_b32_e32 v45, s7
	v_fma_f32 v38, -v14, v70, v38
	v_fma_f32 v41, -v21, v6, v55
	s_waitcnt lgkmcnt(3)
	v_fma_f32 v56, -v16, v47, v5
	v_mov_b32_e32 v55, s6
	s_add_i32 s6, s39, s33
	v_fma_f32 v4, -v13, v4, v38
	ds_load_2addr_b32 v[5:6], v45 offset1:1
	ds_load_2addr_b32 v[47:48], v48 offset1:1
	ds_load_b32 v55, v55
	s_lshl_b32 s6, s6, 2
	s_waitcnt lgkmcnt(5)
	v_fma_f32 v36, -v23, v36, v56
	v_fma_f32 v37, -v20, v37, v41
	;; [unrolled: 1-line block ×3, first 2 shown]
	v_mov_b32_e32 v38, s6
	s_add_i32 s6, s39, s38
	s_waitcnt lgkmcnt(4)
	v_fma_f32 v36, -v22, v52, v36
	s_lshl_b32 s6, s6, 2
	v_fma_f32 v4, -v19, v34, v4
	v_fma_f32 v34, -v27, v39, v37
	v_mov_b32_e32 v41, s5
	s_waitcnt lgkmcnt(3)
	v_fma_f32 v39, -v21, v54, v36
	ds_load_2addr_b32 v[36:37], v38 offset1:1
	v_fma_f32 v4, -v18, v40, v4
	v_mov_b32_e32 v38, s6
	s_add_i32 s6, s39, s35
	v_fma_f32 v34, -v26, v42, v34
	s_lshl_b32 s6, s6, 2
	v_fma_f32 v4, -v17, v44, v4
	s_waitcnt lgkmcnt(3)
	v_fma_f32 v6, -v20, v6, v39
	ds_load_2addr_b32 v[38:39], v38 offset1:1
	v_mov_b32_e32 v40, s6
	s_add_i32 s5, s39, s16
	v_fma_f32 v4, -v16, v46, v4
	v_fma_f32 v46, -v25, v49, v34
	s_lshl_b32 s5, s5, 2
	s_lshl_b32 s6, s36, 5
	v_fma_f32 v7, -v24, v59, v7
	v_fma_f32 v4, -v23, v35, v4
	ds_load_2addr_b32 v[34:35], v40 offset1:1
	ds_load_2addr_b32 v[40:41], v41 offset1:1
	s_add_i32 s6, s39, s6
	global_store_b32 v[31:32], v33, off
	s_waitcnt lgkmcnt(3)
	v_fma_f32 v6, -v27, v37, v6
	v_fma_f32 v4, -v22, v51, v4
	v_mov_b32_e32 v37, s5
	s_lshl_b32 s5, s6, 2
	s_delay_alu instid0(SALU_CYCLE_1) | instskip(NEXT) | instid1(VALU_DEP_3)
	v_mov_b32_e32 v44, s5
	v_fma_f32 v4, -v21, v53, v4
	ds_load_2addr_b32 v[42:43], v37 offset1:1
	ds_load_2addr_b32 v[44:45], v44 offset1:1
	v_fma_f32 v4, -v20, v5, v4
	s_waitcnt lgkmcnt(4)
	v_fma_f32 v5, -v26, v39, v6
	v_dual_mov_b32 v37, s3 :: v_dual_mul_f32 v6, v48, v7
	v_fma_f32 v7, -v24, v58, v46
	v_fma_f32 v4, -v27, v36, v4
	s_waitcnt lgkmcnt(3)
	v_fma_f32 v5, -v25, v35, v5
	ds_load_2addr_b32 v[35:36], v37 offset1:1
	s_add_i32 s3, s4, 0xffffef80
	v_fma_f32 v7, -v6, v47, v7
	v_fma_f32 v4, -v26, v38, v4
	v_mov_b32_e32 v37, s3
	s_waitcnt lgkmcnt(3)
	v_fma_f32 v38, -v24, v41, v5
	s_ashr_i32 s3, s2, 31
	v_mul_f32_e32 v5, v55, v7
	v_fma_f32 v4, -v25, v34, v4
	ds_load_b32 v7, v37
	s_waitcnt lgkmcnt(3)
	v_fma_f32 v34, -v6, v43, v38
	s_lshl_b64 s[4:5], s[2:3], 2
	v_fma_f32 v4, -v24, v40, v4
	s_waitcnt lgkmcnt(2)
	s_delay_alu instid0(VALU_DEP_2) | instskip(NEXT) | instid1(VALU_DEP_2)
	v_fma_f32 v34, -v5, v45, v34
	v_fma_f32 v37, -v6, v42, v4
	s_waitcnt lgkmcnt(1)
	s_delay_alu instid0(VALU_DEP_2) | instskip(SKIP_1) | instid1(VALU_DEP_3)
	v_mul_f32_e32 v4, v36, v34
	v_add_co_u32 v36, vcc_lo, v104, s4
	v_fma_f32 v34, -v5, v44, v37
	v_add_co_ci_u32_e32 v37, vcc_lo, s5, v105, vcc_lo
	s_clause 0x3
	global_store_b96 v[36:37], v[28:30], off offset:-16
	global_store_b128 v[36:37], v[0:3], off offset:-32
	global_store_b128 v[36:37], v[8:11], off offset:-48
	;; [unrolled: 1-line block ×3, first 2 shown]
	v_fma_f32 v31, -v4, v35, v34
	s_sub_i32 s4, s2, 33
	s_clause 0x1
	global_store_b128 v[36:37], v[16:19], off offset:-80
	global_store_b128 v[36:37], v[20:23], off offset:-96
	s_waitcnt lgkmcnt(0)
	v_mul_f32_e32 v3, v7, v31
	s_clause 0x1
	global_store_b128 v[36:37], v[24:27], off offset:-112
	global_store_b128 v[36:37], v[3:6], off offset:-128
.LBB37_38:
	s_cmp_gt_i32 s4, -1
	s_cbranch_scc0 .LBB37_61
; %bb.39:
	s_cmp_lt_u32 s4, 27
	s_cbranch_scc1 .LBB37_44
; %bb.40:
	s_mov_b32 s5, 0
	s_delay_alu instid0(SALU_CYCLE_1)
	s_lshl_b64 s[6:7], s[4:5], 2
	s_cmp_le_i32 s8, s4
	v_add_co_u32 v23, vcc_lo, v104, s6
	v_add_co_ci_u32_e32 v24, vcc_lo, s7, v105, vcc_lo
	s_clause 0x6
	global_load_b128 v[0:3], v[23:24], off offset:-12
	global_load_b128 v[4:7], v[23:24], off offset:-28
	;; [unrolled: 1-line block ×7, first 2 shown]
	s_waitcnt vmcnt(6)
	v_dual_mul_f32 v27, s15, v3 :: v_dual_mul_f32 v22, s15, v1
	s_waitcnt vmcnt(5)
	v_dual_mul_f32 v31, s15, v2 :: v_dual_mul_f32 v20, s15, v7
	v_dual_mul_f32 v21, s15, v0 :: v_dual_mul_f32 v30, s15, v6
	v_dual_mul_f32 v3, s15, v5 :: v_dual_mul_f32 v2, s15, v4
	s_waitcnt vmcnt(4)
	v_dual_mul_f32 v29, s15, v11 :: v_dual_mul_f32 v6, s15, v9
	s_waitcnt vmcnt(3)
	v_dual_mul_f32 v7, s15, v10 :: v_dual_mul_f32 v4, s15, v15
	v_dual_mul_f32 v5, s15, v8 :: v_dual_mul_f32 v10, s15, v13
	s_waitcnt vmcnt(2)
	v_dual_mul_f32 v11, s15, v14 :: v_dual_mul_f32 v8, s15, v19
	v_dual_mul_f32 v9, s15, v12 :: v_dual_mul_f32 v14, s15, v17
	;; [unrolled: 1-line block ×3, first 2 shown]
	s_waitcnt vmcnt(1)
	v_dual_mul_f32 v13, s15, v35 :: v_dual_mul_f32 v12, s15, v34
	v_dual_mul_f32 v19, s15, v33 :: v_dual_mul_f32 v18, s15, v32
	s_waitcnt vmcnt(0)
	v_dual_mul_f32 v17, s15, v39 :: v_dual_mul_f32 v26, s15, v38
	v_dual_mul_f32 v16, s15, v37 :: v_dual_mul_f32 v25, s15, v36
	s_cbranch_scc1 .LBB37_43
; %bb.41:
	s_lshl_b32 s3, s2, 7
	s_lshl_b32 s5, s4, 2
	s_ashr_i32 s9, s8, 31
	s_add_i32 s3, s3, s5
	s_lshl_b64 s[6:7], s[8:9], 2
	s_addk_i32 s3, 0xff14
	s_add_u32 s5, s12, s6
	s_addc_u32 s6, s13, s7
	s_add_u32 s5, s5, s0
	s_addc_u32 s6, s6, s1
	v_add_co_u32 v0, vcc_lo, s5, v106
	v_add_co_ci_u32_e32 v1, vcc_lo, s6, v107, vcc_lo
	s_mov_b32 s5, s8
.LBB37_42:                              ; =>This Inner Loop Header: Depth=1
	global_load_b32 v60, v[0:1], off
	v_mov_b32_e32 v58, s3
	v_add_co_u32 v0, vcc_lo, v0, -4
	v_add_co_ci_u32_e32 v1, vcc_lo, -1, v1, vcc_lo
	ds_load_2addr_b32 v[32:33], v58 offset0:26 offset1:27
	ds_load_2addr_b32 v[34:35], v58 offset0:24 offset1:25
	;; [unrolled: 1-line block ×13, first 2 shown]
	ds_load_2addr_b32 v[58:59], v58 offset1:1
	s_add_i32 s5, s5, -1
	s_addk_i32 s3, 0xff80
	s_cmp_gt_i32 s5, s4
	s_waitcnt vmcnt(0) lgkmcnt(13)
	v_fma_f32 v27, -v60, v33, v27
	v_fma_f32 v31, -v60, v32, v31
	s_waitcnt lgkmcnt(12)
	v_fma_f32 v22, -v60, v35, v22
	v_fma_f32 v21, -v60, v34, v21
	s_waitcnt lgkmcnt(11)
	;; [unrolled: 3-line block ×13, first 2 shown]
	v_fma_f32 v16, -v60, v59, v16
	v_fma_f32 v25, -v60, v58, v25
	s_cbranch_scc1 .LBB37_42
.LBB37_43:
	s_add_i32 s6, s4, -1
	s_lshl_b32 s5, s4, 5
	s_add_i32 s9, s4, -3
	s_add_i32 s3, s6, s5
	s_add_i32 s14, s9, s5
	s_lshl_b32 s7, s3, 2
	s_lshl_b32 s14, s14, 2
	s_delay_alu instid0(SALU_CYCLE_1)
	v_dual_mov_b32 v0, s7 :: v_dual_mov_b32 v33, s14
	s_mul_i32 s3, s4, 0x84
	s_lshl_b32 s7, s6, 5
	s_add_i32 s10, s3, 0xffffff7c
	ds_load_2addr_b32 v[0:1], v0 offset1:1
	v_mov_b32_e32 v32, s10
	s_add_i32 s10, s9, s7
	s_sub_i32 s6, s5, 64
	s_lshl_b32 s10, s10, 2
	s_add_i32 s11, s4, -5
	v_mov_b32_e32 v34, s10
	s_add_i32 s10, s3, 0xfffffe74
	s_add_i32 s14, s9, s6
	v_mov_b32_e32 v39, s10
	ds_load_b32 v38, v32
	ds_load_2addr_b32 v[32:33], v33 offset1:1
	s_lshl_b32 s14, s14, 2
	s_add_i32 s16, s11, s5
	s_add_i32 s17, s11, s6
	s_lshl_b32 s10, s16, 2
	v_mov_b32_e32 v36, s14
	s_add_i32 s14, s11, s7
	s_lshl_b32 s17, s17, 2
	s_add_i32 s16, s4, -7
	s_add_i32 s23, s3, 0xfffffa54
	s_waitcnt lgkmcnt(2)
	v_mul_f32_e32 v27, v1, v27
	v_mov_b32_e32 v1, s10
	ds_load_2addr_b32 v[34:35], v34 offset1:1
	ds_load_2addr_b32 v[36:37], v36 offset1:1
	s_lshl_b32 s10, s14, 2
	v_fma_f32 v31, -v27, v0, v31
	ds_load_b32 v41, v39
	ds_load_2addr_b32 v[0:1], v1 offset1:1
	s_add_i32 s14, s16, s5
	s_add_i32 s30, s3, 0xfffff73c
	s_lshl_b32 s14, s14, 2
	s_waitcnt lgkmcnt(4)
	v_fma_f32 v33, -v27, v33, v22
	v_mul_f32_e32 v22, v38, v31
	v_fma_f32 v21, -v27, v32, v21
	s_sub_i32 s31, s4, 21
	s_waitcnt lgkmcnt(3)
	s_delay_alu instid0(VALU_DEP_2)
	v_fma_f32 v31, -v22, v35, v33
	v_mov_b32_e32 v40, s10
	s_lshl_b32 s10, s9, 5
	s_add_i32 s9, s5, 0xffffff80
	s_add_i32 s18, s11, s10
	;; [unrolled: 1-line block ×3, first 2 shown]
	s_lshl_b32 s18, s18, 2
	s_lshl_b32 s19, s19, 2
	v_mov_b32_e32 v33, s18
	v_fma_f32 v32, -v22, v34, v21
	s_waitcnt lgkmcnt(2)
	v_mul_f32_e32 v21, v37, v31
	ds_load_2addr_b32 v[38:39], v40 offset1:1
	s_waitcnt lgkmcnt(1)
	v_fma_f32 v1, -v27, v1, v20
	v_mov_b32_e32 v35, s19
	v_fma_f32 v30, -v27, v0, v30
	v_fma_f32 v31, -v21, v36, v32
	v_mov_b32_e32 v32, s17
	s_add_i32 s17, s3, 0xfffffd6c
	s_add_i32 s18, s4, -9
	s_lshl_b32 s11, s11, 5
	v_mul_f32_e32 v20, v41, v31
	ds_load_2addr_b32 v[31:32], v32 offset1:1
	ds_load_2addr_b32 v[33:34], v33 offset1:1
	;; [unrolled: 1-line block ×3, first 2 shown]
	s_add_i32 s20, s18, s7
	s_waitcnt lgkmcnt(3)
	v_fma_f32 v37, -v22, v39, v1
	v_mov_b32_e32 v1, s14
	s_add_i32 s14, s16, s7
	v_fma_f32 v30, -v22, v38, v30
	s_lshl_b32 s14, s14, 2
	s_delay_alu instid0(SALU_CYCLE_1)
	v_mov_b32_e32 v39, s14
	s_add_i32 s14, s16, s6
	ds_load_2addr_b32 v[0:1], v1 offset1:1
	s_lshl_b32 s14, s14, 2
	s_waitcnt lgkmcnt(3)
	v_fma_f32 v32, -v21, v32, v37
	v_mov_b32_e32 v42, s14
	s_add_i32 s14, s16, s10
	ds_load_2addr_b32 v[39:40], v39 offset1:1
	s_lshl_b32 s14, s14, 2
	s_waitcnt lgkmcnt(3)
	v_fma_f32 v32, -v20, v34, v32
	v_mov_b32_e32 v37, s14
	s_add_i32 s14, s16, s9
	v_fma_f32 v34, -v21, v31, v30
	s_lshl_b32 s14, s14, 2
	s_delay_alu instid0(SALU_CYCLE_1)
	v_dual_mov_b32 v41, s17 :: v_dual_mov_b32 v44, s14
	s_add_i32 s17, s18, s5
	s_add_i32 s14, s16, s11
	s_lshl_b32 s17, s17, 2
	ds_load_b32 v43, v41
	ds_load_2addr_b32 v[41:42], v42 offset1:1
	ds_load_2addr_b32 v[30:31], v44 offset1:1
	;; [unrolled: 1-line block ×3, first 2 shown]
	s_waitcnt lgkmcnt(5)
	v_fma_f32 v1, -v27, v1, v3
	v_mul_f32_e32 v3, v36, v32
	v_fma_f32 v32, -v20, v33, v34
	s_lshl_b32 s14, s14, 2
	v_fma_f32 v0, -v27, v0, v2
	s_waitcnt lgkmcnt(4)
	v_fma_f32 v1, -v22, v40, v1
	s_delay_alu instid0(VALU_DEP_2) | instskip(SKIP_1) | instid1(VALU_DEP_2)
	v_fma_f32 v36, -v22, v39, v0
	s_waitcnt lgkmcnt(2)
	v_fma_f32 v1, -v21, v42, v1
	s_waitcnt lgkmcnt(0)
	s_delay_alu instid0(VALU_DEP_1) | instskip(NEXT) | instid1(VALU_DEP_1)
	v_fma_f32 v34, -v20, v38, v1
	v_fma_f32 v38, -v3, v31, v34
	v_mov_b32_e32 v31, s17
	s_lshl_b32 s17, s20, 2
	s_add_i32 s20, s4, -11
	v_mov_b32_e32 v34, s17
	s_add_i32 s17, s18, s6
	v_fma_f32 v32, -v3, v35, v32
	s_lshl_b32 s17, s17, 2
	v_mov_b32_e32 v33, s14
	s_add_i32 s14, s3, 0xfffffce8
	s_add_i32 s22, s20, s11
	v_mul_f32_e32 v2, v43, v32
	ds_load_2addr_b32 v[31:32], v31 offset1:1
	ds_load_2addr_b32 v[0:1], v33 offset1:1
	v_fma_f32 v33, -v21, v41, v36
	v_mov_b32_e32 v36, s17
	s_add_i32 s17, s3, 0xfffffc64
	s_delay_alu instid0(SALU_CYCLE_1) | instskip(NEXT) | instid1(VALU_DEP_3)
	v_mov_b32_e32 v41, s17
	v_fma_f32 v37, -v20, v37, v33
	ds_load_2addr_b32 v[33:34], v34 offset1:1
	s_add_i32 s17, s18, s10
	s_delay_alu instid0(SALU_CYCLE_1)
	s_lshl_b32 s17, s17, 2
	v_mov_b32_e32 v35, s14
	s_add_i32 s14, s5, 0xffffff40
	v_fma_f32 v30, -v3, v30, v37
	s_add_i32 s19, s16, s14
	s_lshl_b32 s16, s16, 5
	s_lshl_b32 s19, s19, 2
	s_waitcnt lgkmcnt(2)
	v_fma_f32 v32, -v27, v32, v29
	s_waitcnt lgkmcnt(1)
	v_fma_f32 v1, -v2, v1, v38
	v_mov_b32_e32 v38, s17
	s_add_i32 s17, s18, s9
	ds_load_b32 v39, v35
	s_lshl_b32 s17, s17, 2
	v_fma_f32 v0, -v2, v0, v30
	v_mov_b32_e32 v42, s17
	s_add_i32 s17, s18, s11
	ds_load_2addr_b32 v[37:38], v38 offset1:1
	s_lshl_b32 s17, s17, 2
	v_mov_b32_e32 v35, s19
	s_waitcnt lgkmcnt(2)
	v_fma_f32 v32, -v22, v34, v32
	v_mov_b32_e32 v34, s17
	ds_load_2addr_b32 v[29:30], v42 offset1:1
	s_add_i32 s17, s18, s14
	ds_load_b32 v40, v35
	ds_load_2addr_b32 v[35:36], v36 offset1:1
	s_lshl_b32 s17, s17, 2
	s_add_i32 s19, s18, s16
	v_fma_f32 v7, -v27, v31, v7
	s_lshl_b32 s19, s19, 2
	s_waitcnt lgkmcnt(4)
	v_dual_mov_b32 v42, s19 :: v_dual_mul_f32 v1, v39, v1
	s_add_i32 s19, s20, s7
	v_fma_f32 v7, -v22, v33, v7
	s_waitcnt lgkmcnt(1)
	s_delay_alu instid0(VALU_DEP_2)
	v_fma_f32 v0, -v1, v40, v0
	s_waitcnt lgkmcnt(0)
	v_fma_f32 v32, -v21, v36, v32
	v_mov_b32_e32 v36, s17
	ds_load_b32 v41, v41
	s_add_i32 s17, s3, 0xfffffbe0
	v_fma_f32 v7, -v21, v35, v7
	v_fma_f32 v32, -v20, v38, v32
	s_delay_alu instid0(VALU_DEP_2) | instskip(NEXT) | instid1(VALU_DEP_2)
	v_fma_f32 v49, -v20, v37, v7
	v_fma_f32 v48, -v3, v30, v32
	v_mov_b32_e32 v32, s17
	s_add_i32 s17, s20, s5
	s_delay_alu instid0(SALU_CYCLE_1)
	s_lshl_b32 s17, s17, 2
	v_fma_f32 v29, -v3, v29, v49
	v_mov_b32_e32 v30, s17
	s_lshl_b32 s17, s19, 2
	s_add_i32 s19, s20, s10
	v_mov_b32_e32 v33, s17
	s_add_i32 s17, s20, s6
	s_lshl_b32 s19, s19, 2
	s_waitcnt lgkmcnt(0)
	v_mul_f32_e32 v0, v41, v0
	s_lshl_b32 s17, s17, 2
	ds_load_2addr_b32 v[38:39], v34 offset1:1
	ds_load_2addr_b32 v[40:41], v36 offset1:1
	ds_load_2addr_b32 v[42:43], v42 offset1:1
	v_mov_b32_e32 v34, s17
	s_add_i32 s17, s5, 0xffffff00
	v_mov_b32_e32 v36, s19
	s_add_i32 s21, s18, s17
	s_lshl_b32 s18, s18, 5
	s_lshl_b32 s19, s21, 2
	s_add_i32 s21, s20, s9
	v_mov_b32_e32 v51, s19
	s_lshl_b32 s21, s21, 2
	s_add_i32 s33, s31, s18
	v_mov_b32_e32 v7, s21
	ds_load_2addr_b32 v[30:31], v30 offset1:1
	ds_load_b32 v50, v32
	ds_load_2addr_b32 v[32:33], v33 offset1:1
	ds_load_2addr_b32 v[34:35], v34 offset1:1
	s_lshl_b32 s21, s22, 2
	s_add_i32 s22, s4, -13
	v_mov_b32_e32 v44, s21
	s_add_i32 s21, s20, s14
	s_waitcnt lgkmcnt(6)
	v_fma_f32 v29, -v2, v38, v29
	s_lshl_b32 s21, s21, 2
	s_add_i32 s24, s22, s10
	ds_load_2addr_b32 v[44:45], v44 offset1:1
	s_waitcnt lgkmcnt(6)
	v_fma_f32 v29, -v1, v40, v29
	s_waitcnt lgkmcnt(5)
	s_delay_alu instid0(VALU_DEP_1)
	v_fma_f32 v29, -v0, v42, v29
	s_waitcnt lgkmcnt(4)
	v_fma_f32 v31, -v27, v31, v6
	ds_load_2addr_b32 v[6:7], v7 offset1:1
	v_fma_f32 v5, -v27, v30, v5
	v_mov_b32_e32 v30, s23
	s_add_i32 s23, s22, s6
	s_waitcnt lgkmcnt(3)
	v_fma_f32 v31, -v22, v33, v31
	v_mov_b32_e32 v33, s21
	s_add_i32 s21, s20, s16
	v_fma_f32 v5, -v22, v32, v5
	s_lshl_b32 s19, s21, 2
	s_waitcnt lgkmcnt(2)
	v_fma_f32 v31, -v21, v35, v31
	v_mov_b32_e32 v35, s19
	ds_load_2addr_b32 v[36:37], v36 offset1:1
	ds_load_2addr_b32 v[46:47], v33 offset1:1
	v_fma_f32 v33, -v2, v39, v48
	ds_load_b32 v39, v51
	ds_load_2addr_b32 v[48:49], v35 offset1:1
	s_add_i32 s19, s3, 0xfffffb5c
	s_add_i32 s21, s20, s18
	v_fma_f32 v33, -v1, v41, v33
	s_lshl_b32 s21, s21, 2
	s_lshl_b32 s23, s23, 2
	v_fma_f32 v5, -v21, v34, v5
	s_waitcnt lgkmcnt(3)
	v_fma_f32 v31, -v20, v37, v31
	s_delay_alu instid0(VALU_DEP_2) | instskip(NEXT) | instid1(VALU_DEP_2)
	v_fma_f32 v5, -v20, v36, v5
	v_fma_f32 v7, -v3, v7, v31
	;; [unrolled: 1-line block ×3, first 2 shown]
	s_delay_alu instid0(VALU_DEP_3) | instskip(NEXT) | instid1(VALU_DEP_3)
	v_fma_f32 v5, -v3, v6, v5
	v_fma_f32 v33, -v2, v45, v7
	s_delay_alu instid0(VALU_DEP_3)
	v_mul_f32_e32 v7, v50, v31
	v_mov_b32_e32 v31, s19
	s_add_i32 s19, s20, s17
	v_fma_f32 v5, -v2, v44, v5
	s_waitcnt lgkmcnt(2)
	v_fma_f32 v33, -v1, v47, v33
	s_lshl_b32 s19, s19, 2
	ds_load_b32 v53, v31
	v_mov_b32_e32 v31, s19
	s_add_i32 s19, s5, 0xfffffec0
	s_waitcnt lgkmcnt(1)
	v_fma_f32 v54, -v0, v49, v33
	v_mov_b32_e32 v33, s21
	s_add_i32 s21, s20, s19
	v_fma_f32 v47, -v7, v39, v29
	s_lshl_b32 s21, s21, 2
	v_fma_f32 v5, -v1, v46, v5
	v_mov_b32_e32 v29, s21
	s_add_i32 s21, s22, s5
	s_lshl_b32 s20, s20, 5
	s_lshl_b32 s21, s21, 2
	v_fma_f32 v5, -v0, v48, v5
	v_mov_b32_e32 v35, s21
	s_add_i32 s21, s22, s7
	ds_load_b32 v55, v29
	ds_load_b32 v56, v30
	ds_load_2addr_b32 v[29:30], v35 offset1:1
	s_lshl_b32 s21, s21, 2
	ds_load_2addr_b32 v[31:32], v31 offset1:1
	ds_load_2addr_b32 v[37:38], v33 offset1:1
	v_mov_b32_e32 v35, s21
	s_add_i32 s21, s3, 0xfffffad8
	s_delay_alu instid0(SALU_CYCLE_1)
	v_mov_b32_e32 v41, s21
	ds_load_2addr_b32 v[33:34], v35 offset1:1
	v_mov_b32_e32 v35, s23
	s_lshl_b32 s23, s24, 2
	s_add_i32 s24, s4, -15
	v_mov_b32_e32 v39, s23
	s_add_i32 s23, s22, s9
	ds_load_2addr_b32 v[35:36], v35 offset1:1
	s_lshl_b32 s21, s23, 2
	s_add_i32 s25, s24, s10
	v_mov_b32_e32 v6, s21
	ds_load_2addr_b32 v[39:40], v39 offset1:1
	s_add_i32 s21, s22, s11
	s_waitcnt lgkmcnt(5)
	v_fma_f32 v11, -v27, v29, v11
	s_lshl_b32 s25, s25, 2
	v_fma_f32 v4, -v27, v30, v4
	s_lshl_b32 s21, s21, 2
	ds_load_b32 v30, v41
	ds_load_2addr_b32 v[41:42], v6 offset1:1
	s_add_i32 s23, s22, s16
	s_waitcnt lgkmcnt(6)
	v_fma_f32 v32, -v7, v32, v54
	s_waitcnt lgkmcnt(4)
	v_fma_f32 v11, -v22, v33, v11
	v_fma_f32 v4, -v22, v34, v4
	;; [unrolled: 1-line block ×3, first 2 shown]
	s_waitcnt lgkmcnt(3)
	s_delay_alu instid0(VALU_DEP_3)
	v_fma_f32 v11, -v21, v35, v11
	v_mov_b32_e32 v35, s25
	s_add_i32 s25, s24, s9
	v_fma_f32 v4, -v21, v36, v4
	s_lshl_b32 s25, s25, 2
	v_mov_b32_e32 v43, s21
	s_add_i32 s21, s22, s14
	ds_load_2addr_b32 v[35:36], v35 offset1:1
	s_lshl_b32 s21, s21, 2
	ds_load_2addr_b32 v[43:44], v43 offset1:1
	v_mov_b32_e32 v6, s21
	s_lshl_b32 s21, s23, 2
	s_add_i32 s23, s24, s7
	v_mov_b32_e32 v34, s21
	s_add_i32 s21, s22, s17
	ds_load_2addr_b32 v[49:50], v6 offset1:1
	s_lshl_b32 s21, s21, 2
	ds_load_2addr_b32 v[51:52], v34 offset1:1
	s_waitcnt lgkmcnt(6)
	v_fma_f32 v4, -v20, v40, v4
	v_mov_b32_e32 v6, s21
	s_add_i32 s21, s22, s18
	v_fma_f32 v11, -v20, v39, v11
	s_lshl_b32 s21, s21, 2
	s_waitcnt lgkmcnt(4)
	v_fma_f32 v4, -v3, v42, v4
	v_mov_b32_e32 v34, s21
	ds_load_2addr_b32 v[45:46], v6 offset1:1
	v_mul_f32_e32 v6, v53, v47
	s_add_i32 s21, s22, s19
	v_fma_f32 v11, -v3, v41, v11
	ds_load_2addr_b32 v[47:48], v34 offset1:1
	s_waitcnt lgkmcnt(4)
	v_fma_f32 v4, -v2, v44, v4
	v_fma_f32 v32, -v6, v38, v32
	s_lshl_b32 s21, s21, 2
	v_fma_f32 v11, -v2, v43, v11
	v_mov_b32_e32 v42, s21
	s_waitcnt lgkmcnt(3)
	v_fma_f32 v4, -v1, v50, v4
	v_mul_f32_e32 v5, v30, v32
	v_fma_f32 v30, -v6, v37, v31
	s_add_i32 s21, s24, s5
	v_fma_f32 v11, -v1, v49, v11
	s_waitcnt lgkmcnt(2)
	v_fma_f32 v4, -v0, v52, v4
	s_lshl_b32 s21, s21, 2
	v_fma_f32 v30, -v5, v55, v30
	v_mov_b32_e32 v29, s21
	s_lshl_b32 s21, s23, 2
	s_waitcnt lgkmcnt(1)
	v_fma_f32 v31, -v7, v46, v4
	s_add_i32 s23, s22, s20
	v_mul_f32_e32 v4, v56, v30
	ds_load_2addr_b32 v[29:30], v29 offset1:1
	s_lshl_b32 s23, s23, 2
	s_waitcnt lgkmcnt(1)
	v_fma_f32 v56, -v6, v48, v31
	v_mov_b32_e32 v31, s21
	s_add_i32 s21, s24, s6
	v_mov_b32_e32 v41, s23
	s_lshl_b32 s21, s21, 2
	v_fma_f32 v46, -v0, v51, v11
	ds_load_2addr_b32 v[31:32], v31 offset1:1
	v_mov_b32_e32 v33, s21
	s_add_i32 s21, s5, 0xfffffe80
	s_delay_alu instid0(SALU_CYCLE_1)
	s_add_i32 s26, s22, s21
	v_fma_f32 v57, -v7, v45, v46
	ds_load_2addr_b32 v[33:34], v33 offset1:1
	s_lshl_b32 s23, s26, 2
	s_add_i32 s26, s24, s18
	s_waitcnt lgkmcnt(2)
	v_fma_f32 v10, -v27, v30, v10
	v_mov_b32_e32 v30, s25
	s_add_i32 s25, s24, s11
	v_fma_f32 v9, -v27, v29, v9
	s_lshl_b32 s25, s25, 2
	ds_load_2addr_b32 v[37:38], v30 offset1:1
	s_waitcnt lgkmcnt(2)
	v_fma_f32 v10, -v22, v32, v10
	v_mov_b32_e32 v32, s25
	s_add_i32 s25, s24, s16
	v_fma_f32 v9, -v22, v31, v9
	ds_load_2addr_b32 v[39:40], v32 offset1:1
	v_mov_b32_e32 v30, s23
	s_waitcnt lgkmcnt(2)
	v_fma_f32 v34, -v21, v34, v10
	ds_load_2addr_b32 v[10:11], v42 offset1:1
	ds_load_2addr_b32 v[41:42], v41 offset1:1
	ds_load_2addr_b32 v[43:44], v30 offset1:1
	s_add_i32 s23, s24, s14
	v_fma_f32 v9, -v21, v33, v9
	s_lshl_b32 s23, s23, 2
	v_fma_f32 v34, -v20, v36, v34
	v_mov_b32_e32 v32, s23
	s_lshl_b32 s23, s25, 2
	s_add_i32 s25, s24, s17
	v_mov_b32_e32 v30, s23
	s_lshl_b32 s25, s25, 2
	ds_load_2addr_b32 v[45:46], v32 offset1:1
	s_add_i32 s23, s3, 0xfffff94c
	v_fma_f32 v9, -v20, v35, v9
	ds_load_2addr_b32 v[48:49], v30 offset1:1
	v_mov_b32_e32 v32, s25
	s_lshl_b32 s25, s26, 2
	s_waitcnt lgkmcnt(6)
	v_fma_f32 v30, -v3, v38, v34
	v_mov_b32_e32 v34, s23
	s_waitcnt lgkmcnt(4)
	v_fma_f32 v11, -v5, v11, v56
	ds_load_2addr_b32 v[50:51], v32 offset1:1
	s_add_i32 s23, s24, s19
	v_fma_f32 v30, -v2, v40, v30
	s_lshl_b32 s23, s23, 2
	s_waitcnt lgkmcnt(4)
	v_fma_f32 v11, -v4, v42, v11
	v_mov_b32_e32 v36, s25
	ds_load_b32 v34, v34
	s_sub_i32 s26, s4, 17
	s_add_i32 s25, s24, s21
	s_waitcnt lgkmcnt(4)
	v_mul_f32_e32 v11, v44, v11
	ds_load_2addr_b32 v[52:53], v36 offset1:1
	v_mov_b32_e32 v32, s23
	s_add_i32 s23, s24, s20
	s_waitcnt lgkmcnt(4)
	v_fma_f32 v30, -v1, v46, v30
	s_lshl_b32 s23, s23, 2
	s_add_i32 s27, s26, s6
	v_mov_b32_e32 v36, s23
	ds_load_2addr_b32 v[54:55], v32 offset1:1
	v_fma_f32 v32, -v6, v47, v57
	s_waitcnt lgkmcnt(4)
	v_fma_f32 v30, -v0, v49, v30
	s_add_i32 s23, s26, s5
	ds_load_2addr_b32 v[46:47], v36 offset1:1
	s_lshl_b32 s23, s23, 2
	v_fma_f32 v10, -v5, v10, v32
	s_waitcnt lgkmcnt(4)
	v_fma_f32 v30, -v7, v51, v30
	s_lshl_b32 s25, s25, 2
	v_fma_f32 v9, -v3, v37, v9
	v_fma_f32 v10, -v4, v41, v10
	s_waitcnt lgkmcnt(2)
	v_fma_f32 v30, -v6, v53, v30
	s_delay_alu instid0(VALU_DEP_3) | instskip(NEXT) | instid1(VALU_DEP_3)
	v_fma_f32 v9, -v2, v39, v9
	v_fma_f32 v10, -v11, v43, v10
	s_delay_alu instid0(VALU_DEP_2) | instskip(SKIP_2) | instid1(VALU_DEP_2)
	v_fma_f32 v9, -v1, v45, v9
	s_waitcnt lgkmcnt(1)
	v_fma_f32 v29, -v5, v55, v30
	v_fma_f32 v9, -v0, v48, v9
	s_waitcnt lgkmcnt(0)
	s_delay_alu instid0(VALU_DEP_2) | instskip(SKIP_2) | instid1(SALU_CYCLE_1)
	v_fma_f32 v57, -v4, v47, v29
	v_mov_b32_e32 v29, s23
	s_add_i32 s23, s26, s7
	s_lshl_b32 s23, s23, 2
	v_fma_f32 v9, -v7, v50, v9
	v_mov_b32_e32 v31, s23
	ds_load_2addr_b32 v[29:30], v29 offset1:1
	s_lshl_b32 s23, s22, 5
	s_lshl_b32 s22, s27, 2
	s_add_i32 s27, s26, s9
	ds_load_2addr_b32 v[31:32], v31 offset1:1
	v_dual_mul_f32 v10, v34, v10 :: v_dual_mov_b32 v33, s22
	s_add_i32 s22, s24, s23
	s_lshl_b32 s27, s27, 2
	s_lshl_b32 s22, s22, 2
	s_delay_alu instid0(SALU_CYCLE_1)
	v_dual_mov_b32 v43, s25 :: v_dual_mov_b32 v44, s22
	s_add_i32 s25, s26, s10
	ds_load_2addr_b32 v[33:34], v33 offset1:1
	s_lshl_b32 s25, s25, 2
	s_add_i32 s22, s5, 0xfffffe40
	v_mov_b32_e32 v35, s25
	s_add_i32 s25, s24, s22
	s_delay_alu instid0(SALU_CYCLE_1)
	s_lshl_b32 s25, s25, 2
	s_waitcnt lgkmcnt(2)
	v_fma_f32 v8, -v27, v30, v8
	v_mov_b32_e32 v30, s27
	ds_load_2addr_b32 v[35:36], v35 offset1:1
	s_add_i32 s27, s26, s14
	v_fma_f32 v15, -v27, v29, v15
	s_waitcnt lgkmcnt(2)
	v_fma_f32 v8, -v22, v32, v8
	v_mov_b32_e32 v32, s25
	s_add_i32 s25, s26, s11
	ds_load_2addr_b32 v[37:38], v30 offset1:1
	s_lshl_b32 s25, s25, 2
	v_fma_f32 v15, -v22, v31, v15
	v_mov_b32_e32 v30, s25
	s_lshl_b32 s25, s27, 2
	s_waitcnt lgkmcnt(2)
	v_fma_f32 v8, -v21, v34, v8
	v_fma_f32 v34, -v6, v52, v9
	v_mov_b32_e32 v9, s25
	s_add_i32 s25, s26, s16
	ds_load_2addr_b32 v[39:40], v30 offset1:1
	s_lshl_b32 s25, s25, 2
	s_add_i32 s27, s26, s18
	ds_load_2addr_b32 v[41:42], v9 offset1:1
	v_mov_b32_e32 v31, s30
	s_waitcnt lgkmcnt(3)
	v_fma_f32 v30, -v20, v36, v8
	v_mov_b32_e32 v36, s25
	s_add_i32 s25, s26, s17
	ds_load_2addr_b32 v[8:9], v43 offset1:1
	ds_load_2addr_b32 v[43:44], v44 offset1:1
	;; [unrolled: 1-line block ×3, first 2 shown]
	s_lshl_b32 s25, s25, 2
	v_fma_f32 v32, -v5, v54, v34
	v_mov_b32_e32 v34, s25
	s_lshl_b32 s25, s27, 2
	ds_load_2addr_b32 v[49:50], v36 offset1:1
	s_waitcnt lgkmcnt(6)
	v_fma_f32 v30, -v3, v38, v30
	v_fma_f32 v32, -v4, v46, v32
	ds_load_2addr_b32 v[51:52], v34 offset1:1
	v_mov_b32_e32 v36, s25
	s_add_i32 s25, s26, s19
	s_add_i32 s27, s3, 0xfffff844
	s_lshl_b32 s25, s25, 2
	s_waitcnt lgkmcnt(6)
	v_fma_f32 v30, -v2, v40, v30
	v_mov_b32_e32 v38, s25
	s_add_i32 s25, s26, s20
	ds_load_2addr_b32 v[53:54], v36 offset1:1
	s_lshl_b32 s25, s25, 2
	s_waitcnt lgkmcnt(5)
	v_fma_f32 v8, -v11, v8, v32
	ds_load_2addr_b32 v[55:56], v38 offset1:1
	v_mov_b32_e32 v36, s25
	s_add_i32 s25, s26, s21
	v_fma_f32 v30, -v1, v42, v30
	s_lshl_b32 s25, s25, 2
	s_waitcnt lgkmcnt(5)
	v_fma_f32 v8, -v10, v43, v8
	v_mov_b32_e32 v32, s25
	ds_load_2addr_b32 v[45:46], v36 offset1:1
	s_waitcnt lgkmcnt(4)
	v_fma_f32 v30, -v0, v50, v30
	s_add_i32 s25, s26, s23
	v_fma_f32 v9, -v11, v9, v57
	ds_load_2addr_b32 v[42:43], v32 offset1:1
	v_mov_b32_e32 v34, s27
	s_lshl_b32 s25, s25, 2
	s_waitcnt lgkmcnt(4)
	v_fma_f32 v30, -v7, v52, v30
	v_mov_b32_e32 v36, s25
	s_lshl_b32 s25, s24, 5
	ds_load_b32 v34, v34
	s_add_i32 s24, s5, 0xfffffe00
	s_waitcnt lgkmcnt(4)
	v_fma_f32 v30, -v6, v54, v30
	s_add_i32 s28, s26, s24
	v_fma_f32 v9, -v10, v44, v9
	s_lshl_b32 s28, s28, 2
	v_fma_f32 v15, -v21, v33, v15
	v_mov_b32_e32 v29, s28
	s_sub_i32 s28, s4, 19
	s_waitcnt lgkmcnt(3)
	v_fma_f32 v30, -v5, v56, v30
	s_add_i32 s29, s28, s5
	v_mul_f32_e32 v9, v48, v9
	s_lshl_b32 s29, s29, 2
	s_add_i32 s27, s26, s22
	v_mov_b32_e32 v32, s29
	s_add_i32 s29, s28, s7
	s_waitcnt lgkmcnt(2)
	v_fma_f32 v44, -v4, v46, v30
	s_lshl_b32 s29, s29, 2
	ds_load_2addr_b32 v[29:30], v29 offset1:1
	ds_load_b32 v58, v31
	ds_load_2addr_b32 v[31:32], v32 offset1:1
	v_fma_f32 v8, -v9, v47, v8
	s_lshl_b32 s27, s27, 2
	v_fma_f32 v15, -v20, v35, v15
	v_dual_mov_b32 v33, s29 :: v_dual_mov_b32 v40, s27
	s_add_i32 s27, s26, s25
	s_waitcnt lgkmcnt(3)
	v_mul_f32_e32 v8, v34, v8
	s_lshl_b32 s27, s27, 2
	v_fma_f32 v15, -v3, v37, v15
	ds_load_2addr_b32 v[33:34], v33 offset1:1
	ds_load_2addr_b32 v[35:36], v36 offset1:1
	v_mov_b32_e32 v46, s27
	s_add_i32 s27, s28, s6
	v_fma_f32 v15, -v2, v39, v15
	s_lshl_b32 s27, s27, 2
	s_add_i32 s29, s28, s11
	v_mov_b32_e32 v37, s27
	s_add_i32 s27, s28, s10
	v_fma_f32 v15, -v1, v41, v15
	s_lshl_b32 s27, s27, 2
	s_waitcnt lgkmcnt(2)
	v_fma_f32 v14, -v27, v32, v14
	ds_load_2addr_b32 v[37:38], v37 offset1:1
	v_mov_b32_e32 v41, s27
	s_add_i32 s27, s28, s9
	ds_load_2addr_b32 v[39:40], v40 offset1:1
	ds_load_2addr_b32 v[46:47], v46 offset1:1
	s_lshl_b32 s27, s27, 2
	v_fma_f32 v50, -v11, v43, v44
	v_mov_b32_e32 v32, s27
	s_lshl_b32 s27, s29, 2
	v_fma_f32 v15, -v0, v49, v15
	ds_load_2addr_b32 v[43:44], v41 offset1:1
	v_mov_b32_e32 v41, s27
	s_add_i32 s27, s28, s14
	s_waitcnt lgkmcnt(5)
	v_fma_f32 v14, -v22, v34, v14
	s_lshl_b32 s27, s27, 2
	v_fma_f32 v15, -v7, v51, v15
	ds_load_2addr_b32 v[48:49], v32 offset1:1
	v_mov_b32_e32 v34, s27
	s_add_i32 s27, s28, s16
	s_add_i32 s29, s28, s17
	v_fma_f32 v15, -v6, v53, v15
	s_lshl_b32 s27, s27, 2
	ds_load_2addr_b32 v[52:53], v34 offset1:1
	s_waitcnt lgkmcnt(6)
	v_fma_f32 v32, -v10, v36, v50
	ds_load_2addr_b32 v[50:51], v41 offset1:1
	s_waitcnt lgkmcnt(6)
	v_fma_f32 v14, -v21, v38, v14
	v_fma_f32 v15, -v5, v55, v15
	v_mov_b32_e32 v34, s27
	s_lshl_b32 s27, s29, 2
	s_waitcnt lgkmcnt(5)
	v_fma_f32 v32, -v9, v40, v32
	s_waitcnt lgkmcnt(3)
	v_fma_f32 v14, -v20, v44, v14
	v_fma_f32 v15, -v4, v45, v15
	v_mov_b32_e32 v36, s27
	ds_load_2addr_b32 v[44:45], v34 offset1:1
	s_add_i32 s27, s28, s18
	s_add_i32 s29, s28, s20
	s_waitcnt lgkmcnt(3)
	v_fma_f32 v14, -v3, v49, v14
	ds_load_2addr_b32 v[40:41], v36 offset1:1
	s_lshl_b32 s27, s27, 2
	s_add_i32 s30, s31, s17
	v_mov_b32_e32 v34, s27
	s_add_i32 s27, s28, s19
	s_lshl_b32 s30, s30, 2
	s_lshl_b32 s27, s27, 2
	s_waitcnt lgkmcnt(2)
	v_fma_f32 v14, -v2, v51, v14
	ds_load_2addr_b32 v[54:55], v34 offset1:1
	v_mov_b32_e32 v34, s27
	s_lshl_b32 s27, s29, 2
	v_fma_f32 v15, -v11, v42, v15
	v_fma_f32 v14, -v1, v53, v14
	v_mov_b32_e32 v36, s27
	s_add_i32 s27, s28, s21
	ds_load_2addr_b32 v[56:57], v34 offset1:1
	s_lshl_b32 s27, s27, 2
	s_waitcnt lgkmcnt(3)
	v_fma_f32 v14, -v0, v45, v14
	v_mov_b32_e32 v38, s27
	s_add_i32 s27, s28, s23
	v_fma_f32 v15, -v10, v35, v15
	s_lshl_b32 s27, s27, 2
	s_waitcnt lgkmcnt(2)
	v_fma_f32 v14, -v7, v41, v14
	v_mov_b32_e32 v41, s27
	v_fma_f32 v32, -v8, v47, v32
	s_add_i32 s27, s28, s22
	s_lshl_b32 s26, s26, 5
	s_lshl_b32 s27, s27, 2
	ds_load_2addr_b32 v[41:42], v41 offset1:1
	ds_load_2addr_b32 v[34:35], v36 offset1:1
	v_fma_f32 v36, -v9, v39, v15
	ds_load_2addr_b32 v[38:39], v38 offset1:1
	s_waitcnt lgkmcnt(4)
	v_fma_f32 v14, -v6, v55, v14
	v_dual_mul_f32 v15, v30, v32 :: v_dual_mov_b32 v32, s27
	s_add_i32 s27, s28, s25
	s_add_i32 s29, s28, s26
	s_lshl_b32 s27, s27, 2
	s_waitcnt lgkmcnt(3)
	v_fma_f32 v14, -v5, v57, v14
	v_mov_b32_e32 v45, s27
	v_fma_f32 v30, -v8, v46, v36
	s_add_i32 s27, s28, s24
	s_lshl_b32 s29, s29, 2
	s_lshl_b32 s27, s27, 2
	v_fma_f32 v28, -v27, v31, v28
	v_fma_f32 v36, -v15, v29, v30
	ds_load_2addr_b32 v[29:30], v32 offset1:1
	s_waitcnt lgkmcnt(2)
	v_fma_f32 v35, -v4, v35, v14
	v_mul_f32_e32 v14, v58, v36
	v_fma_f32 v28, -v22, v33, v28
	s_waitcnt lgkmcnt(1)
	s_delay_alu instid0(VALU_DEP_3)
	v_fma_f32 v32, -v11, v39, v35
	ds_load_2addr_b32 v[35:36], v45 offset1:1
	v_mov_b32_e32 v39, s27
	v_mov_b32_e32 v45, s29
	s_add_i32 s27, s31, s5
	v_fma_f32 v42, -v10, v42, v32
	ds_load_2addr_b32 v[31:32], v39 offset1:1
	ds_load_2addr_b32 v[45:46], v45 offset1:1
	s_lshl_b32 s27, s27, 2
	v_fma_f32 v28, -v21, v37, v28
	v_mov_b32_e32 v33, s27
	s_add_i32 s27, s31, s7
	s_waitcnt lgkmcnt(3)
	v_fma_f32 v30, -v9, v30, v42
	s_lshl_b32 s27, s27, 2
	v_fma_f32 v28, -v20, v43, v28
	v_mov_b32_e32 v39, s27
	s_add_i32 s27, s31, s6
	s_delay_alu instid0(SALU_CYCLE_1) | instskip(NEXT) | instid1(VALU_DEP_2)
	s_lshl_b32 s27, s27, 2
	v_fma_f32 v28, -v3, v48, v28
	ds_load_2addr_b32 v[42:43], v39 offset1:1
	s_waitcnt lgkmcnt(3)
	v_fma_f32 v30, -v8, v36, v30
	ds_load_2addr_b32 v[36:37], v33 offset1:1
	v_mov_b32_e32 v33, s27
	s_add_i32 s27, s31, s10
	v_fma_f32 v28, -v2, v50, v28
	s_lshl_b32 s27, s27, 2
	s_waitcnt lgkmcnt(3)
	v_fma_f32 v30, -v15, v32, v30
	v_mov_b32_e32 v39, s27
	ds_load_2addr_b32 v[32:33], v33 offset1:1
	s_add_i32 s27, s31, s9
	v_fma_f32 v28, -v1, v52, v28
	s_lshl_b32 s29, s27, 2
	ds_load_2addr_b32 v[47:48], v39 offset1:1
	v_mov_b32_e32 v49, s29
	s_add_i32 s29, s31, s11
	v_fma_f32 v28, -v0, v44, v28
	s_lshl_b32 s29, s29, 2
	s_add_i32 s27, s5, 0xfffffdc0
	ds_load_2addr_b32 v[49:50], v49 offset1:1
	v_fma_f32 v28, -v7, v40, v28
	s_waitcnt lgkmcnt(3)
	v_fma_f32 v13, -v27, v37, v13
	v_mov_b32_e32 v37, s29
	s_add_i32 s29, s31, s14
	v_fma_f32 v12, -v27, v36, v12
	s_lshl_b32 s29, s29, 2
	v_fma_f32 v13, -v22, v43, v13
	ds_load_2addr_b32 v[43:44], v37 offset1:1
	v_mov_b32_e32 v37, s29
	s_add_i32 s29, s31, s16
	v_fma_f32 v28, -v6, v54, v28
	s_lshl_b32 s29, s29, 2
	s_waitcnt lgkmcnt(3)
	v_fma_f32 v13, -v21, v33, v13
	v_mov_b32_e32 v33, s29
	ds_load_2addr_b32 v[39:40], v37 offset1:1
	s_add_i32 s29, s28, s27
	v_fma_f32 v28, -v5, v56, v28
	s_waitcnt lgkmcnt(3)
	v_fma_f32 v13, -v20, v48, v13
	ds_load_2addr_b32 v[51:52], v33 offset1:1
	v_mov_b32_e32 v33, s30
	s_lshl_b32 s29, s29, 2
	s_lshl_b32 s30, s33, 2
	v_fma_f32 v28, -v4, v34, v28
	v_mov_b32_e32 v37, s30
	ds_load_2addr_b32 v[53:54], v33 offset1:1
	s_waitcnt lgkmcnt(4)
	v_fma_f32 v13, -v3, v50, v13
	s_add_i32 s30, s31, s21
	v_fma_f32 v28, -v11, v38, v28
	ds_load_2addr_b32 v[33:34], v37 offset1:1
	v_fma_f32 v12, -v22, v42, v12
	s_waitcnt lgkmcnt(4)
	v_fma_f32 v13, -v2, v44, v13
	v_mov_b32_e32 v44, s29
	s_add_i32 s29, s31, s19
	v_fma_f32 v28, -v10, v41, v28
	s_lshl_b32 s29, s29, 2
	s_waitcnt lgkmcnt(3)
	v_fma_f32 v13, -v1, v40, v13
	v_fma_f32 v32, -v21, v32, v12
	s_sub_i32 s33, s4, 23
	s_lshl_b32 s28, s28, 5
	s_add_i32 s34, s33, s6
	s_waitcnt lgkmcnt(2)
	v_fma_f32 v13, -v0, v52, v13
	v_fma_f32 v32, -v20, v47, v32
	s_waitcnt lgkmcnt(1)
	s_delay_alu instid0(VALU_DEP_2)
	v_fma_f32 v13, -v7, v54, v13
	ds_load_2addr_b32 v[54:55], v44 offset1:1
	v_mov_b32_e32 v37, s29
	s_add_i32 s29, s31, s20
	v_fma_f32 v32, -v3, v49, v32
	s_lshl_b32 s29, s29, 2
	s_waitcnt lgkmcnt(1)
	v_fma_f32 v13, -v6, v34, v13
	ds_load_2addr_b32 v[37:38], v37 offset1:1
	v_mov_b32_e32 v40, s29
	s_lshl_b32 s29, s30, 2
	s_add_i32 s30, s31, s25
	v_mov_b32_e32 v48, s29
	s_add_i32 s29, s31, s23
	ds_load_2addr_b32 v[40:41], v40 offset1:1
	s_lshl_b32 s29, s29, 2
	v_fma_f32 v32, -v2, v43, v32
	ds_load_2addr_b32 v[56:57], v48 offset1:1
	v_mov_b32_e32 v44, s29
	s_add_i32 s29, s31, s22
	v_fma_f32 v48, -v9, v29, v28
	s_lshl_b32 s29, s29, 2
	v_fma_f32 v32, -v1, v39, v32
	ds_load_2addr_b32 v[28:29], v44 offset1:1
	v_mov_b32_e32 v34, s29
	s_lshl_b32 s29, s30, 2
	s_add_i32 s30, s3, 0xfffff634
	v_fma_f32 v35, -v8, v35, v48
	v_fma_f32 v32, -v0, v51, v32
	ds_load_2addr_b32 v[58:59], v34 offset1:1
	s_waitcnt lgkmcnt(4)
	v_fma_f32 v13, -v5, v38, v13
	v_mov_b32_e32 v38, s29
	s_add_i32 s29, s31, s24
	v_fma_f32 v31, -v15, v31, v35
	s_lshl_b32 s29, s29, 2
	s_waitcnt lgkmcnt(3)
	v_fma_f32 v13, -v4, v41, v13
	v_mov_b32_e32 v34, s29
	ds_load_2addr_b32 v[60:61], v38 offset1:1
	s_add_i32 s29, s31, s26
	v_fma_f32 v41, -v14, v46, v30
	s_lshl_b32 s29, s29, 2
	ds_load_2addr_b32 v[62:63], v34 offset1:1
	v_mov_b32_e32 v38, s30
	s_waitcnt lgkmcnt(4)
	v_fma_f32 v13, -v11, v57, v13
	v_mov_b32_e32 v34, s29
	s_add_i32 s29, s31, s27
	v_fma_f32 v31, -v14, v45, v31
	ds_load_b32 v38, v38
	s_waitcnt lgkmcnt(4)
	v_fma_f32 v13, -v10, v29, v13
	ds_load_2addr_b32 v[29:30], v34 offset1:1
	s_lshl_b32 s29, s29, 2
	s_add_i32 s30, s31, s28
	v_mov_b32_e32 v35, s29
	s_waitcnt lgkmcnt(4)
	v_fma_f32 v34, -v9, v59, v13
	v_mul_f32_e32 v13, v55, v41
	s_add_i32 s29, s33, s5
	s_lshl_b32 s30, s30, 2
	s_lshl_b32 s29, s29, 2
	s_waitcnt lgkmcnt(3)
	v_fma_f32 v34, -v8, v61, v34
	v_fma_f32 v31, -v13, v54, v31
	v_mov_b32_e32 v49, s30
	s_add_i32 s30, s33, s9
	v_fma_f32 v32, -v7, v53, v32
	s_waitcnt lgkmcnt(2)
	v_fma_f32 v34, -v15, v63, v34
	s_lshl_b32 s30, s30, 2
	s_waitcnt lgkmcnt(1)
	v_mul_f32_e32 v12, v38, v31
	v_fma_f32 v47, -v6, v33, v32
	s_waitcnt lgkmcnt(0)
	v_fma_f32 v55, -v14, v30, v34
	v_mov_b32_e32 v34, s29
	s_add_i32 s29, s33, s7
	ds_load_2addr_b32 v[30:31], v35 offset1:1
	s_lshl_b32 s29, s29, 2
	s_delay_alu instid0(SALU_CYCLE_1)
	v_mov_b32_e32 v36, s29
	s_lshl_b32 s29, s34, 2
	s_add_i32 s34, s33, s11
	v_mov_b32_e32 v38, s29
	s_add_i32 s29, s33, s10
	ds_load_2addr_b32 v[41:42], v36 offset1:1
	s_lshl_b32 s29, s29, 2
	ds_load_2addr_b32 v[38:39], v38 offset1:1
	ds_load_2addr_b32 v[34:35], v34 offset1:1
	v_mov_b32_e32 v36, s29
	s_add_i32 s29, s5, 0xfffffd80
	s_delay_alu instid0(SALU_CYCLE_1)
	s_add_i32 s35, s33, s29
	ds_load_2addr_b32 v[43:44], v36 offset1:1
	v_mov_b32_e32 v36, s30
	s_lshl_b32 s30, s34, 2
	s_add_i32 s34, s33, s16
	v_mov_b32_e32 v45, s30
	s_add_i32 s30, s33, s14
	s_lshl_b32 s34, s34, 2
	s_lshl_b32 s30, s30, 2
	s_waitcnt lgkmcnt(4)
	v_fma_f32 v31, -v13, v31, v55
	ds_load_2addr_b32 v[45:46], v45 offset1:1
	s_waitcnt lgkmcnt(2)
	v_fma_f32 v19, -v27, v35, v19
	ds_load_2addr_b32 v[35:36], v36 offset1:1
	v_fma_f32 v34, -v27, v34, v18
	v_fma_f32 v19, -v22, v42, v19
	v_mov_b32_e32 v42, s30
	s_add_i32 s30, s31, s29
	s_lshl_b32 s31, s31, 5
	s_lshl_b32 s30, s30, 2
	v_fma_f32 v19, -v21, v39, v19
	v_mov_b32_e32 v39, s34
	ds_load_2addr_b32 v[32:33], v42 offset1:1
	s_add_i32 s34, s3, 0xfffff52c
	s_waitcnt lgkmcnt(3)
	v_fma_f32 v19, -v20, v44, v19
	v_fma_f32 v44, -v5, v37, v47
	ds_load_2addr_b32 v[47:48], v39 offset1:1
	v_mov_b32_e32 v42, s30
	s_add_i32 s30, s33, s17
	s_delay_alu instid0(SALU_CYCLE_1)
	s_lshl_b32 s30, s30, 2
	s_waitcnt lgkmcnt(2)
	v_fma_f32 v19, -v3, v36, v19
	v_mov_b32_e32 v36, s30
	s_add_i32 s30, s33, s18
	v_fma_f32 v44, -v4, v40, v44
	s_lshl_b32 s30, s30, 2
	s_delay_alu instid0(SALU_CYCLE_1) | instskip(SKIP_2) | instid1(SALU_CYCLE_1)
	v_mov_b32_e32 v39, s30
	ds_load_2addr_b32 v[36:37], v36 offset1:1
	s_add_i32 s30, s33, s19
	s_lshl_b32 s30, s30, 2
	ds_load_2addr_b32 v[39:40], v39 offset1:1
	v_fma_f32 v19, -v2, v46, v19
	v_mov_b32_e32 v46, s34
	s_add_i32 s34, s33, s20
	ds_load_2addr_b32 v[49:50], v49 offset1:1
	ds_load_2addr_b32 v[51:52], v42 offset1:1
	ds_load_b32 v42, v46
	s_waitcnt lgkmcnt(6)
	v_fma_f32 v19, -v1, v33, v19
	v_mov_b32_e32 v33, s30
	s_lshl_b32 s30, s34, 2
	s_add_i32 s34, s33, s23
	v_mov_b32_e32 v46, s30
	s_waitcnt lgkmcnt(5)
	v_fma_f32 v19, -v0, v48, v19
	s_add_i32 s30, s33, s21
	ds_load_2addr_b32 v[53:54], v33 offset1:1
	s_lshl_b32 s30, s30, 2
	s_waitcnt lgkmcnt(5)
	v_fma_f32 v19, -v7, v37, v19
	v_mov_b32_e32 v37, s30
	s_lshl_b32 s30, s34, 2
	s_waitcnt lgkmcnt(4)
	s_delay_alu instid0(VALU_DEP_2)
	v_fma_f32 v19, -v6, v40, v19
	ds_load_2addr_b32 v[63:64], v37 offset1:1
	v_fma_f32 v33, -v11, v56, v44
	ds_load_2addr_b32 v[55:56], v46 offset1:1
	v_fma_f32 v28, -v10, v28, v33
	v_mov_b32_e32 v33, s30
	s_add_i32 s30, s33, s22
	s_delay_alu instid0(SALU_CYCLE_1) | instskip(NEXT) | instid1(VALU_DEP_2)
	s_lshl_b32 s30, s30, 2
	v_fma_f32 v28, -v9, v58, v28
	v_mov_b32_e32 v37, s30
	ds_load_2addr_b32 v[57:58], v33 offset1:1
	s_add_i32 s30, s33, s25
	s_waitcnt lgkmcnt(3)
	v_fma_f32 v19, -v5, v54, v19
	s_lshl_b32 s30, s30, 2
	v_fma_f32 v28, -v8, v60, v28
	ds_load_2addr_b32 v[59:60], v37 offset1:1
	v_mov_b32_e32 v33, s30
	s_add_i32 s30, s33, s24
	v_fma_f32 v40, -v12, v50, v31
	s_lshl_b32 s30, s30, 2
	v_fma_f32 v28, -v15, v62, v28
	ds_load_2addr_b32 v[65:66], v33 offset1:1
	s_waitcnt lgkmcnt(3)
	v_fma_f32 v19, -v4, v56, v19
	v_mov_b32_e32 v33, s30
	s_add_i32 s30, s33, s26
	s_delay_alu instid0(SALU_CYCLE_1) | instskip(NEXT) | instid1(VALU_DEP_2)
	s_lshl_b32 s30, s30, 2
	v_fma_f32 v19, -v11, v64, v19
	v_mov_b32_e32 v37, s30
	ds_load_2addr_b32 v[61:62], v33 offset1:1
	s_add_i32 s30, s33, s27
	v_fma_f32 v33, -v14, v29, v28
	s_lshl_b32 s30, s30, 2
	s_waitcnt lgkmcnt(3)
	v_fma_f32 v19, -v10, v58, v19
	ds_load_2addr_b32 v[28:29], v37 offset1:1
	v_mov_b32_e32 v37, s30
	v_fma_f32 v33, -v13, v30, v33
	s_add_i32 s30, s33, s28
	s_waitcnt lgkmcnt(3)
	v_fma_f32 v19, -v9, v60, v19
	s_lshl_b32 s30, s30, 2
	ds_load_2addr_b32 v[30:31], v37 offset1:1
	v_mov_b32_e32 v37, s30
	v_fma_f32 v33, -v12, v49, v33
	s_waitcnt lgkmcnt(3)
	v_fma_f32 v44, -v8, v66, v19
	v_mul_f32_e32 v19, v52, v40
	s_sub_i32 s30, s4, 25
	ds_load_2addr_b32 v[48:49], v37 offset1:1
	s_add_i32 s34, s30, s5
	s_add_i32 s36, s30, s14
	s_waitcnt lgkmcnt(3)
	v_fma_f32 v37, -v15, v62, v44
	v_fma_f32 v33, -v19, v51, v33
	s_lshl_b32 s34, s34, 2
	s_waitcnt lgkmcnt(2)
	s_delay_alu instid0(VALU_DEP_2) | instskip(NEXT) | instid1(VALU_DEP_2)
	v_fma_f32 v29, -v14, v29, v37
	v_mul_f32_e32 v18, v42, v33
	v_fma_f32 v33, -v22, v41, v34
	s_waitcnt lgkmcnt(1)
	s_delay_alu instid0(VALU_DEP_3) | instskip(SKIP_4) | instid1(SALU_CYCLE_1)
	v_fma_f32 v29, -v13, v31, v29
	v_mov_b32_e32 v31, s34
	s_add_i32 s34, s30, s7
	v_fma_f32 v37, -v21, v38, v33
	s_lshl_b32 s34, s34, 2
	v_mov_b32_e32 v38, s34
	ds_load_2addr_b32 v[33:34], v31 offset1:1
	s_lshl_b32 s34, s35, 2
	v_fma_f32 v31, -v20, v43, v37
	s_waitcnt lgkmcnt(1)
	v_fma_f32 v71, -v12, v49, v29
	ds_load_2addr_b32 v[37:38], v38 offset1:1
	v_mov_b32_e32 v29, s34
	s_add_i32 s34, s30, s6
	v_fma_f32 v31, -v3, v35, v31
	s_lshl_b32 s34, s34, 2
	s_add_i32 s35, s30, s10
	v_mov_b32_e32 v35, s34
	s_lshl_b32 s34, s35, 2
	v_fma_f32 v31, -v2, v45, v31
	v_mov_b32_e32 v42, s34
	s_add_i32 s35, s30, s9
	ds_load_2addr_b32 v[40:41], v35 offset1:1
	s_lshl_b32 s35, s35, 2
	v_fma_f32 v35, -v1, v32, v31
	ds_load_2addr_b32 v[31:32], v42 offset1:1
	s_add_i32 s34, s33, s31
	s_waitcnt lgkmcnt(3)
	v_fma_f32 v17, -v27, v34, v17
	v_mov_b32_e32 v34, s35
	s_add_i32 s35, s30, s11
	v_fma_f32 v42, -v0, v47, v35
	s_lshl_b32 s35, s35, 2
	s_lshl_b32 s34, s34, 2
	ds_load_2addr_b32 v[34:35], v34 offset1:1
	s_waitcnt lgkmcnt(3)
	v_fma_f32 v17, -v22, v38, v17
	v_mov_b32_e32 v38, s35
	s_lshl_b32 s35, s36, 2
	v_fma_f32 v36, -v7, v36, v42
	v_mov_b32_e32 v44, s35
	s_add_i32 s35, s30, s16
	ds_load_2addr_b32 v[42:43], v38 offset1:1
	s_lshl_b32 s35, s35, 2
	s_waitcnt lgkmcnt(3)
	v_fma_f32 v17, -v21, v41, v17
	v_fma_f32 v36, -v6, v39, v36
	v_mov_b32_e32 v41, s35
	ds_load_2addr_b32 v[38:39], v44 offset1:1
	s_add_i32 s35, s30, s17
	s_waitcnt lgkmcnt(3)
	v_fma_f32 v17, -v20, v32, v17
	s_lshl_b32 s35, s35, 2
	ds_load_2addr_b32 v[44:45], v41 offset1:1
	v_mov_b32_e32 v32, s35
	v_fma_f32 v41, -v5, v53, v36
	s_add_i32 s35, s30, s18
	s_waitcnt lgkmcnt(3)
	v_fma_f32 v17, -v3, v35, v17
	s_lshl_b32 s35, s35, 2
	ds_load_2addr_b32 v[35:36], v32 offset1:1
	v_mov_b32_e32 v46, s35
	s_add_i32 s35, s30, s19
	s_add_i32 s36, s30, s21
	s_lshl_b32 s35, s35, 2
	s_waitcnt lgkmcnt(3)
	v_fma_f32 v17, -v2, v43, v17
	s_lshl_b32 s36, s36, 2
	ds_load_2addr_b32 v[46:47], v46 offset1:1
	v_fma_f32 v32, -v4, v55, v41
	v_mov_b32_e32 v41, s35
	s_waitcnt lgkmcnt(3)
	v_fma_f32 v17, -v1, v39, v17
	s_add_i32 s35, s30, s20
	v_mov_b32_e32 v39, s34
	s_lshl_b32 s35, s35, 2
	v_fma_f32 v32, -v11, v63, v32
	s_waitcnt lgkmcnt(2)
	v_fma_f32 v17, -v0, v45, v17
	ds_load_2addr_b32 v[49:50], v41 offset1:1
	s_add_i32 s34, s5, 0xfffffd40
	v_fma_f32 v26, -v27, v33, v26
	v_fma_f32 v32, -v10, v57, v32
	s_waitcnt lgkmcnt(2)
	v_fma_f32 v17, -v7, v36, v17
	v_mov_b32_e32 v36, s36
	s_add_i32 s36, s30, s22
	v_fma_f32 v26, -v22, v37, v26
	v_fma_f32 v32, -v9, v59, v32
	ds_load_2addr_b32 v[53:54], v36 offset1:1
	v_mov_b32_e32 v41, s35
	s_add_i32 s35, s33, s34
	s_waitcnt lgkmcnt(2)
	v_fma_f32 v17, -v6, v47, v17
	s_lshl_b32 s35, s35, 2
	v_fma_f32 v32, -v8, v65, v32
	ds_load_2addr_b32 v[51:52], v41 offset1:1
	v_mov_b32_e32 v41, s35
	s_add_i32 s35, s30, s23
	v_fma_f32 v26, -v21, v40, v26
	s_lshl_b32 s35, s35, 2
	s_waitcnt lgkmcnt(2)
	v_fma_f32 v17, -v5, v50, v17
	v_mov_b32_e32 v36, s35
	s_lshl_b32 s35, s36, 2
	v_fma_f32 v32, -v15, v61, v32
	v_mov_b32_e32 v43, s35
	s_add_i32 s35, s30, s25
	ds_load_2addr_b32 v[55:56], v36 offset1:1
	s_lshl_b32 s35, s35, 2
	v_fma_f32 v32, -v14, v28, v32
	ds_load_2addr_b32 v[57:58], v43 offset1:1
	v_mov_b32_e32 v36, s35
	s_add_i32 s35, s30, s24
	ds_load_2addr_b32 v[59:60], v29 offset1:1
	ds_load_2addr_b32 v[61:62], v39 offset1:1
	;; [unrolled: 1-line block ×3, first 2 shown]
	s_lshl_b32 s35, s35, 2
	s_add_i32 s36, s30, s26
	s_waitcnt lgkmcnt(5)
	v_fma_f32 v17, -v4, v52, v17
	ds_load_2addr_b32 v[28:29], v36 offset1:1
	v_mov_b32_e32 v36, s35
	s_lshl_b32 s35, s36, 2
	s_add_i32 s36, s3, 0xfffff424
	v_fma_f32 v17, -v11, v54, v17
	v_mov_b32_e32 v39, s35
	ds_load_2addr_b32 v[65:66], v36 offset1:1
	s_add_i32 s35, s30, s27
	v_fma_f32 v32, -v13, v30, v32
	s_lshl_b32 s35, s35, 2
	ds_load_2addr_b32 v[67:68], v39 offset1:1
	s_waitcnt lgkmcnt(7)
	v_fma_f32 v17, -v10, v56, v17
	v_mov_b32_e32 v41, s35
	s_add_i32 s35, s30, s28
	v_fma_f32 v32, -v12, v48, v32
	s_lshl_b32 s35, s35, 2
	s_waitcnt lgkmcnt(6)
	v_fma_f32 v17, -v9, v58, v17
	ds_load_2addr_b32 v[69:70], v41 offset1:1
	v_dual_mov_b32 v36, s36 :: v_dual_mov_b32 v39, s35
	s_add_i32 s35, s30, s29
	s_waitcnt lgkmcnt(3)
	v_fma_f32 v17, -v8, v29, v17
	v_fma_f32 v32, -v19, v59, v32
	ds_load_b32 v54, v36
	ds_load_2addr_b32 v[29:30], v39 offset1:1
	v_fma_f32 v36, -v19, v60, v71
	s_waitcnt lgkmcnt(4)
	v_fma_f32 v39, -v15, v66, v17
	s_lshl_b32 s35, s35, 2
	s_add_i32 s36, s30, s34
	v_fma_f32 v32, -v18, v61, v32
	v_fma_f32 v36, -v18, v62, v36
	s_lshl_b32 s36, s36, 2
	v_fma_f32 v26, -v20, v31, v26
	s_lshl_b32 s33, s33, 5
	s_delay_alu instid0(VALU_DEP_2)
	v_mul_f32_e32 v17, v64, v36
	s_waitcnt lgkmcnt(3)
	v_fma_f32 v36, -v14, v68, v39
	v_mov_b32_e32 v39, s36
	s_sub_i32 s36, s4, 27
	s_add_i32 s37, s30, s33
	v_fma_f32 v26, -v3, v34, v26
	s_waitcnt lgkmcnt(2)
	v_fma_f32 v33, -v13, v70, v36
	v_mov_b32_e32 v36, s35
	s_add_i32 s35, s30, s31
	v_fma_f32 v56, -v17, v63, v32
	s_lshl_b32 s35, s35, 2
	s_waitcnt lgkmcnt(0)
	v_fma_f32 v45, -v12, v30, v33
	ds_load_2addr_b32 v[32:33], v36 offset1:1
	v_mov_b32_e32 v36, s35
	s_add_i32 s35, s36, s5
	s_lshl_b32 s37, s37, 2
	s_lshl_b32 s35, s35, 2
	v_mov_b32_e32 v34, s37
	v_mov_b32_e32 v30, s35
	v_fma_f32 v26, -v2, v42, v26
	s_add_i32 s7, s36, s7
	s_add_i32 s6, s36, s6
	s_lshl_b32 s7, s7, 2
	ds_load_2addr_b32 v[30:31], v30 offset1:1
	ds_load_2addr_b32 v[36:37], v36 offset1:1
	;; [unrolled: 1-line block ×4, first 2 shown]
	v_fma_f32 v26, -v1, v38, v26
	v_mov_b32_e32 v43, s7
	s_lshl_b32 s6, s6, 2
	s_add_i32 s7, s36, s10
	v_mov_b32_e32 v34, s6
	s_lshl_b32 s6, s7, 2
	v_fma_f32 v26, -v0, v44, v26
	v_mov_b32_e32 v38, s6
	s_add_i32 s6, s36, s9
	ds_load_2addr_b32 v[47:48], v43 offset1:1
	s_lshl_b32 s6, s6, 2
	s_waitcnt lgkmcnt(5)
	v_fma_f32 v45, -v19, v33, v45
	v_fma_f32 v26, -v7, v35, v26
	v_mov_b32_e32 v35, s6
	s_add_i32 s6, s36, s11
	ds_load_2addr_b32 v[43:44], v34 offset1:1
	s_lshl_b32 s6, s6, 2
	v_fma_f32 v26, -v6, v46, v26
	s_waitcnt lgkmcnt(5)
	v_fma_f32 v16, -v27, v31, v16
	s_waitcnt lgkmcnt(4)
	v_fma_f32 v31, -v18, v37, v45
	v_mov_b32_e32 v45, s6
	s_add_i32 s6, s36, s14
	s_add_i32 s7, s36, s16
	s_lshl_b32 s6, s6, 2
	v_fma_f32 v26, -v5, v49, v26
	ds_load_2addr_b32 v[45:46], v45 offset1:1
	ds_load_2addr_b32 v[33:34], v38 offset1:1
	;; [unrolled: 1-line block ×3, first 2 shown]
	v_mov_b32_e32 v35, s6
	s_waitcnt lgkmcnt(4)
	v_fma_f32 v16, -v22, v48, v16
	s_lshl_b32 s6, s7, 2
	v_fma_f32 v26, -v4, v51, v26
	v_fma_f32 v40, -v17, v40, v31
	ds_load_2addr_b32 v[58:59], v35 offset1:1
	s_add_i32 s7, s36, s23
	s_waitcnt lgkmcnt(4)
	v_fma_f32 v16, -v21, v44, v16
	v_mov_b32_e32 v44, s6
	s_add_i32 s6, s36, s17
	v_fma_f32 v26, -v11, v53, v26
	s_lshl_b32 s6, s6, 2
	s_lshl_b32 s7, s7, 2
	v_mov_b32_e32 v48, s6
	s_add_i32 s6, s36, s18
	v_fma_f32 v26, -v10, v55, v26
	s_lshl_b32 s6, s6, 2
	s_add_i32 s9, s36, s25
	s_waitcnt lgkmcnt(2)
	v_fma_f32 v16, -v20, v34, v16
	ds_load_2addr_b32 v[48:49], v48 offset1:1
	v_fma_f32 v26, -v9, v57, v26
	s_addk_i32 s5, 0xfd00
	s_waitcnt lgkmcnt(2)
	v_fma_f32 v16, -v3, v38, v16
	v_mov_b32_e32 v38, s6
	s_add_i32 s6, s36, s19
	v_fma_f32 v28, -v8, v28, v26
	s_lshl_b32 s6, s6, 2
	v_fma_f32 v16, -v2, v46, v16
	ds_load_2addr_b32 v[50:51], v38 offset1:1
	ds_load_2addr_b32 v[34:35], v44 offset1:1
	v_mov_b32_e32 v38, s6
	s_add_i32 s6, s36, s20
	v_fma_f32 v28, -v15, v65, v28
	s_lshl_b32 s6, s6, 2
	ds_load_2addr_b32 v[52:53], v38 offset1:1
	s_waitcnt lgkmcnt(4)
	v_fma_f32 v44, -v1, v59, v16
	v_mov_b32_e32 v46, s6
	v_mul_f32_e32 v16, v54, v56
	s_add_i32 s6, s36, s21
	v_fma_f32 v28, -v14, v67, v28
	s_lshl_b32 s6, s6, 2
	ds_load_2addr_b32 v[54:55], v46 offset1:1
	v_fma_f32 v46, -v27, v30, v25
	v_fma_f32 v40, -v16, v42, v40
	v_mov_b32_e32 v38, s7
	s_add_i32 s7, s36, s22
	v_fma_f32 v28, -v13, v69, v28
	s_lshl_b32 s7, s7, 2
	s_waitcnt lgkmcnt(2)
	v_fma_f32 v35, -v0, v35, v44
	s_delay_alu instid0(VALU_DEP_2) | instskip(NEXT) | instid1(VALU_DEP_2)
	v_fma_f32 v28, -v12, v29, v28
	v_fma_f32 v31, -v7, v49, v35
	v_mov_b32_e32 v35, s6
	s_add_i32 s6, s30, s5
	s_delay_alu instid0(VALU_DEP_3)
	v_fma_f32 v32, -v19, v32, v28
	s_lshl_b32 s6, s6, 2
	v_fma_f32 v44, -v6, v51, v31
	ds_load_2addr_b32 v[25:26], v35 offset1:1
	ds_load_2addr_b32 v[30:31], v38 offset1:1
	v_fma_f32 v38, -v22, v47, v46
	v_fma_f32 v32, -v18, v36, v32
	s_add_i32 s5, s36, s5
	s_waitcnt lgkmcnt(3)
	v_fma_f32 v35, -v5, v53, v44
	s_lshl_b32 s5, s5, 2
	v_fma_f32 v38, -v21, v43, v38
	v_mov_b32_e32 v43, s7
	s_lshl_b32 s7, s9, 2
	s_waitcnt lgkmcnt(2)
	v_fma_f32 v35, -v4, v55, v35
	v_fma_f32 v42, -v17, v39, v32
	;; [unrolled: 1-line block ×3, first 2 shown]
	v_mov_b32_e32 v38, s7
	s_add_i32 s7, s36, s24
	ds_load_2addr_b32 v[43:44], v43 offset1:1
	s_lshl_b32 s7, s7, 2
	v_fma_f32 v33, -v3, v37, v33
	ds_load_2addr_b32 v[37:38], v38 offset1:1
	s_waitcnt lgkmcnt(3)
	v_fma_f32 v26, -v11, v26, v35
	v_mov_b32_e32 v35, s7
	v_fma_f32 v33, -v2, v45, v33
	s_add_i32 s7, s36, s26
	s_waitcnt lgkmcnt(2)
	v_fma_f32 v26, -v10, v31, v26
	s_lshl_b32 s7, s7, 2
	v_fma_f32 v31, -v1, v58, v33
	v_mov_b32_e32 v47, s7
	s_add_i32 s7, s36, s27
	s_delay_alu instid0(SALU_CYCLE_1) | instskip(NEXT) | instid1(VALU_DEP_2)
	s_lshl_b32 s7, s7, 2
	v_fma_f32 v31, -v0, v34, v31
	ds_load_2addr_b32 v[55:56], v47 offset1:1
	ds_load_2addr_b32 v[45:46], v35 offset1:1
	v_mov_b32_e32 v33, s7
	s_add_i32 s7, s36, s28
	v_fma_f32 v31, -v7, v48, v31
	s_lshl_b32 s7, s7, 2
	ds_load_2addr_b32 v[33:34], v33 offset1:1
	v_mov_b32_e32 v35, s7
	v_fma_f32 v31, -v6, v50, v31
	s_add_i32 s7, s36, s29
	s_delay_alu instid0(SALU_CYCLE_1)
	s_lshl_b32 s7, s7, 2
	ds_load_2addr_b32 v[47:48], v35 offset1:1
	v_fma_f32 v31, -v5, v52, v31
	s_waitcnt lgkmcnt(5)
	v_fma_f32 v26, -v9, v44, v26
	v_mov_b32_e32 v35, s7
	s_add_i32 s7, s36, s31
	v_fma_f32 v31, -v4, v54, v31
	s_waitcnt lgkmcnt(4)
	v_fma_f32 v26, -v8, v38, v26
	s_lshl_b32 s7, s7, 2
	ds_load_2addr_b32 v[49:50], v35 offset1:1
	v_mov_b32_e32 v35, s7
	v_fma_f32 v29, -v11, v25, v31
	s_waitcnt lgkmcnt(3)
	v_fma_f32 v26, -v15, v46, v26
	s_add_i32 s7, s3, 0xfffff31c
	s_addk_i32 s3, 0xf214
	v_fma_f32 v30, -v10, v30, v29
	s_delay_alu instid0(VALU_DEP_2)
	v_fma_f32 v38, -v14, v56, v26
	ds_load_2addr_b32 v[25:26], v35 offset1:1
	v_mov_b32_e32 v35, s7
	s_add_i32 s7, s36, s33
	v_fma_f32 v30, -v9, v43, v30
	s_waitcnt lgkmcnt(3)
	v_fma_f32 v31, -v13, v34, v38
	v_mov_b32_e32 v34, s6
	ds_load_2addr_b32 v[28:29], v34 offset1:1
	ds_load_b32 v44, v35
	v_fma_f32 v30, -v8, v37, v30
	s_add_i32 s6, s36, s34
	s_waitcnt lgkmcnt(4)
	v_fma_f32 v31, -v12, v48, v31
	s_lshl_b32 s6, s6, 2
	v_mov_b32_e32 v38, s5
	v_fma_f32 v30, -v15, v45, v30
	v_mov_b32_e32 v34, s6
	s_lshl_b32 s6, s7, 2
	s_waitcnt lgkmcnt(3)
	v_fma_f32 v31, -v19, v50, v31
	v_mov_b32_e32 v36, s6
	v_fma_f32 v30, -v14, v55, v30
	s_lshl_b32 s6, s30, 5
	ds_load_2addr_b32 v[34:35], v34 offset1:1
	s_add_i32 s36, s36, s6
	ds_load_2addr_b32 v[36:37], v36 offset1:1
	v_fma_f32 v30, -v13, v33, v30
	ds_load_2addr_b32 v[32:33], v38 offset1:1
	s_lshl_b32 s5, s36, 2
	s_waitcnt lgkmcnt(5)
	v_fma_f32 v26, -v18, v26, v31
	v_mov_b32_e32 v39, s5
	s_add_i32 s5, s35, 0xfffff300
	v_fma_f32 v30, -v12, v47, v30
	v_mov_b32_e32 v43, s5
	s_waitcnt lgkmcnt(4)
	v_mul_f32_e32 v31, v29, v40
	v_fma_f32 v29, -v16, v41, v42
	ds_load_2addr_b32 v[38:39], v39 offset1:1
	v_fma_f32 v30, -v19, v49, v30
	ds_load_2addr_b32 v[40:41], v43 offset1:1
	s_ashr_i32 s5, s4, 31
	v_fma_f32 v28, -v31, v28, v29
	s_lshl_b64 s[6:7], s[4:5], 2
	v_fma_f32 v25, -v18, v25, v30
	s_sub_i32 s4, s4, 28
	s_waitcnt lgkmcnt(5)
	v_mul_f32_e32 v30, v44, v28
	v_mov_b32_e32 v28, s3
	ds_load_b32 v28, v28
	s_waitcnt lgkmcnt(5)
	v_fma_f32 v26, -v17, v35, v26
	v_fma_f32 v25, -v17, v34, v25
	s_waitcnt lgkmcnt(4)
	s_delay_alu instid0(VALU_DEP_2) | instskip(NEXT) | instid1(VALU_DEP_2)
	v_fma_f32 v26, -v16, v37, v26
	v_fma_f32 v25, -v16, v36, v25
	s_waitcnt lgkmcnt(3)
	s_delay_alu instid0(VALU_DEP_2) | instskip(NEXT) | instid1(VALU_DEP_2)
	v_fma_f32 v26, -v31, v33, v26
	v_fma_f32 v25, -v31, v32, v25
	s_waitcnt lgkmcnt(2)
	s_delay_alu instid0(VALU_DEP_2) | instskip(NEXT) | instid1(VALU_DEP_2)
	v_fma_f32 v26, -v30, v39, v26
	v_fma_f32 v32, -v30, v38, v25
	v_add_co_u32 v25, vcc_lo, v104, s6
	s_waitcnt lgkmcnt(1)
	s_delay_alu instid0(VALU_DEP_3)
	v_mul_f32_e32 v29, v41, v26
	v_add_co_ci_u32_e32 v26, vcc_lo, s7, v105, vcc_lo
	s_clause 0x3
	global_store_b96 v[25:26], v[20:22], off offset:-12
	global_store_b128 v[25:26], v[0:3], off offset:-28
	global_store_b128 v[25:26], v[4:7], off offset:-44
	global_store_b128 v[25:26], v[8:11], off offset:-60
	v_fma_f32 v32, -v29, v40, v32
	s_clause 0x1
	global_store_b128 v[25:26], v[12:15], off offset:-76
	global_store_b128 v[25:26], v[16:19], off offset:-92
	s_waitcnt lgkmcnt(0)
	v_mul_f32_e32 v28, v28, v32
	s_clause 0x1
	global_store_b32 v[23:24], v27, off
	global_store_b128 v[25:26], v[28:31], off offset:-108
.LBB37_44:
	s_cmp_lt_i32 s4, 0
	s_cbranch_scc1 .LBB37_61
; %bb.45:
	s_add_i32 s3, s4, 1
	s_mov_b32 s6, s4
	s_and_b32 s3, s3, 3
	s_delay_alu instid0(SALU_CYCLE_1)
	s_cmp_eq_u32 s3, 0
	s_cbranch_scc1 .LBB37_50
; %bb.46:
	s_lshl_b32 s5, s2, 7
	s_lshl_b32 s6, s4, 2
	s_ashr_i32 s9, s8, 31
	s_add_i32 s5, s5, s6
	s_lshl_b64 s[6:7], s[8:9], 2
	s_addk_i32 s5, 0xff80
	s_add_u32 s6, s12, s6
	s_addc_u32 s7, s13, s7
	s_add_u32 s6, s6, s0
	s_addc_u32 s7, s7, s1
	v_add_co_u32 v0, vcc_lo, s6, v106
	v_add_co_ci_u32_e32 v1, vcc_lo, s7, v107, vcc_lo
	s_mov_b32 s7, 0
	s_mov_b32 s6, s4
	;; [unrolled: 1-line block ×3, first 2 shown]
	s_set_inst_prefetch_distance 0x1
	s_branch .LBB37_48
	.p2align	6
.LBB37_47:                              ;   in Loop: Header=BB37_48 Depth=1
	s_mul_i32 s10, s6, 0x84
	s_ashr_i32 s11, s6, 31
	v_mov_b32_e32 v2, s10
	s_mov_b32 s10, s6
	s_add_i32 s9, s9, 1
	s_lshl_b64 s[10:11], s[10:11], 2
	s_add_i32 s6, s6, -1
	ds_load_b32 v5, v2
	v_add_co_u32 v2, vcc_lo, v104, s10
	v_add_co_ci_u32_e32 v3, vcc_lo, s11, v105, vcc_lo
	s_add_i32 s5, s5, -4
	s_cmp_lg_u32 s9, s3
	s_waitcnt lgkmcnt(0)
	v_mul_f32_e32 v4, v5, v4
	global_store_b32 v[2:3], v4, off
	s_cbranch_scc0 .LBB37_50
.LBB37_48:                              ; =>This Loop Header: Depth=1
                                        ;     Child Loop BB37_49 Depth 2
	s_lshl_b64 s[10:11], s[6:7], 2
	s_cmp_le_i32 s8, s6
	v_add_co_u32 v2, vcc_lo, v104, s10
	v_add_co_ci_u32_e32 v3, vcc_lo, s11, v105, vcc_lo
	s_mov_b32 s10, s5
	s_mov_b32 s11, s8
	global_load_b32 v2, v[2:3], off
	s_waitcnt vmcnt(0)
	v_dual_mul_f32 v4, s15, v2 :: v_dual_mov_b32 v3, v1
	v_mov_b32_e32 v2, v0
	s_cbranch_scc1 .LBB37_47
.LBB37_49:                              ;   Parent Loop BB37_48 Depth=1
                                        ; =>  This Inner Loop Header: Depth=2
	global_load_b32 v5, v[2:3], off
	v_mov_b32_e32 v6, s10
	v_add_co_u32 v2, vcc_lo, v2, -4
	v_add_co_ci_u32_e32 v3, vcc_lo, -1, v3, vcc_lo
	ds_load_b32 v6, v6
	s_add_i32 s11, s11, -1
	s_addk_i32 s10, 0xff80
	s_cmp_gt_i32 s11, s6
	s_waitcnt vmcnt(0) lgkmcnt(0)
	v_fma_f32 v4, -v5, v6, v4
	s_cbranch_scc1 .LBB37_49
	s_branch .LBB37_47
.LBB37_50:
	s_set_inst_prefetch_distance 0x2
	s_cmp_lt_u32 s4, 3
	s_cbranch_scc1 .LBB37_61
; %bb.51:
	s_lshl_b32 s3, s2, 7
	s_lshl_b32 s4, s6, 2
	s_ashr_i32 s9, s8, 31
	s_add_i32 s7, s3, s4
	s_lshl_b64 s[4:5], s[8:9], 2
	s_add_i32 s3, s7, 0xffffff80
	s_add_u32 s4, s12, s4
	s_addc_u32 s5, s13, s5
	s_add_u32 s0, s4, s0
	s_addc_u32 s1, s5, s1
	v_add_co_u32 v0, vcc_lo, s0, v106
	v_add_co_ci_u32_e32 v1, vcc_lo, s1, v107, vcc_lo
	s_add_i32 s4, s7, 0xffffff7c
	s_add_i32 s5, s7, 0xffffff78
	;; [unrolled: 1-line block ×3, first 2 shown]
	s_mov_b32 s7, 0
	s_branch .LBB37_53
.LBB37_52:                              ;   in Loop: Header=BB37_53 Depth=1
	s_add_i32 s0, s1, 0xffffff7c
	s_add_i32 s3, s3, -16
	v_mov_b32_e32 v4, s0
	s_add_i32 s0, s6, -4
	s_add_i32 s4, s4, -16
	;; [unrolled: 1-line block ×4, first 2 shown]
	ds_load_b32 v4, v4
	s_cmp_lt_i32 s6, 4
	s_mov_b32 s6, s0
	s_waitcnt lgkmcnt(0)
	v_mul_f32_e32 v4, v4, v6
	global_store_b32 v[2:3], v4, off offset:-12
	s_cbranch_scc1 .LBB37_61
.LBB37_53:                              ; =>This Loop Header: Depth=1
                                        ;     Child Loop BB37_54 Depth 2
                                        ;     Child Loop BB37_56 Depth 2
	;; [unrolled: 1-line block ×4, first 2 shown]
	s_lshl_b64 s[0:1], s[6:7], 2
	s_cmp_le_i32 s8, s6
	v_add_co_u32 v2, vcc_lo, v104, s0
	v_add_co_ci_u32_e32 v3, vcc_lo, s1, v105, vcc_lo
	s_mov_b32 s0, s3
	s_mov_b32 s1, s8
	global_load_b32 v2, v[2:3], off
	s_waitcnt vmcnt(0)
	v_dual_mul_f32 v4, s15, v2 :: v_dual_mov_b32 v3, v1
	v_mov_b32_e32 v2, v0
	s_cbranch_scc1 .LBB37_55
.LBB37_54:                              ;   Parent Loop BB37_53 Depth=1
                                        ; =>  This Inner Loop Header: Depth=2
	global_load_b32 v5, v[2:3], off
	v_mov_b32_e32 v6, s0
	v_add_co_u32 v2, vcc_lo, v2, -4
	v_add_co_ci_u32_e32 v3, vcc_lo, -1, v3, vcc_lo
	ds_load_b32 v6, v6
	s_add_i32 s1, s1, -1
	s_addk_i32 s0, 0xff80
	s_cmp_gt_i32 s1, s6
	s_waitcnt vmcnt(0) lgkmcnt(0)
	v_fma_f32 v4, -v5, v6, v4
	s_cbranch_scc1 .LBB37_54
.LBB37_55:                              ;   in Loop: Header=BB37_53 Depth=1
	s_add_i32 s0, s6, -1
	s_mov_b32 s1, s7
	s_mul_i32 s10, s6, 0x84
	s_lshl_b64 s[0:1], s[0:1], 2
	s_delay_alu instid0(SALU_CYCLE_1)
	v_add_co_u32 v2, vcc_lo, v104, s0
	v_add_co_ci_u32_e32 v3, vcc_lo, s1, v105, vcc_lo
	s_ashr_i32 s1, s6, 31
	s_mov_b32 s0, s6
	global_load_b32 v5, v[2:3], off
	v_mov_b32_e32 v2, s10
	s_lshl_b64 s[0:1], s[0:1], 2
	s_cmp_lt_i32 s8, s6
	ds_load_b32 v6, v2
	v_add_co_u32 v2, vcc_lo, v104, s0
	v_add_co_ci_u32_e32 v3, vcc_lo, s1, v105, vcc_lo
	s_mov_b32 s0, s4
	s_mov_b32 s1, s2
	s_waitcnt lgkmcnt(0)
	v_mul_f32_e32 v7, v6, v4
	global_store_b32 v[2:3], v7, off
	s_waitcnt vmcnt(0)
	v_dual_mul_f32 v6, s15, v5 :: v_dual_mov_b32 v5, v1
	v_mov_b32_e32 v4, v0
	s_cbranch_scc1 .LBB37_57
.LBB37_56:                              ;   Parent Loop BB37_53 Depth=1
                                        ; =>  This Inner Loop Header: Depth=2
	global_load_b32 v7, v[4:5], off
	v_mov_b32_e32 v8, s0
	v_add_co_u32 v4, vcc_lo, v4, -4
	v_add_co_ci_u32_e32 v5, vcc_lo, -1, v5, vcc_lo
	ds_load_b32 v8, v8
	s_add_i32 s1, s1, -1
	s_addk_i32 s0, 0xff80
	s_cmp_gt_i32 s1, s6
	s_waitcnt vmcnt(0) lgkmcnt(0)
	v_fma_f32 v6, -v7, v8, v6
	s_cbranch_scc1 .LBB37_56
.LBB37_57:                              ;   in Loop: Header=BB37_53 Depth=1
	s_add_i32 s0, s6, -2
	s_mov_b32 s1, s7
	s_addk_i32 s10, 0xff7c
	s_lshl_b64 s[12:13], s[0:1], 2
	s_cmp_le_i32 s8, s0
	v_add_co_u32 v4, vcc_lo, v104, s12
	v_add_co_ci_u32_e32 v5, vcc_lo, s13, v105, vcc_lo
	s_mov_b32 s1, s5
	s_mov_b32 s11, s8
	global_load_b32 v4, v[4:5], off
	v_mov_b32_e32 v5, s10
	ds_load_b32 v5, v5
	s_waitcnt vmcnt(0) lgkmcnt(0)
	v_dual_mul_f32 v7, v5, v6 :: v_dual_mul_f32 v6, s15, v4
	v_dual_mov_b32 v5, v1 :: v_dual_mov_b32 v4, v0
	global_store_b32 v[2:3], v7, off offset:-4
	s_cbranch_scc1 .LBB37_59
.LBB37_58:                              ;   Parent Loop BB37_53 Depth=1
                                        ; =>  This Inner Loop Header: Depth=2
	global_load_b32 v7, v[4:5], off
	v_mov_b32_e32 v8, s1
	v_add_co_u32 v4, vcc_lo, v4, -4
	v_add_co_ci_u32_e32 v5, vcc_lo, -1, v5, vcc_lo
	ds_load_b32 v8, v8
	s_add_i32 s11, s11, -1
	s_addk_i32 s1, 0xff80
	s_cmp_gt_i32 s11, s0
	s_waitcnt vmcnt(0) lgkmcnt(0)
	v_fma_f32 v6, -v7, v8, v6
	s_cbranch_scc1 .LBB37_58
.LBB37_59:                              ;   in Loop: Header=BB37_53 Depth=1
	s_add_i32 s0, s6, -3
	s_mov_b32 s1, s7
	s_mov_b32 s11, s8
	s_lshl_b64 s[12:13], s[0:1], 2
	s_add_i32 s1, s10, 0xffffff7c
	v_add_co_u32 v4, vcc_lo, v104, s12
	v_add_co_ci_u32_e32 v5, vcc_lo, s13, v105, vcc_lo
	s_cmp_le_i32 s8, s0
	s_mov_b32 s10, s9
	global_load_b32 v4, v[4:5], off
	v_mov_b32_e32 v5, s1
	ds_load_b32 v5, v5
	s_waitcnt vmcnt(0) lgkmcnt(0)
	v_dual_mul_f32 v7, v5, v6 :: v_dual_mul_f32 v6, s15, v4
	v_dual_mov_b32 v5, v1 :: v_dual_mov_b32 v4, v0
	global_store_b32 v[2:3], v7, off offset:-8
	s_cbranch_scc1 .LBB37_52
.LBB37_60:                              ;   Parent Loop BB37_53 Depth=1
                                        ; =>  This Inner Loop Header: Depth=2
	global_load_b32 v7, v[4:5], off
	v_mov_b32_e32 v8, s10
	v_add_co_u32 v4, vcc_lo, v4, -4
	v_add_co_ci_u32_e32 v5, vcc_lo, -1, v5, vcc_lo
	ds_load_b32 v8, v8
	s_add_i32 s11, s11, -1
	s_addk_i32 s10, 0xff80
	s_cmp_gt_i32 s11, s0
	s_waitcnt vmcnt(0) lgkmcnt(0)
	v_fma_f32 v6, -v7, v8, v6
	s_cbranch_scc1 .LBB37_60
	s_branch .LBB37_52
.LBB37_61:
	s_nop 0
	s_sendmsg sendmsg(MSG_DEALLOC_VGPRS)
	s_endpgm
	.section	.rodata,"a",@progbits
	.p2align	6, 0x0
	.amdhsa_kernel _ZL30rocblas_trsm_small_left_deviceILi32ELi32ELb0EffPKPKfPKPfEv13rocblas_fill_18rocblas_operation_17rocblas_diagonal_iiT3_T4_lilT5_lili
		.amdhsa_group_segment_fixed_size 4096
		.amdhsa_private_segment_fixed_size 0
		.amdhsa_kernarg_size 352
		.amdhsa_user_sgpr_count 14
		.amdhsa_user_sgpr_dispatch_ptr 0
		.amdhsa_user_sgpr_queue_ptr 0
		.amdhsa_user_sgpr_kernarg_segment_ptr 1
		.amdhsa_user_sgpr_dispatch_id 0
		.amdhsa_user_sgpr_private_segment_size 0
		.amdhsa_wavefront_size32 1
		.amdhsa_uses_dynamic_stack 0
		.amdhsa_enable_private_segment 0
		.amdhsa_system_sgpr_workgroup_id_x 1
		.amdhsa_system_sgpr_workgroup_id_y 0
		.amdhsa_system_sgpr_workgroup_id_z 1
		.amdhsa_system_sgpr_workgroup_info 0
		.amdhsa_system_vgpr_workitem_id 0
		.amdhsa_next_free_vgpr 195
		.amdhsa_next_free_sgpr 92
		.amdhsa_reserve_vcc 1
		.amdhsa_float_round_mode_32 0
		.amdhsa_float_round_mode_16_64 0
		.amdhsa_float_denorm_mode_32 3
		.amdhsa_float_denorm_mode_16_64 3
		.amdhsa_dx10_clamp 1
		.amdhsa_ieee_mode 1
		.amdhsa_fp16_overflow 0
		.amdhsa_workgroup_processor_mode 1
		.amdhsa_memory_ordered 1
		.amdhsa_forward_progress 0
		.amdhsa_shared_vgpr_count 0
		.amdhsa_exception_fp_ieee_invalid_op 0
		.amdhsa_exception_fp_denorm_src 0
		.amdhsa_exception_fp_ieee_div_zero 0
		.amdhsa_exception_fp_ieee_overflow 0
		.amdhsa_exception_fp_ieee_underflow 0
		.amdhsa_exception_fp_ieee_inexact 0
		.amdhsa_exception_int_div_zero 0
	.end_amdhsa_kernel
	.section	.text._ZL30rocblas_trsm_small_left_deviceILi32ELi32ELb0EffPKPKfPKPfEv13rocblas_fill_18rocblas_operation_17rocblas_diagonal_iiT3_T4_lilT5_lili,"axG",@progbits,_ZL30rocblas_trsm_small_left_deviceILi32ELi32ELb0EffPKPKfPKPfEv13rocblas_fill_18rocblas_operation_17rocblas_diagonal_iiT3_T4_lilT5_lili,comdat
.Lfunc_end37:
	.size	_ZL30rocblas_trsm_small_left_deviceILi32ELi32ELb0EffPKPKfPKPfEv13rocblas_fill_18rocblas_operation_17rocblas_diagonal_iiT3_T4_lilT5_lili, .Lfunc_end37-_ZL30rocblas_trsm_small_left_deviceILi32ELi32ELb0EffPKPKfPKPfEv13rocblas_fill_18rocblas_operation_17rocblas_diagonal_iiT3_T4_lilT5_lili
                                        ; -- End function
	.section	.AMDGPU.csdata,"",@progbits
; Kernel info:
; codeLenInByte = 34292
; NumSgprs: 94
; NumVgprs: 195
; ScratchSize: 0
; MemoryBound: 0
; FloatMode: 240
; IeeeMode: 1
; LDSByteSize: 4096 bytes/workgroup (compile time only)
; SGPRBlocks: 11
; VGPRBlocks: 24
; NumSGPRsForWavesPerEU: 94
; NumVGPRsForWavesPerEU: 195
; Occupancy: 7
; WaveLimiterHint : 1
; COMPUTE_PGM_RSRC2:SCRATCH_EN: 0
; COMPUTE_PGM_RSRC2:USER_SGPR: 14
; COMPUTE_PGM_RSRC2:TRAP_HANDLER: 0
; COMPUTE_PGM_RSRC2:TGID_X_EN: 1
; COMPUTE_PGM_RSRC2:TGID_Y_EN: 0
; COMPUTE_PGM_RSRC2:TGID_Z_EN: 1
; COMPUTE_PGM_RSRC2:TIDIG_COMP_CNT: 0
	.section	.text._ZL38rocblas_trsm_small_left_device_sharedBILi32ELi32ELb1EffPKPKfPKPfEv13rocblas_fill_18rocblas_operation_17rocblas_diagonal_iiT3_T4_lilT5_lili,"axG",@progbits,_ZL38rocblas_trsm_small_left_device_sharedBILi32ELi32ELb1EffPKPKfPKPfEv13rocblas_fill_18rocblas_operation_17rocblas_diagonal_iiT3_T4_lilT5_lili,comdat
	.globl	_ZL38rocblas_trsm_small_left_device_sharedBILi32ELi32ELb1EffPKPKfPKPfEv13rocblas_fill_18rocblas_operation_17rocblas_diagonal_iiT3_T4_lilT5_lili ; -- Begin function _ZL38rocblas_trsm_small_left_device_sharedBILi32ELi32ELb1EffPKPKfPKPfEv13rocblas_fill_18rocblas_operation_17rocblas_diagonal_iiT3_T4_lilT5_lili
	.p2align	8
	.type	_ZL38rocblas_trsm_small_left_device_sharedBILi32ELi32ELb1EffPKPKfPKPfEv13rocblas_fill_18rocblas_operation_17rocblas_diagonal_iiT3_T4_lilT5_lili,@function
_ZL38rocblas_trsm_small_left_device_sharedBILi32ELi32ELb1EffPKPKfPKPfEv13rocblas_fill_18rocblas_operation_17rocblas_diagonal_iiT3_T4_lilT5_lili: ; @_ZL38rocblas_trsm_small_left_device_sharedBILi32ELi32ELb1EffPKPKfPKPfEv13rocblas_fill_18rocblas_operation_17rocblas_diagonal_iiT3_T4_lilT5_lili
; %bb.0:
	s_clause 0x1
	s_load_b128 s[8:11], s[0:1], 0x38
	s_load_b128 s[4:7], s[0:1], 0x4
	s_mov_b32 s12, s15
	s_mov_b32 s13, 0
	s_delay_alu instid0(SALU_CYCLE_1)
	s_lshl_b64 s[20:21], s[12:13], 3
	s_mov_b32 s12, exec_lo
	s_waitcnt lgkmcnt(0)
	s_add_u32 s2, s8, s20
	s_addc_u32 s3, s9, s21
	s_load_b32 s27, s[0:1], 0x14
	s_load_b64 s[2:3], s[2:3], 0x0
	s_min_i32 s15, s6, 32
	s_delay_alu instid0(SALU_CYCLE_1)
	s_add_i32 s26, s15, -1
	v_cmpx_gt_i32_e64 s15, v0
	s_cbranch_execz .LBB38_10
; %bb.1:
	s_clause 0x1
	s_load_b32 s8, s[0:1], 0x28
	s_load_b128 s[16:19], s[0:1], 0x18
	s_waitcnt lgkmcnt(0)
	s_ashr_i32 s9, s8, 31
	s_add_u32 s16, s16, s20
	s_addc_u32 s17, s17, s21
	s_cmp_lt_u32 s26, 3
	s_load_b64 s[16:17], s[16:17], 0x0
	s_cbranch_scc1 .LBB38_4
; %bb.2:
	v_lshlrev_b32_e32 v3, 2, v0
	s_lshl_b64 s[20:21], s[18:19], 2
	s_mul_hi_i32 s28, s8, 12
	s_waitcnt lgkmcnt(0)
	s_add_u32 s13, s16, s20
	s_addc_u32 s20, s17, s21
	v_add_co_u32 v1, s13, s13, v3
	s_delay_alu instid0(VALU_DEP_1)
	v_add_co_ci_u32_e64 v2, null, s20, 0, s13
	s_and_b32 s13, s15, -4
	s_mul_i32 s29, s8, 12
	s_lshl_b64 s[20:21], s[8:9], 4
	s_lshl_b64 s[22:23], s[8:9], 3
	;; [unrolled: 1-line block ×3, first 2 shown]
	s_mov_b32 s30, 0
	.p2align	6
.LBB38_3:                               ; =>This Inner Loop Header: Depth=1
	v_add_co_u32 v4, vcc_lo, v1, s24
	v_add_co_ci_u32_e32 v5, vcc_lo, s25, v2, vcc_lo
	v_add_co_u32 v6, vcc_lo, v1, s22
	v_add_co_ci_u32_e32 v7, vcc_lo, s23, v2, vcc_lo
	;; [unrolled: 2-line block ×3, first 2 shown]
	s_clause 0x3
	global_load_b32 v10, v[1:2], off
	global_load_b32 v4, v[4:5], off
	;; [unrolled: 1-line block ×4, first 2 shown]
	v_add_co_u32 v1, vcc_lo, v1, s20
	v_add_co_ci_u32_e32 v2, vcc_lo, s21, v2, vcc_lo
	s_add_i32 s30, s30, 4
	s_waitcnt vmcnt(2)
	ds_store_2addr_b32 v3, v10, v4 offset1:32
	s_waitcnt vmcnt(0)
	ds_store_2addr_b32 v3, v5, v6 offset0:64 offset1:96
	v_add_nc_u32_e32 v3, 0x200, v3
	s_cmp_eq_u32 s13, s30
	s_cbranch_scc0 .LBB38_3
.LBB38_4:
	s_and_b32 s20, s15, 3
	s_delay_alu instid0(SALU_CYCLE_1)
	s_cmp_eq_u32 s20, 0
	s_cbranch_scc1 .LBB38_7
; %bb.5:
	s_mul_i32 s21, s9, s13
	s_mul_hi_u32 s22, s8, s13
	v_lshlrev_b32_e32 v1, 2, v0
	s_add_i32 s23, s22, s21
	s_mul_i32 s22, s8, s13
	s_lshl_b64 s[18:19], s[18:19], 2
	s_lshl_b64 s[22:23], s[22:23], 2
	v_lshl_or_b32 v3, s13, 7, v1
	s_add_u32 s13, s22, s18
	s_addc_u32 s18, s23, s19
	s_waitcnt lgkmcnt(0)
	s_add_u32 s13, s16, s13
	s_addc_u32 s16, s17, s18
	v_add_co_u32 v1, s13, s13, v1
	s_delay_alu instid0(VALU_DEP_1)
	v_add_co_ci_u32_e64 v2, null, s16, 0, s13
	s_lshl_b64 s[8:9], s[8:9], 2
.LBB38_6:                               ; =>This Inner Loop Header: Depth=1
	global_load_b32 v4, v[1:2], off
	v_add_co_u32 v1, vcc_lo, v1, s8
	v_add_co_ci_u32_e32 v2, vcc_lo, s9, v2, vcc_lo
	s_add_i32 s20, s20, -1
	s_delay_alu instid0(SALU_CYCLE_1)
	s_cmp_lg_u32 s20, 0
	s_waitcnt vmcnt(0)
	ds_store_b32 v3, v4
	v_add_nc_u32_e32 v3, 0x80, v3
	s_cbranch_scc1 .LBB38_6
.LBB38_7:
	v_mul_u32_u24_e32 v1, 33, v0
	s_cmpk_lg_i32 s5, 0x84
	s_delay_alu instid0(VALU_DEP_1)
	v_dual_mov_b32 v2, 1.0 :: v_dual_lshlrev_b32 v1, 2, v1
	s_cbranch_scc0 .LBB38_9
; %bb.8:
	ds_load_b32 v2, v1
	s_waitcnt lgkmcnt(0)
	v_div_scale_f32 v3, null, v2, v2, 1.0
	s_delay_alu instid0(VALU_DEP_1) | instskip(SKIP_2) | instid1(VALU_DEP_1)
	v_rcp_f32_e32 v4, v3
	s_waitcnt_depctr 0xfff
	v_fma_f32 v5, -v3, v4, 1.0
	v_fmac_f32_e32 v4, v5, v4
	v_div_scale_f32 v5, vcc_lo, 1.0, v2, 1.0
	s_delay_alu instid0(VALU_DEP_1) | instskip(NEXT) | instid1(VALU_DEP_1)
	v_mul_f32_e32 v6, v5, v4
	v_fma_f32 v7, -v3, v6, v5
	s_delay_alu instid0(VALU_DEP_1) | instskip(NEXT) | instid1(VALU_DEP_1)
	v_fmac_f32_e32 v6, v7, v4
	v_fma_f32 v3, -v3, v6, v5
	s_delay_alu instid0(VALU_DEP_1) | instskip(NEXT) | instid1(VALU_DEP_1)
	v_div_fmas_f32 v3, v3, v4, v6
	v_div_fixup_f32 v2, v3, v2, 1.0
.LBB38_9:
	ds_store_b32 v1, v2
.LBB38_10:
	s_or_b32 exec_lo, exec_lo, s12
	s_load_b32 s5, s[0:1], 0x60
	s_waitcnt lgkmcnt(0)
	s_load_b32 s16, s[0:1], 0x48
	s_lshl_b64 s[0:1], s[10:11], 2
	s_waitcnt lgkmcnt(0)
	s_ashr_i32 s17, s16, 31
	s_add_u32 s12, s2, s0
	s_addc_u32 s13, s3, s1
	s_lshl_b32 s8, s14, 5
	s_add_i32 s5, s5, -1
	s_sub_i32 s7, s7, s8
	s_mul_hi_i32 s11, s16, s8
	s_cmp_ge_u32 s14, s5
	s_mul_i32 s10, s16, s8
	s_cselect_b32 s14, s7, 32
	s_lshl_b64 s[10:11], s[10:11], 2
	s_ashr_i32 s9, s8, 31
	s_add_u32 s5, s12, s10
	s_addc_u32 s7, s13, s11
	v_cmp_gt_i32_e32 vcc_lo, s14, v0
	s_cmp_gt_i32 s6, 0
	s_mov_b32 s10, 0
	s_cselect_b32 s11, -1, 0
	s_delay_alu instid0(SALU_CYCLE_1) | instskip(NEXT) | instid1(SALU_CYCLE_1)
	s_and_b32 s14, vcc_lo, s11
	s_and_saveexec_b32 s18, s14
	s_cbranch_execz .LBB38_17
; %bb.11:
	s_cmp_lt_i32 s6, 8
	s_cbranch_scc1 .LBB38_14
; %bb.12:
	v_mad_i64_i32 v[1:2], null, s16, v0, 0
	v_lshl_or_b32 v3, v0, 2, 0x1000
	s_lshl_b32 s10, s15, 2
	s_mov_b64 s[12:13], 0
	s_and_b32 s11, s10, 0xe0
	s_mov_b32 s10, 0
	s_delay_alu instid0(VALU_DEP_2) | instskip(NEXT) | instid1(VALU_DEP_1)
	v_lshlrev_b64 v[1:2], 2, v[1:2]
	v_add_co_u32 v1, vcc_lo, s5, v1
	s_delay_alu instid0(VALU_DEP_2)
	v_add_co_ci_u32_e32 v2, vcc_lo, s7, v2, vcc_lo
	.p2align	6
.LBB38_13:                              ; =>This Inner Loop Header: Depth=1
	s_delay_alu instid0(VALU_DEP_2) | instskip(NEXT) | instid1(VALU_DEP_2)
	v_add_co_u32 v8, vcc_lo, v1, s12
	v_add_co_ci_u32_e32 v9, vcc_lo, s13, v2, vcc_lo
	s_add_i32 s10, s10, 8
	s_add_u32 s12, s12, 32
	s_addc_u32 s13, s13, 0
	s_clause 0x1
	global_load_b128 v[4:7], v[8:9], off
	global_load_b128 v[8:11], v[8:9], off offset:16
	s_cmp_lg_u32 s11, s12
	s_waitcnt vmcnt(1)
	v_dual_mul_f32 v4, s27, v4 :: v_dual_mul_f32 v5, s27, v5
	v_dual_mul_f32 v6, s27, v6 :: v_dual_mul_f32 v7, s27, v7
	s_waitcnt vmcnt(0)
	v_dual_mul_f32 v8, s27, v8 :: v_dual_mul_f32 v9, s27, v9
	v_dual_mul_f32 v10, s27, v10 :: v_dual_mul_f32 v11, s27, v11
	ds_store_2addr_b32 v3, v4, v5 offset1:32
	ds_store_2addr_b32 v3, v6, v7 offset0:64 offset1:96
	ds_store_2addr_b32 v3, v8, v9 offset0:128 offset1:160
	;; [unrolled: 1-line block ×3, first 2 shown]
	v_add_nc_u32_e32 v3, 0x400, v3
	s_cbranch_scc1 .LBB38_13
.LBB38_14:
	s_and_b32 s12, s15, 7
	s_mov_b32 s11, 0
	s_cmp_eq_u32 s12, 0
	s_cbranch_scc1 .LBB38_17
; %bb.15:
	v_lshlrev_b32_e32 v3, 2, v0
	s_lshl_b64 s[20:21], s[8:9], 2
	s_lshl_b64 s[22:23], s[10:11], 2
	s_delay_alu instid0(VALU_DEP_1) | instskip(NEXT) | instid1(VALU_DEP_1)
	v_add_co_u32 v4, s11, s20, v3
	v_add_co_ci_u32_e64 v5, null, s21, 0, s11
	s_add_u32 s11, s2, s22
	s_addc_u32 s13, s3, s23
	s_add_u32 s20, s11, s0
	s_addc_u32 s21, s13, s1
	v_mul_lo_u32 v5, v5, s16
	v_mad_u64_u32 v[1:2], null, v4, s16, s[20:21]
	v_mul_lo_u32 v4, v4, s17
	v_lshl_or_b32 v3, s10, 7, v3
	s_delay_alu instid0(VALU_DEP_1) | instskip(NEXT) | instid1(VALU_DEP_3)
	v_add_nc_u32_e32 v3, 0x1000, v3
	v_add3_u32 v2, v5, v2, v4
.LBB38_16:                              ; =>This Inner Loop Header: Depth=1
	global_load_b32 v4, v[1:2], off
	v_add_co_u32 v1, vcc_lo, v1, 4
	v_add_co_ci_u32_e32 v2, vcc_lo, 0, v2, vcc_lo
	s_add_i32 s12, s12, -1
	s_delay_alu instid0(SALU_CYCLE_1)
	s_cmp_lg_u32 s12, 0
	s_waitcnt vmcnt(0)
	v_mul_f32_e32 v4, s27, v4
	ds_store_b32 v3, v4
	v_add_nc_u32_e32 v3, 0x80, v3
	s_cbranch_scc1 .LBB38_16
.LBB38_17:
	s_or_b32 exec_lo, exec_lo, s18
	s_cmpk_eq_i32 s4, 0x6f
	s_mov_b32 s4, -1
	s_waitcnt vmcnt(0) lgkmcnt(0)
	s_waitcnt_vscnt null, 0x0
	; wave barrier
	s_waitcnt lgkmcnt(0)
	buffer_gl0_inv
	s_cbranch_scc1 .LBB38_40
; %bb.18:
	s_cmp_gt_i32 s6, 31
	s_mov_b32 s4, s26
	s_cbranch_scc0 .LBB38_20
; %bb.19:
	s_lshl_b32 s10, s15, 5
	s_mul_i32 s31, s26, 0x84
	s_sub_i32 s4, s10, 64
	s_add_i32 s22, s10, 0xffffffa0
	v_or_b32_e32 v3, s4, v0
	v_or_b32_e32 v4, s22, v0
	s_add_i32 s22, s22, s26
	s_add_i32 s36, s10, 0xffffff60
	s_lshl_b32 s22, s22, 2
	v_lshlrev_b32_e32 v1, 2, v0
	s_add_i32 s23, s10, 0xffffff80
	v_or_b32_e32 v5, s36, v0
	s_add_i32 s36, s36, s26
	v_lshlrev_b32_e32 v9, 2, v3
	s_add_i32 s35, s10, 0xffffff40
	s_add_i32 s18, s10, 0xffffff20
	;; [unrolled: 1-line block ×4, first 2 shown]
	s_lshl_b32 s36, s36, 2
	s_delay_alu instid0(SALU_CYCLE_1)
	v_dual_mov_b32 v40, s36 :: v_dual_lshlrev_b32 v3, 2, v4
	v_or_b32_e32 v4, s23, v0
	s_add_i32 s33, s10, 0xfffffee0
	s_add_i32 s20, s10, 0xfffffea0
	v_lshl_or_b32 v2, s26, 7, v1
	v_or_b32_e32 v6, s35, v0
	v_or_b32_e32 v7, s18, v0
	;; [unrolled: 1-line block ×6, first 2 shown]
	s_add_i32 s35, s35, s26
	v_dual_mov_b32 v19, s31 :: v_dual_lshlrev_b32 v4, 2, v4
	s_add_i32 s4, s10, 0xfffffe80
	s_add_i32 s24, s31, 0xffffff7c
	;; [unrolled: 1-line block ×3, first 2 shown]
	v_lshlrev_b32_e32 v5, 2, v5
	s_add_i32 s30, s10, 0xfffffe60
	s_lshl_b32 s35, s35, 2
	v_dual_mov_b32 v21, s24 :: v_dual_lshlrev_b32 v6, 2, v6
	v_lshlrev_b32_e32 v7, 2, v7
	v_lshlrev_b32_e32 v8, 2, v8
	ds_load_b32 v22, v2 offset:4096
	ds_load_b32 v30, v9 offset:4096
	;; [unrolled: 1-line block ×8, first 2 shown]
	s_add_i32 s19, s10, 0xfffffe40
	s_add_i32 s11, s10, 0xfffffe20
	;; [unrolled: 1-line block ×3, first 2 shown]
	s_lshl_b32 s34, s34, 2
	v_lshlrev_b32_e32 v9, 2, v12
	v_or_b32_e32 v12, s4, v0
	s_add_i32 s37, s35, -4
	s_add_i32 s35, s35, -12
	v_lshlrev_b32_e32 v11, 2, v10
	v_lshlrev_b32_e32 v10, 2, v13
	v_or_b32_e32 v13, s30, v0
	v_or_b32_e32 v14, s19, v0
	;; [unrolled: 1-line block ×4, first 2 shown]
	v_lshlrev_b32_e32 v12, 2, v12
	s_add_i32 s13, s10, 0xfffffda0
	v_lshlrev_b32_e32 v13, 2, v13
	v_lshlrev_b32_e32 v14, 2, v14
	;; [unrolled: 1-line block ×4, first 2 shown]
	ds_load_b32 v62, v11 offset:4096
	ds_load_b32 v64, v9 offset:4096
	;; [unrolled: 1-line block ×8, first 2 shown]
	v_or_b32_e32 v20, s13, v0
	ds_load_b32 v23, v19
	ds_load_2addr_b32 v[24:25], v21 offset1:1
	s_add_i32 s23, s23, s26
	s_add_i32 s27, s10, 0xfffffd80
	v_dual_mov_b32 v20, s22 :: v_dual_lshlrev_b32 v19, 2, v20
	s_add_i32 s22, s31, 0xfffffef8
	s_lshl_b32 s23, s23, 2
	s_add_i32 s25, s10, 0xfffffd60
	v_mov_b32_e32 v27, s22
	ds_load_b32 v32, v20
	s_add_i32 s22, s23, -4
	v_or_b32_e32 v21, s27, v0
	v_or_b32_e32 v26, s25, v0
	v_mov_b32_e32 v28, s22
	s_add_i32 s22, s31, 0xfffffe74
	s_add_i32 s24, s10, 0xfffffd40
	;; [unrolled: 1-line block ×3, first 2 shown]
	v_or_b32_e32 v33, s24, v0
	ds_load_2addr_b32 v[28:29], v28 offset1:1
	v_lshlrev_b32_e32 v20, 2, v21
	v_lshlrev_b32_e32 v21, 2, v26
	ds_load_2addr_b32 v[26:27], v27 offset1:1
	s_waitcnt lgkmcnt(4)
	v_mul_f32_e32 v23, v23, v22
	s_add_i32 s28, s10, 0xfffffdc0
	s_add_i32 s23, s10, 0xfffffd20
	s_add_i32 s12, s10, 0xfffffde0
	v_or_b32_e32 v18, s28, v0
	s_waitcnt lgkmcnt(3)
	v_fma_f32 v22, -v23, v25, v30
	v_mov_b32_e32 v25, s22
	s_waitcnt lgkmcnt(2)
	v_fma_f32 v32, -v23, v32, v31
	ds_load_2addr_b32 v[30:31], v25 offset1:1
	ds_load_b32 v40, v40
	v_mul_f32_e32 v22, v24, v22
	s_add_i32 s22, s36, -8
	v_or_b32_e32 v41, s23, v0
	v_mov_b32_e32 v25, s22
	s_waitcnt lgkmcnt(3)
	v_fma_f32 v29, -v23, v29, v34
	v_or_b32_e32 v17, s12, v0
	s_add_i32 s22, s10, 0xfffffd00
	s_waitcnt lgkmcnt(2)
	v_fma_f32 v27, -v22, v27, v32
	s_add_i32 s36, s31, 0xfffffdf0
	v_fma_f32 v28, -v22, v28, v29
	v_dual_mov_b32 v29, s36 :: v_dual_lshlrev_b32 v18, 2, v18
	s_delay_alu instid0(VALU_DEP_3)
	v_mul_f32_e32 v27, v26, v27
	v_or_b32_e32 v34, s22, v0
	v_lshlrev_b32_e32 v17, 2, v17
	s_add_i32 s33, s33, s26
	s_add_i32 s21, s21, s26
	s_lshl_b32 s33, s33, 2
	s_waitcnt lgkmcnt(1)
	v_fma_f32 v28, -v27, v31, v28
	s_waitcnt lgkmcnt(0)
	v_fma_f32 v31, -v23, v40, v35
	s_add_i32 s30, s30, s26
	s_add_i32 s20, s20, s26
	s_lshl_b32 s30, s30, 2
	v_mul_f32_e32 v28, v30, v28
	v_mov_b32_e32 v30, s35
	s_lshl_b32 s35, s18, 2
	s_add_i32 s18, s31, 0xfffffd6c
	v_lshlrev_b32_e32 v24, 2, v33
	ds_load_2addr_b32 v[32:33], v25 offset1:1
	v_lshlrev_b32_e32 v25, 2, v41
	v_mov_b32_e32 v41, s37
	s_add_i32 s36, s35, -4
	s_delay_alu instid0(SALU_CYCLE_1)
	v_dual_mov_b32 v55, s36 :: v_dual_lshlrev_b32 v26, 2, v34
	ds_load_2addr_b32 v[34:35], v29 offset1:1
	ds_load_2addr_b32 v[40:41], v41 offset1:1
	ds_load_b32 v44, v17 offset:4096
	ds_load_b32 v45, v18 offset:4096
	ds_load_b32 v46, v19 offset:4096
	ds_load_b32 v48, v20 offset:4096
	ds_load_b32 v47, v21 offset:4096
	ds_load_b32 v50, v24 offset:4096
	ds_load_b32 v51, v25 offset:4096
	ds_load_b32 v52, v26 offset:4096
	s_add_i32 s36, s35, -12
	s_sub_i32 s35, s35, 20
	s_lshl_b32 s20, s20, 2
	s_add_i32 s19, s19, s26
	s_add_i32 s11, s11, s26
	;; [unrolled: 1-line block ×4, first 2 shown]
	s_lshl_b32 s29, s29, 2
	s_add_i32 s28, s28, s26
	s_add_i32 s13, s13, s26
	s_lshl_b32 s28, s28, 2
	s_add_i32 s27, s27, s26
	s_add_i32 s25, s25, s26
	s_waitcnt lgkmcnt(10)
	v_fma_f32 v29, -v22, v33, v31
	v_mov_b32_e32 v33, s18
	s_add_i32 s18, s10, 0xfffffce0
	s_lshl_b32 s27, s27, 2
	v_or_b32_e32 v58, s18, v0
	v_fma_f32 v29, -v27, v32, v29
	ds_load_2addr_b32 v[31:32], v30 offset1:1
	s_waitcnt lgkmcnt(9)
	v_fma_f32 v30, -v23, v41, v37
	ds_load_2addr_b32 v[53:54], v33 offset1:1
	ds_load_2addr_b32 v[55:56], v55 offset1:1
	v_mov_b32_e32 v33, s36
	v_fma_f32 v29, -v28, v35, v29
	s_lshl_b32 s25, s25, 2
	v_fma_f32 v35, -v22, v40, v30
	v_mov_b32_e32 v30, s34
	ds_load_2addr_b32 v[40:41], v33 offset1:1
	s_add_i32 s24, s24, s26
	s_add_i32 s23, s23, s26
	s_lshl_b32 s24, s24, 2
	ds_load_b32 v37, v30
	v_mov_b32_e32 v33, s35
	s_add_i32 s35, s34, -8
	s_delay_alu instid0(SALU_CYCLE_1)
	v_dual_mul_f32 v30, v34, v29 :: v_dual_mov_b32 v57, s35
	s_add_i32 s35, s34, -16
	s_sub_i32 s34, s34, 24
	s_lshl_b32 s23, s23, 2
	s_waitcnt lgkmcnt(4)
	v_fma_f32 v29, -v27, v32, v35
	ds_load_2addr_b32 v[32:33], v33 offset1:1
	ds_load_2addr_b32 v[34:35], v57 offset1:1
	s_waitcnt lgkmcnt(4)
	v_fma_f32 v42, -v23, v56, v42
	v_mov_b32_e32 v56, s35
	s_add_i32 s35, s31, 0xfffffce8
	v_fma_f32 v31, -v28, v31, v29
	v_mov_b32_e32 v57, s34
	v_fma_f32 v42, -v22, v55, v42
	s_add_i32 s34, s33, -4
	v_lshlrev_b32_e32 v29, 2, v58
	v_fma_f32 v31, -v30, v54, v31
	ds_load_2addr_b32 v[54:55], v56 offset1:1
	s_waitcnt lgkmcnt(3)
	v_fma_f32 v37, -v23, v37, v49
	v_fma_f32 v56, -v27, v41, v42
	ds_load_2addr_b32 v[41:42], v57 offset1:1
	v_mul_f32_e32 v31, v53, v31
	v_mov_b32_e32 v49, s34
	s_add_i32 s34, s33, -12
	v_fma_f32 v40, -v28, v40, v56
	s_add_i32 s22, s22, s26
	s_add_i32 s18, s18, s26
	s_waitcnt lgkmcnt(2)
	v_fma_f32 v35, -v22, v35, v37
	v_mov_b32_e32 v37, s35
	v_fma_f32 v33, -v30, v33, v40
	ds_load_2addr_b32 v[56:57], v49 offset1:1
	s_lshl_b32 s35, s21, 2
	v_fma_f32 v34, -v27, v34, v35
	ds_load_b32 v35, v37
	v_fma_f32 v32, -v31, v32, v33
	v_mov_b32_e32 v40, s35
	s_sub_i32 s21, s33, 28
	s_waitcnt lgkmcnt(3)
	v_fma_f32 v37, -v28, v55, v34
	v_mov_b32_e32 v53, s21
	s_add_i32 s21, s35, -8
	ds_load_b32 v40, v40
	v_mov_b32_e32 v55, s21
	s_add_i32 s21, s10, 0xfffffcc0
	s_lshl_b32 s22, s22, 2
	s_lshl_b32 s18, s18, 2
	s_waitcnt lgkmcnt(1)
	v_mul_f32_e32 v32, v35, v32
	v_fma_f32 v35, -v30, v54, v37
	s_delay_alu instid0(VALU_DEP_1) | instskip(NEXT) | instid1(VALU_DEP_1)
	v_fma_f32 v35, -v31, v42, v35
	v_fma_f32 v35, -v32, v41, v35
	v_mov_b32_e32 v33, s34
	s_sub_i32 s34, s33, 20
	s_add_i32 s33, s35, -16
	v_mov_b32_e32 v49, s34
	s_add_i32 s34, s31, 0xfffffc64
	ds_load_2addr_b32 v[33:34], v33 offset1:1
	ds_load_2addr_b32 v[58:59], v49 offset1:1
	;; [unrolled: 1-line block ×3, first 2 shown]
	v_fma_f32 v49, -v23, v57, v62
	ds_load_2addr_b32 v[62:63], v55 offset1:1
	v_mov_b32_e32 v42, s34
	v_fma_f32 v37, -v22, v56, v49
	v_mov_b32_e32 v49, s33
	s_sub_i32 s33, s35, 24
	ds_load_2addr_b32 v[53:54], v49 offset1:1
	s_waitcnt lgkmcnt(4)
	v_fma_f32 v34, -v27, v34, v37
	v_mov_b32_e32 v37, s33
	s_add_i32 s33, s31, 0xfffffbe0
	s_delay_alu instid0(VALU_DEP_2)
	v_fma_f32 v33, -v28, v33, v34
	v_fma_f32 v34, -v23, v40, v64
	ds_load_2addr_b32 v[55:56], v37 offset1:1
	ds_load_b32 v37, v42
	v_mov_b32_e32 v40, s33
	s_waitcnt lgkmcnt(5)
	v_fma_f32 v33, -v30, v59, v33
	s_waitcnt lgkmcnt(3)
	v_fma_f32 v34, -v22, v63, v34
	s_add_i32 s33, s20, -8
	ds_load_b32 v49, v40
	v_fma_f32 v42, -v31, v58, v33
	v_mov_b32_e32 v33, s20
	v_fma_f32 v34, -v27, v62, v34
	v_mov_b32_e32 v40, s33
	s_sub_i32 s33, s35, 32
	v_fma_f32 v42, -v32, v61, v42
	ds_load_b32 v59, v33
	s_waitcnt lgkmcnt(4)
	v_fma_f32 v54, -v28, v54, v34
	ds_load_2addr_b32 v[33:34], v40 offset1:1
	v_mov_b32_e32 v68, s33
	s_add_i32 s33, s20, -16
	s_delay_alu instid0(SALU_CYCLE_1) | instskip(SKIP_2) | instid1(SALU_CYCLE_1)
	v_mov_b32_e32 v40, s33
	s_sub_i32 s33, s20, 24
	s_sub_i32 s20, s20, 32
	v_dual_mov_b32 v57, s33 :: v_dual_mov_b32 v62, s20
	s_add_i32 s20, s4, s26
	s_mul_i32 s4, s15, 0x84
	s_lshl_b32 s33, s20, 2
	s_add_i32 s20, s4, 0xfffffa54
	ds_load_2addr_b32 v[40:41], v40 offset1:1
	ds_load_2addr_b32 v[57:58], v57 offset1:1
	s_add_i32 s34, s33, -4
	v_mov_b32_e32 v64, s20
	v_mov_b32_e32 v66, s34
	s_waitcnt lgkmcnt(3)
	v_fma_f32 v59, -v23, v59, v65
	ds_load_2addr_b32 v[62:63], v62 offset1:1
	ds_load_2addr_b32 v[64:65], v64 offset1:1
	ds_load_2addr_b32 v[66:67], v66 offset1:1
	ds_load_2addr_b32 v[68:69], v68 offset1:1
	s_add_i32 s20, s33, -12
	s_waitcnt lgkmcnt(6)
	v_fma_f32 v59, -v22, v34, v59
	v_dual_mul_f32 v34, v37, v35 :: v_dual_mov_b32 v35, s20
	v_fma_f32 v37, -v30, v53, v54
	ds_load_b32 v53, v29 offset:4096
	v_fma_f32 v33, -v27, v33, v59
	v_or_b32_e32 v54, s21, v0
	ds_load_2addr_b32 v[70:71], v35 offset1:1
	v_fma_f32 v35, -v31, v56, v37
	v_fma_f32 v37, -v34, v60, v42
	s_waitcnt lgkmcnt(7)
	v_fma_f32 v41, -v28, v41, v33
	s_add_i32 s20, s31, 0xfffffb5c
	s_sub_i32 s31, s33, 20
	v_fma_f32 v42, -v32, v55, v35
	v_mul_f32_e32 v35, v49, v37
	v_fma_f32 v37, -v30, v40, v41
	s_waitcnt lgkmcnt(3)
	v_fma_f32 v40, -v23, v67, v72
	v_mov_b32_e32 v56, s30
	s_waitcnt lgkmcnt(2)
	v_fma_f32 v41, -v34, v69, v42
	v_dual_mov_b32 v42, s20 :: v_dual_lshlrev_b32 v33, 2, v54
	v_fma_f32 v40, -v22, v66, v40
	s_add_i32 s20, s10, 0xfffffca0
	s_delay_alu instid0(VALU_DEP_3)
	v_fma_f32 v49, -v35, v68, v41
	ds_load_b32 v42, v42
	s_add_i32 s21, s21, s26
	s_waitcnt lgkmcnt(1)
	v_fma_f32 v75, -v27, v71, v40
	v_mov_b32_e32 v40, s31
	s_sub_i32 s31, s33, 28
	v_fma_f32 v37, -v31, v58, v37
	v_mov_b32_e32 v54, s31
	s_sub_i32 s31, s33, 36
	ds_load_2addr_b32 v[40:41], v40 offset1:1
	ds_load_2addr_b32 v[54:55], v54 offset1:1
	v_mov_b32_e32 v76, s31
	s_add_i32 s31, s30, -8
	ds_load_b32 v66, v56
	v_mov_b32_e32 v56, s31
	v_fma_f32 v37, -v32, v57, v37
	s_add_i32 s31, s30, -16
	s_sub_i32 s33, s30, 24
	v_fma_f32 v70, -v28, v70, v75
	ds_load_2addr_b32 v[56:57], v56 offset1:1
	v_mov_b32_e32 v58, s31
	v_mov_b32_e32 v60, s33
	ds_load_2addr_b32 v[58:59], v58 offset1:1
	ds_load_2addr_b32 v[60:61], v60 offset1:1
	s_sub_i32 s33, s30, 32
	s_sub_i32 s30, s30, 40
	s_add_i32 s31, s4, 0xfffff9d0
	s_waitcnt lgkmcnt(5)
	v_fma_f32 v41, -v30, v41, v70
	v_mov_b32_e32 v68, s30
	s_lshl_b32 s30, s19, 2
	v_mov_b32_e32 v77, s31
	s_waitcnt lgkmcnt(3)
	v_fma_f32 v36, -v23, v66, v36
	v_fma_f32 v40, -v31, v40, v41
	s_add_i32 s31, s30, -12
	s_add_i32 s19, s4, 0xfffff94c
	s_delay_alu instid0(SALU_CYCLE_1)
	v_mov_b32_e32 v71, s19
	s_waitcnt lgkmcnt(2)
	v_fma_f32 v36, -v22, v57, v36
	v_fma_f32 v57, -v34, v63, v37
	v_mul_f32_e32 v37, v42, v49
	v_fma_f32 v40, -v32, v55, v40
	s_add_i32 s19, s10, 0xfffffc80
	v_fma_f32 v36, -v27, v56, v36
	v_fma_f32 v42, -v35, v62, v57
	v_or_b32_e32 v56, s20, v0
	v_fma_f32 v63, -v34, v54, v40
	s_add_i32 s20, s20, s26
	s_waitcnt lgkmcnt(1)
	v_fma_f32 v41, -v28, v59, v36
	v_fma_f32 v49, -v37, v65, v42
	v_mov_b32_e32 v42, s31
	s_sub_i32 s31, s30, 20
	v_lshlrev_b32_e32 v36, 2, v56
	v_mov_b32_e32 v54, s31
	s_sub_i32 s31, s30, 28
	v_mov_b32_e32 v67, s33
	s_add_i32 s33, s30, -4
	v_fma_f32 v41, -v30, v58, v41
	v_mov_b32_e32 v73, s33
	ds_load_2addr_b32 v[66:67], v67 offset1:1
	ds_load_2addr_b32 v[68:69], v68 offset1:1
	;; [unrolled: 1-line block ×6, first 2 shown]
	s_waitcnt lgkmcnt(6)
	v_fma_f32 v65, -v31, v61, v41
	ds_load_2addr_b32 v[40:41], v42 offset1:1
	ds_load_2addr_b32 v[54:55], v54 offset1:1
	v_mov_b32_e32 v42, s31
	s_sub_i32 s31, s30, 44
	s_lshl_b32 s33, s11, 2
	v_mov_b32_e32 v56, s31
	s_add_i32 s31, s4, 0xfffff8c8
	s_delay_alu instid0(SALU_CYCLE_1)
	v_dual_mov_b32 v61, s33 :: v_dual_mov_b32 v58, s31
	s_add_i32 s11, s33, -8
	s_sub_i32 s30, s30, 36
	ds_load_2addr_b32 v[56:57], v56 offset1:1
	ds_load_2addr_b32 v[58:59], v58 offset1:1
	ds_load_b32 v79, v61
	v_mov_b32_e32 v80, s11
	v_mov_b32_e32 v70, s30
	s_add_i32 s11, s33, -16
	s_sub_i32 s30, s33, 24
	s_waitcnt lgkmcnt(7)
	v_fma_f32 v38, -v23, v74, v38
	s_waitcnt lgkmcnt(6)
	v_fma_f32 v63, -v35, v76, v63
	s_sub_i32 s31, s33, 40
	s_lshl_b32 s20, s20, 2
	v_fma_f32 v38, -v22, v73, v38
	ds_load_2addr_b32 v[61:62], v42 offset1:1
	ds_load_2addr_b32 v[73:74], v70 offset1:1
	s_waitcnt lgkmcnt(6)
	v_fma_f32 v70, -v27, v41, v38
	v_mul_f32_e32 v38, v64, v49
	ds_load_2addr_b32 v[41:42], v80 offset1:1
	v_fma_f32 v49, -v32, v60, v65
	v_fma_f32 v60, -v37, v75, v63
	v_fma_f32 v40, -v28, v40, v70
	v_mov_b32_e32 v63, s11
	s_add_i32 s11, s10, 0xfffffc60
	v_fma_f32 v49, -v34, v67, v49
	s_waitcnt lgkmcnt(6)
	v_fma_f32 v40, -v30, v55, v40
	v_fma_f32 v55, -v38, v78, v60
	v_mov_b32_e32 v60, s30
	ds_load_2addr_b32 v[63:64], v63 offset1:1
	s_sub_i32 s30, s33, 32
	v_fma_f32 v40, -v31, v54, v40
	s_waitcnt lgkmcnt(4)
	v_fma_f32 v54, -v23, v79, v39
	v_mul_f32_e32 v39, v77, v55
	v_fma_f32 v49, -v35, v66, v49
	s_waitcnt lgkmcnt(3)
	v_fma_f32 v40, -v32, v62, v40
	v_mov_b32_e32 v62, s31
	s_waitcnt lgkmcnt(1)
	v_fma_f32 v42, -v22, v42, v54
	ds_load_2addr_b32 v[54:55], v60 offset1:1
	v_mov_b32_e32 v60, s30
	v_fma_f32 v49, -v37, v69, v49
	v_fma_f32 v40, -v34, v61, v40
	;; [unrolled: 1-line block ×3, first 2 shown]
	ds_load_2addr_b32 v[60:61], v60 offset1:1
	ds_load_2addr_b32 v[65:66], v62 offset1:1
	v_or_b32_e32 v62, s11, v0
	s_sub_i32 s30, s33, 48
	v_fma_f32 v42, -v38, v68, v49
	s_waitcnt lgkmcnt(3)
	v_fma_f32 v41, -v28, v64, v41
	v_or_b32_e32 v49, s19, v0
	v_fma_f32 v64, -v35, v74, v40
	s_add_i32 s31, s29, -4
	s_lshl_b32 s33, s12, 2
	v_fma_f32 v63, -v30, v63, v41
	v_dual_mov_b32 v62, s30 :: v_dual_lshlrev_b32 v41, 2, v62
	s_add_i32 s30, s4, 0xfffff844
	v_fma_f32 v42, -v39, v72, v42
	s_waitcnt lgkmcnt(2)
	v_fma_f32 v55, -v31, v55, v63
	v_mov_b32_e32 v63, s30
	s_add_i32 s30, s29, -12
	s_add_i32 s12, s33, -8
	v_mov_b32_e32 v70, s30
	s_sub_i32 s30, s29, 52
	v_lshlrev_b32_e32 v40, 2, v49
	v_fma_f32 v49, -v37, v73, v64
	v_fma_f32 v69, -v32, v54, v55
	v_dual_mov_b32 v64, s31 :: v_dual_mov_b32 v77, s12
	ds_load_2addr_b32 v[54:55], v62 offset1:1
	ds_load_2addr_b32 v[62:63], v63 offset1:1
	;; [unrolled: 1-line block ×3, first 2 shown]
	v_fma_f32 v49, -v38, v57, v49
	s_waitcnt lgkmcnt(4)
	v_fma_f32 v57, -v34, v61, v69
	v_mov_b32_e32 v61, s30
	s_add_i32 s30, s4, 0xfffff7c0
	v_dual_mul_f32 v42, v71, v42 :: v_dual_mov_b32 v75, s33
	v_fma_f32 v49, -v39, v56, v49
	v_mov_b32_e32 v64, s30
	s_sub_i32 s30, s29, 28
	s_sub_i32 s31, s29, 20
	s_add_i32 s12, s10, 0xfffffc40
	v_fma_f32 v49, -v42, v59, v49
	v_mov_b32_e32 v59, s30
	ds_load_2addr_b32 v[69:70], v70 offset1:1
	ds_load_2addr_b32 v[71:72], v61 offset1:1
	;; [unrolled: 1-line block ×3, first 2 shown]
	ds_load_b32 v64, v75
	v_fma_f32 v75, -v35, v60, v57
	s_sub_i32 s30, s29, 36
	s_sub_i32 s29, s29, 44
	v_or_b32_e32 v85, s12, v0
	s_waitcnt lgkmcnt(4)
	v_fma_f32 v43, -v23, v68, v43
	v_fma_f32 v66, -v37, v66, v75
	v_mov_b32_e32 v68, s29
	s_add_i32 s29, s33, -16
	s_add_i32 s19, s19, s26
	v_fma_f32 v43, -v22, v67, v43
	v_fma_f32 v86, -v38, v65, v66
	v_mov_b32_e32 v66, s30
	s_sub_i32 s30, s33, 24
	v_mov_b32_e32 v76, s31
	ds_load_2addr_b32 v[56:57], v76 offset1:1
	ds_load_2addr_b32 v[60:61], v77 offset1:1
	s_waitcnt lgkmcnt(5)
	v_fma_f32 v43, -v27, v70, v43
	s_waitcnt lgkmcnt(2)
	v_fma_f32 v44, -v23, v64, v44
	s_add_i32 s31, s28, -4
	v_fma_f32 v55, -v39, v55, v86
	v_mov_b32_e32 v79, s31
	v_fma_f32 v43, -v28, v69, v43
	s_add_i32 s11, s11, s26
	s_add_i32 s12, s12, s26
	s_lshl_b32 s11, s11, 2
	s_waitcnt lgkmcnt(1)
	v_fma_f32 v43, -v30, v57, v43
	v_mov_b32_e32 v57, s29
	s_sub_i32 s29, s33, 32
	s_waitcnt lgkmcnt(0)
	v_fma_f32 v44, -v22, v61, v44
	v_mov_b32_e32 v81, s29
	ds_load_2addr_b32 v[64:65], v59 offset1:1
	ds_load_2addr_b32 v[66:67], v66 offset1:1
	;; [unrolled: 1-line block ×3, first 2 shown]
	v_mov_b32_e32 v59, s30
	v_fma_f32 v61, -v31, v56, v43
	v_fma_f32 v70, -v27, v60, v44
	ds_load_2addr_b32 v[43:44], v57 offset1:1
	ds_load_2addr_b32 v[56:57], v59 offset1:1
	s_sub_i32 s29, s33, 48
	s_sub_i32 s30, s33, 40
	v_mov_b32_e32 v59, s29
	s_sub_i32 s29, s33, 56
	v_mov_b32_e32 v83, s30
	v_mov_b32_e32 v75, s29
	s_add_i32 s29, s4, 0xfffff73c
	s_sub_i32 s30, s28, 36
	v_mov_b32_e32 v77, s29
	s_add_i32 s29, s28, -12
	s_add_i32 s33, s27, -4
	v_mov_b32_e32 v86, s29
	s_sub_i32 s29, s28, 20
	s_waitcnt lgkmcnt(1)
	v_fma_f32 v70, -v28, v44, v70
	v_mul_f32_e32 v44, v58, v49
	ds_load_2addr_b32 v[59:60], v59 offset1:1
	ds_load_2addr_b32 v[75:76], v75 offset1:1
	;; [unrolled: 1-line block ×6, first 2 shown]
	v_fma_f32 v49, -v32, v65, v61
	v_fma_f32 v61, -v42, v54, v55
	;; [unrolled: 1-line block ×3, first 2 shown]
	ds_load_2addr_b32 v[54:55], v86 offset1:1
	v_mov_b32_e32 v65, s30
	v_fma_f32 v49, -v34, v64, v49
	s_sub_i32 s30, s28, 44
	s_waitcnt lgkmcnt(7)
	v_fma_f32 v57, -v31, v57, v58
	v_fma_f32 v58, -v44, v63, v61
	v_mov_b32_e32 v61, s29
	s_sub_i32 s29, s28, 28
	v_fma_f32 v49, -v35, v67, v49
	v_fma_f32 v63, -v32, v56, v57
	ds_load_2addr_b32 v[56:57], v61 offset1:1
	v_mov_b32_e32 v61, s29
	s_lshl_b32 s29, s13, 2
	s_waitcnt lgkmcnt(4)
	v_fma_f32 v45, -v23, v80, v45
	v_fma_f32 v49, -v37, v66, v49
	s_waitcnt lgkmcnt(3)
	v_fma_f32 v67, -v34, v82, v63
	ds_load_2addr_b32 v[63:64], v61 offset1:1
	ds_load_2addr_b32 v[65:66], v65 offset1:1
	v_mov_b32_e32 v61, s29
	v_fma_f32 v45, -v22, v79, v45
	s_add_i32 s13, s29, -8
	v_fma_f32 v49, -v38, v69, v49
	s_sub_i32 s31, s29, 64
	ds_load_b32 v61, v61
	s_waitcnt lgkmcnt(4)
	v_fma_f32 v45, -v27, v55, v45
	v_fma_f32 v55, -v35, v81, v67
	;; [unrolled: 1-line block ×3, first 2 shown]
	v_mov_b32_e32 v86, s25
	s_delay_alu instid0(VALU_DEP_4)
	v_fma_f32 v45, -v28, v54, v45
	v_mov_b32_e32 v54, s13
	v_fma_f32 v67, -v37, v84, v55
	s_add_i32 s13, s29, -16
	v_fma_f32 v49, -v42, v72, v49
	s_waitcnt lgkmcnt(3)
	v_fma_f32 v57, -v30, v57, v45
	ds_load_2addr_b32 v[54:55], v54 offset1:1
	v_dual_mul_f32 v45, v62, v58 :: v_dual_mov_b32 v58, s13
	v_fma_f32 v49, -v44, v71, v49
	v_fma_f32 v56, -v31, v56, v57
	;; [unrolled: 1-line block ×3, first 2 shown]
	s_sub_i32 s13, s29, 24
	v_lshlrev_b32_e32 v43, 2, v85
	v_fma_f32 v49, -v45, v74, v49
	s_waitcnt lgkmcnt(3)
	v_fma_f32 v62, -v32, v64, v56
	v_mov_b32_e32 v64, s13
	v_fma_f32 v60, -v39, v60, v57
	ds_load_2addr_b32 v[56:57], v58 offset1:1
	s_waitcnt lgkmcnt(2)
	v_fma_f32 v61, -v23, v61, v46
	v_mul_f32_e32 v46, v73, v49
	v_fma_f32 v62, -v34, v63, v62
	v_fma_f32 v60, -v42, v59, v60
	ds_load_2addr_b32 v[58:59], v64 offset1:1
	v_mov_b32_e32 v64, s30
	s_sub_i32 s30, s28, 52
	s_waitcnt lgkmcnt(2)
	v_fma_f32 v49, -v22, v55, v61
	v_fma_f32 v62, -v35, v66, v62
	;; [unrolled: 1-line block ×3, first 2 shown]
	v_mov_b32_e32 v60, s33
	s_sub_i32 s28, s28, 60
	v_fma_f32 v49, -v27, v54, v49
	v_mov_b32_e32 v54, s31
	s_add_i32 s31, s4, 0xfffff634
	v_mov_b32_e32 v66, s30
	v_mov_b32_e32 v68, s28
	s_add_i32 s28, s4, 0xfffff6b8
	s_sub_i32 s30, s29, 32
	s_waitcnt lgkmcnt(1)
	v_fma_f32 v49, -v28, v57, v49
	v_mov_b32_e32 v57, s31
	v_fma_f32 v76, -v37, v65, v62
	v_mov_b32_e32 v70, s28
	s_add_i32 s28, s27, -12
	v_fma_f32 v49, -v30, v56, v49
	ds_load_2addr_b32 v[54:55], v54 offset1:1
	ds_load_2addr_b32 v[56:57], v57 offset1:1
	;; [unrolled: 1-line block ×3, first 2 shown]
	v_mov_b32_e32 v62, s30
	s_sub_i32 s30, s29, 48
	v_fma_f32 v74, -v45, v75, v74
	s_waitcnt lgkmcnt(3)
	v_fma_f32 v49, -v31, v59, v49
	v_mov_b32_e32 v59, s28
	ds_load_2addr_b32 v[62:63], v62 offset1:1
	s_sub_i32 s28, s29, 40
	s_add_i32 s13, s10, 0xfffffc20
	v_fma_f32 v83, -v32, v58, v49
	v_mov_b32_e32 v49, s28
	ds_load_2addr_b32 v[64:65], v64 offset1:1
	ds_load_2addr_b32 v[66:67], v66 offset1:1
	;; [unrolled: 1-line block ×5, first 2 shown]
	s_sub_i32 s28, s29, 56
	s_delay_alu instid0(SALU_CYCLE_1)
	v_dual_mov_b32 v58, s30 :: v_dual_mov_b32 v79, s28
	s_sub_i32 s28, s27, 28
	s_sub_i32 s29, s27, 20
	;; [unrolled: 1-line block ×3, first 2 shown]
	s_addk_i32 s10, 0xfc00
	s_waitcnt lgkmcnt(6)
	v_fma_f32 v61, -v23, v61, v48
	s_delay_alu instid0(VALU_DEP_1)
	v_fma_f32 v60, -v22, v60, v61
	v_mov_b32_e32 v61, s28
	s_sub_i32 s28, s27, 36
	s_waitcnt lgkmcnt(5)
	v_fma_f32 v63, -v34, v63, v83
	v_mov_b32_e32 v83, s28
	s_sub_i32 s28, s27, 44
	s_delay_alu instid0(SALU_CYCLE_1)
	v_dual_mov_b32 v81, s29 :: v_dual_mov_b32 v84, s28
	ds_load_2addr_b32 v[48:49], v49 offset1:1
	ds_load_2addr_b32 v[58:59], v58 offset1:1
	;; [unrolled: 1-line block ×4, first 2 shown]
	s_waitcnt lgkmcnt(4)
	v_fma_f32 v73, -v27, v73, v60
	ds_load_2addr_b32 v[60:61], v61 offset1:1
	v_fma_f32 v65, -v38, v65, v76
	s_add_i32 s28, s25, -8
	v_fma_f32 v75, -v35, v62, v63
	v_fma_f32 v85, -v28, v72, v73
	ds_load_2addr_b32 v[72:73], v83 offset1:1
	ds_load_2addr_b32 v[83:84], v84 offset1:1
	v_fma_f32 v64, -v39, v64, v65
	v_mov_b32_e32 v87, s28
	ds_load_b32 v86, v86
	s_add_i32 s28, s25, -16
	s_sub_i32 s29, s27, 60
	v_fma_f32 v67, -v42, v67, v64
	ds_load_2addr_b32 v[62:63], v87 offset1:1
	v_mov_b32_e32 v65, s28
	s_sub_i32 s28, s25, 24
	s_waitcnt lgkmcnt(8)
	v_fma_f32 v49, -v37, v49, v75
	v_mov_b32_e32 v75, s28
	s_sub_i32 s28, s27, 52
	s_waitcnt lgkmcnt(5)
	v_fma_f32 v82, -v30, v82, v85
	s_addk_i32 s27, 0xffbc
	s_delay_alu instid0(VALU_DEP_1) | instskip(SKIP_1) | instid1(VALU_DEP_1)
	v_fma_f32 v76, -v31, v81, v82
	s_waitcnt lgkmcnt(4)
	v_fma_f32 v61, -v32, v61, v76
	v_fma_f32 v76, -v38, v48, v49
	s_delay_alu instid0(VALU_DEP_2)
	v_fma_f32 v60, -v34, v60, v61
	v_fma_f32 v61, -v44, v66, v67
	;; [unrolled: 1-line block ×3, first 2 shown]
	v_mov_b32_e32 v74, s27
	ds_load_2addr_b32 v[64:65], v65 offset1:1
	v_fma_f32 v59, -v39, v59, v76
	v_fma_f32 v61, -v45, v69, v61
	s_waitcnt lgkmcnt(4)
	v_fma_f32 v60, -v35, v73, v60
	s_sub_i32 s27, s25, 64
	v_fma_f32 v58, -v42, v58, v59
	v_fma_f32 v82, -v46, v68, v61
	v_mov_b32_e32 v61, s28
	s_add_i32 s28, s4, 0xfffff5b0
	v_fma_f32 v59, -v37, v72, v60
	v_mov_b32_e32 v76, s28
	ds_load_2addr_b32 v[48:49], v75 offset1:1
	s_waitcnt lgkmcnt(3)
	v_fma_f32 v47, -v23, v86, v47
	v_fma_f32 v58, -v44, v80, v58
	;; [unrolled: 1-line block ×3, first 2 shown]
	s_sub_i32 s28, s25, 48
	s_waitcnt lgkmcnt(2)
	v_fma_f32 v63, -v22, v63, v47
	v_mul_f32_e32 v47, v77, v66
	v_fma_f32 v84, -v45, v79, v58
	v_fma_f32 v78, -v39, v83, v59
	v_mov_b32_e32 v79, s28
	v_fma_f32 v60, -v27, v62, v63
	v_mov_b32_e32 v62, s29
	s_sub_i32 s29, s25, 32
	v_fma_f32 v55, -v46, v55, v84
	s_sub_i32 s28, s23, 40
	s_waitcnt lgkmcnt(1)
	v_fma_f32 v60, -v28, v65, v60
	s_delay_alu instid0(VALU_DEP_1)
	v_fma_f32 v63, -v30, v64, v60
	v_mov_b32_e32 v64, s27
	s_add_i32 s27, s25, 0xffffffb8
	s_sub_i32 s25, s25, 56
	v_mov_b32_e32 v66, s27
	ds_load_2addr_b32 v[58:59], v61 offset1:1
	ds_load_2addr_b32 v[60:61], v62 offset1:1
	s_waitcnt lgkmcnt(2)
	v_fma_f32 v49, -v31, v49, v63
	v_mov_b32_e32 v62, s29
	s_add_i32 s27, s4, 0xfffff52c
	s_delay_alu instid0(SALU_CYCLE_1) | instskip(NEXT) | instid1(VALU_DEP_3)
	v_dual_mov_b32 v63, s30 :: v_dual_mov_b32 v68, s27
	v_fma_f32 v83, -v32, v48, v49
	ds_load_2addr_b32 v[48:49], v62 offset1:1
	ds_load_2addr_b32 v[62:63], v63 offset1:1
	s_add_i32 s29, s24, -4
	v_fma_f32 v71, -v47, v71, v82
	v_mov_b32_e32 v72, s29
	ds_load_2addr_b32 v[64:65], v64 offset1:1
	ds_load_2addr_b32 v[66:67], v66 offset1:1
	;; [unrolled: 1-line block ×4, first 2 shown]
	v_mov_b32_e32 v80, s25
	ds_load_2addr_b32 v[74:75], v74 offset1:1
	ds_load_2addr_b32 v[76:77], v76 offset1:1
	s_add_i32 s25, s24, -12
	v_fma_f32 v82, -v47, v54, v55
	s_sub_i32 s27, s24, 36
	s_waitcnt lgkmcnt(9)
	v_fma_f32 v59, -v42, v59, v78
	s_delay_alu instid0(VALU_DEP_1) | instskip(SKIP_3) | instid1(VALU_DEP_3)
	v_fma_f32 v58, -v44, v58, v59
	s_waitcnt lgkmcnt(7)
	v_fma_f32 v49, -v34, v49, v83
	v_or_b32_e32 v83, s13, v0
	v_fma_f32 v54, -v45, v61, v58
	v_mov_b32_e32 v58, s25
	s_sub_i32 s25, s24, 20
	v_fma_f32 v59, -v35, v48, v49
	v_lshlrev_b32_e32 v48, 2, v83
	v_mul_f32_e32 v49, v70, v71
	ds_load_2addr_b32 v[78:79], v79 offset1:1
	ds_load_2addr_b32 v[80:81], v80 offset1:1
	v_fma_f32 v84, -v46, v60, v54
	s_waitcnt lgkmcnt(8)
	v_fma_f32 v55, -v37, v63, v59
	v_mov_b32_e32 v59, s25
	v_mov_b32_e32 v71, s23
	s_sub_i32 s25, s24, 28
	s_waitcnt lgkmcnt(4)
	v_fma_f32 v50, -v23, v73, v50
	v_fma_f32 v83, -v38, v62, v55
	ds_load_2addr_b32 v[54:55], v58 offset1:1
	v_mov_b32_e32 v70, s25
	s_add_i32 s25, s24, 0xffffffb4
	ds_load_2addr_b32 v[58:59], v59 offset1:1
	v_mov_b32_e32 v60, s25
	s_add_i32 s25, s4, 0xfffff4a8
	s_waitcnt lgkmcnt(5)
	v_fma_f32 v75, -v47, v75, v84
	v_mov_b32_e32 v62, s25
	v_fma_f32 v50, -v22, v72, v50
	s_add_i32 s25, s23, -8
	v_mov_b32_e32 v72, s27
	v_mov_b32_e32 v86, s25
	v_fma_f32 v84, -v49, v74, v75
	v_mov_b32_e32 v75, s28
	ds_load_2addr_b32 v[60:61], v60 offset1:1
	ds_load_2addr_b32 v[62:63], v62 offset1:1
	ds_load_b32 v85, v71
	ds_load_2addr_b32 v[70:71], v70 offset1:1
	ds_load_2addr_b32 v[72:73], v72 offset1:1
	v_fma_f32 v57, -v49, v57, v82
	s_add_i32 s25, s23, -16
	s_sub_i32 s27, s23, 32
	s_add_i32 s13, s13, s26
	s_waitcnt lgkmcnt(6)
	v_fma_f32 v50, -v27, v55, v50
	v_fma_f32 v55, -v39, v79, v83
	ds_load_2addr_b32 v[82:83], v86 offset1:1
	v_mov_b32_e32 v74, s27
	v_fma_f32 v54, -v28, v54, v50
	v_fma_f32 v55, -v42, v78, v55
	v_mul_f32_e32 v50, v56, v57
	v_mov_b32_e32 v56, s25
	s_sub_i32 s25, s24, 44
	s_waitcnt lgkmcnt(6)
	v_fma_f32 v57, -v30, v59, v54
	v_fma_f32 v81, -v44, v81, v55
	ds_load_2addr_b32 v[54:55], v56 offset1:1
	s_waitcnt lgkmcnt(4)
	v_fma_f32 v51, -v23, v85, v51
	v_fma_f32 v56, -v31, v58, v57
	v_mov_b32_e32 v57, s25
	s_sub_i32 s25, s23, 24
	v_fma_f32 v80, -v45, v80, v81
	v_mov_b32_e32 v58, s25
	s_waitcnt lgkmcnt(3)
	v_fma_f32 v71, -v32, v71, v56
	ds_load_2addr_b32 v[56:57], v57 offset1:1
	s_waitcnt lgkmcnt(2)
	v_fma_f32 v51, -v22, v83, v51
	s_sub_i32 s25, s24, 52
	ds_load_2addr_b32 v[58:59], v58 offset1:1
	v_fma_f32 v78, -v34, v70, v71
	v_mov_b32_e32 v79, s25
	v_fma_f32 v51, -v27, v82, v51
	ds_load_2addr_b32 v[70:71], v74 offset1:1
	ds_load_2addr_b32 v[74:75], v75 offset1:1
	s_sub_i32 s25, s24, 60
	s_addk_i32 s24, 0xffbc
	s_waitcnt lgkmcnt(4)
	v_fma_f32 v51, -v28, v55, v51
	v_fma_f32 v55, -v35, v73, v78
	ds_load_2addr_b32 v[78:79], v79 offset1:1
	v_mov_b32_e32 v73, s24
	s_add_i32 s24, s22, -4
	v_fma_f32 v51, -v30, v54, v51
	v_fma_f32 v82, -v37, v72, v55
	v_mov_b32_e32 v54, s25
	ds_load_2addr_b32 v[54:55], v54 offset1:1
	ds_load_2addr_b32 v[72:73], v73 offset1:1
	s_waitcnt lgkmcnt(5)
	v_fma_f32 v51, -v31, v59, v51
	v_fma_f32 v57, -v38, v57, v82
	v_fma_f32 v59, -v46, v65, v80
	s_delay_alu instid0(VALU_DEP_3) | instskip(SKIP_1) | instid1(VALU_DEP_4)
	v_fma_f32 v51, -v32, v58, v51
	v_fma_f32 v58, -v50, v77, v84
	;; [unrolled: 1-line block ×3, first 2 shown]
	v_or_b32_e32 v84, s10, v0
	s_sub_i32 s10, s23, 48
	s_waitcnt lgkmcnt(4)
	v_fma_f32 v57, -v34, v71, v51
	v_mul_f32_e32 v51, v76, v58
	s_waitcnt lgkmcnt(2)
	v_fma_f32 v76, -v42, v79, v56
	v_mov_b32_e32 v56, s10
	s_add_i32 s10, s23, 0xffffffb0
	v_fma_f32 v82, -v47, v64, v59
	v_mov_b32_e32 v58, s10
	s_add_i32 s10, s4, 0xfffff424
	v_mov_b32_e32 v79, s24
	v_mov_b32_e32 v59, s10
	v_fma_f32 v77, -v35, v70, v57
	ds_load_2addr_b32 v[56:57], v56 offset1:1
	ds_load_2addr_b32 v[64:65], v58 offset1:1
	;; [unrolled: 1-line block ×4, first 2 shown]
	s_sub_i32 s10, s23, 56
	v_fma_f32 v75, -v37, v75, v77
	v_mov_b32_e32 v77, s10
	s_add_i32 s10, s22, -12
	v_fma_f32 v78, -v44, v78, v76
	v_mov_b32_e32 v76, s10
	v_fma_f32 v83, -v38, v74, v75
	ds_load_2addr_b32 v[74:75], v77 offset1:1
	s_sub_i32 s10, s23, 64
	s_addk_i32 s23, 0xffb8
	ds_load_2addr_b32 v[76:77], v76 offset1:1
	v_mov_b32_e32 v79, s10
	s_sub_i32 s10, s22, 20
	s_delay_alu instid0(SALU_CYCLE_1)
	v_dual_mov_b32 v80, s23 :: v_dual_mov_b32 v85, s10
	s_waitcnt lgkmcnt(7)
	v_fma_f32 v55, -v45, v55, v78
	ds_load_2addr_b32 v[78:79], v79 offset1:1
	ds_load_2addr_b32 v[80:81], v80 offset1:1
	s_waitcnt lgkmcnt(7)
	v_fma_f32 v57, -v39, v57, v83
	v_fma_f32 v67, -v49, v67, v82
	s_waitcnt lgkmcnt(4)
	v_fma_f32 v52, -v23, v59, v52
	ds_load_2addr_b32 v[82:83], v85 offset1:1
	s_sub_i32 s10, s22, 28
	v_fma_f32 v54, -v46, v54, v55
	v_fma_f32 v55, -v42, v56, v57
	;; [unrolled: 1-line block ×3, first 2 shown]
	v_mov_b32_e32 v56, s10
	s_sub_i32 s10, s22, 36
	v_fma_f32 v57, -v47, v73, v54
	s_waitcnt lgkmcnt(4)
	v_fma_f32 v59, -v44, v75, v55
	s_waitcnt lgkmcnt(3)
	v_fma_f32 v52, -v27, v77, v52
	ds_load_2addr_b32 v[54:55], v56 offset1:1
	s_sub_i32 s23, s22, 44
	v_fma_f32 v58, -v50, v66, v67
	v_mov_b32_e32 v66, s23
	v_fma_f32 v52, -v28, v76, v52
	s_sub_i32 s23, s18, 40
	v_mov_b32_e32 v56, s10
	v_fma_f32 v72, -v49, v72, v57
	ds_load_2addr_b32 v[56:57], v56 offset1:1
	ds_load_2addr_b32 v[66:67], v66 offset1:1
	s_waitcnt lgkmcnt(3)
	v_fma_f32 v52, -v30, v83, v52
	v_fma_f32 v58, -v51, v69, v58
	;; [unrolled: 1-line block ×3, first 2 shown]
	s_add_i32 s10, s22, 0xffffffac
	v_fma_f32 v61, -v50, v61, v72
	v_fma_f32 v69, -v31, v82, v52
	v_mul_f32_e32 v52, v68, v58
	v_fma_f32 v59, -v46, v79, v59
	v_mov_b32_e32 v72, s18
	v_fma_f32 v61, -v51, v60, v61
	s_waitcnt lgkmcnt(2)
	v_fma_f32 v55, -v32, v55, v69
	v_lshlrev_b32_e32 v74, 2, v84
	v_fma_f32 v58, -v47, v78, v59
	v_mov_b32_e32 v59, s10
	s_add_i32 s10, s4, 0xfffff3a0
	v_fma_f32 v54, -v34, v54, v55
	v_fma_f32 v61, -v52, v63, v61
	v_fma_f32 v75, -v49, v81, v58
	s_waitcnt lgkmcnt(1)
	s_delay_alu instid0(VALU_DEP_3) | instskip(NEXT) | instid1(VALU_DEP_2)
	v_fma_f32 v54, -v35, v57, v54
	v_fma_f32 v63, -v50, v80, v75
	s_delay_alu instid0(VALU_DEP_2) | instskip(SKIP_1) | instid1(VALU_DEP_3)
	v_fma_f32 v56, -v37, v56, v54
	v_mul_f32_e32 v54, v62, v61
	v_fma_f32 v95, -v51, v65, v63
	s_waitcnt lgkmcnt(0)
	s_delay_alu instid0(VALU_DEP_3)
	v_fma_f32 v56, -v38, v67, v56
	v_mov_b32_e32 v67, s23
	s_sub_i32 s23, s22, 60
	v_mov_b32_e32 v68, s10
	s_add_i32 s10, s18, -8
	ds_load_2addr_b32 v[59:60], v59 offset1:1
	ds_load_2addr_b32 v[68:69], v68 offset1:1
	ds_load_b32 v76, v72
	v_mov_b32_e32 v55, s10
	s_add_i32 s10, s18, -16
	v_fma_f32 v56, -v39, v66, v56
	ds_load_2addr_b32 v[72:73], v55 offset1:1
	ds_load_b32 v90, v33 offset:4096
	ds_load_b32 v92, v36 offset:4096
	;; [unrolled: 1-line block ×7, first 2 shown]
	v_mov_b32_e32 v74, s10
	s_sub_i32 s10, s22, 52
	s_delay_alu instid0(SALU_CYCLE_1)
	v_mov_b32_e32 v77, s10
	s_sub_i32 s10, s18, 24
	ds_load_2addr_b32 v[74:75], v74 offset1:1
	v_mov_b32_e32 v63, s10
	s_sub_i32 s10, s18, 32
	ds_load_2addr_b32 v[61:62], v77 offset1:1
	v_mov_b32_e32 v65, s10
	s_add_i32 s10, s18, 0xffffffb0
	s_waitcnt lgkmcnt(10)
	v_fma_f32 v53, -v23, v76, v53
	s_waitcnt lgkmcnt(9)
	s_delay_alu instid0(VALU_DEP_1) | instskip(NEXT) | instid1(VALU_DEP_1)
	v_fma_f32 v53, -v22, v73, v53
	v_fma_f32 v53, -v27, v72, v53
	ds_load_2addr_b32 v[72:73], v63 offset1:1
	ds_load_2addr_b32 v[76:77], v65 offset1:1
	;; [unrolled: 1-line block ×3, first 2 shown]
	v_mov_b32_e32 v63, s10
	s_add_i32 s10, s18, 0xffffffa8
	s_delay_alu instid0(SALU_CYCLE_1)
	v_mov_b32_e32 v65, s10
	s_lshl_b32 s10, s21, 2
	s_waitcnt lgkmcnt(4)
	v_fma_f32 v53, -v28, v75, v53
	s_add_i32 s21, s4, 0xfffff31c
	s_add_i32 s24, s10, -4
	s_delay_alu instid0(SALU_CYCLE_1) | instskip(NEXT) | instid1(VALU_DEP_2)
	v_dual_mov_b32 v67, s21 :: v_dual_mov_b32 v84, s24
	v_fma_f32 v53, -v30, v74, v53
	ds_load_2addr_b32 v[74:75], v63 offset1:1
	ds_load_2addr_b32 v[80:81], v65 offset1:1
	;; [unrolled: 1-line block ×4, first 2 shown]
	v_mov_b32_e32 v63, s23
	s_add_i32 s23, s10, -12
	s_add_i32 s21, s22, 0xffffffbc
	v_mov_b32_e32 v65, s23
	s_addk_i32 s22, 0xffb4
	s_waitcnt lgkmcnt(6)
	v_fma_f32 v53, -v31, v73, v53
	v_dual_mov_b32 v67, s21 :: v_dual_mov_b32 v88, s22
	s_sub_i32 s21, s10, 20
	v_fma_f32 v56, -v42, v62, v56
	s_delay_alu instid0(VALU_DEP_3)
	v_fma_f32 v53, -v32, v72, v53
	ds_load_2addr_b32 v[65:66], v65 offset1:1
	ds_load_2addr_b32 v[72:73], v63 offset1:1
	;; [unrolled: 1-line block ×4, first 2 shown]
	v_mov_b32_e32 v62, s21
	s_sub_i32 s21, s18, 48
	v_fma_f32 v56, -v44, v61, v56
	s_waitcnt lgkmcnt(9)
	v_fma_f32 v53, -v34, v77, v53
	s_sub_i32 s22, s10, 28
	ds_load_2addr_b32 v[62:63], v62 offset1:1
	s_sub_i32 s23, s10, 36
	s_waitcnt lgkmcnt(5)
	v_fma_f32 v67, -v23, v85, v90
	v_fma_f32 v53, -v35, v76, v53
	v_mov_b32_e32 v90, s21
	s_sub_i32 s21, s18, 56
	v_mov_b32_e32 v77, s22
	v_fma_f32 v67, -v22, v84, v67
	v_fma_f32 v53, -v37, v79, v53
	v_fma_f32 v79, -v52, v64, v95
	v_mov_b32_e32 v64, s21
	s_sub_i32 s21, s18, 64
	s_waitcnt lgkmcnt(4)
	v_fma_f32 v66, -v27, v66, v67
	s_addk_i32 s18, 0xffb8
	v_mov_b32_e32 v85, s23
	s_waitcnt lgkmcnt(3)
	v_fma_f32 v56, -v45, v73, v56
	v_fma_f32 v73, -v54, v71, v79
	;; [unrolled: 1-line block ×4, first 2 shown]
	s_delay_alu instid0(VALU_DEP_4) | instskip(SKIP_1) | instid1(VALU_DEP_3)
	v_fma_f32 v56, -v46, v72, v56
	s_waitcnt lgkmcnt(0)
	v_fma_f32 v61, -v30, v63, v66
	v_mov_b32_e32 v66, s18
	s_sub_i32 s18, s10, 44
	v_mov_b32_e32 v63, s21
	v_mov_b32_e32 v95, s18
	s_sub_i32 s18, s10, 52
	v_fma_f32 v78, -v31, v62, v61
	v_mov_b32_e32 v71, s18
	ds_load_2addr_b32 v[76:77], v77 offset1:1
	ds_load_2addr_b32 v[84:85], v85 offset1:1
	;; [unrolled: 1-line block ×6, first 2 shown]
	s_sub_i32 s18, s10, 60
	ds_load_2addr_b32 v[71:72], v71 offset1:1
	s_add_i32 s21, s10, 0xffffffbc
	v_fma_f32 v56, -v47, v87, v56
	s_delay_alu instid0(VALU_DEP_1) | instskip(NEXT) | instid1(VALU_DEP_1)
	v_fma_f32 v56, -v49, v86, v56
	v_fma_f32 v56, -v50, v89, v56
	s_waitcnt lgkmcnt(6)
	v_fma_f32 v63, -v32, v77, v78
	ds_load_2addr_b32 v[77:78], v95 offset1:1
	s_waitcnt lgkmcnt(5)
	v_fma_f32 v53, -v39, v91, v53
	v_fma_f32 v56, -v51, v88, v56
	;; [unrolled: 1-line block ×3, first 2 shown]
	v_mov_b32_e32 v76, s21
	s_delay_alu instid0(VALU_DEP_4)
	v_fma_f32 v53, -v42, v90, v53
	s_add_i32 s21, s10, 0xffffffac
	v_fma_f32 v56, -v52, v60, v56
	v_fma_f32 v63, -v35, v85, v63
	s_waitcnt lgkmcnt(4)
	v_fma_f32 v53, -v44, v65, v53
	v_mov_b32_e32 v65, s18
	s_add_i32 s18, s20, -8
	v_fma_f32 v79, -v37, v84, v63
	v_fma_f32 v56, -v54, v59, v56
	;; [unrolled: 1-line block ×3, first 2 shown]
	ds_load_2addr_b32 v[63:64], v65 offset1:1
	ds_load_2addr_b32 v[84:85], v76 offset1:1
	v_mov_b32_e32 v76, s18
	s_add_i32 s18, s20, -16
	s_waitcnt lgkmcnt(2)
	v_fma_f32 v65, -v38, v78, v79
	v_fma_f32 v53, -v46, v62, v53
	v_mov_b32_e32 v62, s20
	v_mov_b32_e32 v60, s18
	s_sub_i32 s18, s20, 24
	v_fma_f32 v65, -v39, v77, v65
	v_fma_f32 v78, -v47, v61, v53
	v_mul_f32_e32 v53, v70, v73
	v_mov_b32_e32 v73, s21
	ds_load_b32 v77, v62
	v_fma_f32 v65, -v42, v72, v65
	v_fma_f32 v67, -v49, v67, v78
	v_mov_b32_e32 v70, s18
	s_add_i32 s18, s10, 0xffffffb4
	v_fma_f32 v56, -v53, v69, v56
	v_fma_f32 v65, -v44, v71, v65
	;; [unrolled: 1-line block ×3, first 2 shown]
	s_addk_i32 s10, 0xffa4
	s_sub_i32 s21, s20, 56
	s_waitcnt lgkmcnt(2)
	v_fma_f32 v67, -v45, v64, v65
	ds_load_2addr_b32 v[64:65], v60 offset1:1
	ds_load_2addr_b32 v[61:62], v76 offset1:1
	;; [unrolled: 1-line block ×3, first 2 shown]
	v_fma_f32 v66, -v51, v75, v66
	v_fma_f32 v63, -v46, v63, v67
	s_waitcnt lgkmcnt(3)
	v_fma_f32 v67, -v23, v77, v92
	s_delay_alu instid0(VALU_DEP_2) | instskip(SKIP_2) | instid1(VALU_DEP_3)
	v_fma_f32 v63, -v47, v85, v63
	v_fma_f32 v66, -v52, v74, v66
	v_mov_b32_e32 v74, s10
	v_fma_f32 v77, -v49, v84, v63
	s_delay_alu instid0(VALU_DEP_3) | instskip(SKIP_2) | instid1(VALU_DEP_1)
	v_fma_f32 v81, -v54, v81, v66
	s_waitcnt lgkmcnt(1)
	v_fma_f32 v62, -v22, v62, v67
	v_fma_f32 v61, -v27, v61, v62
	v_mov_b32_e32 v62, s18
	s_sub_i32 s18, s20, 32
	s_delay_alu instid0(SALU_CYCLE_1) | instskip(NEXT) | instid1(VALU_DEP_3)
	v_mov_b32_e32 v63, s18
	v_fma_f32 v67, -v28, v65, v61
	ds_load_2addr_b32 v[61:62], v62 offset1:1
	s_sub_i32 s18, s20, 40
	ds_load_2addr_b32 v[65:66], v63 offset1:1
	v_fma_f32 v63, -v30, v64, v67
	v_mov_b32_e32 v64, s18
	s_lshl_b32 s18, s19, 2
	v_mov_b32_e32 v70, s21
	s_add_i32 s19, s18, -4
	s_waitcnt lgkmcnt(2)
	v_fma_f32 v60, -v31, v60, v63
	v_mov_b32_e32 v67, s19
	ds_load_2addr_b32 v[63:64], v64 offset1:1
	s_sub_i32 s10, s18, 20
	s_delay_alu instid0(SALU_CYCLE_1)
	v_dual_mul_f32 v56, v68, v56 :: v_dual_mov_b32 v79, s10
	ds_load_2addr_b32 v[67:68], v67 offset1:1
	s_sub_i32 s19, s20, 48
	v_fma_f32 v71, -v32, v59, v60
	v_mov_b32_e32 v69, s19
	s_add_i32 s19, s18, -12
	ds_load_2addr_b32 v[59:60], v69 offset1:1
	ds_load_2addr_b32 v[69:70], v70 offset1:1
	v_mov_b32_e32 v72, s19
	s_waitcnt lgkmcnt(4)
	v_fma_f32 v66, -v34, v66, v71
	s_add_i32 s19, s4, 0xfffff298
	v_fma_f32 v84, -v50, v62, v77
	v_mov_b32_e32 v75, s19
	ds_load_2addr_b32 v[71:72], v72 offset1:1
	v_fma_f32 v78, -v35, v65, v66
	ds_load_2addr_b32 v[65:66], v73 offset1:1
	ds_load_2addr_b32 v[73:74], v74 offset1:1
	;; [unrolled: 1-line block ×3, first 2 shown]
	s_sub_i32 s10, s20, 64
	v_fma_f32 v61, -v51, v61, v84
	s_sub_i32 s19, s18, 36
	s_waitcnt lgkmcnt(7)
	v_fma_f32 v64, -v37, v64, v78
	s_waitcnt lgkmcnt(6)
	v_fma_f32 v62, -v23, v68, v93
	ds_load_2addr_b32 v[77:78], v79 offset1:1
	s_sub_i32 s21, s18, 44
	v_fma_f32 v63, -v38, v63, v64
	v_mov_b32_e32 v64, s10
	s_sub_i32 s10, s18, 28
	v_fma_f32 v67, -v22, v67, v62
	v_mov_b32_e32 v68, s10
	s_waitcnt lgkmcnt(6)
	v_fma_f32 v60, -v39, v60, v63
	ds_load_2addr_b32 v[62:63], v64 offset1:1
	s_add_i32 s10, s20, 0xffffffb8
	v_mov_b32_e32 v79, s21
	s_waitcnt lgkmcnt(5)
	v_fma_f32 v64, -v27, v72, v67
	ds_load_2addr_b32 v[67:68], v68 offset1:1
	v_fma_f32 v85, -v42, v59, v60
	s_waitcnt lgkmcnt(5)
	v_fma_f32 v61, -v52, v66, v61
	v_fma_f32 v64, -v28, v71, v64
	s_delay_alu instid0(VALU_DEP_3) | instskip(SKIP_1) | instid1(VALU_DEP_2)
	v_fma_f32 v70, -v44, v70, v85
	s_waitcnt lgkmcnt(2)
	v_fma_f32 v64, -v30, v78, v64
	s_delay_alu instid0(VALU_DEP_2) | instskip(NEXT) | instid1(VALU_DEP_2)
	v_fma_f32 v70, -v45, v69, v70
	v_fma_f32 v64, -v31, v77, v64
	s_waitcnt lgkmcnt(1)
	s_delay_alu instid0(VALU_DEP_2)
	v_fma_f32 v63, -v46, v63, v70
	v_fma_f32 v70, -v53, v80, v81
	;; [unrolled: 1-line block ×3, first 2 shown]
	s_waitcnt lgkmcnt(0)
	v_fma_f32 v64, -v32, v68, v64
	v_fma_f32 v62, -v47, v62, v63
	s_delay_alu instid0(VALU_DEP_2) | instskip(SKIP_3) | instid1(SALU_CYCLE_1)
	v_fma_f32 v64, -v34, v67, v64
	v_fma_f32 v67, -v56, v83, v70
	v_mov_b32_e32 v86, s10
	s_add_i32 s10, s20, 0xffffffb0
	v_mov_b32_e32 v77, s10
	s_sub_i32 s10, s18, 52
	s_delay_alu instid0(SALU_CYCLE_1) | instskip(SKIP_1) | instid1(SALU_CYCLE_1)
	v_mov_b32_e32 v61, s10
	s_add_i32 s10, s20, 0xffffffa0
	v_dual_mov_b32 v72, s19 :: v_dual_mov_b32 v87, s10
	ds_load_2addr_b32 v[59:60], v72 offset1:1
	ds_load_2addr_b32 v[71:72], v79 offset1:1
	ds_load_2addr_b32 v[78:79], v86 offset1:1
	s_add_i32 s19, s20, 0xffffffa8
	s_sub_i32 s20, s11, 40
	v_mov_b32_e32 v85, s19
	ds_load_2addr_b32 v[68:69], v77 offset1:1
	ds_load_2addr_b32 v[84:85], v85 offset1:1
	s_sub_i32 s19, s18, 60
	s_add_i32 s10, s4, 0xfffff214
	s_waitcnt lgkmcnt(4)
	v_fma_f32 v60, -v35, v60, v64
	s_waitcnt lgkmcnt(2)
	v_fma_f32 v77, -v49, v79, v62
	s_delay_alu instid0(VALU_DEP_2)
	v_fma_f32 v62, -v37, v59, v60
	ds_load_2addr_b32 v[59:60], v61 offset1:1
	v_fma_f32 v86, -v50, v78, v77
	v_fma_f32 v65, -v38, v72, v62
	v_mov_b32_e32 v62, s19
	s_add_i32 s19, s11, -8
	s_waitcnt lgkmcnt(2)
	v_fma_f32 v69, -v51, v69, v86
	v_mov_b32_e32 v63, s19
	v_fma_f32 v79, -v39, v71, v65
	s_add_i32 s19, s18, 0xffffffbc
	ds_load_2addr_b32 v[63:64], v63 offset1:1
	v_mov_b32_e32 v61, s11
	ds_load_b32 v72, v61
	s_waitcnt lgkmcnt(2)
	v_fma_f32 v60, -v42, v60, v79
	ds_load_2addr_b32 v[61:62], v62 offset1:1
	v_fma_f32 v59, -v44, v59, v60
	s_waitcnt lgkmcnt(1)
	v_fma_f32 v60, -v23, v72, v94
	v_fma_f32 v72, -v53, v74, v81
	s_waitcnt lgkmcnt(0)
	v_fma_f32 v62, -v45, v62, v59
	v_mul_f32_e32 v59, v82, v67
	v_fma_f32 v60, -v22, v64, v60
	v_fma_f32 v64, -v52, v68, v69
	s_delay_alu instid0(VALU_DEP_4) | instskip(SKIP_1) | instid1(VALU_DEP_4)
	v_fma_f32 v61, -v46, v61, v62
	v_fma_f32 v62, -v56, v73, v72
	;; [unrolled: 1-line block ×3, first 2 shown]
	s_delay_alu instid0(VALU_DEP_4) | instskip(SKIP_2) | instid1(SALU_CYCLE_1)
	v_fma_f32 v63, -v54, v85, v64
	v_mov_b32_e32 v64, s10
	s_add_i32 s10, s18, 0xffffffac
	v_dual_mov_b32 v66, s19 :: v_dual_mov_b32 v81, s10
	s_add_i32 s19, s18, 0xffffffb4
	s_add_i32 s10, s11, 0xffffffa0
	s_delay_alu instid0(SALU_CYCLE_1)
	v_dual_mov_b32 v70, s19 :: v_dual_mov_b32 v67, s10
	ds_load_2addr_b32 v[65:66], v66 offset1:1
	ds_load_2addr_b32 v[70:71], v70 offset1:1
	s_add_i32 s19, s11, -16
	s_add_i32 s10, s11, 0xffffff98
	v_mov_b32_e32 v80, s19
	s_sub_i32 s19, s11, 24
	ds_load_2addr_b32 v[86:87], v87 offset1:1
	v_mov_b32_e32 v83, s19
	v_fma_f32 v63, -v53, v84, v63
	s_sub_i32 s19, s11, 32
	ds_load_2addr_b32 v[77:78], v83 offset1:1
	s_waitcnt lgkmcnt(3)
	v_fma_f32 v61, -v47, v66, v61
	v_fma_f32 v66, -v59, v76, v62
	s_delay_alu instid0(VALU_DEP_2) | instskip(SKIP_2) | instid1(VALU_DEP_2)
	v_fma_f32 v65, -v49, v65, v61
	s_waitcnt lgkmcnt(1)
	v_fma_f32 v85, -v56, v87, v63
	v_fma_f32 v69, -v50, v71, v65
	v_mov_b32_e32 v71, s10
	ds_load_2addr_b32 v[79:80], v80 offset1:1
	s_lshl_b32 s10, s12, 2
	s_add_i32 s12, s4, 0xfffff10c
	v_mov_b32_e32 v65, s20
	v_mov_b32_e32 v73, s12
	ds_load_2addr_b32 v[61:62], v64 offset1:1
	s_sub_i32 s20, s11, 48
	s_add_i32 s21, s10, -4
	s_sub_i32 s12, s11, 56
	v_fma_f32 v91, -v51, v70, v69
	s_waitcnt lgkmcnt(1)
	v_fma_f32 v60, -v28, v80, v60
	s_delay_alu instid0(VALU_DEP_1) | instskip(SKIP_3) | instid1(VALU_DEP_3)
	v_fma_f32 v64, -v30, v79, v60
	v_dual_mul_f32 v60, v75, v66 :: v_dual_mov_b32 v75, s21
	v_mov_b32_e32 v79, s12
	s_add_i32 s12, s10, -12
	v_fma_f32 v63, -v31, v78, v64
	v_mov_b32_e32 v84, s12
	v_mov_b32_e32 v64, s19
	s_add_i32 s19, s18, 0xffffffa4
	s_sub_i32 s12, s10, 20
	v_fma_f32 v82, -v32, v77, v63
	v_mov_b32_e32 v77, s20
	ds_load_2addr_b32 v[63:64], v64 offset1:1
	ds_load_2addr_b32 v[65:66], v65 offset1:1
	;; [unrolled: 1-line block ×6, first 2 shown]
	v_mov_b32_e32 v83, s19
	ds_load_2addr_b32 v[77:78], v77 offset1:1
	ds_load_2addr_b32 v[79:80], v79 offset1:1
	s_addk_i32 s18, 0xff9c
	s_sub_i32 s19, s10, 36
	v_mov_b32_e32 v87, s18
	s_sub_i32 s18, s10, 28
	s_waitcnt lgkmcnt(7)
	v_fma_f32 v64, -v34, v64, v82
	s_waitcnt lgkmcnt(2)
	v_fma_f32 v58, -v23, v76, v58
	v_mov_b32_e32 v76, s18
	s_add_i32 s18, s4, 0xfffff088
	v_fma_f32 v63, -v35, v63, v64
	v_mov_b32_e32 v64, s12
	ds_load_2addr_b32 v[69:70], v84 offset1:1
	ds_load_2addr_b32 v[81:82], v81 offset1:1
	;; [unrolled: 1-line block ×3, first 2 shown]
	v_fma_f32 v58, -v22, v75, v58
	s_add_i32 s12, s4, 0xfffff190
	v_fma_f32 v66, -v37, v66, v63
	ds_load_2addr_b32 v[63:64], v64 offset1:1
	v_mov_b32_e32 v90, s12
	s_sub_i32 s12, s11, 64
	v_fma_f32 v89, -v38, v65, v66
	s_waitcnt lgkmcnt(3)
	v_fma_f32 v58, -v27, v70, v58
	s_delay_alu instid0(VALU_DEP_2) | instskip(SKIP_2) | instid1(VALU_DEP_3)
	v_fma_f32 v70, -v39, v78, v89
	s_waitcnt lgkmcnt(2)
	v_fma_f32 v78, -v52, v82, v91
	v_fma_f32 v58, -v28, v69, v58
	s_delay_alu instid0(VALU_DEP_3)
	v_fma_f32 v69, -v42, v77, v70
	v_fma_f32 v77, -v59, v86, v85
	v_mov_b32_e32 v70, s12
	s_add_i32 s12, s11, 0xffffffb8
	s_waitcnt lgkmcnt(0)
	v_fma_f32 v58, -v30, v64, v58
	v_fma_f32 v64, -v54, v81, v78
	;; [unrolled: 1-line block ×3, first 2 shown]
	v_mov_b32_e32 v62, s12
	s_add_i32 s12, s11, 0xffffffb0
	v_fma_f32 v78, -v44, v80, v69
	v_fma_f32 v95, -v53, v84, v64
	v_mov_b32_e32 v64, s12
	s_sub_i32 s12, s10, 52
	s_delay_alu instid0(SALU_CYCLE_1)
	v_dual_mov_b32 v88, s19 :: v_dual_mov_b32 v81, s12
	ds_load_2addr_b32 v[65:66], v76 offset1:1
	ds_load_2addr_b32 v[75:76], v88 offset1:1
	;; [unrolled: 1-line block ×5, first 2 shown]
	v_fma_f32 v58, -v31, v63, v58
	s_addk_i32 s11, 0xffa8
	v_fma_f32 v79, -v45, v79, v78
	s_add_i32 s19, s10, 0xffffffb4
	s_sub_i32 s12, s10, 60
	s_waitcnt lgkmcnt(4)
	v_fma_f32 v58, -v32, v66, v58
	v_mov_b32_e32 v66, s11
	s_sub_i32 s11, s10, 44
	s_delay_alu instid0(SALU_CYCLE_1) | instskip(NEXT) | instid1(VALU_DEP_3)
	v_mov_b32_e32 v80, s11
	v_fma_f32 v58, -v34, v65, v58
	ds_load_2addr_b32 v[62:63], v62 offset1:1
	ds_load_2addr_b32 v[64:65], v64 offset1:1
	;; [unrolled: 1-line block ×3, first 2 shown]
	s_waitcnt lgkmcnt(3)
	v_fma_f32 v66, -v46, v70, v79
	ds_load_2addr_b32 v[79:80], v80 offset1:1
	ds_load_2addr_b32 v[81:82], v81 offset1:1
	s_add_i32 s11, s10, 0xffffff94
	v_fma_f32 v58, -v35, v76, v58
	v_mov_b32_e32 v70, s11
	s_lshl_b32 s11, s13, 2
	s_delay_alu instid0(SALU_CYCLE_1)
	v_dual_mov_b32 v76, s18 :: v_dual_mov_b32 v93, s11
	s_add_i32 s18, s11, -8
	ds_load_2addr_b32 v[84:85], v70 offset1:1
	ds_load_2addr_b32 v[91:92], v76 offset1:1
	ds_load_b32 v96, v93
	s_add_i32 s13, s10, 0xffffffbc
	v_mov_b32_e32 v70, s18
	v_dual_mov_b32 v76, s12 :: v_dual_mov_b32 v93, s13
	v_fma_f32 v58, -v37, v75, v58
	v_fma_f32 v66, -v47, v69, v66
	ds_load_2addr_b32 v[69:70], v70 offset1:1
	ds_load_2addr_b32 v[75:76], v76 offset1:1
	;; [unrolled: 1-line block ×3, first 2 shown]
	s_add_i32 s12, s11, -16
	s_sub_i32 s13, s15, 32
	s_waitcnt lgkmcnt(7)
	v_fma_f32 v58, -v38, v80, v58
	v_fma_f32 v63, -v49, v63, v66
	v_mov_b32_e32 v66, s12
	v_fma_f32 v80, -v56, v83, v95
	v_mul_f32_e32 v95, v61, v86
	v_fma_f32 v58, -v39, v79, v58
	v_fma_f32 v63, -v50, v62, v63
	ds_load_2addr_b32 v[61:62], v66 offset1:1
	s_sub_i32 s12, s11, 24
	v_fma_f32 v79, -v59, v88, v80
	s_waitcnt lgkmcnt(7)
	v_fma_f32 v58, -v42, v82, v58
	s_waitcnt lgkmcnt(4)
	v_fma_f32 v57, -v23, v96, v57
	v_fma_f32 v63, -v51, v65, v63
	v_mov_b32_e32 v65, s12
	s_sub_i32 s12, s11, 32
	v_fma_f32 v80, -v44, v81, v58
	s_waitcnt lgkmcnt(3)
	v_fma_f32 v66, -v22, v70, v57
	v_mov_b32_e32 v70, s12
	ds_load_2addr_b32 v[57:58], v65 offset1:1
	s_sub_i32 s12, s11, 40
	v_fma_f32 v63, -v52, v64, v63
	v_mov_b32_e32 v81, s12
	s_lshl_b32 s12, s13, 5
	v_fma_f32 v82, -v27, v69, v66
	s_add_i32 s13, s12, s26
	ds_load_2addr_b32 v[65:66], v70 offset1:1
	ds_load_2addr_b32 v[69:70], v81 offset1:1
	s_lshl_b32 s13, s13, 2
	s_waitcnt lgkmcnt(5)
	v_fma_f32 v76, -v45, v76, v80
	s_add_i32 s18, s13, -4
	s_waitcnt lgkmcnt(3)
	v_fma_f32 v62, -v28, v62, v82
	v_mov_b32_e32 v64, s18
	s_add_i32 s18, s13, -12
	v_fma_f32 v79, -v60, v87, v79
	v_fma_f32 v63, -v54, v78, v63
	;; [unrolled: 1-line block ×3, first 2 shown]
	ds_load_2addr_b32 v[61:62], v64 offset1:1
	v_fma_f32 v64, -v46, v75, v76
	v_mov_b32_e32 v76, s18
	v_fma_f32 v75, -v95, v90, v79
	s_waitcnt lgkmcnt(3)
	v_fma_f32 v58, -v31, v58, v80
	v_fma_f32 v63, -v53, v77, v63
	;; [unrolled: 1-line block ×3, first 2 shown]
	s_sub_i32 s18, s13, 20
	v_mul_f32_e32 v88, v89, v75
	v_fma_f32 v77, -v32, v57, v58
	ds_load_2addr_b32 v[57:58], v76 offset1:1
	v_fma_f32 v89, -v56, v68, v63
	v_fma_f32 v86, -v49, v93, v64
	v_mov_b32_e32 v64, s18
	s_waitcnt lgkmcnt(3)
	v_fma_f32 v63, -v34, v66, v77
	s_sub_i32 s18, s11, 48
	s_delay_alu instid0(SALU_CYCLE_1) | instskip(SKIP_1) | instid1(VALU_DEP_2)
	v_dual_mov_b32 v81, s19 :: v_dual_mov_b32 v66, s18
	s_sub_i32 s18, s13, 28
	v_fma_f32 v65, -v35, v65, v63
	s_waitcnt lgkmcnt(1)
	v_fma_f32 v55, -v23, v62, v55
	ds_load_2addr_b32 v[62:63], v64 offset1:1
	s_sub_i32 s19, s11, 56
	v_fma_f32 v67, -v59, v67, v89
	v_fma_f32 v68, -v37, v70, v65
	;; [unrolled: 1-line block ×3, first 2 shown]
	v_mov_b32_e32 v61, s18
	s_sub_i32 s18, s13, 36
	v_fma_f32 v72, -v60, v72, v67
	s_waitcnt lgkmcnt(1)
	v_fma_f32 v55, -v27, v58, v55
	ds_load_2addr_b32 v[75:76], v61 offset1:1
	ds_load_2addr_b32 v[64:65], v66 offset1:1
	v_mov_b32_e32 v66, s19
	s_sub_i32 s19, s13, 44
	v_mov_b32_e32 v58, s18
	v_fma_f32 v55, -v28, v57, v55
	v_mov_b32_e32 v61, s19
	ds_load_2addr_b32 v[57:58], v58 offset1:1
	ds_load_2addr_b32 v[77:78], v61 offset1:1
	s_waitcnt lgkmcnt(4)
	v_fma_f32 v55, -v30, v63, v55
	ds_load_2addr_b32 v[79:80], v66 offset1:1
	s_sub_i32 s18, s11, 64
	s_add_i32 s19, s11, 0xffffffb8
	v_mov_b32_e32 v61, s18
	v_fma_f32 v66, -v38, v69, v68
	v_fma_f32 v55, -v31, v62, v55
	v_mov_b32_e32 v63, s19
	ds_load_2addr_b32 v[61:62], v61 offset1:1
	ds_load_2addr_b32 v[68:69], v63 offset1:1
	s_waitcnt lgkmcnt(5)
	v_fma_f32 v63, -v39, v65, v66
	v_fma_f32 v55, -v32, v76, v55
	s_add_i32 s18, s10, 0xffffffac
	s_sub_i32 s19, s13, 52
	v_mov_b32_e32 v70, s18
	v_fma_f32 v63, -v42, v64, v63
	v_fma_f32 v55, -v34, v75, v55
	s_add_i32 s18, s10, 0xffffffa4
	v_mov_b32_e32 v64, s19
	s_addk_i32 s10, 0xff9c
	ds_load_2addr_b32 v[65:66], v81 offset1:1
	v_mov_b32_e32 v81, s18
	s_waitcnt lgkmcnt(3)
	v_fma_f32 v87, -v44, v80, v63
	v_fma_f32 v55, -v35, v58, v55
	v_mov_b32_e32 v82, s10
	ds_load_2addr_b32 v[63:64], v64 offset1:1
	ds_load_2addr_b32 v[75:76], v70 offset1:1
	;; [unrolled: 1-line block ×4, first 2 shown]
	s_sub_i32 s10, s13, 60
	v_fma_f32 v58, -v45, v79, v87
	v_fma_f32 v55, -v37, v57, v55
	v_mov_b32_e32 v57, s10
	s_add_i32 s10, s11, 0xffffffb0
	s_add_i32 s18, s13, 0xffffffbc
	s_waitcnt lgkmcnt(6)
	v_fma_f32 v62, -v46, v62, v58
	v_fma_f32 v55, -v38, v78, v55
	ds_load_2addr_b32 v[57:58], v57 offset1:1
	s_add_i32 s19, s13, 0xffffffb4
	v_dual_mov_b32 v70, s18 :: v_dual_mov_b32 v79, s10
	v_fma_f32 v55, -v39, v77, v55
	v_mov_b32_e32 v78, s19
	s_waitcnt lgkmcnt(5)
	v_fma_f32 v66, -v50, v66, v86
	v_fma_f32 v90, -v47, v61, v62
	ds_load_2addr_b32 v[61:62], v70 offset1:1
	ds_load_2addr_b32 v[77:78], v78 offset1:1
	s_waitcnt lgkmcnt(6)
	v_fma_f32 v55, -v42, v64, v55
	ds_load_2addr_b32 v[86:87], v79 offset1:1
	s_add_i32 s10, s11, 0xffffffa8
	v_fma_f32 v64, -v51, v65, v66
	v_fma_f32 v65, -v49, v69, v90
	;; [unrolled: 1-line block ×3, first 2 shown]
	v_mov_b32_e32 v63, s10
	s_add_i32 s10, s11, 0xffffffa0
	s_add_i32 s18, s11, 0xffffff98
	s_waitcnt lgkmcnt(6)
	v_fma_f32 v69, -v52, v76, v64
	s_waitcnt lgkmcnt(3)
	v_fma_f32 v55, -v45, v58, v55
	ds_load_2addr_b32 v[63:64], v63 offset1:1
	v_mov_b32_e32 v58, s10
	s_add_i32 s10, s13, 0xffffffac
	v_fma_f32 v68, -v50, v68, v65
	v_fma_f32 v55, -v46, v57, v55
	v_dual_mov_b32 v70, s10 :: v_dual_mov_b32 v65, s18
	ds_load_2addr_b32 v[57:58], v58 offset1:1
	ds_load_2addr_b32 v[65:66], v65 offset1:1
	s_waitcnt lgkmcnt(3)
	v_fma_f32 v76, -v51, v87, v68
	v_fma_f32 v55, -v47, v62, v55
	ds_load_2addr_b32 v[67:68], v70 offset1:1
	s_add_i32 s10, s13, 0xffffffa4
	v_fma_f32 v62, -v54, v75, v69
	v_fma_f32 v69, -v52, v86, v76
	;; [unrolled: 1-line block ×3, first 2 shown]
	v_mov_b32_e32 v61, s10
	s_add_i32 s10, s13, 0xffffff9c
	v_fma_f32 v70, -v53, v81, v62
	s_waitcnt lgkmcnt(3)
	v_fma_f32 v64, -v54, v64, v69
	v_fma_f32 v55, -v50, v78, v55
	ds_load_2addr_b32 v[61:62], v61 offset1:1
	s_add_i32 s18, s13, 0xffffff94
	v_mov_b32_e32 v69, s10
	v_fma_f32 v75, -v95, v71, v72
	v_fma_f32 v55, -v51, v77, v55
	v_mov_b32_e32 v71, s18
	s_add_i32 s10, s11, 0xffffff90
	v_fma_f32 v72, -v56, v80, v70
	v_fma_f32 v76, -v53, v63, v64
	s_add_i32 s11, s4, 0xfffff004
	s_waitcnt lgkmcnt(1)
	v_fma_f32 v55, -v52, v68, v55
	v_mov_b32_e32 v68, s10
	ds_load_2addr_b32 v[63:64], v69 offset1:1
	ds_load_2addr_b32 v[69:70], v71 offset1:1
	v_mov_b32_e32 v71, s11
	v_fma_f32 v77, -v59, v83, v72
	v_fma_f32 v55, -v54, v67, v55
	;; [unrolled: 1-line block ×3, first 2 shown]
	ds_load_2addr_b32 v[67:68], v68 offset1:1
	ds_load_2addr_b32 v[71:72], v71 offset1:1
	s_add_i32 s10, s13, 0xffffff8c
	s_addk_i32 s4, 0xef80
	s_waitcnt lgkmcnt(4)
	v_fma_f32 v55, -v53, v62, v55
	v_fma_f32 v62, -v88, v74, v75
	;; [unrolled: 1-line block ×4, first 2 shown]
	v_mov_b32_e32 v58, s10
	v_fma_f32 v55, -v56, v61, v55
	v_mul_f32_e32 v73, v73, v62
	v_fma_f32 v61, -v95, v85, v74
	v_fma_f32 v62, -v60, v66, v57
	ds_load_2addr_b32 v[57:58], v58 offset1:1
	s_lshl_b32 s10, s15, 7
	s_waitcnt lgkmcnt(4)
	v_fma_f32 v55, -v59, v64, v55
	v_fma_f32 v61, -v88, v84, v61
	;; [unrolled: 1-line block ×3, first 2 shown]
	s_addk_i32 s10, 0xff00
	s_delay_alu instid0(VALU_DEP_3) | instskip(NEXT) | instid1(VALU_DEP_3)
	v_fma_f32 v55, -v60, v63, v55
	v_fma_f32 v61, -v73, v92, v61
	s_waitcnt lgkmcnt(2)
	v_fma_f32 v62, -v88, v68, v62
	v_or_b32_e32 v1, s10, v1
	v_fma_f32 v55, -v95, v70, v55
	v_mul_f32_e32 v63, v91, v61
	s_delay_alu instid0(VALU_DEP_4)
	v_fma_f32 v61, -v73, v67, v62
	v_mov_b32_e32 v62, s4
	s_sub_i32 s4, s15, 33
	v_fma_f32 v55, -v88, v69, v55
	s_waitcnt lgkmcnt(1)
	v_fma_f32 v64, -v63, v72, v61
	ds_load_2addr_b32 v[61:62], v62 offset1:1
	ds_store_b32 v2, v23 offset:4096
	ds_store_b32 v3, v27 offset:4096
	;; [unrolled: 1-line block ×8, first 2 shown]
	s_waitcnt lgkmcnt(9)
	v_fma_f32 v55, -v73, v58, v55
	v_or_b32_e32 v4, s12, v0
	v_mul_f32_e32 v2, v71, v64
	ds_store_b32 v9, v37 offset:4096
	ds_store_b32 v10, v38 offset:4096
	;; [unrolled: 1-line block ×16, first 2 shown]
	v_fma_f32 v3, -v63, v57, v55
	v_lshlrev_b32_e32 v4, 2, v4
	ds_store_b32 v33, v60 offset:4096
	ds_store_b32 v36, v95 offset:4096
	;; [unrolled: 1-line block ×6, first 2 shown]
	s_waitcnt lgkmcnt(30)
	v_fma_f32 v3, -v2, v62, v3
	s_delay_alu instid0(VALU_DEP_1)
	v_mul_f32_e32 v3, v61, v3
	ds_store_b32 v1, v22 offset:4096
	ds_store_b32 v4, v3 offset:4096
.LBB38_20:
	s_cmp_gt_i32 s4, -1
	s_cbranch_scc0 .LBB38_39
; %bb.21:
	s_cmp_lt_u32 s4, 27
	s_cbranch_scc1 .LBB38_26
; %bb.22:
	s_lshl_b32 s11, s4, 5
	s_delay_alu instid0(SALU_CYCLE_1)
	s_sub_i32 s10, s11, 32
	s_sub_i32 s41, s11, 64
	v_or_b32_e32 v2, s10, v0
	v_or_b32_e32 v1, s11, v0
	;; [unrolled: 1-line block ×3, first 2 shown]
	s_add_i32 s40, s11, 0xffffffa0
	s_add_i32 s39, s11, 0xffffff80
	v_lshlrev_b32_e32 v7, 2, v2
	v_or_b32_e32 v2, s40, v0
	s_add_i32 s38, s11, 0xffffff60
	s_add_i32 s37, s11, 0xffffff40
	;; [unrolled: 1-line block ×6, first 2 shown]
	v_lshlrev_b32_e32 v28, 2, v1
	v_lshlrev_b32_e32 v1, 2, v3
	v_or_b32_e32 v3, s39, v0
	v_or_b32_e32 v4, s38, v0
	;; [unrolled: 1-line block ×7, first 2 shown]
	s_add_i32 s25, s11, 0xfffffe00
	s_add_i32 s24, s11, 0xfffffde0
	v_or_b32_e32 v15, s25, v0
	s_add_i32 s23, s11, 0xfffffdc0
	v_lshlrev_b32_e32 v2, 2, v2
	s_add_i32 s31, s11, 0xfffffea0
	v_or_b32_e32 v16, s24, v0
	s_add_i32 s22, s11, 0xfffffda0
	v_lshlrev_b32_e32 v3, 2, v3
	s_add_i32 s30, s11, 0xfffffe80
	s_add_i32 s29, s11, 0xfffffe60
	;; [unrolled: 1-line block ×4, first 2 shown]
	v_or_b32_e32 v17, s23, v0
	s_add_i32 s21, s11, 0xfffffd80
	s_add_i32 s20, s11, 0xfffffd60
	;; [unrolled: 1-line block ×7, first 2 shown]
	s_addk_i32 s11, 0xfca0
	v_lshlrev_b32_e32 v4, 2, v4
	v_lshlrev_b32_e32 v5, 2, v5
	;; [unrolled: 1-line block ×3, first 2 shown]
	ds_load_b32 v31, v28 offset:4096
	ds_load_b32 v54, v7 offset:4096
	;; [unrolled: 1-line block ×8, first 2 shown]
	v_lshlrev_b32_e32 v7, 2, v8
	v_lshlrev_b32_e32 v8, 2, v9
	;; [unrolled: 1-line block ×3, first 2 shown]
	v_or_b32_e32 v10, s31, v0
	v_or_b32_e32 v18, s22, v0
	;; [unrolled: 1-line block ×8, first 2 shown]
	v_lshlrev_b32_e32 v15, 2, v15
	v_or_b32_e32 v20, s20, v0
	v_or_b32_e32 v21, s19, v0
	;; [unrolled: 1-line block ×6, first 2 shown]
	v_lshlrev_b32_e32 v16, 2, v16
	v_lshlrev_b32_e32 v17, 2, v17
	;; [unrolled: 1-line block ×10, first 2 shown]
	ds_load_b32 v53, v7 offset:4096
	ds_load_b32 v38, v8 offset:4096
	;; [unrolled: 1-line block ×8, first 2 shown]
	v_lshlrev_b32_e32 v20, 2, v20
	v_lshlrev_b32_e32 v21, 2, v21
	;; [unrolled: 1-line block ×6, first 2 shown]
	ds_load_b32 v49, v15 offset:4096
	ds_load_b32 v51, v16 offset:4096
	ds_load_b32 v50, v17 offset:4096
	ds_load_b32 v48, v18 offset:4096
	ds_load_b32 v46, v19 offset:4096
	ds_load_b32 v43, v20 offset:4096
	ds_load_b32 v41, v21 offset:4096
	ds_load_b32 v39, v22 offset:4096
	ds_load_b32 v36, v23 offset:4096
	ds_load_b32 v29, v24 offset:4096
	ds_load_b32 v27, v25 offset:4096
	ds_load_b32 v26, v26 offset:4096
	s_cmp_le_i32 s26, s4
	s_cbranch_scc1 .LBB38_25
; %bb.23:
	v_lshlrev_b32_e32 v55, 2, v0
	s_lshl_b32 s11, s4, 7
	s_lshl_b32 s42, s15, 2
	s_delay_alu instid0(SALU_CYCLE_1) | instskip(NEXT) | instid1(VALU_DEP_1)
	s_add_i32 s11, s11, s42
	v_lshl_or_b32 v55, s15, 7, v55
	s_addk_i32 s11, 0xf27c
	s_mov_b32 s42, s26
	s_delay_alu instid0(VALU_DEP_1)
	v_add_nc_u32_e32 v55, 0xf80, v55
.LBB38_24:                              ; =>This Inner Loop Header: Depth=1
	v_add_nc_u32_e64 v58, 0xc00, s11
	v_add_nc_u32_e64 v66, 0x800, s11
	v_mov_b32_e32 v82, s11
	v_add_nc_u32_e64 v74, 0x400, s11
	ds_load_b32 v84, v55
	v_add_nc_u32_e32 v55, 0xffffff80, v55
	ds_load_2addr_b32 v[56:57], v58 offset0:64 offset1:96
	ds_load_2addr_b32 v[58:59], v58 offset1:32
	ds_load_2addr_b32 v[60:61], v66 offset0:192 offset1:224
	ds_load_2addr_b32 v[62:63], v66 offset0:128 offset1:160
	ds_load_2addr_b32 v[64:65], v66 offset0:64 offset1:96
	ds_load_2addr_b32 v[66:67], v66 offset1:32
	ds_load_2addr_b32 v[68:69], v74 offset0:192 offset1:224
	ds_load_2addr_b32 v[70:71], v74 offset0:128 offset1:160
	;; [unrolled: 4-line block ×3, first 2 shown]
	ds_load_2addr_b32 v[80:81], v82 offset0:64 offset1:96
	ds_load_2addr_b32 v[82:83], v82 offset1:32
	s_add_i32 s42, s42, -1
	s_add_i32 s11, s11, -4
	s_cmp_gt_i32 s42, s4
	s_waitcnt lgkmcnt(13)
	v_fma_f32 v31, -v84, v57, v31
	v_fma_f32 v54, -v84, v56, v54
	s_waitcnt lgkmcnt(12)
	v_fma_f32 v30, -v84, v59, v30
	v_fma_f32 v32, -v84, v58, v32
	;; [unrolled: 3-line block ×14, first 2 shown]
	s_cbranch_scc1 .LBB38_24
.LBB38_25:
	s_mul_i32 s11, s4, 0x84
	s_delay_alu instid0(SALU_CYCLE_1)
	v_dual_mov_b32 v55, s11 :: v_dual_add_nc_u32 v28, 0x1000, v28
	s_add_i32 s41, s41, s4
	s_add_i32 s39, s39, s4
	s_lshl_b32 s41, s41, 2
	s_lshl_b32 s39, s39, 2
	ds_load_b32 v59, v55
	v_dual_mov_b32 v57, s41 :: v_dual_mov_b32 v64, s39
	s_add_i32 s40, s40, s4
	s_add_i32 s42, s11, 0xffffff7c
	s_lshl_b32 s40, s40, 2
	ds_load_b32 v63, v57
	s_add_i32 s40, s40, -4
	s_delay_alu instid0(SALU_CYCLE_1)
	v_dual_mov_b32 v55, s42 :: v_dual_mov_b32 v60, s40
	s_add_i32 s41, s11, 0xfffffef8
	s_add_i32 s39, s39, -8
	v_mov_b32_e32 v57, s41
	ds_load_2addr_b32 v[55:56], v55 offset1:1
	s_add_i32 s40, s11, 0xfffffdf0
	s_add_i32 s41, s11, 0xfffffe74
	;; [unrolled: 1-line block ×3, first 2 shown]
	ds_load_2addr_b32 v[57:58], v57 offset1:1
	s_add_i32 s37, s37, s4
	s_lshl_b32 s38, s38, 2
	s_waitcnt lgkmcnt(3)
	v_mul_f32_e32 v31, v59, v31
	ds_load_2addr_b32 v[59:60], v60 offset1:1
	v_mov_b32_e32 v61, s41
	s_lshl_b32 s37, s37, 2
	s_add_i32 s41, s38, -4
	ds_load_2addr_b32 v[61:62], v61 offset1:1
	ds_load_b32 v67, v64
	v_mov_b32_e32 v64, s40
	s_waitcnt lgkmcnt(5)
	v_fma_f32 v63, -v31, v63, v30
	s_add_i32 s36, s36, s4
	s_add_i32 s38, s38, -12
	s_lshl_b32 s36, s36, 2
	s_waitcnt lgkmcnt(4)
	v_fma_f32 v54, -v31, v56, v54
	v_mov_b32_e32 v56, s39
	s_add_i32 s39, s37, -4
	v_mov_b32_e32 v65, s41
	s_add_i32 s34, s34, s4
	v_mul_f32_e32 v30, v55, v54
	ds_load_2addr_b32 v[54:55], v56 offset1:1
	s_lshl_b32 s34, s34, 2
	s_add_i32 s35, s35, s4
	s_add_i32 s33, s33, s4
	s_waitcnt lgkmcnt(4)
	v_fma_f32 v56, -v30, v58, v63
	s_waitcnt lgkmcnt(3)
	v_fma_f32 v58, -v31, v60, v32
	v_mov_b32_e32 v60, s39
	ds_load_2addr_b32 v[63:64], v64 offset1:1
	ds_load_2addr_b32 v[65:66], v65 offset1:1
	s_waitcnt lgkmcnt(3)
	v_fma_f32 v35, -v31, v67, v35
	v_mul_f32_e32 v32, v57, v56
	v_fma_f32 v69, -v30, v59, v58
	ds_load_2addr_b32 v[56:57], v60 offset1:1
	s_add_i32 s39, s37, -12
	s_sub_i32 s37, s37, 20
	v_mov_b32_e32 v70, s39
	v_fma_f32 v62, -v32, v62, v69
	v_mov_b32_e32 v68, s38
	s_add_i32 s38, s11, 0xfffffd6c
	s_lshl_b32 s35, s35, 2
	s_lshl_b32 s33, s33, 2
	s_waitcnt lgkmcnt(3)
	v_fma_f32 v35, -v30, v55, v35
	s_add_i32 s31, s31, s4
	s_add_i32 s30, s30, s4
	s_lshl_b32 s31, s31, 2
	s_lshl_b32 s30, s30, 2
	v_fma_f32 v35, -v32, v54, v35
	s_add_i32 s28, s28, s4
	s_waitcnt lgkmcnt(1)
	v_fma_f32 v55, -v31, v66, v33
	v_mul_f32_e32 v33, v61, v62
	ds_load_2addr_b32 v[58:59], v68 offset1:1
	v_mov_b32_e32 v60, s38
	ds_load_2addr_b32 v[67:68], v60 offset1:1
	ds_load_2addr_b32 v[69:70], v70 offset1:1
	v_fma_f32 v61, -v30, v65, v55
	s_waitcnt lgkmcnt(3)
	v_fma_f32 v34, -v31, v57, v34
	v_fma_f32 v35, -v33, v64, v35
	v_mov_b32_e32 v60, s37
	s_add_i32 s37, s36, -8
	v_mov_b32_e32 v71, s34
	v_fma_f32 v56, -v30, v56, v34
	v_dual_mul_f32 v34, v63, v35 :: v_dual_mov_b32 v35, s36
	ds_load_2addr_b32 v[54:55], v60 offset1:1
	s_add_i32 s38, s36, -16
	s_sub_i32 s36, s36, 24
	s_lshl_b32 s28, s28, 2
	ds_load_b32 v64, v35
	s_waitcnt lgkmcnt(4)
	v_fma_f32 v57, -v32, v59, v61
	v_mov_b32_e32 v62, s36
	s_add_i32 s36, s11, 0xfffffce8
	s_add_i32 s29, s29, s4
	v_mov_b32_e32 v65, s36
	v_fma_f32 v57, -v33, v58, v57
	s_waitcnt lgkmcnt(2)
	v_fma_f32 v56, -v32, v70, v56
	v_mov_b32_e32 v58, s37
	s_add_i32 s36, s35, -12
	s_add_i32 s37, s35, -4
	v_fma_f32 v35, -v34, v68, v57
	v_fma_f32 v59, -v33, v69, v56
	ds_load_2addr_b32 v[56:57], v58 offset1:1
	s_lshl_b32 s29, s29, 2
	s_add_i32 s25, s25, s4
	v_mul_f32_e32 v35, v67, v35
	s_waitcnt lgkmcnt(2)
	v_fma_f32 v55, -v34, v55, v59
	s_lshl_b32 s25, s25, 2
	s_add_i32 s27, s27, s4
	s_waitcnt lgkmcnt(1)
	v_fma_f32 v37, -v31, v64, v37
	v_mov_b32_e32 v64, s36
	s_sub_i32 s36, s35, 20
	s_sub_i32 s35, s35, 28
	v_fma_f32 v55, -v35, v54, v55
	v_mov_b32_e32 v68, s35
	s_add_i32 s35, s11, 0xfffffc64
	v_mov_b32_e32 v60, s38
	s_lshl_b32 s27, s27, 2
	s_add_i32 s24, s24, s4
	s_add_i32 s23, s23, s4
	s_lshl_b32 s24, s24, 2
	s_lshl_b32 s23, s23, 2
	s_waitcnt lgkmcnt(0)
	v_fma_f32 v37, -v30, v57, v37
	v_mov_b32_e32 v57, s36
	s_add_i32 s36, s34, -8
	s_add_i32 s21, s21, s4
	s_add_i32 s22, s22, s4
	v_fma_f32 v37, -v32, v56, v37
	v_mov_b32_e32 v56, s35
	s_add_i32 s35, s34, -16
	v_mov_b32_e32 v58, s37
	s_lshl_b32 s21, s21, 2
	s_lshl_b32 s22, s22, 2
	s_add_i32 s20, s20, s4
	s_add_i32 s19, s19, s4
	ds_load_2addr_b32 v[58:59], v58 offset1:1
	ds_load_2addr_b32 v[60:61], v60 offset1:1
	ds_load_2addr_b32 v[62:63], v62 offset1:1
	ds_load_b32 v70, v65
	ds_load_2addr_b32 v[64:65], v64 offset1:1
	ds_load_2addr_b32 v[66:67], v57 offset1:1
	;; [unrolled: 1-line block ×3, first 2 shown]
	v_mov_b32_e32 v57, s36
	s_lshl_b32 s20, s20, 2
	s_lshl_b32 s19, s19, 2
	s_add_i32 s18, s18, s4
	s_add_i32 s10, s10, s4
	s_lshl_b32 s18, s18, 2
	s_lshl_b32 s10, s10, 2
	s_add_i32 s13, s13, s4
	s_add_i32 s12, s12, s4
	s_lshl_b32 s13, s13, 2
	s_lshl_b32 s12, s12, 2
	s_waitcnt lgkmcnt(6)
	v_fma_f32 v53, -v31, v59, v53
	ds_load_b32 v59, v71
	s_waitcnt lgkmcnt(6)
	v_fma_f32 v37, -v33, v61, v37
	ds_load_b32 v61, v56
	v_fma_f32 v58, -v30, v58, v53
	ds_load_2addr_b32 v[53:54], v57 offset1:1
	v_mov_b32_e32 v57, s35
	s_sub_i32 s35, s34, 24
	s_sub_i32 s34, s34, 32
	s_waitcnt lgkmcnt(5)
	v_fma_f32 v56, -v32, v65, v58
	v_fma_f32 v58, -v34, v60, v37
	v_dual_mov_b32 v60, s35 :: v_dual_mov_b32 v65, s34
	v_mul_f32_e32 v37, v70, v55
	s_delay_alu instid0(VALU_DEP_4) | instskip(NEXT) | instid1(VALU_DEP_4)
	v_fma_f32 v64, -v33, v64, v56
	v_fma_f32 v63, -v35, v63, v58
	ds_load_2addr_b32 v[55:56], v57 offset1:1
	ds_load_2addr_b32 v[57:58], v60 offset1:1
	s_add_i32 s35, s33, -8
	s_add_i32 s34, s31, -4
	s_waitcnt lgkmcnt(4)
	v_fma_f32 v38, -v31, v59, v38
	v_fma_f32 v60, -v37, v62, v63
	v_mov_b32_e32 v62, s33
	v_fma_f32 v59, -v34, v67, v64
	v_mov_b32_e32 v63, s35
	s_waitcnt lgkmcnt(2)
	v_fma_f32 v54, -v30, v54, v38
	v_mul_f32_e32 v38, v61, v60
	ds_load_b32 v64, v62
	v_fma_f32 v59, -v35, v66, v59
	s_add_i32 s35, s11, 0xfffffbe0
	v_fma_f32 v60, -v32, v53, v54
	ds_load_2addr_b32 v[53:54], v63 offset1:1
	v_mov_b32_e32 v63, s35
	s_add_i32 s35, s33, -16
	v_fma_f32 v67, -v37, v69, v59
	v_mov_b32_e32 v59, s35
	s_sub_i32 s35, s33, 24
	s_waitcnt lgkmcnt(3)
	v_fma_f32 v56, -v33, v56, v60
	v_mov_b32_e32 v61, s35
	ds_load_2addr_b32 v[59:60], v59 offset1:1
	ds_load_2addr_b32 v[61:62], v61 offset1:1
	v_mov_b32_e32 v66, s34
	ds_load_b32 v71, v63
	v_fma_f32 v69, -v34, v55, v56
	s_add_i32 s34, s31, -12
	s_waitcnt lgkmcnt(4)
	v_fma_f32 v40, -v31, v64, v40
	ds_load_2addr_b32 v[55:56], v65 offset1:1
	ds_load_2addr_b32 v[63:64], v66 offset1:1
	s_sub_i32 s33, s33, 32
	s_add_i32 s35, s11, 0xfffffad8
	v_mov_b32_e32 v65, s33
	s_waitcnt lgkmcnt(5)
	v_fma_f32 v40, -v30, v54, v40
	v_mov_b32_e32 v54, s34
	v_mov_b32_e32 v70, s35
	v_fma_f32 v58, -v35, v58, v69
	s_add_i32 s33, s11, 0xfffffb5c
	v_fma_f32 v40, -v32, v53, v40
	ds_load_2addr_b32 v[53:54], v54 offset1:1
	ds_load_2addr_b32 v[65:66], v65 offset1:1
	;; [unrolled: 1-line block ×3, first 2 shown]
	s_sub_i32 s34, s31, 28
	v_fma_f32 v57, -v37, v57, v58
	v_mov_b32_e32 v58, s33
	s_waitcnt lgkmcnt(7)
	v_fma_f32 v40, -v33, v60, v40
	s_sub_i32 s33, s31, 20
	s_sub_i32 s31, s31, 36
	ds_load_b32 v73, v58
	v_fma_f32 v59, -v34, v59, v40
	s_waitcnt lgkmcnt(4)
	v_fma_f32 v52, -v31, v64, v52
	v_fma_f32 v64, -v38, v56, v57
	v_mov_b32_e32 v57, s33
	v_fma_f32 v60, -v38, v68, v67
	v_fma_f32 v56, -v35, v62, v59
	;; [unrolled: 1-line block ×3, first 2 shown]
	s_add_i32 s33, s30, -8
	v_mov_b32_e32 v62, s31
	v_mul_f32_e32 v40, v71, v60
	v_fma_f32 v74, -v37, v61, v56
	s_waitcnt lgkmcnt(3)
	v_fma_f32 v52, -v32, v54, v52
	v_mov_b32_e32 v54, s30
	ds_load_2addr_b32 v[56:57], v57 offset1:1
	v_mov_b32_e32 v58, s33
	v_mov_b32_e32 v60, s34
	v_fma_f32 v71, -v33, v53, v52
	ds_load_b32 v54, v54
	s_add_i32 s31, s11, 0xfffffa54
	ds_load_2addr_b32 v[58:59], v58 offset1:1
	ds_load_2addr_b32 v[60:61], v60 offset1:1
	s_add_i32 s33, s30, -16
	v_mov_b32_e32 v63, s31
	v_mov_b32_e32 v67, s33
	s_sub_i32 s31, s30, 24
	ds_load_2addr_b32 v[52:53], v62 offset1:1
	ds_load_2addr_b32 v[62:63], v63 offset1:1
	;; [unrolled: 1-line block ×3, first 2 shown]
	v_mov_b32_e32 v72, s31
	s_add_i32 s31, s29, -4
	s_waitcnt lgkmcnt(6)
	v_fma_f32 v57, -v34, v57, v71
	ds_load_2addr_b32 v[71:72], v72 offset1:1
	s_waitcnt lgkmcnt(6)
	v_fma_f32 v42, -v31, v54, v42
	v_fma_f32 v54, -v35, v56, v57
	v_mov_b32_e32 v56, s31
	v_fma_f32 v57, -v40, v55, v64
	s_sub_i32 s31, s30, 32
	s_waitcnt lgkmcnt(5)
	v_fma_f32 v42, -v30, v59, v42
	s_waitcnt lgkmcnt(4)
	v_fma_f32 v61, -v37, v61, v54
	ds_load_2addr_b32 v[54:55], v56 offset1:1
	v_fma_f32 v59, -v38, v66, v74
	s_sub_i32 s30, s30, 40
	v_fma_f32 v56, -v32, v58, v42
	v_mov_b32_e32 v58, s31
	s_add_i32 s31, s29, -12
	s_delay_alu instid0(SALU_CYCLE_1)
	v_dual_mul_f32 v42, v73, v57 :: v_dual_mov_b32 v57, s31
	s_waitcnt lgkmcnt(2)
	v_fma_f32 v56, -v33, v68, v56
	s_add_i32 s31, s11, 0xfffff9d0
	v_fma_f32 v73, -v38, v60, v61
	v_mov_b32_e32 v60, s30
	v_mov_b32_e32 v64, s31
	v_fma_f32 v66, -v40, v65, v59
	v_fma_f32 v67, -v34, v67, v56
	ds_load_2addr_b32 v[56:57], v57 offset1:1
	ds_load_2addr_b32 v[58:59], v58 offset1:1
	;; [unrolled: 1-line block ×4, first 2 shown]
	s_sub_i32 s30, s29, 20
	v_fma_f32 v68, -v40, v53, v73
	v_mov_b32_e32 v53, s30
	s_sub_i32 s30, s29, 28
	s_waitcnt lgkmcnt(4)
	v_fma_f32 v44, -v31, v55, v44
	s_sub_i32 s31, s29, 36
	v_fma_f32 v55, -v42, v70, v66
	v_fma_f32 v66, -v35, v72, v67
	v_mov_b32_e32 v67, s30
	v_fma_f32 v44, -v30, v54, v44
	ds_load_2addr_b32 v[53:54], v53 offset1:1
	v_dual_mov_b32 v73, s28 :: v_dual_mov_b32 v70, s31
	s_add_i32 s30, s28, -8
	v_fma_f32 v72, -v37, v71, v66
	ds_load_2addr_b32 v[66:67], v67 offset1:1
	ds_load_2addr_b32 v[70:71], v70 offset1:1
	s_waitcnt lgkmcnt(6)
	v_fma_f32 v57, -v32, v57, v44
	ds_load_b32 v73, v73
	v_dual_mul_f32 v44, v69, v55 :: v_dual_mov_b32 v55, s30
	s_sub_i32 s29, s29, 44
	v_fma_f32 v57, -v33, v56, v57
	v_fma_f32 v52, -v42, v52, v68
	v_mov_b32_e32 v68, s29
	ds_load_2addr_b32 v[55:56], v55 offset1:1
	s_add_i32 s29, s28, -16
	s_add_i32 s30, s11, 0xfffff94c
	s_waitcnt lgkmcnt(7)
	v_fma_f32 v59, -v38, v59, v72
	v_mov_b32_e32 v72, s29
	s_waitcnt lgkmcnt(4)
	v_fma_f32 v54, -v34, v54, v57
	v_mov_b32_e32 v69, s30
	v_fma_f32 v63, -v44, v63, v52
	v_fma_f32 v59, -v40, v58, v59
	ds_load_2addr_b32 v[57:58], v68 offset1:1
	ds_load_2addr_b32 v[68:69], v69 offset1:1
	v_fma_f32 v54, -v35, v53, v54
	ds_load_2addr_b32 v[52:53], v72 offset1:1
	s_sub_i32 s29, s28, 24
	v_fma_f32 v59, -v42, v61, v59
	s_waitcnt lgkmcnt(4)
	v_fma_f32 v45, -v31, v73, v45
	v_mov_b32_e32 v61, s29
	s_add_i32 s29, s27, -4
	v_fma_f32 v67, -v37, v67, v54
	s_add_i32 s30, s25, -8
	s_waitcnt lgkmcnt(3)
	v_fma_f32 v45, -v30, v56, v45
	v_mov_b32_e32 v56, s29
	ds_load_2addr_b32 v[72:73], v61 offset1:1
	s_sub_i32 s29, s28, 32
	v_fma_f32 v45, -v32, v55, v45
	ds_load_2addr_b32 v[74:75], v56 offset1:1
	v_mov_b32_e32 v61, s29
	s_sub_i32 s29, s28, 40
	s_sub_i32 s28, s28, 48
	v_mov_b32_e32 v56, s29
	ds_load_2addr_b32 v[54:55], v61 offset1:1
	ds_load_2addr_b32 v[76:77], v56 offset1:1
	s_waitcnt lgkmcnt(4)
	v_fma_f32 v53, -v33, v53, v45
	s_add_i32 s29, s27, -12
	s_delay_alu instid0(SALU_CYCLE_1) | instskip(SKIP_1) | instid1(VALU_DEP_3)
	v_dual_mul_f32 v45, v62, v63 :: v_dual_mov_b32 v56, s29
	v_fma_f32 v63, -v44, v60, v59
	v_fma_f32 v52, -v34, v52, v53
	;; [unrolled: 1-line block ×3, first 2 shown]
	s_add_i32 s29, s11, 0xfffff8c8
	ds_load_2addr_b32 v[59:60], v56 offset1:1
	v_mov_b32_e32 v53, s28
	s_waitcnt lgkmcnt(4)
	v_fma_f32 v67, -v35, v73, v52
	v_fma_f32 v66, -v40, v71, v61
	v_fma_f32 v63, -v45, v65, v63
	v_mov_b32_e32 v56, s29
	ds_load_2addr_b32 v[52:53], v53 offset1:1
	ds_load_2addr_b32 v[61:62], v56 offset1:1
	v_fma_f32 v65, -v37, v72, v67
	v_fma_f32 v56, -v42, v70, v66
	s_waitcnt lgkmcnt(5)
	v_fma_f32 v47, -v31, v75, v47
	s_sub_i32 s28, s27, 20
	s_sub_i32 s29, s27, 44
	s_waitcnt lgkmcnt(4)
	v_fma_f32 v65, -v38, v55, v65
	v_fma_f32 v66, -v30, v74, v47
	v_mul_f32_e32 v47, v64, v63
	s_delay_alu instid0(VALU_DEP_3)
	v_fma_f32 v54, -v40, v54, v65
	v_mov_b32_e32 v65, s29
	v_fma_f32 v56, -v44, v58, v56
	v_mov_b32_e32 v58, s28
	s_waitcnt lgkmcnt(2)
	v_fma_f32 v60, -v32, v60, v66
	s_sub_i32 s28, s27, 28
	v_fma_f32 v54, -v42, v77, v54
	v_fma_f32 v67, -v45, v57, v56
	ds_load_2addr_b32 v[55:56], v58 offset1:1
	v_mov_b32_e32 v57, s25
	v_fma_f32 v70, -v33, v59, v60
	v_mov_b32_e32 v59, s30
	s_add_i32 s29, s11, 0xfffff844
	v_fma_f32 v75, -v44, v76, v54
	ds_load_b32 v74, v57
	v_mov_b32_e32 v58, s28
	s_sub_i32 s28, s27, 36
	s_sub_i32 s27, s27, 52
	v_mov_b32_e32 v63, s28
	s_add_i32 s28, s25, -16
	ds_load_2addr_b32 v[57:58], v58 offset1:1
	ds_load_2addr_b32 v[59:60], v59 offset1:1
	;; [unrolled: 1-line block ×4, first 2 shown]
	v_dual_mov_b32 v71, s27 :: v_dual_mov_b32 v72, s29
	s_sub_i32 s27, s25, 24
	v_fma_f32 v67, -v47, v69, v67
	s_waitcnt lgkmcnt(7)
	v_fma_f32 v53, -v45, v53, v75
	s_waitcnt lgkmcnt(5)
	v_fma_f32 v56, -v34, v56, v70
	v_mov_b32_e32 v70, s28
	s_sub_i32 s28, s25, 40
	s_delay_alu instid0(SALU_CYCLE_1) | instskip(NEXT) | instid1(VALU_DEP_3)
	v_mov_b32_e32 v69, s28
	v_fma_f32 v56, -v35, v55, v56
	ds_load_2addr_b32 v[54:55], v70 offset1:1
	ds_load_2addr_b32 v[70:71], v71 offset1:1
	;; [unrolled: 1-line block ×3, first 2 shown]
	s_waitcnt lgkmcnt(7)
	v_fma_f32 v49, -v31, v74, v49
	s_waitcnt lgkmcnt(6)
	v_fma_f32 v56, -v37, v58, v56
	v_mov_b32_e32 v58, s27
	s_sub_i32 s27, s25, 32
	s_waitcnt lgkmcnt(5)
	v_fma_f32 v49, -v30, v60, v49
	v_mov_b32_e32 v60, s27
	s_add_i32 s27, s24, -4
	v_fma_f32 v78, -v38, v57, v56
	s_delay_alu instid0(VALU_DEP_3)
	v_fma_f32 v49, -v32, v59, v49
	ds_load_2addr_b32 v[58:59], v58 offset1:1
	ds_load_2addr_b32 v[74:75], v60 offset1:1
	;; [unrolled: 1-line block ×3, first 2 shown]
	v_mov_b32_e32 v60, s27
	v_fma_f32 v69, -v47, v52, v53
	s_sub_i32 s27, s25, 48
	s_waitcnt lgkmcnt(5)
	v_fma_f32 v55, -v33, v55, v49
	v_mov_b32_e32 v56, s27
	ds_load_2addr_b32 v[52:53], v60 offset1:1
	s_add_i32 s27, s24, -12
	s_sub_i32 s25, s25, 56
	v_fma_f32 v54, -v34, v54, v55
	v_mov_b32_e32 v55, s27
	s_add_i32 s27, s11, 0xfffff7c0
	v_dual_mul_f32 v49, v68, v67 :: v_dual_mov_b32 v60, s25
	v_mov_b32_e32 v67, s27
	s_sub_i32 s25, s24, 20
	v_fma_f32 v64, -v40, v64, v78
	s_delay_alu instid0(VALU_DEP_3)
	v_fma_f32 v69, -v49, v62, v69
	s_waitcnt lgkmcnt(3)
	v_fma_f32 v79, -v35, v59, v54
	ds_load_2addr_b32 v[54:55], v55 offset1:1
	ds_load_2addr_b32 v[56:57], v56 offset1:1
	;; [unrolled: 1-line block ×4, first 2 shown]
	v_mov_b32_e32 v62, s25
	v_fma_f32 v64, -v42, v63, v64
	s_sub_i32 s25, s24, 28
	v_fma_f32 v58, -v37, v58, v79
	s_sub_i32 s27, s24, 36
	ds_load_2addr_b32 v[62:63], v62 offset1:1
	s_waitcnt lgkmcnt(5)
	v_fma_f32 v51, -v31, v53, v51
	v_mov_b32_e32 v53, s25
	v_fma_f32 v58, -v38, v75, v58
	v_mov_b32_e32 v75, s27
	v_fma_f32 v64, -v44, v66, v64
	v_fma_f32 v51, -v30, v52, v51
	s_add_i32 s25, s23, -8
	v_fma_f32 v58, -v40, v74, v58
	ds_load_2addr_b32 v[52:53], v53 offset1:1
	ds_load_2addr_b32 v[74:75], v75 offset1:1
	s_waitcnt lgkmcnt(6)
	v_fma_f32 v51, -v32, v55, v51
	v_fma_f32 v55, -v42, v77, v58
	;; [unrolled: 1-line block ×3, first 2 shown]
	v_mov_b32_e32 v64, s23
	s_delay_alu instid0(VALU_DEP_4) | instskip(NEXT) | instid1(VALU_DEP_4)
	v_fma_f32 v51, -v33, v54, v51
	v_fma_f32 v54, -v44, v76, v55
	v_mov_b32_e32 v55, s25
	ds_load_b32 v64, v64
	s_waitcnt lgkmcnt(3)
	v_fma_f32 v63, -v34, v63, v51
	v_fma_f32 v58, -v47, v71, v58
	;; [unrolled: 1-line block ×3, first 2 shown]
	ds_load_2addr_b32 v[54:55], v55 offset1:1
	v_mul_f32_e32 v51, v61, v69
	v_fma_f32 v61, -v35, v62, v63
	s_add_i32 s25, s23, -16
	v_fma_f32 v58, -v49, v70, v58
	v_fma_f32 v62, -v47, v56, v57
	v_mov_b32_e32 v56, s25
	s_sub_i32 s25, s23, 24
	s_waitcnt lgkmcnt(3)
	v_fma_f32 v53, -v37, v53, v61
	v_mov_b32_e32 v61, s25
	s_sub_i32 s25, s24, 44
	v_fma_f32 v58, -v51, v73, v58
	ds_load_2addr_b32 v[56:57], v56 offset1:1
	v_fma_f32 v60, -v49, v60, v62
	v_mov_b32_e32 v63, s25
	v_fma_f32 v62, -v38, v52, v53
	ds_load_2addr_b32 v[52:53], v61 offset1:1
	s_waitcnt lgkmcnt(3)
	v_fma_f32 v61, -v31, v64, v50
	v_mul_f32_e32 v50, v72, v58
	v_fma_f32 v66, -v51, v59, v60
	ds_load_2addr_b32 v[58:59], v63 offset1:1
	v_fma_f32 v62, -v40, v75, v62
	s_waitcnt lgkmcnt(3)
	v_fma_f32 v55, -v30, v55, v61
	s_sub_i32 s25, s24, 52
	s_sub_i32 s24, s24, 60
	s_delay_alu instid0(SALU_CYCLE_1) | instskip(NEXT) | instid1(VALU_DEP_2)
	v_dual_mov_b32 v60, s25 :: v_dual_mov_b32 v61, s24
	v_fma_f32 v54, -v32, v54, v55
	s_sub_i32 s24, s23, 32
	s_add_i32 s25, s11, 0xfffff73c
	v_mov_b32_e32 v65, s24
	s_add_i32 s24, s22, -4
	v_fma_f32 v64, -v42, v74, v62
	v_mov_b32_e32 v62, s25
	s_waitcnt lgkmcnt(2)
	v_fma_f32 v57, -v33, v57, v54
	v_mov_b32_e32 v69, s24
	ds_load_2addr_b32 v[54:55], v60 offset1:1
	ds_load_2addr_b32 v[60:61], v61 offset1:1
	;; [unrolled: 1-line block ×3, first 2 shown]
	s_sub_i32 s24, s23, 40
	v_fma_f32 v66, -v50, v68, v66
	v_fma_f32 v70, -v34, v56, v57
	s_waitcnt lgkmcnt(3)
	v_fma_f32 v59, -v44, v59, v64
	ds_load_2addr_b32 v[56:57], v65 offset1:1
	ds_load_2addr_b32 v[64:65], v69 offset1:1
	v_mov_b32_e32 v69, s24
	s_add_i32 s24, s22, -12
	v_fma_f32 v53, -v35, v53, v70
	v_mov_b32_e32 v68, s24
	v_fma_f32 v70, -v45, v58, v59
	s_sub_i32 s24, s23, 48
	s_sub_i32 s25, s23, 56
	v_fma_f32 v72, -v37, v52, v53
	ds_load_2addr_b32 v[52:53], v69 offset1:1
	ds_load_2addr_b32 v[58:59], v68 offset1:1
	v_mov_b32_e32 v68, s24
	s_sub_i32 s24, s22, 20
	s_waitcnt lgkmcnt(6)
	v_fma_f32 v55, -v47, v55, v70
	v_mov_b32_e32 v73, s24
	v_mov_b32_e32 v71, s25
	ds_load_2addr_b32 v[68:69], v68 offset1:1
	ds_load_2addr_b32 v[70:71], v71 offset1:1
	s_waitcnt lgkmcnt(5)
	v_fma_f32 v57, -v38, v57, v72
	s_waitcnt lgkmcnt(4)
	v_fma_f32 v65, -v31, v65, v48
	v_fma_f32 v72, -v49, v54, v55
	ds_load_2addr_b32 v[54:55], v73 offset1:1
	s_sub_i32 s24, s22, 28
	v_fma_f32 v56, -v40, v56, v57
	v_fma_f32 v57, -v30, v64, v65
	v_mov_b32_e32 v64, s24
	s_sub_i32 s24, s22, 36
	s_sub_i32 s25, s22, 44
	s_waitcnt lgkmcnt(4)
	v_fma_f32 v53, -v42, v53, v56
	s_waitcnt lgkmcnt(3)
	v_fma_f32 v59, -v32, v59, v57
	ds_load_2addr_b32 v[56:57], v64 offset1:1
	v_mul_f32_e32 v48, v67, v66
	v_dual_mov_b32 v64, s24 :: v_dual_mov_b32 v67, s21
	v_fma_f32 v66, -v33, v58, v59
	v_mov_b32_e32 v65, s25
	s_add_i32 s24, s21, -8
	ds_load_2addr_b32 v[58:59], v64 offset1:1
	ds_load_2addr_b32 v[64:65], v65 offset1:1
	ds_load_b32 v67, v67
	s_waitcnt lgkmcnt(4)
	v_fma_f32 v55, -v34, v55, v66
	v_fma_f32 v66, -v44, v52, v53
	v_mov_b32_e32 v52, s24
	v_fma_f32 v61, -v51, v61, v72
	s_sub_i32 s23, s23, 64
	v_fma_f32 v54, -v35, v54, v55
	v_mov_b32_e32 v55, s23
	ds_load_2addr_b32 v[52:53], v52 offset1:1
	s_add_i32 s23, s21, -16
	v_fma_f32 v61, -v50, v60, v61
	v_fma_f32 v60, -v45, v69, v66
	s_waitcnt lgkmcnt(4)
	v_fma_f32 v57, -v37, v57, v54
	ds_load_2addr_b32 v[54:55], v55 offset1:1
	v_mov_b32_e32 v66, s23
	s_sub_i32 s24, s21, 24
	v_fma_f32 v61, -v48, v63, v61
	v_fma_f32 v69, -v38, v56, v57
	v_mov_b32_e32 v72, s24
	ds_load_2addr_b32 v[56:57], v66 offset1:1
	v_fma_f32 v66, -v47, v68, v60
	s_waitcnt lgkmcnt(3)
	v_fma_f32 v46, -v31, v67, v46
	v_fma_f32 v69, -v40, v59, v69
	ds_load_2addr_b32 v[59:60], v72 offset1:1
	s_add_i32 s23, s11, 0xfffff6b8
	v_fma_f32 v63, -v49, v71, v66
	v_mov_b32_e32 v68, s23
	s_sub_i32 s23, s22, 52
	s_waitcnt lgkmcnt(3)
	v_fma_f32 v53, -v30, v53, v46
	v_mul_f32_e32 v46, v62, v61
	v_fma_f32 v61, -v51, v70, v63
	v_fma_f32 v58, -v42, v58, v69
	ds_load_2addr_b32 v[66:67], v68 offset1:1
	v_fma_f32 v52, -v32, v52, v53
	v_mov_b32_e32 v53, s23
	s_waitcnt lgkmcnt(3)
	v_fma_f32 v82, -v50, v55, v61
	s_sub_i32 s23, s22, 60
	s_addk_i32 s22, 0xffbc
	v_mov_b32_e32 v76, s23
	s_waitcnt lgkmcnt(2)
	v_fma_f32 v55, -v33, v57, v52
	s_sub_i32 s23, s21, 32
	ds_load_2addr_b32 v[52:53], v53 offset1:1
	v_mov_b32_e32 v78, s22
	s_sub_i32 s22, s21, 40
	v_fma_f32 v55, -v34, v56, v55
	v_mov_b32_e32 v56, s23
	s_add_i32 s23, s11, 0xfffff634
	v_fma_f32 v58, -v44, v65, v58
	v_mov_b32_e32 v80, s23
	s_waitcnt lgkmcnt(2)
	v_fma_f32 v68, -v35, v60, v55
	ds_load_2addr_b32 v[55:56], v56 offset1:1
	s_sub_i32 s23, s21, 64
	v_mov_b32_e32 v69, s22
	s_add_i32 s22, s21, 0xffffffb8
	s_delay_alu instid0(SALU_CYCLE_1)
	v_dual_mov_b32 v57, s23 :: v_dual_mov_b32 v60, s22
	s_add_i32 s22, s11, 0xfffff5b0
	s_add_i32 s23, s20, -4
	v_mov_b32_e32 v62, s22
	v_fma_f32 v83, -v45, v64, v58
	v_mov_b32_e32 v64, s23
	ds_load_2addr_b32 v[57:58], v57 offset1:1
	ds_load_2addr_b32 v[60:61], v60 offset1:1
	;; [unrolled: 1-line block ×4, first 2 shown]
	s_sub_i32 s22, s21, 48
	s_sub_i32 s21, s21, 56
	v_fma_f32 v59, -v37, v59, v68
	v_mov_b32_e32 v70, s22
	s_add_i32 s22, s20, -12
	v_mov_b32_e32 v72, s21
	v_mov_b32_e32 v74, s22
	ds_load_2addr_b32 v[68:69], v69 offset1:1
	ds_load_2addr_b32 v[70:71], v70 offset1:1
	;; [unrolled: 1-line block ×4, first 2 shown]
	s_waitcnt lgkmcnt(8)
	v_fma_f32 v56, -v38, v56, v59
	s_sub_i32 s21, s20, 20
	ds_load_2addr_b32 v[76:77], v76 offset1:1
	ds_load_2addr_b32 v[78:79], v78 offset1:1
	;; [unrolled: 1-line block ×3, first 2 shown]
	v_fma_f32 v53, -v47, v53, v83
	s_sub_i32 s22, s19, 40
	v_fma_f32 v59, -v40, v55, v56
	v_mov_b32_e32 v55, s21
	s_sub_i32 s21, s20, 28
	v_fma_f32 v84, -v49, v52, v53
	v_fma_f32 v54, -v48, v54, v82
	s_waitcnt lgkmcnt(7)
	v_fma_f32 v43, -v31, v65, v43
	ds_load_2addr_b32 v[55:56], v55 offset1:1
	v_mov_b32_e32 v65, s21
	s_sub_i32 s21, s20, 36
	v_mov_b32_e32 v82, s19
	v_fma_f32 v43, -v30, v64, v43
	v_mov_b32_e32 v83, s21
	s_waitcnt lgkmcnt(7)
	v_fma_f32 v59, -v42, v69, v59
	ds_load_2addr_b32 v[52:53], v65 offset1:1
	ds_load_2addr_b32 v[64:65], v83 offset1:1
	s_waitcnt lgkmcnt(6)
	v_fma_f32 v43, -v32, v75, v43
	s_add_i32 s21, s20, 0xffffffb4
	v_fma_f32 v59, -v44, v68, v59
	v_mov_b32_e32 v68, s21
	s_add_i32 s21, s11, 0xfffff52c
	v_fma_f32 v43, -v33, v74, v43
	v_mov_b32_e32 v74, s21
	s_add_i32 s21, s19, -8
	ds_load_2addr_b32 v[68:69], v68 offset1:1
	ds_load_2addr_b32 v[74:75], v74 offset1:1
	ds_load_b32 v82, v82
	s_waitcnt lgkmcnt(5)
	v_fma_f32 v43, -v34, v56, v43
	v_mov_b32_e32 v56, s21
	v_fma_f32 v67, -v46, v67, v54
	s_add_i32 s21, s19, -16
	v_fma_f32 v77, -v51, v77, v84
	v_fma_f32 v43, -v35, v55, v43
	ds_load_2addr_b32 v[54:55], v56 offset1:1
	v_fma_f32 v59, -v45, v71, v59
	s_add_i32 s23, s18, -4
	v_fma_f32 v76, -v50, v76, v77
	s_waitcnt lgkmcnt(5)
	v_fma_f32 v53, -v37, v53, v43
	v_dual_mul_f32 v43, v66, v67 :: v_dual_mov_b32 v66, s21
	s_sub_i32 s21, s20, 44
	v_fma_f32 v59, -v47, v70, v59
	s_delay_alu instid0(VALU_DEP_3)
	v_fma_f32 v67, -v38, v52, v53
	v_mov_b32_e32 v70, s22
	ds_load_2addr_b32 v[52:53], v66 offset1:1
	v_fma_f32 v56, -v48, v79, v76
	s_waitcnt lgkmcnt(2)
	v_fma_f32 v41, -v31, v82, v41
	v_mov_b32_e32 v66, s21
	s_sub_i32 s21, s19, 24
	v_fma_f32 v65, -v40, v65, v67
	v_fma_f32 v56, -v46, v78, v56
	;; [unrolled: 1-line block ×3, first 2 shown]
	s_add_i32 s22, s19, 0xffffffb0
	s_waitcnt lgkmcnt(1)
	v_fma_f32 v41, -v30, v55, v41
	v_mov_b32_e32 v55, s21
	v_fma_f32 v89, -v43, v81, v56
	v_fma_f32 v56, -v42, v64, v65
	ds_load_2addr_b32 v[64:65], v66 offset1:1
	v_fma_f32 v41, -v32, v54, v41
	ds_load_2addr_b32 v[54:55], v55 offset1:1
	s_sub_i32 s21, s19, 32
	v_fma_f32 v59, -v51, v72, v59
	v_mov_b32_e32 v66, s21
	v_mov_b32_e32 v76, s23
	s_waitcnt lgkmcnt(2)
	v_fma_f32 v41, -v33, v53, v41
	v_mov_b32_e32 v53, s22
	s_add_i32 s22, s11, 0xfffff4a8
	ds_load_2addr_b32 v[66:67], v66 offset1:1
	ds_load_2addr_b32 v[70:71], v70 offset1:1
	v_mov_b32_e32 v72, s22
	v_fma_f32 v41, -v34, v52, v41
	ds_load_2addr_b32 v[52:53], v53 offset1:1
	ds_load_2addr_b32 v[72:73], v72 offset1:1
	;; [unrolled: 1-line block ×3, first 2 shown]
	s_sub_i32 s21, s20, 52
	s_add_i32 s22, s18, -12
	v_mov_b32_e32 v78, s21
	s_sub_i32 s21, s20, 60
	s_addk_i32 s20, 0xffbc
	v_mov_b32_e32 v81, s21
	s_waitcnt lgkmcnt(5)
	v_fma_f32 v41, -v35, v55, v41
	v_mov_b32_e32 v55, s22
	v_mov_b32_e32 v83, s20
	s_sub_i32 s20, s18, 20
	v_fma_f32 v56, -v44, v65, v56
	v_fma_f32 v41, -v37, v54, v41
	ds_load_2addr_b32 v[54:55], v55 offset1:1
	ds_load_2addr_b32 v[78:79], v78 offset1:1
	;; [unrolled: 1-line block ×4, first 2 shown]
	v_mov_b32_e32 v65, s20
	s_sub_i32 s21, s19, 48
	v_fma_f32 v90, -v45, v64, v56
	s_waitcnt lgkmcnt(8)
	v_fma_f32 v41, -v38, v67, v41
	s_sub_i32 s20, s18, 28
	ds_load_2addr_b32 v[64:65], v65 offset1:1
	s_waitcnt lgkmcnt(5)
	v_fma_f32 v39, -v31, v77, v39
	v_mov_b32_e32 v56, s20
	v_fma_f32 v41, -v40, v66, v41
	v_mov_b32_e32 v66, s21
	s_sub_i32 s21, s19, 56
	v_fma_f32 v39, -v30, v76, v39
	s_sub_i32 s20, s18, 36
	v_fma_f32 v41, -v42, v71, v41
	ds_load_2addr_b32 v[66:67], v66 offset1:1
	v_mov_b32_e32 v71, s21
	s_waitcnt lgkmcnt(5)
	v_fma_f32 v39, -v32, v55, v39
	ds_load_2addr_b32 v[55:56], v56 offset1:1
	s_sub_i32 s21, s18, 44
	s_delay_alu instid0(SALU_CYCLE_1)
	v_dual_mov_b32 v76, s20 :: v_dual_mov_b32 v85, s21
	v_fma_f32 v39, -v33, v54, v39
	s_sub_i32 s20, s19, 64
	s_addk_i32 s19, 0xffb8
	v_mov_b32_e32 v54, s20
	s_waitcnt lgkmcnt(5)
	v_fma_f32 v79, -v47, v79, v90
	s_waitcnt lgkmcnt(2)
	v_fma_f32 v39, -v34, v65, v39
	ds_load_2addr_b32 v[76:77], v76 offset1:1
	ds_load_2addr_b32 v[85:86], v85 offset1:1
	;; [unrolled: 1-line block ×3, first 2 shown]
	v_mov_b32_e32 v71, s19
	v_fma_f32 v41, -v44, v70, v41
	s_add_i32 s19, s13, -8
	v_fma_f32 v39, -v35, v64, v39
	ds_load_2addr_b32 v[64:65], v54 offset1:1
	ds_load_2addr_b32 v[70:71], v71 offset1:1
	v_fma_f32 v54, -v50, v58, v59
	v_fma_f32 v58, -v49, v78, v79
	s_waitcnt lgkmcnt(6)
	v_fma_f32 v41, -v45, v67, v41
	s_sub_i32 s20, s18, 60
	s_waitcnt lgkmcnt(5)
	v_fma_f32 v39, -v37, v56, v39
	v_fma_f32 v57, -v48, v57, v54
	;; [unrolled: 1-line block ×3, first 2 shown]
	v_mov_b32_e32 v58, s13
	v_fma_f32 v41, -v47, v66, v41
	v_fma_f32 v39, -v38, v55, v39
	v_mov_b32_e32 v55, s19
	v_fma_f32 v56, -v50, v81, v56
	ds_load_b32 v58, v58
	s_sub_i32 s19, s18, 52
	s_waitcnt lgkmcnt(3)
	v_fma_f32 v41, -v49, v88, v41
	ds_load_2addr_b32 v[54:55], v55 offset1:1
	v_fma_f32 v59, -v40, v77, v39
	v_fma_f32 v67, -v48, v84, v56
	v_mov_b32_e32 v56, s19
	v_fma_f32 v41, -v51, v87, v41
	s_add_i32 s19, s13, -16
	v_fma_f32 v59, -v42, v76, v59
	v_fma_f32 v61, -v46, v61, v57
	ds_load_2addr_b32 v[56:57], v56 offset1:1
	s_waitcnt lgkmcnt(4)
	v_fma_f32 v41, -v50, v65, v41
	v_mov_b32_e32 v65, s19
	v_fma_f32 v59, -v44, v86, v59
	v_dual_mov_b32 v66, s20 :: v_dual_mul_f32 v39, v80, v89
	s_sub_i32 s20, s13, 24
	s_add_i32 s19, s18, 0xffffffbc
	s_delay_alu instid0(VALU_DEP_2)
	v_fma_f32 v80, -v45, v85, v59
	s_waitcnt lgkmcnt(2)
	v_fma_f32 v36, -v31, v58, v36
	ds_load_2addr_b32 v[58:59], v65 offset1:1
	ds_load_2addr_b32 v[65:66], v66 offset1:1
	v_mov_b32_e32 v76, s19
	s_sub_i32 s19, s13, 32
	v_fma_f32 v41, -v48, v64, v41
	s_waitcnt lgkmcnt(3)
	v_fma_f32 v36, -v30, v55, v36
	v_mov_b32_e32 v55, s20
	s_add_i32 s20, s18, 0xffffffb4
	s_delay_alu instid0(SALU_CYCLE_1) | instskip(NEXT) | instid1(VALU_DEP_3)
	v_dual_mov_b32 v81, s19 :: v_dual_mov_b32 v78, s20
	v_fma_f32 v36, -v32, v54, v36
	ds_load_2addr_b32 v[54:55], v55 offset1:1
	s_sub_i32 s20, s13, 40
	s_waitcnt lgkmcnt(3)
	v_fma_f32 v57, -v47, v57, v80
	ds_load_2addr_b32 v[76:77], v76 offset1:1
	ds_load_2addr_b32 v[78:79], v78 offset1:1
	v_mov_b32_e32 v82, s20
	ds_load_2addr_b32 v[80:81], v81 offset1:1
	ds_load_2addr_b32 v[84:85], v82 offset1:1
	s_waitcnt lgkmcnt(6)
	v_fma_f32 v36, -v33, v59, v36
	v_fma_f32 v56, -v49, v56, v57
	;; [unrolled: 1-line block ×3, first 2 shown]
	s_sub_i32 s19, s13, 48
	v_fma_f32 v59, -v43, v60, v61
	v_fma_f32 v36, -v34, v58, v36
	s_waitcnt lgkmcnt(5)
	v_fma_f32 v56, -v51, v66, v56
	v_fma_f32 v57, -v46, v83, v67
	;; [unrolled: 1-line block ×4, first 2 shown]
	s_addk_i32 s18, 0xffac
	s_waitcnt lgkmcnt(4)
	v_fma_f32 v36, -v35, v55, v36
	v_fma_f32 v55, -v50, v65, v56
	;; [unrolled: 1-line block ×4, first 2 shown]
	v_mul_f32_e32 v82, v62, v58
	v_fma_f32 v36, -v37, v54, v36
	s_waitcnt lgkmcnt(3)
	v_fma_f32 v54, -v48, v77, v55
	v_mov_b32_e32 v55, s19
	s_sub_i32 s19, s13, 56
	v_fma_f32 v56, -v39, v68, v57
	s_waitcnt lgkmcnt(1)
	v_fma_f32 v36, -v38, v81, v36
	v_fma_f32 v66, -v46, v76, v54
	ds_load_2addr_b32 v[53:54], v55 offset1:1
	v_mov_b32_e32 v55, s19
	v_mov_b32_e32 v57, s18
	v_fma_f32 v36, -v40, v80, v36
	s_sub_i32 s18, s13, 64
	v_fma_f32 v65, -v82, v75, v56
	v_mov_b32_e32 v59, s18
	ds_load_2addr_b32 v[55:56], v55 offset1:1
	s_waitcnt lgkmcnt(2)
	v_fma_f32 v36, -v42, v85, v36
	s_add_i32 s18, s13, 0xffffffb8
	s_add_i32 s19, s11, 0xfffff424
	v_mov_b32_e32 v61, s18
	s_add_i32 s18, s12, -4
	v_fma_f32 v36, -v44, v84, v36
	v_mov_b32_e32 v63, s18
	ds_load_2addr_b32 v[57:58], v57 offset1:1
	ds_load_2addr_b32 v[59:60], v59 offset1:1
	;; [unrolled: 1-line block ×3, first 2 shown]
	s_add_i32 s18, s12, -12
	v_fma_f32 v41, -v82, v52, v41
	v_fma_f32 v52, -v43, v79, v66
	ds_load_2addr_b32 v[63:64], v63 offset1:1
	s_waitcnt lgkmcnt(5)
	v_fma_f32 v36, -v45, v54, v36
	v_dual_mov_b32 v54, s19 :: v_dual_mul_f32 v83, v74, v65
	s_sub_i32 s19, s12, 36
	s_delay_alu instid0(VALU_DEP_2)
	v_fma_f32 v36, -v47, v53, v36
	v_mov_b32_e32 v53, s18
	s_sub_i32 s18, s12, 20
	v_fma_f32 v41, -v83, v73, v41
	s_waitcnt lgkmcnt(4)
	v_fma_f32 v36, -v49, v56, v36
	v_fma_f32 v56, -v39, v78, v52
	ds_load_2addr_b32 v[52:53], v53 offset1:1
	ds_load_2addr_b32 v[65:66], v54 offset1:1
	v_mov_b32_e32 v54, s18
	s_sub_i32 s18, s12, 28
	v_fma_f32 v36, -v51, v55, v36
	s_waitcnt lgkmcnt(5)
	v_fma_f32 v56, -v82, v58, v56
	v_mul_f32_e32 v41, v72, v41
	ds_load_2addr_b32 v[54:55], v54 offset1:1
	s_waitcnt lgkmcnt(3)
	v_fma_f32 v29, -v31, v64, v29
	v_fma_f32 v36, -v50, v60, v36
	v_mov_b32_e32 v58, s18
	v_fma_f32 v64, -v83, v57, v56
	v_mov_b32_e32 v60, s19
	v_fma_f32 v29, -v30, v63, v29
	s_add_i32 s19, s10, -8
	v_fma_f32 v36, -v48, v59, v36
	ds_load_2addr_b32 v[56:57], v58 offset1:1
	ds_load_2addr_b32 v[58:59], v60 offset1:1
	s_add_i32 s18, s13, 0xffffffb0
	s_addk_i32 s13, 0xffa8
	v_mov_b32_e32 v68, s18
	s_waitcnt lgkmcnt(4)
	v_fma_f32 v29, -v32, v53, v29
	v_mov_b32_e32 v53, s10
	s_waitcnt lgkmcnt(3)
	v_fma_f32 v60, -v41, v66, v64
	s_add_i32 s18, s10, -16
	v_fma_f32 v36, -v46, v62, v36
	v_fma_f32 v29, -v33, v52, v29
	ds_load_b32 v64, v53
	v_mov_b32_e32 v52, s19
	s_sub_i32 s19, s12, 44
	v_mov_b32_e32 v70, s13
	s_waitcnt lgkmcnt(3)
	v_fma_f32 v29, -v34, v55, v29
	v_mov_b32_e32 v62, s19
	ds_load_2addr_b32 v[52:53], v52 offset1:1
	s_add_i32 s13, s11, 0xfffff3a0
	v_fma_f32 v36, -v43, v61, v36
	v_fma_f32 v29, -v35, v54, v29
	v_mov_b32_e32 v54, s18
	s_sub_i32 s18, s10, 24
	v_mov_b32_e32 v72, s13
	v_mov_b32_e32 v66, s18
	ds_load_2addr_b32 v[54:55], v54 offset1:1
	ds_load_2addr_b32 v[62:63], v62 offset1:1
	;; [unrolled: 1-line block ×3, first 2 shown]
	s_waitcnt lgkmcnt(6)
	v_fma_f32 v29, -v37, v57, v29
	s_sub_i32 s13, s12, 52
	s_add_i32 s18, s12, 0xffffffbc
	s_waitcnt lgkmcnt(4)
	v_fma_f32 v27, -v31, v64, v27
	v_mov_b32_e32 v57, s18
	v_fma_f32 v29, -v38, v56, v29
	s_sub_i32 s18, s4, 27
	v_mul_f32_e32 v84, v65, v60
	ds_load_2addr_b32 v[68:69], v68 offset1:1
	ds_load_2addr_b32 v[70:71], v70 offset1:1
	ds_load_2addr_b32 v[72:73], v72 offset1:1
	s_waitcnt lgkmcnt(6)
	v_fma_f32 v27, -v30, v53, v27
	v_mov_b32_e32 v53, s13
	s_sub_i32 s13, s12, 60
	v_fma_f32 v29, -v40, v59, v29
	v_mov_b32_e32 v56, s13
	v_fma_f32 v27, -v32, v52, v27
	s_sub_i32 s13, s10, 32
	s_delay_alu instid0(VALU_DEP_3) | instskip(SKIP_1) | instid1(VALU_DEP_2)
	v_fma_f32 v29, -v42, v58, v29
	s_waitcnt lgkmcnt(5)
	v_fma_f32 v27, -v33, v55, v27
	ds_load_2addr_b32 v[52:53], v53 offset1:1
	ds_load_2addr_b32 v[55:56], v56 offset1:1
	;; [unrolled: 1-line block ×3, first 2 shown]
	s_waitcnt lgkmcnt(7)
	v_fma_f32 v29, -v44, v63, v29
	v_fma_f32 v27, -v34, v54, v27
	v_mov_b32_e32 v54, s13
	s_lshl_b32 s13, s18, 5
	s_add_i32 s18, s10, 0xffffffa0
	s_add_i32 s19, s13, s4
	v_mov_b32_e32 v61, s18
	s_lshl_b32 s18, s19, 2
	s_add_i32 s19, s11, 0xfffff298
	s_add_i32 s20, s18, -4
	s_delay_alu instid0(SALU_CYCLE_1)
	v_dual_mov_b32 v65, s19 :: v_dual_mov_b32 v76, s20
	ds_load_2addr_b32 v[59:60], v54 offset1:1
	ds_load_2addr_b32 v[63:64], v61 offset1:1
	;; [unrolled: 1-line block ×4, first 2 shown]
	s_sub_i32 s19, s10, 40
	s_waitcnt lgkmcnt(10)
	v_fma_f32 v27, -v35, v67, v27
	v_mov_b32_e32 v54, s19
	s_add_i32 s19, s18, -12
	v_fma_f32 v29, -v45, v62, v29
	v_mov_b32_e32 v65, s19
	v_fma_f32 v27, -v37, v66, v27
	ds_load_2addr_b32 v[61:62], v54 offset1:1
	s_sub_i32 s19, s10, 48
	s_sub_i32 s20, s10, 56
	ds_load_2addr_b32 v[65:66], v65 offset1:1
	v_mov_b32_e32 v54, s19
	s_sub_i32 s19, s18, 20
	s_delay_alu instid0(SALU_CYCLE_1)
	v_dual_mov_b32 v67, s20 :: v_dual_mov_b32 v80, s19
	s_waitcnt lgkmcnt(8)
	v_fma_f32 v29, -v47, v53, v29
	ds_load_2addr_b32 v[53:54], v54 offset1:1
	ds_load_2addr_b32 v[78:79], v67 offset1:1
	s_waitcnt lgkmcnt(7)
	v_fma_f32 v60, -v38, v60, v27
	s_waitcnt lgkmcnt(4)
	v_fma_f32 v67, -v31, v77, v26
	ds_load_2addr_b32 v[26:27], v80 offset1:1
	s_sub_i32 s19, s18, 28
	v_fma_f32 v29, -v49, v52, v29
	v_fma_f32 v52, -v40, v59, v60
	;; [unrolled: 1-line block ×3, first 2 shown]
	v_mov_b32_e32 v60, s19
	s_sub_i32 s19, s18, 36
	v_fma_f32 v29, -v51, v56, v29
	s_waitcnt lgkmcnt(4)
	v_fma_f32 v52, -v42, v62, v52
	s_sub_i32 s20, s18, 44
	s_waitcnt lgkmcnt(3)
	v_fma_f32 v56, -v32, v66, v59
	ds_load_2addr_b32 v[59:60], v60 offset1:1
	v_mov_b32_e32 v62, s19
	v_mov_b32_e32 v66, s20
	v_fma_f32 v52, -v44, v61, v52
	v_fma_f32 v65, -v33, v65, v56
	;; [unrolled: 1-line block ×3, first 2 shown]
	ds_load_2addr_b32 v[55:56], v62 offset1:1
	ds_load_2addr_b32 v[61:62], v66 offset1:1
	v_fma_f32 v36, -v39, v69, v36
	s_waitcnt lgkmcnt(5)
	v_fma_f32 v52, -v45, v54, v52
	s_waitcnt lgkmcnt(3)
	v_fma_f32 v27, -v34, v27, v65
	s_add_i32 s19, s12, 0xffffffb4
	s_sub_i32 s20, s18, 52
	v_fma_f32 v36, -v82, v68, v36
	v_fma_f32 v52, -v47, v53, v52
	;; [unrolled: 1-line block ×3, first 2 shown]
	v_mov_b32_e32 v54, s19
	v_fma_f32 v29, -v48, v58, v29
	v_fma_f32 v36, -v83, v71, v36
	;; [unrolled: 1-line block ×3, first 2 shown]
	s_add_i32 s21, s18, 0xffffffbc
	s_waitcnt lgkmcnt(2)
	v_fma_f32 v53, -v37, v60, v65
	ds_load_2addr_b32 v[26:27], v54 offset1:1
	s_add_i32 s22, s18, 0xffffffb4
	v_fma_f32 v71, -v51, v78, v52
	v_mov_b32_e32 v52, s20
	v_fma_f32 v53, -v38, v59, v53
	s_sub_i32 s20, s10, 64
	s_add_i32 s19, s12, 0xffffffac
	s_addk_i32 s12, 0xffa4
	v_mov_b32_e32 v69, s19
	s_waitcnt lgkmcnt(2)
	v_fma_f32 v54, -v40, v56, v53
	v_mov_b32_e32 v56, s20
	s_add_i32 s20, s10, 0xffffffb8
	ds_load_2addr_b32 v[52:53], v52 offset1:1
	v_mov_b32_e32 v58, s20
	s_sub_i32 s20, s18, 60
	v_fma_f32 v60, -v42, v55, v54
	ds_load_2addr_b32 v[54:55], v56 offset1:1
	s_add_i32 s19, s11, 0xfffff31c
	ds_load_2addr_b32 v[58:59], v58 offset1:1
	v_mov_b32_e32 v56, s20
	s_waitcnt lgkmcnt(4)
	v_fma_f32 v60, -v44, v62, v60
	v_mov_b32_e32 v62, s22
	s_add_i32 s20, s10, 0xffffffb0
	s_addk_i32 s10, 0xffa8
	ds_load_2addr_b32 v[65:66], v56 offset1:1
	v_fma_f32 v76, -v45, v61, v60
	v_dual_mov_b32 v56, s21 :: v_dual_mov_b32 v77, s20
	v_mov_b32_e32 v78, s10
	ds_load_2addr_b32 v[60:61], v56 offset1:1
	ds_load_2addr_b32 v[67:68], v62 offset1:1
	s_waitcnt lgkmcnt(5)
	v_fma_f32 v53, -v47, v53, v76
	ds_load_2addr_b32 v[76:77], v77 offset1:1
	ds_load_2addr_b32 v[78:79], v78 offset1:1
	;; [unrolled: 1-line block ×3, first 2 shown]
	v_fma_f32 v29, -v46, v57, v29
	v_mov_b32_e32 v56, s19
	s_waitcnt lgkmcnt(7)
	v_fma_f32 v55, -v50, v55, v71
	v_fma_f32 v52, -v49, v52, v53
	v_mov_b32_e32 v53, s12
	s_add_i32 s10, s18, 0xffffffac
	v_fma_f32 v27, -v43, v27, v29
	v_fma_f32 v57, -v48, v54, v55
	;; [unrolled: 1-line block ×3, first 2 shown]
	s_addk_i32 s11, 0xf214
	s_waitcnt lgkmcnt(5)
	v_fma_f32 v62, -v51, v66, v52
	ds_load_2addr_b32 v[52:53], v53 offset1:1
	ds_load_2addr_b32 v[54:55], v56 offset1:1
	v_fma_f32 v29, -v46, v59, v57
	v_mov_b32_e32 v57, s10
	v_fma_f32 v59, -v39, v26, v27
	v_fma_f32 v56, -v50, v65, v62
	s_add_i32 s10, s18, 0xffffffa4
	v_fma_f32 v29, -v43, v58, v29
	ds_load_2addr_b32 v[26:27], v57 offset1:1
	s_waitcnt lgkmcnt(3)
	v_fma_f32 v57, -v82, v81, v59
	v_fma_f32 v56, -v48, v61, v56
	v_mov_b32_e32 v58, s10
	v_fma_f32 v29, -v39, v77, v29
	s_add_i32 s10, s18, 0xffffff9c
	v_fma_f32 v59, -v83, v80, v57
	v_fma_f32 v56, -v46, v60, v56
	v_mov_b32_e32 v61, s11
	v_fma_f32 v29, -v82, v76, v29
	v_fma_f32 v36, -v84, v73, v36
	s_delay_alu instid0(VALU_DEP_4)
	v_fma_f32 v60, -v43, v68, v56
	ds_load_2addr_b32 v[56:57], v58 offset1:1
	v_mov_b32_e32 v58, s10
	s_waitcnt lgkmcnt(3)
	v_fma_f32 v53, -v41, v53, v59
	v_fma_f32 v29, -v83, v79, v29
	;; [unrolled: 1-line block ×3, first 2 shown]
	ds_load_2addr_b32 v[58:59], v58 offset1:1
	ds_load_2addr_b32 v[60:61], v61 offset1:1
	v_mul_f32_e32 v36, v72, v36
	v_fma_f32 v52, -v84, v52, v53
	s_waitcnt lgkmcnt(3)
	v_fma_f32 v27, -v82, v27, v62
	v_fma_f32 v29, -v41, v78, v29
	s_lshl_b32 s10, s4, 7
	ds_store_b32 v28, v31
	ds_store_b32 v1, v32 offset:4096
	ds_store_b32 v2, v33 offset:4096
	;; [unrolled: 1-line block ×8, first 2 shown]
	v_fma_f32 v26, -v83, v26, v27
	v_fma_f32 v27, -v36, v55, v52
	;; [unrolled: 1-line block ×3, first 2 shown]
	v_or_b32_e32 v2, s13, v0
	s_addk_i32 s10, 0xff80
	s_sub_i32 s4, s4, 28
	s_waitcnt lgkmcnt(11)
	v_fma_f32 v26, -v41, v57, v26
	v_mul_f32_e32 v27, v54, v27
	v_fma_f32 v29, -v36, v63, v29
	v_lshl_or_b32 v28, v0, 2, s10
	v_lshlrev_b32_e32 v2, 2, v2
	v_fma_f32 v26, -v84, v56, v26
	ds_store_b32 v9, v44 offset:4096
	ds_store_b32 v10, v45 offset:4096
	;; [unrolled: 1-line block ×8, first 2 shown]
	v_fma_f32 v29, -v27, v75, v29
	s_waitcnt lgkmcnt(18)
	v_fma_f32 v26, -v36, v59, v26
	s_delay_alu instid0(VALU_DEP_2) | instskip(NEXT) | instid1(VALU_DEP_2)
	v_mul_f32_e32 v29, v74, v29
	v_fma_f32 v26, -v27, v58, v26
	s_waitcnt lgkmcnt(17)
	s_delay_alu instid0(VALU_DEP_1) | instskip(NEXT) | instid1(VALU_DEP_1)
	v_fma_f32 v1, -v29, v61, v26
	v_mul_f32_e32 v1, v60, v1
	ds_store_b32 v17, v43 offset:4096
	ds_store_b32 v18, v39 offset:4096
	;; [unrolled: 1-line block ×11, first 2 shown]
.LBB38_26:
	s_cmp_lt_i32 s4, 0
	s_cbranch_scc1 .LBB38_39
; %bb.27:
	s_bitcmp1_b32 s4, 0
	s_cselect_b32 s10, -1, 0
	s_delay_alu instid0(SALU_CYCLE_1)
	s_and_b32 vcc_lo, exec_lo, s10
	s_mov_b32 s10, s4
	s_cbranch_vccnz .LBB38_32
; %bb.28:
	v_lshlrev_b32_e32 v3, 2, v0
	s_cmp_le_i32 s26, s4
	s_delay_alu instid0(VALU_DEP_1)
	v_lshl_or_b32 v2, s4, 7, v3
	ds_load_b32 v1, v2 offset:4096
	s_cbranch_scc1 .LBB38_31
; %bb.29:
	v_lshl_or_b32 v3, s15, 7, v3
	s_lshl_b32 s10, s4, 7
	s_lshl_b32 s11, s15, 2
	s_delay_alu instid0(SALU_CYCLE_1) | instskip(NEXT) | instid1(VALU_DEP_1)
	s_add_i32 s10, s10, s11
	v_add_nc_u32_e32 v3, 0xf80, v3
	s_add_i32 s10, s10, -4
	s_mov_b32 s11, s26
.LBB38_30:                              ; =>This Inner Loop Header: Depth=1
	v_mov_b32_e32 v4, s10
	s_add_i32 s11, s11, -1
	s_add_i32 s10, s10, -4
	s_cmp_gt_i32 s11, s4
	ds_load_b32 v5, v3
	ds_load_b32 v4, v4
	v_add_nc_u32_e32 v3, 0xffffff80, v3
	s_waitcnt lgkmcnt(0)
	v_fma_f32 v1, -v5, v4, v1
	s_cbranch_scc1 .LBB38_30
.LBB38_31:
	s_mul_i32 s10, s4, 0x84
	s_delay_alu instid0(SALU_CYCLE_1)
	v_dual_mov_b32 v3, s10 :: v_dual_add_nc_u32 v2, 0x1000, v2
	s_add_i32 s10, s4, -1
	ds_load_b32 v3, v3
	s_waitcnt lgkmcnt(0)
	v_mul_f32_e32 v1, v3, v1
	ds_store_b32 v2, v1
.LBB38_32:
	s_cmp_eq_u32 s4, 0
	s_cbranch_scc1 .LBB38_39
; %bb.33:
	v_lshlrev_b32_e32 v1, 2, v0
	s_lshl_b32 s4, s10, 7
	s_lshl_b32 s11, s15, 2
	s_delay_alu instid0(SALU_CYCLE_1) | instskip(NEXT) | instid1(VALU_DEP_1)
	s_add_i32 s11, s4, s11
	v_lshl_or_b32 v2, s15, 7, v1
	s_add_i32 s4, s11, -4
	s_addk_i32 s11, 0xff7c
	s_delay_alu instid0(VALU_DEP_1)
	v_add_nc_u32_e32 v2, 0xf80, v2
	s_branch .LBB38_35
.LBB38_34:                              ;   in Loop: Header=BB38_35 Depth=1
	s_addk_i32 s12, 0xff7c
	v_add_nc_u32_e32 v3, 0x1000, v5
	v_mov_b32_e32 v5, s12
	s_add_i32 s12, s10, -2
	s_addk_i32 s4, 0xff00
	s_addk_i32 s11, 0xff00
	s_cmp_lt_i32 s10, 2
	ds_load_b32 v5, v5
	s_mov_b32 s10, s12
	s_waitcnt lgkmcnt(0)
	v_mul_f32_e32 v4, v5, v4
	ds_store_b32 v3, v4
	s_cbranch_scc1 .LBB38_39
.LBB38_35:                              ; =>This Loop Header: Depth=1
                                        ;     Child Loop BB38_36 Depth 2
                                        ;     Child Loop BB38_38 Depth 2
	v_lshl_or_b32 v4, s10, 7, v1
	s_delay_alu instid0(VALU_DEP_2)
	v_mov_b32_e32 v5, v2
	s_cmp_le_i32 s26, s10
	s_mov_b32 s12, s4
	s_mov_b32 s13, s26
	ds_load_b32 v3, v4 offset:4096
	s_cbranch_scc1 .LBB38_37
.LBB38_36:                              ;   Parent Loop BB38_35 Depth=1
                                        ; =>  This Inner Loop Header: Depth=2
	v_mov_b32_e32 v6, s12
	s_add_i32 s13, s13, -1
	s_add_i32 s12, s12, -4
	s_cmp_gt_i32 s13, s10
	ds_load_b32 v7, v5
	ds_load_b32 v6, v6
	v_add_nc_u32_e32 v5, 0xffffff80, v5
	s_waitcnt lgkmcnt(0)
	v_fma_f32 v3, -v7, v6, v3
	s_cbranch_scc1 .LBB38_36
.LBB38_37:                              ;   in Loop: Header=BB38_35 Depth=1
	s_mul_i32 s12, s10, 0x84
	v_add_nc_u32_e32 v6, 0x1000, v4
	v_mov_b32_e32 v4, s12
	s_lshl_b32 s13, s10, 7
	s_mov_b32 s18, s15
	s_addk_i32 s13, 0xff80
	s_cmp_lt_i32 s26, s10
	ds_load_b32 v7, v4
	v_lshl_or_b32 v5, v0, 2, s13
	s_mov_b32 s13, s11
	ds_load_b32 v4, v5 offset:4096
	s_waitcnt lgkmcnt(1)
	v_mul_f32_e32 v7, v7, v3
	v_mov_b32_e32 v3, v2
	ds_store_b32 v6, v7
	s_cbranch_scc1 .LBB38_34
.LBB38_38:                              ;   Parent Loop BB38_35 Depth=1
                                        ; =>  This Inner Loop Header: Depth=2
	v_mov_b32_e32 v6, s13
	s_add_i32 s18, s18, -1
	s_add_i32 s13, s13, -4
	s_cmp_gt_i32 s18, s10
	ds_load_b32 v7, v3
	ds_load_b32 v6, v6
	v_add_nc_u32_e32 v3, 0xffffff80, v3
	s_waitcnt lgkmcnt(0)
	v_fma_f32 v4, -v7, v6, v4
	s_cbranch_scc1 .LBB38_38
	s_branch .LBB38_34
.LBB38_39:
	s_mov_b32 s4, 0
.LBB38_40:
	s_delay_alu instid0(SALU_CYCLE_1)
	s_and_b32 vcc_lo, exec_lo, s4
	s_cbranch_vccz .LBB38_60
; %bb.41:
	s_cmp_gt_i32 s6, 31
	s_mov_b32 s4, 0
	s_cselect_b32 s11, -1, 0
	s_delay_alu instid0(SALU_CYCLE_1)
	s_and_b32 vcc_lo, exec_lo, s11
	s_cbranch_vccz .LBB38_43
; %bb.42:
	v_dual_mov_b32 v93, 0x4a4 :: v_dual_lshlrev_b32 v92, 2, v0
	s_mov_b32 s4, 32
	s_delay_alu instid0(VALU_DEP_1)
	v_dual_mov_b32 v86, 0 :: v_dual_add_nc_u32 v85, 0x1000, v92
	ds_load_2addr_b32 v[4:5], v85 offset1:32
	ds_load_b128 v[6:9], v86
	ds_load_2addr_b32 v[10:11], v86 offset0:33 offset1:34
	ds_load_b128 v[45:48], v86 offset:16
	ds_load_2addr_b32 v[12:13], v85 offset0:64 offset1:96
	ds_load_2addr_b64 v[41:44], v86 offset0:33 offset1:34
	ds_load_2addr_b64 v[29:32], v86 offset0:35 offset1:36
	ds_load_2addr_b32 v[14:15], v86 offset0:35 offset1:36
	ds_load_2addr_b32 v[75:76], v86 offset0:37 offset1:38
	;; [unrolled: 1-line block ×3, first 2 shown]
	ds_load_b128 v[37:40], v86 offset:528
	ds_load_b128 v[21:24], v86 offset:544
	ds_load_2addr_b32 v[67:68], v85 offset0:128 offset1:160
	s_waitcnt lgkmcnt(11)
	v_mul_f32_e32 v89, v6, v4
	ds_load_2addr_b32 v[77:78], v86 offset0:99 offset1:100
	ds_load_2addr_b32 v[73:74], v86 offset0:101 offset1:102
	;; [unrolled: 1-line block ×4, first 2 shown]
	ds_load_2addr_b64 v[25:28], v86 offset0:99 offset1:100
	ds_load_2addr_b64 v[1:4], v86 offset0:101 offset1:102
	ds_load_2addr_b32 v[59:60], v86 offset0:231 offset1:232
	ds_load_2addr_b32 v[51:52], v86 offset0:233 offset1:234
	ds_load_2addr_b32 v[49:50], v86 offset0:235 offset1:236
	v_fma_f32 v5, -v89, v7, v5
	v_add_nc_u32_e32 v87, 0x1800, v92
	s_waitcnt lgkmcnt(17)
	v_fma_f32 v12, -v89, v8, v12
	v_fma_f32 v9, -v89, v9, v13
	s_waitcnt lgkmcnt(9)
	v_fma_f32 v13, -v89, v45, v67
	v_mul_f32_e32 v90, v10, v5
	ds_load_b128 v[33:36], v86 offset:32
	ds_load_b128 v[5:8], v86 offset:48
	ds_load_2addr_b32 v[79:80], v85 offset0:192 offset1:224
	v_fma_f32 v16, -v89, v46, v68
	v_fma_f32 v10, -v90, v11, v12
	v_add_nc_u32_e32 v88, 0x1400, v92
	v_fma_f32 v14, -v90, v14, v9
	v_fma_f32 v13, -v90, v15, v13
	;; [unrolled: 1-line block ×3, first 2 shown]
	v_mul_f32_e32 v91, v41, v10
	ds_load_2addr_b32 v[63:64], v86 offset0:167 offset1:168
	ds_load_2addr_b32 v[61:62], v86 offset0:169 offset1:170
	;; [unrolled: 1-line block ×4, first 2 shown]
	ds_load_2addr_b32 v[81:82], v88 offset1:32
	ds_load_2addr_b64 v[17:20], v86 offset0:37 offset1:38
	ds_load_2addr_b64 v[9:12], v86 offset0:39 offset1:40
	v_fma_f32 v14, -v91, v42, v14
	ds_load_2addr_b32 v[69:70], v86 offset0:41 offset1:42
	ds_load_2addr_b32 v[67:68], v86 offset0:43 offset1:44
	;; [unrolled: 1-line block ×4, first 2 shown]
	v_fma_f32 v44, -v91, v44, v75
	s_waitcnt lgkmcnt(11)
	v_fma_f32 v47, -v89, v47, v79
	v_fma_f32 v79, -v91, v43, v13
	v_mul_f32_e32 v43, v77, v14
	ds_load_2addr_b32 v[83:84], v86 offset0:165 offset1:166
	ds_load_b128 v[13:16], v86 offset:624
	v_fma_f32 v48, -v89, v48, v80
	v_fma_f32 v47, -v90, v76, v47
	;; [unrolled: 1-line block ×4, first 2 shown]
	s_delay_alu instid0(VALU_DEP_4)
	v_fma_f32 v71, -v90, v71, v48
	s_waitcnt lgkmcnt(8)
	v_fma_f32 v33, -v89, v33, v81
	v_fma_f32 v29, -v91, v29, v47
	v_mul_f32_e32 v37, v37, v75
	v_fma_f32 v34, -v89, v34, v82
	v_fma_f32 v30, -v91, v30, v71
	;; [unrolled: 1-line block ×5, first 2 shown]
	ds_load_2addr_b32 v[47:48], v88 offset0:64 offset1:96
	v_fma_f32 v44, -v43, v65, v30
	v_fma_f32 v33, -v91, v31, v33
	;; [unrolled: 1-line block ×3, first 2 shown]
	s_waitcnt lgkmcnt(2)
	v_mul_f32_e32 v31, v83, v38
	v_fma_f32 v38, -v90, v69, v34
	ds_load_b128 v[71:74], v86 offset:1056
	ds_load_2addr_b32 v[29:30], v86 offset0:253 offset1:254
	v_fma_f32 v65, -v43, v66, v33
	v_fma_f32 v40, -v37, v40, v44
	;; [unrolled: 1-line block ×4, first 2 shown]
	ds_load_b64 v[33:34], v86 offset:888
	v_fma_f32 v44, -v37, v21, v65
	v_fma_f32 v40, -v31, v63, v40
	v_mul_f32_e32 v21, v25, v39
	ds_load_2addr_b32 v[38:39], v88 offset0:128 offset1:160
	v_fma_f32 v25, -v43, v57, v32
	ds_load_2addr_b32 v[76:77], v88 offset0:192 offset1:224
	ds_load_2addr_b32 v[95:96], v87 offset1:32
	v_fma_f32 v26, -v21, v26, v40
	v_fma_f32 v25, -v37, v22, v25
	s_delay_alu instid0(VALU_DEP_2) | instskip(SKIP_2) | instid1(VALU_DEP_1)
	v_mul_f32_e32 v22, v59, v26
	s_waitcnt lgkmcnt(6)
	v_fma_f32 v32, -v89, v35, v47
	v_fma_f32 v32, -v90, v70, v32
	s_waitcnt lgkmcnt(2)
	v_fma_f32 v5, -v89, v5, v38
	v_mov_b32_e32 v38, 0x4b4
	v_fma_f32 v35, -v31, v64, v44
	v_fma_f32 v17, -v91, v17, v32
	;; [unrolled: 1-line block ×3, first 2 shown]
	ds_load_2addr_b32 v[47:48], v93 offset1:1
	v_fma_f32 v6, -v89, v6, v39
	v_fma_f32 v35, -v21, v27, v35
	ds_load_2addr_b32 v[26:27], v86 offset0:107 offset1:108
	v_fma_f32 v32, -v90, v67, v32
	v_fma_f32 v5, -v90, v68, v5
	;; [unrolled: 1-line block ×4, first 2 shown]
	ds_load_2addr_b32 v[35:36], v87 offset0:64 offset1:96
	v_fma_f32 v18, -v91, v18, v32
	s_waitcnt lgkmcnt(4)
	v_fma_f32 v7, -v89, v7, v76
	v_fma_f32 v8, -v89, v8, v77
	s_delay_alu instid0(VALU_DEP_2) | instskip(NEXT) | instid1(VALU_DEP_1)
	v_fma_f32 v7, -v90, v46, v7
	v_fma_f32 v7, -v91, v9, v7
	s_waitcnt lgkmcnt(1)
	v_fma_f32 v18, -v43, v26, v18
	s_delay_alu instid0(VALU_DEP_1)
	v_fma_f32 v18, -v37, v24, v18
	v_mov_b32_e32 v24, 0x4ac
	v_fma_f32 v17, -v43, v58, v17
	ds_load_b128 v[57:60], v86 offset:560
	ds_load_2addr_b32 v[78:79], v86 offset0:109 offset1:110
	ds_load_2addr_b32 v[97:98], v86 offset0:111 offset1:112
	;; [unrolled: 1-line block ×4, first 2 shown]
	v_fma_f32 v18, -v31, v55, v18
	s_delay_alu instid0(VALU_DEP_1) | instskip(SKIP_3) | instid1(VALU_DEP_4)
	v_fma_f32 v2, -v21, v2, v18
	v_fma_f32 v18, -v90, v45, v6
	v_add_nc_u32_e32 v6, 0x1c00, v92
	v_fma_f32 v17, -v37, v23, v17
	v_fma_f32 v2, -v22, v49, v2
	s_delay_alu instid0(VALU_DEP_2)
	v_fma_f32 v17, -v31, v62, v17
	ds_load_2addr_b64 v[61:64], v86 offset0:165 offset1:166
	s_waitcnt lgkmcnt(4)
	v_fma_f32 v7, -v43, v79, v7
	v_fma_f32 v1, -v21, v1, v17
	;; [unrolled: 1-line block ×3, first 2 shown]
	ds_load_2addr_b32 v[80:81], v24 offset1:1
	ds_load_b32 v5, v86 offset:4092
	v_fma_f32 v24, -v91, v20, v18
	ds_load_b128 v[65:68], v86 offset:576
	v_fma_f32 v1, -v22, v52, v1
	v_fma_f32 v17, -v43, v27, v17
	v_mov_b32_e32 v27, 0x5ac
	v_fma_f32 v24, -v43, v78, v24
	v_fma_f32 v7, -v37, v59, v7
	ds_load_2addr_b32 v[44:45], v38 offset1:1
	v_fma_f32 v17, -v37, v57, v17
	v_fma_f32 v24, -v37, v58, v24
	;; [unrolled: 1-line block ×3, first 2 shown]
	s_delay_alu instid0(VALU_DEP_3) | instskip(SKIP_2) | instid1(VALU_DEP_1)
	v_fma_f32 v17, -v31, v56, v17
	ds_load_2addr_b64 v[55:58], v86 offset0:103 offset1:104
	v_fma_f32 v24, -v31, v53, v24
	v_fma_f32 v4, -v21, v4, v24
	v_mov_b32_e32 v24, 0x5b4
	v_fma_f32 v28, -v21, v28, v25
	v_mul_f32_e32 v25, v71, v40
	v_fma_f32 v26, -v21, v3, v17
	ds_load_b128 v[17:20], v86 offset:1136
	v_fma_f32 v28, -v22, v51, v28
	v_fma_f32 v1, -v25, v73, v1
	;; [unrolled: 1-line block ×4, first 2 shown]
	s_delay_alu instid0(VALU_DEP_4) | instskip(SKIP_4) | instid1(VALU_DEP_1)
	v_fma_f32 v23, -v25, v72, v28
	ds_load_b128 v[69:72], v86 offset:1072
	s_waitcnt lgkmcnt(2)
	v_fma_f32 v7, -v21, v55, v7
	v_mul_f32_e32 v23, v47, v23
	v_fma_f32 v1, -v23, v48, v1
	v_fma_f32 v28, -v23, v80, v2
	ds_load_b128 v[47:50], v86 offset:1088
	v_mul_f32_e32 v3, v61, v1
	ds_load_2addr_b32 v[1:2], v86 offset0:237 offset1:238
	v_fma_f32 v28, -v3, v62, v28
	s_waitcnt lgkmcnt(0)
	v_fma_f32 v1, -v22, v1, v4
	v_mov_b32_e32 v4, 0x6b4
	v_fma_f32 v32, -v25, v69, v26
	ds_load_2addr_b32 v[26:27], v27 offset1:1
	ds_load_2addr_b32 v[103:104], v86 offset0:239 offset1:240
	ds_load_2addr_b32 v[105:106], v86 offset0:241 offset1:242
	;; [unrolled: 1-line block ×3, first 2 shown]
	ds_load_2addr_b32 v[92:93], v24 offset1:1
	v_fma_f32 v1, -v25, v70, v1
	ds_load_2addr_b32 v[69:70], v4 offset1:1
	ds_load_b128 v[73:76], v86 offset:1584
	ds_load_b128 v[51:54], v86 offset:64
	ds_load_2addr_b64 v[77:80], v86 offset0:105 offset1:106
	s_waitcnt lgkmcnt(8)
	v_mul_f32_e32 v4, v26, v28
	v_fma_f32 v9, -v23, v81, v32
	v_fma_f32 v26, -v90, v41, v8
	;; [unrolled: 1-line block ×3, first 2 shown]
	ds_load_2addr_b64 v[38:41], v86 offset0:167 offset1:168
	v_fma_f32 v28, -v22, v2, v7
	v_fma_f32 v9, -v3, v63, v9
	;; [unrolled: 1-line block ×3, first 2 shown]
	s_waitcnt lgkmcnt(2)
	v_fma_f32 v32, -v89, v51, v95
	v_mov_b32_e32 v44, 0x7bc
	v_fma_f32 v28, -v25, v71, v28
	v_fma_f32 v24, -v4, v27, v9
	ds_load_2addr_b32 v[8:9], v86 offset0:175 offset1:176
	v_fma_f32 v10, -v43, v97, v10
	v_fma_f32 v32, -v90, v42, v32
	;; [unrolled: 1-line block ×3, first 2 shown]
	v_mul_f32_e32 v7, v73, v24
	s_delay_alu instid0(VALU_DEP_4) | instskip(NEXT) | instid1(VALU_DEP_4)
	v_fma_f32 v10, -v37, v60, v10
	v_fma_f32 v32, -v91, v11, v32
	s_delay_alu instid0(VALU_DEP_1) | instskip(NEXT) | instid1(VALU_DEP_1)
	v_fma_f32 v32, -v43, v98, v32
	v_fma_f32 v32, -v37, v65, v32
	s_waitcnt lgkmcnt(0)
	v_fma_f32 v8, -v31, v8, v10
	v_mov_b32_e32 v10, 0x4bc
	v_fma_f32 v27, -v3, v64, v1
	ds_load_b64 v[1:2], v86 offset:1400
	v_fma_f32 v28, -v3, v38, v28
	v_fma_f32 v8, -v21, v56, v8
	v_fma_f32 v38, -v89, v52, v96
	v_fma_f32 v24, -v4, v92, v27
	ds_load_2addr_b32 v[26:27], v87 offset0:192 offset1:224
	ds_load_2addr_b32 v[119:120], v6 offset1:32
	ds_load_b128 v[59:62], v86 offset:80
	v_fma_f32 v28, -v4, v93, v28
	v_fma_f32 v8, -v22, v103, v8
	;; [unrolled: 1-line block ×3, first 2 shown]
	ds_load_2addr_b32 v[73:74], v86 offset0:49 offset1:50
	ds_load_2addr_b32 v[109:110], v86 offset0:177 offset1:178
	;; [unrolled: 1-line block ×4, first 2 shown]
	ds_load_2addr_b64 v[81:84], v86 offset0:169 offset1:170
	ds_load_2addr_b32 v[55:56], v10 offset1:1
	v_mov_b32_e32 v10, 0x5bc
	ds_load_2addr_b64 v[92:95], v86 offset0:231 offset1:232
	v_fma_f32 v8, -v25, v72, v8
	v_fma_f32 v9, -v31, v9, v32
	v_mov_b32_e32 v32, 0x4c4
	ds_load_2addr_b32 v[10:11], v10 offset1:1
	ds_load_2addr_b32 v[96:97], v86 offset0:51 offset1:52
	ds_load_2addr_b32 v[115:116], v86 offset0:53 offset1:54
	;; [unrolled: 1-line block ×3, first 2 shown]
	v_fma_f32 v9, -v21, v57, v9
	s_waitcnt lgkmcnt(11)
	v_fma_f32 v26, -v89, v61, v26
	s_waitcnt lgkmcnt(10)
	v_fma_f32 v38, -v90, v73, v38
	s_delay_alu instid0(VALU_DEP_1)
	v_fma_f32 v12, -v91, v12, v38
	s_waitcnt lgkmcnt(5)
	v_fma_f32 v38, -v23, v55, v8
	v_mul_f32_e32 v8, v69, v24
	v_fma_f32 v24, -v7, v75, v28
	v_fma_f32 v12, -v43, v99, v12
	s_delay_alu instid0(VALU_DEP_4)
	v_fma_f32 v28, -v3, v39, v38
	s_waitcnt lgkmcnt(1)
	v_fma_f32 v26, -v90, v116, v26
	v_fma_f32 v24, -v8, v70, v24
	v_mov_b32_e32 v42, 0x6bc
	v_fma_f32 v12, -v37, v66, v12
	v_fma_f32 v10, -v4, v10, v28
	;; [unrolled: 1-line block ×3, first 2 shown]
	v_mul_f32_e32 v9, v92, v24
	ds_load_2addr_b32 v[51:52], v42 offset1:1
	ds_load_2addr_b32 v[121:122], v44 offset1:1
	ds_load_2addr_b32 v[124:125], v6 offset0:64 offset1:96
	v_fma_f32 v12, -v31, v109, v12
	ds_load_2addr_b64 v[63:66], v86 offset0:41 offset1:42
	ds_load_2addr_b64 v[69:72], v86 offset0:233 offset1:234
	ds_load_2addr_b32 v[98:99], v32 offset1:1
	v_fma_f32 v24, -v25, v47, v28
	v_mov_b32_e32 v28, 0x5c4
	v_fma_f32 v12, -v21, v58, v12
	v_fma_f32 v10, -v7, v76, v10
	ds_load_b128 v[44:47], v86 offset:1600
	v_fma_f32 v24, -v23, v56, v24
	ds_load_2addr_b64 v[55:58], v86 offset0:43 offset1:44
	v_fma_f32 v12, -v22, v105, v12
	ds_load_2addr_b32 v[103:104], v28 offset1:1
	v_fma_f32 v32, -v89, v53, v35
	v_fma_f32 v24, -v3, v40, v24
	s_waitcnt lgkmcnt(8)
	v_fma_f32 v10, -v8, v51, v10
	s_delay_alu instid0(VALU_DEP_3)
	v_fma_f32 v28, -v90, v74, v32
	v_fma_f32 v32, -v25, v48, v12
	v_mov_b32_e32 v12, 0x6c4
	v_fma_f32 v24, -v4, v11, v24
	v_fma_f32 v10, -v9, v93, v10
	v_mov_b32_e32 v35, 0x7c4
	s_waitcnt lgkmcnt(3)
	v_fma_f32 v32, -v23, v98, v32
	v_fma_f32 v28, -v91, v63, v28
	v_mul_f32_e32 v10, v121, v10
	ds_load_2addr_b32 v[11:12], v12 offset1:1
	ds_load_2addr_b32 v[126:127], v35 offset1:1
	ds_load_b128 v[73:76], v86 offset:1616
	ds_load_2addr_b32 v[92:93], v86 offset0:115 offset1:116
	v_fma_f32 v32, -v3, v41, v32
	v_fma_f32 v28, -v43, v100, v28
	s_waitcnt lgkmcnt(6)
	v_fma_f32 v24, -v7, v44, v24
	ds_load_b128 v[38:41], v86 offset:2112
	v_fma_f32 v35, -v89, v54, v36
	s_waitcnt lgkmcnt(5)
	v_fma_f32 v32, -v4, v103, v32
	v_fma_f32 v28, -v37, v67, v28
	;; [unrolled: 1-line block ×3, first 2 shown]
	v_mov_b32_e32 v44, 0x5cc
	v_fma_f32 v42, -v90, v96, v35
	v_fma_f32 v32, -v7, v45, v32
	;; [unrolled: 1-line block ×4, first 2 shown]
	ds_load_2addr_b32 v[35:36], v6 offset0:128 offset1:160
	v_fma_f32 v26, -v91, v55, v26
	s_waitcnt lgkmcnt(5)
	v_fma_f32 v32, -v8, v11, v32
	v_fma_f32 v11, -v91, v64, v42
	;; [unrolled: 1-line block ×4, first 2 shown]
	s_waitcnt lgkmcnt(2)
	s_delay_alu instid0(VALU_DEP_3) | instskip(NEXT) | instid1(VALU_DEP_3)
	v_fma_f32 v42, -v43, v92, v11
	v_fma_f32 v28, -v22, v106, v28
	s_waitcnt lgkmcnt(1)
	v_mul_f32_e32 v11, v38, v24
	v_fma_f32 v24, -v9, v95, v32
	ds_load_2addr_b32 v[105:106], v86 offset0:117 offset1:118
	ds_load_2addr_b32 v[121:122], v86 offset0:119 offset1:120
	ds_load_2addr_b32 v[128:129], v86 offset0:121 offset1:122
	v_fma_f32 v32, -v37, v68, v42
	v_fma_f32 v28, -v25, v49, v28
	v_mov_b32_e32 v38, 0x4cc
	v_fma_f32 v42, -v89, v59, v101
	ds_load_b128 v[51:54], v86 offset:592
	v_fma_f32 v32, -v31, v111, v32
	ds_load_b64 v[130:131], v86 offset:1912
	v_fma_f32 v28, -v23, v99, v28
	ds_load_2addr_b32 v[63:64], v38 offset1:1
	v_fma_f32 v24, -v10, v126, v24
	v_fma_f32 v32, -v21, v78, v32
	ds_load_2addr_b32 v[77:78], v44 offset1:1
	v_fma_f32 v38, -v90, v97, v42
	v_fma_f32 v28, -v3, v81, v28
	v_mov_b32_e32 v42, 0x8c4
	v_fma_f32 v32, -v22, v107, v32
	v_mov_b32_e32 v44, 0x7cc
	v_fma_f32 v38, -v91, v65, v38
	v_fma_f32 v28, -v4, v104, v28
	ds_load_2addr_b32 v[67:68], v42 offset1:1
	v_mov_b32_e32 v42, 0x6cc
	v_fma_f32 v32, -v25, v50, v32
	v_fma_f32 v38, -v43, v93, v38
	;; [unrolled: 1-line block ×3, first 2 shown]
	ds_load_b128 v[92:95], v86 offset:608
	v_fma_f32 v24, -v11, v39, v24
	v_fma_f32 v39, -v89, v60, v102
	s_waitcnt lgkmcnt(5)
	v_fma_f32 v38, -v37, v51, v38
	ds_load_b128 v[48:51], v86 offset:1104
	ds_load_2addr_b32 v[100:101], v42 offset1:1
	ds_load_2addr_b32 v[103:104], v44 offset1:1
	v_fma_f32 v12, -v8, v12, v28
	ds_load_2addr_b32 v[59:60], v86 offset0:245 offset1:246
	s_waitcnt lgkmcnt(7)
	v_fma_f32 v32, -v23, v63, v32
	v_fma_f32 v28, -v31, v112, v38
	v_mov_b32_e32 v38, 0x948
	v_fma_f32 v12, -v9, v69, v12
	v_mov_b32_e32 v42, 0x4d4
	v_fma_f32 v32, -v3, v82, v32
	v_fma_f32 v28, -v21, v79, v28
	ds_load_2addr_b64 v[96:99], v38 offset1:1
	v_fma_f32 v38, -v90, v115, v39
	v_fma_f32 v12, -v10, v127, v12
	s_waitcnt lgkmcnt(7)
	v_fma_f32 v32, -v4, v77, v32
	v_fma_f32 v28, -v22, v108, v28
	s_waitcnt lgkmcnt(6)
	v_dual_mul_f32 v24, v67, v24 :: v_dual_mov_b32 v39, 0x8cc
	v_fma_f32 v38, -v91, v66, v38
	v_fma_f32 v12, -v11, v40, v12
	s_waitcnt lgkmcnt(4)
	v_fma_f32 v28, -v25, v48, v28
	v_mov_b32_e32 v40, 0x9cc
	v_fma_f32 v32, -v7, v47, v32
	v_fma_f32 v38, -v43, v105, v38
	ds_load_b128 v[44:47], v86 offset:1120
	v_fma_f32 v28, -v23, v64, v28
	ds_load_2addr_b32 v[126:127], v6 offset0:192 offset1:224
	ds_load_2addr_b32 v[81:82], v39 offset1:1
	ds_load_2addr_b32 v[107:108], v40 offset1:1
	;; [unrolled: 1-line block ×3, first 2 shown]
	v_fma_f32 v38, -v37, v52, v38
	s_waitcnt lgkmcnt(8)
	v_fma_f32 v32, -v8, v100, v32
	v_fma_f32 v28, -v3, v83, v28
	;; [unrolled: 1-line block ×3, first 2 shown]
	v_mov_b32_e32 v39, 0x5d4
	v_fma_f32 v38, -v31, v113, v38
	v_fma_f32 v32, -v9, v70, v32
	;; [unrolled: 1-line block ×3, first 2 shown]
	s_waitcnt lgkmcnt(5)
	v_mul_f32_e32 v42, v96, v12
	ds_load_b128 v[63:66], v86 offset:2128
	v_fma_f32 v38, -v21, v80, v38
	ds_load_2addr_b32 v[132:133], v86 offset0:247 offset1:248
	ds_load_2addr_b32 v[134:135], v86 offset0:249 offset1:250
	;; [unrolled: 1-line block ×3, first 2 shown]
	v_fma_f32 v28, -v7, v73, v28
	ds_load_2addr_b32 v[111:112], v39 offset1:1
	v_fma_f32 v32, -v10, v103, v32
	v_fma_f32 v38, -v22, v59, v38
	ds_load_2addr_b64 v[67:70], v86 offset0:107 offset1:108
	ds_load_2addr_b64 v[77:80], v86 offset0:109 offset1:110
	v_fma_f32 v28, -v8, v101, v28
	v_fma_f32 v12, -v43, v106, v26
	v_fma_f32 v38, -v25, v49, v38
	v_fma_f32 v26, -v11, v41, v32
	v_mov_b32_e32 v59, 0x9d4
	v_fma_f32 v28, -v9, v71, v28
	v_fma_f32 v12, -v37, v53, v12
	s_waitcnt lgkmcnt(7)
	v_fma_f32 v32, -v23, v109, v38
	v_mov_b32_e32 v38, 0x6d4
	v_fma_f32 v26, -v24, v81, v26
	v_fma_f32 v28, -v10, v104, v28
	v_fma_f32 v12, -v31, v114, v12
	v_fma_f32 v32, -v3, v84, v32
	ds_load_2addr_b32 v[48:49], v38 offset1:1
	v_fma_f32 v52, -v42, v97, v26
	s_waitcnt lgkmcnt(7)
	v_fma_f32 v28, -v11, v63, v28
	v_mov_b32_e32 v53, 0x7d4
	s_waitcnt lgkmcnt(3)
	v_fma_f32 v32, -v4, v111, v32
	s_waitcnt lgkmcnt(2)
	v_fma_f32 v12, -v21, v67, v12
	v_mul_f32_e32 v154, v107, v52
	v_fma_f32 v28, -v24, v82, v28
	v_fma_f32 v26, -v89, v62, v27
	;; [unrolled: 1-line block ×4, first 2 shown]
	ds_load_b128 v[38:41], v86 offset:2144
	ds_load_2addr_b64 v[81:84], v86 offset0:171 offset1:172
	v_fma_f32 v28, -v42, v98, v28
	v_mov_b32_e32 v67, 0x6dc
	v_fma_f32 v12, -v25, v50, v12
	v_fma_f32 v50, -v90, v117, v26
	v_mov_b32_e32 v98, 0x8dc
	v_fma_f32 v28, -v154, v108, v28
	v_mov_b32_e32 v55, 0x8d4
	s_waitcnt lgkmcnt(2)
	v_fma_f32 v32, -v8, v48, v32
	ds_load_2addr_b32 v[26:27], v86 offset0:183 offset1:184
	ds_load_2addr_b32 v[96:97], v53 offset1:1
	ds_load_2addr_b32 v[138:139], v55 offset1:1
	;; [unrolled: 1-line block ×3, first 2 shown]
	ds_load_2addr_b64 v[59:62], v86 offset0:173 offset1:174
	v_fma_f32 v48, -v91, v56, v50
	v_fma_f32 v32, -v9, v72, v32
	ds_load_2addr_b64 v[71:74], v86 offset0:235 offset1:236
	ds_load_b128 v[100:103], v86 offset:96
	v_fma_f32 v12, -v23, v110, v12
	v_mov_b32_e32 v50, 0xb58
	v_fma_f32 v48, -v43, v121, v48
	v_mov_b32_e32 v56, 0x4dc
	ds_load_2addr_b32 v[142:143], v86 offset0:185 offset1:186
	ds_load_2addr_b32 v[144:145], v86 offset0:187 offset1:188
	;; [unrolled: 1-line block ×3, first 2 shown]
	s_waitcnt lgkmcnt(10)
	v_fma_f32 v12, -v3, v81, v12
	v_fma_f32 v48, -v37, v54, v48
	ds_load_2addr_b64 v[52:55], v50 offset1:1
	ds_load_2addr_b32 v[148:149], v56 offset1:1
	ds_load_b128 v[104:107], v86 offset:2640
	v_fma_f32 v12, -v4, v112, v12
	ds_load_b128 v[108:111], v86 offset:112
	s_waitcnt lgkmcnt(13)
	v_fma_f32 v26, -v31, v26, v48
	s_waitcnt lgkmcnt(12)
	v_fma_f32 v32, -v10, v96, v32
	v_mov_b32_e32 v48, 0x5dc
	v_fma_f32 v12, -v7, v75, v12
	v_mov_b32_e32 v75, 0x958
	v_fma_f32 v26, -v21, v68, v26
	v_fma_f32 v32, -v11, v64, v32
	s_waitcnt lgkmcnt(7)
	v_fma_f32 v50, -v89, v100, v119
	ds_load_2addr_b32 v[63:64], v48 offset1:1
	v_fma_f32 v12, -v8, v49, v12
	v_fma_f32 v26, -v22, v132, v26
	;; [unrolled: 1-line block ×4, first 2 shown]
	s_delay_alu instid0(VALU_DEP_4) | instskip(NEXT) | instid1(VALU_DEP_4)
	v_fma_f32 v12, -v9, v71, v12
	v_fma_f32 v26, -v25, v51, v26
	v_mov_b32_e32 v71, 0xad4
	s_delay_alu instid0(VALU_DEP_4)
	v_fma_f32 v68, -v91, v57, v56
	ds_load_2addr_b32 v[56:57], v67 offset1:1
	ds_load_2addr_b64 v[48:51], v86 offset0:237 offset1:238
	s_waitcnt lgkmcnt(5)
	v_fma_f32 v26, -v23, v148, v26
	v_fma_f32 v12, -v10, v97, v12
	;; [unrolled: 1-line block ×3, first 2 shown]
	ds_load_2addr_b32 v[67:68], v86 offset0:57 offset1:58
	v_mov_b32_e32 v97, 0x7dc
	v_fma_f32 v26, -v3, v82, v26
	ds_load_2addr_b32 v[81:82], v71 offset1:1
	ds_load_2addr_b64 v[112:115], v75 offset1:1
	v_fma_f32 v71, -v37, v92, v96
	s_waitcnt lgkmcnt(7)
	v_mul_f32_e32 v138, v104, v28
	v_fma_f32 v28, -v42, v99, v32
	s_waitcnt lgkmcnt(5)
	v_fma_f32 v26, -v4, v63, v26
	v_fma_f32 v63, -v89, v101, v120
	;; [unrolled: 1-line block ×4, first 2 shown]
	ds_load_2addr_b32 v[150:151], v97 offset1:1
	ds_load_2addr_b32 v[152:153], v98 offset1:1
	v_fma_f32 v32, -v7, v76, v26
	ds_load_b128 v[116:119], v86 offset:2656
	v_fma_f32 v65, -v21, v69, v27
	ds_load_2addr_b32 v[26:27], v86 offset0:59 offset1:60
	ds_load_2addr_b32 v[75:76], v86 offset0:61 offset1:62
	ds_load_b32 v148, v86 offset:252
	v_fma_f32 v28, -v154, v140, v28
	s_waitcnt lgkmcnt(10)
	v_fma_f32 v32, -v8, v56, v32
	ds_load_b128 v[96:99], v86 offset:1632
	v_fma_f32 v56, -v22, v133, v65
	s_waitcnt lgkmcnt(9)
	v_fma_f32 v63, -v90, v67, v63
	v_mov_b32_e32 v65, 0xbdc
	v_fma_f32 v32, -v9, v72, v32
	v_mov_b32_e32 v67, 0x4e4
	v_fma_f32 v44, -v25, v44, v56
	v_fma_f32 v58, -v91, v58, v63
	v_mov_b32_e32 v63, 0xadc
	v_fma_f32 v28, -v138, v105, v28
	v_fma_f32 v12, -v24, v139, v12
	;; [unrolled: 1-line block ×4, first 2 shown]
	v_mov_b32_e32 v58, 0x9dc
	s_waitcnt lgkmcnt(6)
	v_fma_f32 v32, -v10, v150, v32
	v_mul_f32_e32 v128, v81, v28
	v_fma_f32 v44, -v3, v83, v44
	v_fma_f32 v56, -v37, v93, v56
	ds_load_2addr_b64 v[120:123], v86 offset0:45 offset1:46
	ds_load_2addr_b32 v[71:72], v58 offset1:1
	ds_load_2addr_b32 v[92:93], v63 offset1:1
	;; [unrolled: 1-line block ×4, first 2 shown]
	v_fma_f32 v28, -v11, v66, v32
	v_fma_f32 v58, -v89, v102, v124
	;; [unrolled: 1-line block ×4, first 2 shown]
	ds_load_b64 v[132:133], v86 offset:376
	v_fma_f32 v12, -v42, v112, v12
	s_waitcnt lgkmcnt(11)
	v_fma_f32 v28, -v24, v152, v28
	s_waitcnt lgkmcnt(6)
	v_fma_f32 v32, -v7, v96, v32
	v_fma_f32 v44, -v21, v70, v56
	v_mov_b32_e32 v56, 0x5e4
	v_fma_f32 v12, -v154, v141, v12
	v_fma_f32 v28, -v42, v113, v28
	;; [unrolled: 1-line block ×4, first 2 shown]
	ds_load_2addr_b32 v[69:70], v56 offset1:1
	v_fma_f32 v12, -v138, v106, v12
	s_waitcnt lgkmcnt(5)
	v_fma_f32 v28, -v154, v71, v28
	v_fma_f32 v32, -v9, v73, v32
	;; [unrolled: 1-line block ×3, first 2 shown]
	v_mov_b32_e32 v45, 0x6e4
	v_mov_b32_e32 v67, 0x8e4
	ds_load_b128 v[63:66], v86 offset:1648
	v_fma_f32 v32, -v10, v151, v32
	s_waitcnt lgkmcnt(3)
	v_fma_f32 v57, -v23, v104, v44
	ds_load_2addr_b32 v[44:45], v45 offset1:1
	v_fma_f32 v56, -v90, v68, v58
	v_mov_b32_e32 v58, 0x7e4
	v_fma_f32 v32, -v11, v38, v32
	v_fma_f32 v57, -v3, v84, v57
	ds_load_2addr_b32 v[83:84], v58 offset1:1
	ds_load_2addr_b32 v[112:113], v67 offset1:1
	v_fma_f32 v56, -v91, v120, v56
	v_fma_f32 v12, -v128, v82, v12
	s_waitcnt lgkmcnt(4)
	v_fma_f32 v57, -v4, v69, v57
	v_fma_f32 v28, -v138, v107, v28
	;; [unrolled: 1-line block ×4, first 2 shown]
	ds_load_2addr_b32 v[81:82], v86 offset0:123 offset1:124
	v_fma_f32 v38, -v7, v97, v57
	v_mul_f32_e32 v120, v52, v12
	v_fma_f32 v28, -v128, v92, v28
	v_fma_f32 v56, -v37, v94, v56
	;; [unrolled: 1-line block ×3, first 2 shown]
	s_waitcnt lgkmcnt(3)
	v_fma_f32 v12, -v8, v44, v38
	v_fma_f32 v44, -v89, v103, v125
	;; [unrolled: 1-line block ×7, first 2 shown]
	v_mul_f32_e32 v100, v100, v28
	v_fma_f32 v56, -v21, v77, v56
	v_fma_f32 v32, -v138, v116, v32
	s_waitcnt lgkmcnt(2)
	v_fma_f32 v12, -v10, v83, v12
	v_fma_f32 v26, -v91, v121, v26
	v_mov_b32_e32 v52, 0xd68
	v_fma_f32 v38, -v22, v135, v56
	v_fma_f32 v32, -v128, v93, v32
	ds_load_2addr_b32 v[92:93], v86 offset0:125 offset1:126
	v_fma_f32 v12, -v11, v39, v12
	v_mov_b32_e32 v53, 0x4ec
	v_fma_f32 v38, -v25, v46, v38
	v_mov_b32_e32 v44, 0xae4
	v_mov_b32_e32 v46, 0xbe4
	;; [unrolled: 1-line block ×3, first 2 shown]
	s_waitcnt lgkmcnt(2)
	v_fma_f32 v12, -v24, v112, v12
	v_fma_f32 v28, -v23, v105, v38
	v_mov_b32_e32 v38, 0x9e4
	v_fma_f32 v35, -v89, v108, v35
	v_fma_f32 v32, -v120, v54, v32
	;; [unrolled: 1-line block ×4, first 2 shown]
	ds_load_2addr_b32 v[38:39], v38 offset1:1
	s_waitcnt lgkmcnt(2)
	v_fma_f32 v26, -v43, v81, v26
	v_fma_f32 v27, -v90, v27, v35
	v_mov_b32_e32 v35, 0x7ec
	v_fma_f32 v28, -v4, v70, v28
	v_fma_f32 v32, -v100, v101, v32
	;; [unrolled: 1-line block ×3, first 2 shown]
	ds_load_2addr_b64 v[56:59], v52 offset1:1
	ds_load_2addr_b32 v[94:95], v53 offset1:1
	ds_load_2addr_b32 v[96:97], v44 offset1:1
	;; [unrolled: 1-line block ×4, first 2 shown]
	v_mov_b32_e32 v44, 0x968
	v_fma_f32 v28, -v7, v98, v28
	v_fma_f32 v26, -v31, v144, v26
	ds_load_2addr_b64 v[67:70], v44 offset1:1
	v_fma_f32 v28, -v8, v45, v28
	v_mov_b32_e32 v45, 0x5ec
	v_fma_f32 v26, -v21, v78, v26
	ds_load_2addr_b32 v[77:78], v45 offset1:1
	ds_load_b128 v[71:74], v86 offset:3168
	v_fma_f32 v28, -v9, v48, v28
	v_fma_f32 v26, -v22, v136, v26
	s_waitcnt lgkmcnt(8)
	v_fma_f32 v12, -v154, v38, v12
	v_mov_b32_e32 v38, 0x6ec
	v_fma_f32 v48, -v91, v122, v27
	v_fma_f32 v28, -v10, v84, v28
	;; [unrolled: 1-line block ×4, first 2 shown]
	ds_load_2addr_b32 v[83:84], v38 offset1:1
	v_fma_f32 v28, -v11, v40, v28
	v_mov_b32_e32 v40, 0xb68
	s_waitcnt lgkmcnt(7)
	v_fma_f32 v26, -v23, v94, v26
	s_waitcnt lgkmcnt(6)
	v_fma_f32 v12, -v128, v96, v12
	v_fma_f32 v28, -v24, v113, v28
	ds_load_2addr_b64 v[44:47], v40 offset1:1
	v_mov_b32_e32 v38, 0x8ec
	v_fma_f32 v40, -v3, v60, v26
	ds_load_2addr_b32 v[26:27], v35 offset1:1
	ds_load_2addr_b32 v[106:107], v38 offset1:1
	v_fma_f32 v38, -v43, v82, v48
	s_waitcnt lgkmcnt(6)
	v_fma_f32 v28, -v42, v67, v28
	s_waitcnt lgkmcnt(5)
	v_fma_f32 v35, -v4, v77, v40
	v_fma_f32 v12, -v120, v55, v12
	s_waitcnt lgkmcnt(4)
	v_mul_f32_e32 v77, v71, v32
	v_fma_f32 v13, -v37, v13, v38
	v_fma_f32 v28, -v154, v39, v28
	;; [unrolled: 1-line block ×4, first 2 shown]
	ds_load_b128 v[52:55], v86 offset:3184
	v_fma_f32 v13, -v31, v145, v13
	v_fma_f32 v28, -v138, v118, v28
	s_waitcnt lgkmcnt(4)
	v_fma_f32 v35, -v8, v83, v35
	v_fma_f32 v12, -v77, v72, v12
	;; [unrolled: 1-line block ×4, first 2 shown]
	s_delay_alu instid0(VALU_DEP_4)
	v_fma_f32 v32, -v9, v49, v35
	v_mov_b32_e32 v35, 0x9ec
	v_mul_f32_e32 v79, v104, v12
	v_fma_f32 v13, -v22, v137, v13
	s_waitcnt lgkmcnt(3)
	v_fma_f32 v28, -v120, v44, v28
	s_waitcnt lgkmcnt(2)
	v_fma_f32 v26, -v10, v26, v32
	ds_load_2addr_b32 v[48:49], v35 offset1:1
	v_mov_b32_e32 v32, 0xcec
	v_fma_f32 v13, -v25, v17, v13
	v_fma_f32 v12, -v100, v103, v28
	;; [unrolled: 1-line block ×3, first 2 shown]
	v_mov_b32_e32 v17, 0xaec
	v_fma_f32 v28, -v89, v109, v36
	v_fma_f32 v13, -v23, v95, v13
	;; [unrolled: 1-line block ×3, first 2 shown]
	s_waitcnt lgkmcnt(2)
	v_fma_f32 v26, -v24, v106, v26
	ds_load_2addr_b32 v[35:36], v17 offset1:1
	v_fma_f32 v17, -v90, v75, v28
	v_fma_f32 v13, -v3, v61, v13
	v_fma_f32 v12, -v79, v105, v12
	v_fma_f32 v26, -v42, v68, v26
	v_mov_b32_e32 v28, 0xbec
	v_fma_f32 v17, -v91, v123, v17
	v_fma_f32 v13, -v4, v78, v13
	ds_load_2addr_b32 v[60:61], v28 offset1:1
	ds_load_2addr_b32 v[67:68], v32 offset1:1
	s_waitcnt lgkmcnt(3)
	v_fma_f32 v26, -v154, v48, v26
	v_fma_f32 v17, -v43, v92, v17
	;; [unrolled: 1-line block ×3, first 2 shown]
	v_mul_f32_e32 v48, v56, v12
	v_mov_b32_e32 v28, 0xdec
	v_fma_f32 v26, -v138, v119, v26
	v_fma_f32 v14, -v37, v14, v17
	;; [unrolled: 1-line block ×4, first 2 shown]
	ds_load_b128 v[38:41], v86 offset:2160
	s_waitcnt lgkmcnt(3)
	v_fma_f32 v17, -v128, v35, v26
	v_fma_f32 v14, -v31, v146, v14
	;; [unrolled: 1-line block ×4, first 2 shown]
	ds_load_2addr_b32 v[12:13], v86 offset0:127 offset1:191
	v_mov_b32_e32 v35, 0x4f4
	v_fma_f32 v14, -v21, v80, v14
	v_fma_f32 v26, -v90, v76, v26
	;; [unrolled: 1-line block ×3, first 2 shown]
	v_add_nc_u32_e64 v56, 0xfc, 0
	v_fma_f32 v32, -v10, v27, v32
	v_fma_f32 v14, -v22, v29, v14
	;; [unrolled: 1-line block ×3, first 2 shown]
	ds_load_2addr_b32 v[28:29], v28 offset1:1
	ds_load_2addr_b32 v[71:72], v35 offset1:1
	v_fma_f32 v35, -v90, v148, v44
	v_mov_b32_e32 v63, 0x6f4
	v_fma_f32 v14, -v25, v18, v14
	v_fma_f32 v17, -v43, v93, v26
	s_delay_alu instid0(VALU_DEP_4) | instskip(SKIP_1) | instid1(VALU_DEP_3)
	v_fma_f32 v18, -v91, v133, v35
	v_mov_b32_e32 v35, 0x5f4
	v_fma_f32 v15, -v37, v15, v17
	s_waitcnt lgkmcnt(2)
	s_delay_alu instid0(VALU_DEP_3)
	v_fma_f32 v12, -v43, v12, v18
	ds_load_2addr_stride64_b32 v[17:18], v56 offset0:3 offset1:4
	ds_load_b64 v[26:27], v86 offset:2424
	ds_load_2addr_b32 v[44:45], v35 offset1:1
	v_fma_f32 v15, -v31, v147, v15
	v_fma_f32 v35, -v11, v38, v32
	;; [unrolled: 1-line block ×3, first 2 shown]
	v_mov_b32_e32 v16, 0x7f4
	v_fma_f32 v38, -v100, v60, v50
	v_fma_f32 v15, -v21, v33, v15
	ds_load_2addr_b32 v[32:33], v63 offset1:1
	v_fma_f32 v12, -v31, v13, v12
	s_waitcnt lgkmcnt(4)
	v_fma_f32 v14, -v23, v71, v14
	v_fma_f32 v13, -v22, v30, v15
	;; [unrolled: 1-line block ×4, first 2 shown]
	s_delay_alu instid0(VALU_DEP_4)
	v_fma_f32 v14, -v3, v62, v14
	ds_load_2addr_stride64_b32 v[34:35], v56 offset0:5 offset1:6
	ds_load_2addr_stride64_b32 v[62:63], v56 offset0:7 offset1:8
	ds_load_2addr_stride64_b32 v[75:76], v56 offset0:9 offset1:10
	v_fma_f32 v13, -v25, v19, v13
	v_fma_f32 v19, -v42, v69, v15
	s_waitcnt lgkmcnt(6)
	v_fma_f32 v12, -v22, v17, v12
	s_waitcnt lgkmcnt(4)
	v_fma_f32 v30, -v4, v44, v14
	v_fma_f32 v13, -v23, v72, v13
	ds_load_2addr_b32 v[16:17], v16 offset1:1
	v_mov_b32_e32 v44, 0x8f4
	v_fma_f32 v20, -v25, v20, v12
	v_fma_f32 v30, -v7, v64, v30
	;; [unrolled: 1-line block ×3, first 2 shown]
	ds_load_b128 v[12:15], v86 offset:2672
	v_fma_f32 v49, -v154, v49, v19
	v_fma_f32 v20, -v23, v18, v20
	ds_load_2addr_b32 v[18:19], v44 offset1:1
	v_fma_f32 v1, -v4, v45, v1
	s_waitcnt lgkmcnt(6)
	v_fma_f32 v30, -v8, v32, v30
	v_mov_b32_e32 v32, 0xaf4
	v_fma_f32 v2, -v3, v2, v20
	v_mov_b32_e32 v20, 0x9f4
	v_fma_f32 v1, -v7, v65, v1
	v_fma_f32 v30, -v9, v51, v30
	s_waitcnt lgkmcnt(5)
	v_fma_f32 v34, -v4, v34, v2
	s_delay_alu instid0(VALU_DEP_3)
	v_fma_f32 v44, -v8, v33, v1
	ds_load_2addr_b32 v[1:2], v20 offset1:1
	ds_load_2addr_b32 v[32:33], v32 offset1:1
	s_waitcnt lgkmcnt(4)
	v_fma_f32 v16, -v10, v16, v30
	v_fma_f32 v20, -v7, v66, v34
	;; [unrolled: 1-line block ×3, first 2 shown]
	s_waitcnt lgkmcnt(3)
	v_fma_f32 v12, -v138, v12, v49
	v_fma_f32 v16, -v11, v39, v16
	;; [unrolled: 1-line block ×3, first 2 shown]
	ds_load_b64 v[44:45], v86 offset:2936
	v_fma_f32 v17, -v10, v17, v30
	v_fma_f32 v12, -v128, v36, v12
	s_waitcnt lgkmcnt(3)
	v_fma_f32 v16, -v24, v18, v16
	v_fma_f32 v18, -v9, v131, v20
	;; [unrolled: 1-line block ×9, first 2 shown]
	v_mov_b32_e32 v19, 0xbf4
	s_waitcnt lgkmcnt(2)
	v_fma_f32 v1, -v154, v1, v16
	v_fma_f32 v18, -v11, v41, v18
	;; [unrolled: 1-line block ×4, first 2 shown]
	ds_load_2addr_b32 v[16:17], v19 offset1:1
	v_fma_f32 v1, -v138, v13, v1
	v_fma_f32 v13, -v24, v63, v18
	;; [unrolled: 1-line block ×4, first 2 shown]
	v_mov_b32_e32 v12, 0xcf4
	s_waitcnt lgkmcnt(2)
	v_fma_f32 v26, -v128, v32, v1
	v_fma_f32 v13, -v42, v27, v13
	v_mov_b32_e32 v27, 0xdf4
	v_fma_f32 v14, -v138, v14, v2
	ds_load_2addr_b32 v[1:2], v12 offset1:1
	ds_load_2addr_stride64_b32 v[18:19], v56 offset0:11 offset1:12
	v_fma_f32 v13, -v154, v75, v13
	v_fma_f32 v34, -v120, v47, v26
	;; [unrolled: 1-line block ×3, first 2 shown]
	v_mov_b32_e32 v12, 0xef4
	v_fma_f32 v20, -v48, v57, v20
	v_fma_f32 v36, -v138, v15, v13
	ds_load_2addr_b32 v[26:27], v27 offset1:1
	ds_load_2addr_b32 v[32:33], v12 offset1:1
	s_waitcnt lgkmcnt(4)
	v_fma_f32 v16, -v100, v16, v34
	ds_load_b128 v[12:15], v86 offset:3696
	v_fma_f32 v38, -v120, v44, v35
	ds_load_b64 v[34:35], v86 offset:3448
	v_fma_f32 v36, -v128, v76, v36
	v_fma_f32 v30, -v79, v68, v30
	;; [unrolled: 1-line block ×4, first 2 shown]
	v_mul_f32_e32 v20, v28, v20
	v_fma_f32 v28, -v120, v45, v36
	v_fma_f32 v30, -v48, v58, v30
	s_waitcnt lgkmcnt(5)
	v_fma_f32 v1, -v79, v1, v16
	v_fma_f32 v36, -v77, v54, v17
	ds_load_2addr_stride64_b32 v[16:17], v56 offset0:13 offset1:14
	s_waitcnt lgkmcnt(5)
	v_fma_f32 v18, -v100, v18, v28
	v_fma_f32 v28, -v20, v29, v30
	;; [unrolled: 1-line block ×4, first 2 shown]
	ds_load_b64 v[1:2], v86 offset:3960
	v_fma_f32 v18, -v77, v55, v18
	ds_store_2addr_b32 v85, v89, v90 offset1:32
	s_waitcnt lgkmcnt(4)
	v_mul_f32_e32 v12, v12, v28
	v_fma_f32 v26, -v20, v26, v29
	s_waitcnt lgkmcnt(3)
	v_fma_f32 v28, -v48, v34, v30
	v_fma_f32 v18, -v79, v19, v18
	ds_store_2addr_b32 v85, v91, v43 offset0:64 offset1:96
	ds_store_2addr_b32 v85, v37, v31 offset0:128 offset1:160
	;; [unrolled: 1-line block ×3, first 2 shown]
	ds_store_2addr_b32 v88, v25, v23 offset1:32
	ds_store_2addr_b32 v88, v3, v4 offset0:64 offset1:96
	ds_store_2addr_b32 v88, v7, v8 offset0:128 offset1:160
	ds_store_2addr_b32 v88, v9, v10 offset0:192 offset1:224
	v_fma_f32 v13, -v12, v13, v26
	v_fma_f32 v19, -v20, v27, v28
	;; [unrolled: 1-line block ×3, first 2 shown]
	ds_store_2addr_b32 v87, v11, v24 offset1:32
	ds_store_2addr_b32 v87, v42, v154 offset0:64 offset1:96
	ds_store_2addr_b32 v87, v138, v128 offset0:128 offset1:160
	;; [unrolled: 1-line block ×3, first 2 shown]
	v_mul_f32_e32 v13, v32, v13
	v_fma_f32 v14, -v12, v14, v19
	s_waitcnt lgkmcnt(13)
	v_fma_f32 v16, -v20, v16, v18
	ds_store_2addr_b32 v6, v77, v79 offset1:32
	ds_store_2addr_b32 v6, v48, v20 offset0:64 offset1:96
	ds_store_2addr_b32 v6, v12, v13 offset0:128 offset1:160
	v_fma_f32 v14, -v13, v33, v14
	v_fma_f32 v15, -v12, v15, v16
	s_waitcnt lgkmcnt(15)
	s_delay_alu instid0(VALU_DEP_2) | instskip(NEXT) | instid1(VALU_DEP_2)
	v_mul_f32_e32 v1, v1, v14
	v_fma_f32 v14, -v13, v17, v15
	s_delay_alu instid0(VALU_DEP_1) | instskip(NEXT) | instid1(VALU_DEP_1)
	v_fma_f32 v2, -v1, v2, v14
	v_mul_f32_e32 v2, v5, v2
	ds_store_2addr_b32 v6, v1, v2 offset0:192 offset1:224
.LBB38_43:
	s_cmp_lt_i32 s4, s15
	s_cbranch_scc0 .LBB38_60
; %bb.44:
	s_or_b32 s10, s4, 27
	s_delay_alu instid0(SALU_CYCLE_1)
	s_cmp_ge_u32 s10, s15
	s_cbranch_scc1 .LBB38_49
; %bb.45:
	s_lshl_b32 s12, s4, 5
	v_lshlrev_b32_e32 v85, 2, v0
	v_or_b32_e32 v1, s12, v0
	s_and_not1_b32 vcc_lo, exec_lo, s11
	s_delay_alu instid0(VALU_DEP_1) | instskip(NEXT) | instid1(VALU_DEP_1)
	v_lshlrev_b32_e32 v1, 2, v1
	v_add_nc_u32_e32 v2, 0x1000, v1
	v_add_nc_u32_e32 v3, 0x1400, v1
	;; [unrolled: 1-line block ×4, first 2 shown]
	ds_load_2addr_b32 v[69:70], v2 offset1:32
	ds_load_2addr_b32 v[67:68], v2 offset0:64 offset1:96
	ds_load_2addr_b32 v[65:66], v2 offset0:128 offset1:160
	;; [unrolled: 1-line block ×3, first 2 shown]
	ds_load_2addr_b32 v[61:62], v3 offset1:32
	ds_load_2addr_b32 v[59:60], v3 offset0:64 offset1:96
	ds_load_2addr_b32 v[57:58], v3 offset0:128 offset1:160
	ds_load_2addr_b32 v[55:56], v3 offset0:192 offset1:224
	ds_load_2addr_b32 v[53:54], v4 offset1:32
	ds_load_2addr_b32 v[51:52], v4 offset0:64 offset1:96
	v_lshl_or_b32 v2, s10, 7, v85
	ds_load_2addr_b32 v[49:50], v4 offset0:128 offset1:160
	ds_load_2addr_b32 v[47:48], v4 offset0:192 offset1:224
	ds_load_2addr_b32 v[45:46], v5 offset1:32
	ds_load_b32 v87, v1 offset:7424
	ds_load_b32 v86, v2 offset:4096
	s_cbranch_vccnz .LBB38_48
; %bb.46:
	v_lshl_or_b32 v3, v0, 2, 0x1000
	s_lshl_b32 s11, s4, 2
	s_mov_b32 s13, 0
.LBB38_47:                              ; =>This Inner Loop Header: Depth=1
	v_mov_b32_e32 v28, s11
	ds_load_b32 v32, v3
	v_add_nc_u32_e32 v3, 0x80, v3
	s_add_i32 s13, s13, 1
	s_addk_i32 s11, 0x80
	ds_load_b128 v[4:7], v28
	ds_load_b128 v[8:11], v28 offset:16
	ds_load_b128 v[12:15], v28 offset:32
	;; [unrolled: 1-line block ×6, first 2 shown]
	s_cmp_lt_u32 s13, s4
	s_waitcnt lgkmcnt(6)
	v_fma_f32 v69, -v32, v4, v69
	v_fma_f32 v70, -v32, v5, v70
	v_fma_f32 v67, -v32, v6, v67
	v_fma_f32 v68, -v32, v7, v68
	s_waitcnt lgkmcnt(5)
	v_fma_f32 v65, -v32, v8, v65
	v_fma_f32 v66, -v32, v9, v66
	v_fma_f32 v63, -v32, v10, v63
	v_fma_f32 v64, -v32, v11, v64
	;; [unrolled: 5-line block ×7, first 2 shown]
	s_cbranch_scc1 .LBB38_47
.LBB38_48:
	s_mul_i32 s13, s4, 0x84
	s_delay_alu instid0(SALU_CYCLE_1)
	v_dual_mov_b32 v1, s13 :: v_dual_add_nc_u32 v90, 0x1000, v1
	s_or_b32 s23, s12, 0xc0
	s_or_b32 s21, s12, 0x80
	v_or_b32_e32 v7, s23, v0
	v_or_b32_e32 v5, s21, v0
	ds_load_b128 v[33:36], v1
	ds_load_b128 v[29:32], v1 offset:16
	ds_load_2addr_b64 v[25:28], v1 offset0:33 offset1:34
	ds_load_2addr_b32 v[79:80], v1 offset0:99 offset1:100
	ds_load_b128 v[21:24], v1 offset:528
	ds_load_2addr_b32 v[77:78], v1 offset0:165 offset1:166
	ds_load_2addr_b32 v[75:76], v1 offset0:198 offset1:231
	;; [unrolled: 1-line block ×3, first 2 shown]
	ds_load_b128 v[37:40], v1 offset:32
	ds_load_b32 v116, v1 offset:1056
	v_lshlrev_b32_e32 v114, 2, v7
	s_or_b32 s18, s12, 32
	s_or_b32 s19, s12, 64
	;; [unrolled: 1-line block ×4, first 2 shown]
	s_add_i32 s28, s4, s12
	s_or_b32 s29, s4, 11
	s_or_b32 s30, s4, 12
	;; [unrolled: 1-line block ×6, first 2 shown]
	v_or_b32_e32 v3, s19, v0
	s_add_i32 s19, s4, s19
	s_waitcnt lgkmcnt(9)
	v_mul_f32_e32 v33, v33, v69
	s_lshl_b32 s33, s26, 5
	s_lshl_b32 s28, s28, 2
	;; [unrolled: 1-line block ×3, first 2 shown]
	s_mulk_i32 s27, 0x84
	v_fma_f32 v34, -v33, v34, v70
	v_lshlrev_b32_e32 v112, 2, v5
	v_fma_f32 v35, -v33, v35, v67
	s_waitcnt lgkmcnt(8)
	v_fma_f32 v65, -v33, v29, v65
	v_dual_mov_b32 v117, s27 :: v_dual_add_nc_u32 v88, 0x1000, v2
	s_waitcnt lgkmcnt(2)
	v_mul_f32_e32 v29, v83, v34
	v_or_b32_e32 v2, s18, v0
	s_add_i32 s18, s4, s18
	s_lshl_b32 s35, s29, 5
	s_mulk_i32 s29, 0x84
	s_lshl_b32 s36, s30, 5
	s_add_i32 s21, s4, s21
	s_mulk_i32 s26, 0x84
	v_or_b32_e32 v4, s20, v0
	v_or_b32_e32 v6, s22, v0
	;; [unrolled: 1-line block ×4, first 2 shown]
	s_mulk_i32 s30, 0x84
	s_lshl_b32 s18, s18, 2
	s_lshl_b32 s19, s19, 2
	v_or_b32_e32 v10, s33, v0
	v_or_b32_e32 v11, s34, v0
	v_dual_mov_b32 v12, s29 :: v_dual_mov_b32 v97, s18
	v_or_b32_e32 v13, s35, v0
	v_dual_mov_b32 v14, s28 :: v_dual_mov_b32 v99, s19
	v_or_b32_e32 v16, s36, v0
	s_or_b32 s31, s4, 13
	s_or_b32 s12, s4, 14
	s_add_i32 s20, s4, s20
	s_add_i32 s22, s4, s22
	;; [unrolled: 1-line block ×5, first 2 shown]
	s_lshl_b32 s21, s21, 2
	v_dual_mov_b32 v118, s26 :: v_dual_mov_b32 v15, s30
	s_add_i32 s26, s4, s33
	s_add_i32 s28, s4, s35
	v_fma_f32 v36, -v33, v36, v68
	v_fma_f32 v35, -v29, v84, v35
	s_lshl_b32 s13, s31, 5
	s_mulk_i32 s31, 0x84
	s_mul_i32 s37, s12, 0x84
	s_lshl_b32 s20, s20, 2
	s_lshl_b32 s22, s22, 2
	;; [unrolled: 1-line block ×5, first 2 shown]
	s_add_i32 s27, s4, s34
	v_dual_mov_b32 v106, s21 :: v_dual_lshlrev_b32 v89, 2, v2
	s_lshl_b32 s19, s26, 2
	s_lshl_b32 s21, s28, 2
	v_dual_mov_b32 v110, s31 :: v_dual_mov_b32 v93, s22
	v_dual_mov_b32 v108, s37 :: v_dual_mov_b32 v91, s23
	;; [unrolled: 1-line block ×3, first 2 shown]
	v_dual_mov_b32 v100, s25 :: v_dual_lshlrev_b32 v109, 2, v3
	s_lshl_b32 s20, s27, 2
	v_dual_mov_b32 v94, s19 :: v_dual_lshlrev_b32 v111, 2, v4
	v_dual_mov_b32 v92, s21 :: v_dual_lshlrev_b32 v113, 2, v6
	;; [unrolled: 1-line block ×3, first 2 shown]
	v_lshlrev_b32_e32 v101, 2, v9
	v_lshlrev_b32_e32 v102, 2, v10
	;; [unrolled: 1-line block ×4, first 2 shown]
	ds_load_2addr_b32 v[71:72], v12 offset1:1
	ds_load_b128 v[17:20], v14 offset:48
	v_lshlrev_b32_e32 v105, 2, v16
	ds_load_b128 v[1:4], v14 offset:64
	ds_load_b128 v[5:8], v14 offset:80
	ds_load_b128 v[41:44], v15
	ds_load_b128 v[9:12], v14 offset:96
	ds_load_2addr_b32 v[157:158], v97 offset0:3 offset1:4
	ds_load_2addr_b32 v[159:160], v97 offset0:5 offset1:6
	ds_load_2addr_b32 v[161:162], v97 offset0:7 offset1:8
	ds_load_2addr_b32 v[163:164], v97 offset0:9 offset1:10
	ds_load_2addr_b32 v[165:166], v96 offset0:7 offset1:8
	ds_load_2addr_b32 v[167:168], v96 offset0:9 offset1:10
	ds_load_2addr_b32 v[169:170], v93 offset0:9 offset1:10
	ds_load_2addr_b32 v[171:172], v93 offset0:11 offset1:12
	ds_load_b128 v[121:124], v106 offset:32
	ds_load_b128 v[125:128], v106 offset:48
	ds_load_2addr_b32 v[173:174], v91 offset0:7 offset1:8
	ds_load_2addr_b32 v[175:176], v91 offset0:9 offset1:10
	;; [unrolled: 1-line block ×4, first 2 shown]
	ds_load_2addr_b64 v[129:132], v99 offset0:5 offset1:6
	ds_load_2addr_b64 v[133:136], v99 offset0:7 offset1:8
	ds_load_2addr_b32 v[181:182], v91 offset0:15 offset1:16
	ds_load_2addr_b32 v[183:184], v100 offset0:9 offset1:10
	;; [unrolled: 1-line block ×5, first 2 shown]
	ds_load_b128 v[137:140], v95 offset:48
	ds_load_b128 v[141:144], v95 offset:64
	ds_load_2addr_b32 v[191:192], v97 offset0:11 offset1:12
	ds_load_2addr_b32 v[193:194], v97 offset0:13 offset1:14
	;; [unrolled: 1-line block ×12, first 2 shown]
	ds_load_b128 v[145:148], v95 offset:32
	ds_load_b128 v[13:16], v106 offset:96
	ds_load_2addr_b32 v[73:74], v100 offset0:25 offset1:26
	ds_load_2addr_b32 v[215:216], v93 offset0:7 offset1:8
	ds_load_b64 v[81:82], v99 offset:104
	ds_load_2addr_b32 v[217:218], v96 offset0:5 offset1:6
	ds_load_b32 v120, v97 offset:108
	ds_load_2addr_b64 v[149:152], v99 offset0:3 offset1:4
	ds_load_b32 v119, v96 offset:108
	ds_load_2addr_b32 v[219:220], v118 offset1:1
	ds_load_b32 v118, v100 offset:108
	ds_load_2addr_b64 v[153:156], v117 offset1:1
	ds_load_2addr_b32 v[221:222], v94 offset0:11 offset1:12
	ds_load_2addr_b32 v[223:224], v92 offset0:13 offset1:14
	s_waitcnt lgkmcnt(48)
	v_fma_f32 v36, -v29, v157, v36
	v_mul_f32_e32 v157, v25, v35
	v_fma_f32 v30, -v33, v30, v66
	v_fma_f32 v25, -v29, v158, v65
	;; [unrolled: 1-line block ×5, first 2 shown]
	s_waitcnt lgkmcnt(47)
	v_fma_f32 v30, -v29, v159, v30
	v_fma_f32 v25, -v157, v27, v25
	v_fma_f32 v31, -v29, v160, v31
	v_fma_f32 v34, -v33, v37, v61
	v_mul_f32_e32 v158, v79, v26
	v_fma_f32 v28, -v157, v28, v30
	s_waitcnt lgkmcnt(46)
	v_fma_f32 v32, -v29, v161, v32
	s_waitcnt lgkmcnt(6)
	v_fma_f32 v30, -v157, v149, v31
	v_fma_f32 v37, -v33, v38, v62
	v_fma_f32 v25, -v158, v80, v25
	v_fma_f32 v28, -v158, v217, v28
	v_fma_f32 v34, -v29, v162, v34
	v_fma_f32 v30, -v158, v218, v30
	v_fma_f32 v38, -v33, v39, v59
	v_mul_f32_e32 v149, v21, v25
	v_fma_f32 v21, -v157, v150, v32
	v_fma_f32 v35, -v29, v163, v37
	v_fma_f32 v25, -v157, v151, v34
	v_fma_f32 v26, -v29, v164, v38
	v_fma_f32 v22, -v149, v22, v28
	v_fma_f32 v21, -v158, v165, v21
	v_fma_f32 v23, -v149, v23, v30
	v_fma_f32 v31, -v157, v152, v35
	v_fma_f32 v26, -v157, v129, v26
	v_mul_f32_e32 v32, v77, v22
	v_fma_f32 v22, -v158, v166, v25
	v_fma_f32 v21, -v149, v24, v21
	;; [unrolled: 10-line block ×5, first 2 shown]
	v_fma_f32 v17, -v158, v200, v17
	v_fma_f32 v19, -v33, v19, v55
	;; [unrolled: 1-line block ×5, first 2 shown]
	ds_load_2addr_b32 v[225:226], v94 offset0:13 offset1:14
	ds_load_2addr_b32 v[227:228], v94 offset0:15 offset1:16
	;; [unrolled: 1-line block ×4, first 2 shown]
	v_fma_f32 v19, -v29, v194, v19
	s_waitcnt lgkmcnt(8)
	v_mul_f32_e32 v146, v219, v23
	v_fma_f32 v21, -v149, v124, v25
	v_fma_f32 v17, -v149, v125, v17
	v_fma_f32 v18, -v149, v126, v18
	v_fma_f32 v19, -v157, v133, v19
	v_fma_f32 v22, -v146, v220, v22
	v_fma_f32 v21, -v32, v171, v21
	v_fma_f32 v17, -v32, v172, v17
	v_fma_f32 v18, -v32, v207, v18
	v_fma_f32 v19, -v158, v202, v19
	v_fma_f32 v20, -v33, v20, v56
	v_fma_f32 v21, -v150, v177, v21
	v_fma_f32 v17, -v150, v178, v17
	v_fma_f32 v18, -v150, v179, v18
	v_fma_f32 v19, -v149, v127, v19
	v_or_b32_e32 v107, s13, v0
	v_fma_f32 v21, -v151, v148, v21
	v_fma_f32 v17, -v151, v137, v17
	;; [unrolled: 1-line block ×3, first 2 shown]
	s_waitcnt lgkmcnt(6)
	v_mul_f32_e32 v137, v153, v22
	v_fma_f32 v19, -v32, v208, v19
	v_fma_f32 v21, -v145, v185, v21
	;; [unrolled: 1-line block ×6, first 2 shown]
	s_waitcnt lgkmcnt(5)
	v_fma_f32 v21, -v146, v221, v21
	v_fma_f32 v17, -v146, v222, v17
	s_waitcnt lgkmcnt(3)
	v_fma_f32 v24, -v146, v225, v18
	v_lshlrev_b32_e32 v66, 2, v107
	v_fma_f32 v1, -v33, v1, v53
	v_fma_f32 v21, -v137, v154, v21
	s_add_i32 s13, s4, s13
	s_add_i32 s29, s4, s36
	s_lshl_b32 s13, s13, 2
	v_fma_f32 v1, -v29, v196, v1
	v_mul_f32_e32 v138, v71, v21
	v_fma_f32 v25, -v137, v155, v17
	ds_load_2addr_b32 v[30:31], v110 offset1:1
	ds_load_2addr_b64 v[17:20], v98 offset0:7 offset1:8
	v_fma_f32 v21, -v157, v134, v22
	v_fma_f32 v22, -v151, v139, v23
	v_fma_f32 v23, -v137, v156, v24
	v_fma_f32 v24, -v138, v72, v25
	ds_load_2addr_b32 v[55:56], v92 offset0:15 offset1:16
	ds_load_2addr_b32 v[68:69], v92 offset0:17 offset1:18
	;; [unrolled: 1-line block ×3, first 2 shown]
	v_fma_f32 v21, -v158, v203, v21
	v_fma_f32 v22, -v145, v188, v22
	;; [unrolled: 1-line block ×3, first 2 shown]
	v_mul_f32_e32 v139, v41, v24
	ds_store_b32 v90, v33
	v_fma_f32 v34, -v149, v128, v21
	v_fma_f32 v21, -v146, v226, v22
	;; [unrolled: 1-line block ×4, first 2 shown]
	s_lshl_b32 s18, s29, 2
	v_fma_f32 v34, -v32, v209, v34
	v_fma_f32 v2, -v33, v2, v54
	;; [unrolled: 1-line block ×3, first 2 shown]
	s_waitcnt lgkmcnt(5)
	v_mul_f32_e32 v90, v30, v35
	ds_store_b32 v109, v157 offset:4096
	ds_store_b32 v111, v158 offset:4096
	;; [unrolled: 1-line block ×6, first 2 shown]
	s_waitcnt lgkmcnt(10)
	v_fma_f32 v17, -v137, v17, v21
	ds_load_b128 v[21:24], v106 offset:64
	ds_load_2addr_b64 v[25:28], v108 offset1:1
	v_fma_f32 v34, -v150, v181, v34
	ds_load_2addr_b32 v[70:71], v91 offset0:17 offset1:18
	ds_load_2addr_b32 v[83:84], v91 offset0:19 offset1:20
	;; [unrolled: 1-line block ×3, first 2 shown]
	v_fma_f32 v38, -v29, v197, v2
	v_fma_f32 v17, -v138, v224, v17
	s_lshl_b32 s12, s12, 5
	v_fma_f32 v30, -v151, v140, v34
	ds_load_b128 v[34:37], v106 offset:80
	v_fma_f32 v3, -v33, v3, v51
	v_fma_f32 v17, -v139, v43, v17
	;; [unrolled: 1-line block ×9, first 2 shown]
	s_or_b32 s22, s4, 25
	s_or_b32 s11, s4, 28
	s_waitcnt lgkmcnt(5)
	v_fma_f32 v1, -v149, v21, v1
	s_waitcnt lgkmcnt(4)
	v_mul_f32_e32 v135, v25, v17
	v_mov_b32_e32 v17, s13
	v_fma_f32 v21, -v146, v227, v30
	s_or_b32 s13, s4, 15
	v_fma_f32 v1, -v32, v210, v1
	ds_load_b64 v[30:31], v98 offset:104
	v_fma_f32 v18, -v137, v18, v21
	v_or_b32_e32 v21, s12, v0
	v_fma_f32 v25, -v150, v182, v1
	ds_load_2addr_b32 v[1:2], v17 offset0:15 offset1:16
	s_add_i32 s12, s4, s12
	v_fma_f32 v18, -v138, v55, v18
	v_lshlrev_b32_e32 v67, 2, v21
	v_fma_f32 v21, -v151, v141, v25
	v_fma_f32 v25, -v157, v136, v38
	s_lshl_b32 s12, s12, 2
	v_fma_f32 v18, -v139, v44, v18
	v_mov_b32_e32 v44, s18
	s_mul_i32 s18, s13, 0x84
	v_fma_f32 v21, -v145, v190, v21
	v_fma_f32 v25, -v158, v205, v25
	s_lshl_b32 s13, s13, 5
	ds_load_b128 v[38:41], v44 offset:64
	v_fma_f32 v54, -v146, v228, v21
	v_fma_f32 v25, -v149, v22, v25
	s_waitcnt lgkmcnt(1)
	v_fma_f32 v1, -v90, v1, v18
	s_delay_alu instid0(VALU_DEP_3) | instskip(NEXT) | instid1(VALU_DEP_3)
	v_fma_f32 v18, -v137, v19, v54
	v_fma_f32 v19, -v32, v211, v25
	v_or_b32_e32 v25, s13, v0
	s_add_i32 s13, s4, s13
	v_fma_f32 v1, -v135, v26, v1
	v_mov_b32_e32 v53, s18
	s_or_b32 s18, s4, 16
	v_fma_f32 v18, -v138, v56, v18
	s_mul_i32 s19, s18, 0x84
	v_fma_f32 v19, -v150, v70, v19
	v_mov_b32_e32 v26, s19
	ds_load_2addr_b32 v[21:22], v100 offset0:17 offset1:18
	ds_load_2addr_b32 v[42:43], v17 offset0:17 offset1:18
	;; [unrolled: 1-line block ×4, first 2 shown]
	ds_load_2addr_b32 v[64:65], v53 offset1:1
	ds_load_b128 v[53:56], v44 offset:80
	s_waitcnt lgkmcnt(6)
	v_fma_f32 v18, -v139, v38, v18
	ds_load_2addr_b32 v[112:113], v100 offset0:19 offset1:20
	ds_load_2addr_b32 v[114:115], v100 offset0:21 offset1:22
	;; [unrolled: 1-line block ×3, first 2 shown]
	ds_load_2addr_b64 v[57:60], v99 offset0:9 offset1:10
	ds_load_2addr_b32 v[121:122], v17 offset0:23 offset1:24
	ds_load_2addr_b32 v[123:124], v17 offset0:25 offset1:26
	ds_load_b32 v136, v17 offset:108
	v_fma_f32 v19, -v151, v142, v19
	s_lshl_b32 s13, s13, 2
	v_fma_f32 v2, -v90, v2, v18
	v_mov_b32_e32 v141, s13
	s_lshl_b32 s13, s18, 5
	s_or_b32 s18, s4, 17
	s_delay_alu instid0(VALU_DEP_2)
	v_fma_f32 v2, -v135, v27, v2
	s_mul_i32 s19, s18, 0x84
	s_waitcnt lgkmcnt(12)
	v_fma_f32 v19, -v145, v21, v19
	v_or_b32_e32 v21, s13, v0
	s_add_i32 s13, s4, s13
	s_waitcnt lgkmcnt(8)
	v_mul_f32_e32 v140, v64, v1
	ds_load_b128 v[61:64], v26
	v_fma_f32 v17, -v146, v229, v19
	v_lshlrev_b32_e32 v1, 2, v25
	v_fma_f32 v25, -v33, v4, v52
	v_fma_f32 v2, -v140, v65, v2
	s_lshl_b32 s13, s13, 2
	s_waitcnt lgkmcnt(0)
	s_delay_alu instid0(VALU_DEP_1)
	v_mul_f32_e32 v142, v61, v2
	ds_store_b32 v101, v145 offset:4096
	ds_store_b32 v102, v146 offset:4096
	;; [unrolled: 1-line block ×8, first 2 shown]
	v_fma_f32 v1, -v29, v198, v3
	v_fma_f32 v3, -v137, v20, v17
	ds_load_2addr_b64 v[17:20], v99 offset0:11 offset1:12
	ds_load_2addr_b32 v[75:76], v97 offset0:19 offset1:20
	ds_load_2addr_b32 v[77:78], v96 offset0:19 offset1:20
	v_fma_f32 v1, -v157, v57, v1
	v_fma_f32 v3, -v138, v68, v3
	ds_load_b128 v[65:68], v44 offset:96
	v_mov_b32_e32 v44, s12
	s_lshl_b32 s12, s18, 5
	v_fma_f32 v1, -v158, v206, v1
	v_fma_f32 v3, -v139, v39, v3
	s_or_b32 s18, s4, 18
	v_or_b32_e32 v61, s12, v0
	s_add_i32 s12, s4, s12
	v_fma_f32 v1, -v149, v23, v1
	v_fma_f32 v2, -v90, v42, v3
	v_mov_b32_e32 v42, s19
	ds_load_2addr_b32 v[38:39], v141 offset0:17 offset1:18
	s_mul_i32 s19, s18, 0x84
	v_fma_f32 v1, -v32, v212, v1
	v_lshlrev_b32_e32 v147, 2, v21
	v_fma_f32 v21, -v135, v28, v2
	s_waitcnt lgkmcnt(3)
	v_fma_f32 v25, -v29, v75, v25
	v_fma_f32 v5, -v29, v76, v5
	;; [unrolled: 1-line block ×3, first 2 shown]
	ds_load_2addr_b64 v[1:4], v98 offset0:9 offset1:10
	ds_load_2addr_b32 v[100:101], v97 offset0:21 offset1:22
	ds_load_2addr_b32 v[102:103], v97 offset0:23 offset1:24
	;; [unrolled: 1-line block ×6, first 2 shown]
	v_fma_f32 v25, -v157, v58, v25
	ds_load_2addr_b32 v[57:58], v96 offset0:21 offset1:22
	ds_load_2addr_b32 v[131:132], v96 offset0:23 offset1:24
	;; [unrolled: 1-line block ×3, first 2 shown]
	v_fma_f32 v23, -v151, v143, v23
	v_fma_f32 v5, -v157, v59, v5
	s_lshl_b32 s12, s12, 2
	s_waitcnt lgkmcnt(12)
	v_fma_f32 v25, -v158, v77, v25
	s_lshl_b32 s18, s18, 5
	v_fma_f32 v22, -v145, v22, v23
	v_fma_f32 v5, -v158, v78, v5
	ds_load_2addr_b64 v[75:78], v44 offset0:11 offset1:12
	s_waitcnt lgkmcnt(11)
	v_fma_f32 v21, -v140, v38, v21
	v_fma_f32 v5, -v149, v34, v5
	s_delay_alu instid0(VALU_DEP_2) | instskip(SKIP_2) | instid1(VALU_DEP_4)
	v_fma_f32 v38, -v142, v62, v21
	v_fma_f32 v21, -v149, v24, v25
	;; [unrolled: 1-line block ×4, first 2 shown]
	s_waitcnt lgkmcnt(9)
	v_fma_f32 v7, -v29, v101, v7
	s_waitcnt lgkmcnt(8)
	v_fma_f32 v9, -v29, v103, v9
	v_fma_f32 v51, -v32, v213, v21
	;; [unrolled: 1-line block ×3, first 2 shown]
	ds_load_2addr_b64 v[25:28], v44 offset0:9 offset1:10
	ds_load_2addr_b64 v[21:24], v98 offset0:11 offset1:12
	v_fma_f32 v5, -v150, v84, v5
	v_fma_f32 v49, -v150, v83, v51
	v_fma_f32 v1, -v138, v69, v1
	ds_load_b128 v[69:72], v95 offset:80
	ds_load_2addr_b32 v[51:52], v42 offset1:1
	v_fma_f32 v7, -v157, v17, v7
	v_fma_f32 v42, -v151, v144, v49
	;; [unrolled: 1-line block ×3, first 2 shown]
	v_lshlrev_b32_e32 v144, 2, v61
	v_fma_f32 v9, -v157, v19, v9
	s_delay_alu instid0(VALU_DEP_4) | instskip(NEXT) | instid1(VALU_DEP_4)
	v_fma_f32 v40, -v145, v112, v42
	v_fma_f32 v1, -v90, v43, v1
	v_mov_b32_e32 v42, s19
	s_waitcnt lgkmcnt(6)
	v_fma_f32 v9, -v158, v132, v9
	v_fma_f32 v40, -v146, v231, v40
	s_waitcnt lgkmcnt(3)
	v_fma_f32 v1, -v135, v25, v1
	ds_load_2addr_b64 v[96:99], v42 offset1:1
	v_or_b32_e32 v25, s18, v0
	v_fma_f32 v2, -v137, v2, v40
	ds_load_2addr_b32 v[42:43], v141 offset0:25 offset1:26
	ds_load_b32 v141, v141 offset:108
	v_fma_f32 v1, -v140, v39, v1
	s_waitcnt lgkmcnt(3)
	v_mul_f32_e32 v143, v51, v38
	v_fma_f32 v5, -v151, v69, v5
	v_fma_f32 v2, -v138, v79, v2
	v_lshlrev_b32_e32 v152, 2, v25
	v_fma_f32 v1, -v142, v63, v1
	ds_load_b64 v[61:62], v44 offset:104
	v_fma_f32 v5, -v145, v113, v5
	v_fma_f32 v2, -v139, v41, v2
	ds_load_b128 v[38:41], v95 offset:96
	v_fma_f32 v1, -v143, v52, v1
	v_mov_b32_e32 v59, s12
	v_fma_f32 v5, -v146, v232, v5
	v_fma_f32 v2, -v90, v106, v2
	s_or_b32 s12, s4, 19
	s_add_i32 s18, s4, s18
	s_waitcnt lgkmcnt(4)
	v_mul_f32_e32 v148, v96, v1
	v_fma_f32 v3, -v137, v3, v5
	v_fma_f32 v25, -v135, v26, v2
	ds_load_2addr_b32 v[1:2], v59 offset0:19 offset1:20
	v_fma_f32 v26, -v29, v100, v6
	ds_load_2addr_b32 v[5:6], v93 offset0:21 offset1:22
	s_mul_i32 s19, s12, 0x84
	v_fma_f32 v25, -v140, v125, v25
	v_mov_b32_e32 v34, s19
	v_fma_f32 v49, -v157, v60, v26
	v_fma_f32 v3, -v138, v80, v3
	s_lshl_b32 s12, s12, 5
	v_fma_f32 v44, -v142, v64, v25
	ds_load_2addr_b32 v[25:26], v34 offset1:1
	v_fma_f32 v34, -v158, v57, v49
	v_fma_f32 v3, -v139, v53, v3
	v_mov_b32_e32 v53, s13
	ds_load_2addr_b32 v[63:64], v59 offset0:21 offset1:22
	ds_load_2addr_b32 v[79:80], v59 offset0:23 offset1:24
	;; [unrolled: 1-line block ×3, first 2 shown]
	s_lshl_b32 s13, s18, 2
	s_or_b32 s18, s4, 20
	v_fma_f32 v3, -v90, v107, v3
	ds_load_b128 v[49:52], v53 offset:80
	s_mul_i32 s19, s18, 0x84
	s_waitcnt lgkmcnt(6)
	v_fma_f32 v1, -v143, v1, v44
	v_fma_f32 v44, -v149, v35, v34
	ds_load_2addr_b32 v[34:35], v93 offset0:23 offset1:24
	ds_load_2addr_b32 v[95:96], v93 offset0:25 offset1:26
	ds_load_b32 v125, v93 offset:108
	ds_load_2addr_b32 v[106:107], v94 offset0:21 offset1:22
	v_fma_f32 v3, -v135, v27, v3
	v_fma_f32 v1, -v148, v97, v1
	ds_load_b32 v97, v59 offset:108
	s_waitcnt lgkmcnt(10)
	v_fma_f32 v5, -v32, v5, v44
	v_fma_f32 v9, -v149, v13, v9
	s_delay_alu instid0(VALU_DEP_2) | instskip(SKIP_3) | instid1(VALU_DEP_3)
	v_fma_f32 v5, -v150, v108, v5
	s_waitcnt lgkmcnt(9)
	v_mul_f32_e32 v108, v25, v1
	v_fma_f32 v1, -v140, v126, v3
	v_fma_f32 v3, -v151, v70, v5
	;; [unrolled: 1-line block ×3, first 2 shown]
	s_waitcnt lgkmcnt(5)
	s_delay_alu instid0(VALU_DEP_3)
	v_fma_f32 v1, -v142, v49, v1
	ds_load_2addr_b32 v[69:70], v92 offset0:21 offset1:22
	ds_load_b128 v[57:60], v53 offset:96
	v_fma_f32 v3, -v145, v114, v3
	v_fma_f32 v5, -v149, v36, v5
	v_fma_f32 v1, -v143, v2, v1
	ds_load_2addr_b32 v[100:101], v94 offset0:23 offset1:24
	ds_load_2addr_b32 v[112:113], v94 offset0:25 offset1:26
	ds_load_b32 v114, v94 offset:108
	v_or_b32_e32 v7, s12, v0
	s_waitcnt lgkmcnt(6)
	v_fma_f32 v3, -v146, v106, v3
	v_fma_f32 v5, -v32, v6, v5
	;; [unrolled: 1-line block ×3, first 2 shown]
	ds_load_2addr_b32 v[47:48], v92 offset0:23 offset1:24
	ds_load_2addr_b32 v[93:94], v92 offset0:25 offset1:26
	ds_load_b32 v92, v92 offset:108
	s_add_i32 s12, s4, s12
	v_fma_f32 v2, -v137, v4, v3
	v_fma_f32 v3, -v150, v109, v5
	;; [unrolled: 1-line block ×4, first 2 shown]
	s_lshl_b32 s12, s12, 2
	s_delay_alu instid0(VALU_DEP_3) | instskip(NEXT) | instid1(VALU_DEP_3)
	v_fma_f32 v1, -v151, v71, v3
	v_fma_f32 v4, -v157, v18, v4
	ds_load_2addr_b32 v[17:18], v91 offset0:23 offset1:24
	s_waitcnt lgkmcnt(8)
	v_fma_f32 v2, -v138, v69, v2
	v_fma_f32 v6, -v145, v115, v1
	;; [unrolled: 1-line block ×3, first 2 shown]
	s_delay_alu instid0(VALU_DEP_3) | instskip(NEXT) | instid1(VALU_DEP_3)
	v_fma_f32 v2, -v139, v54, v2
	v_fma_f32 v6, -v146, v107, v6
	s_delay_alu instid0(VALU_DEP_3) | instskip(NEXT) | instid1(VALU_DEP_3)
	v_fma_f32 v25, -v149, v37, v3
	v_fma_f32 v8, -v90, v110, v2
	s_delay_alu instid0(VALU_DEP_3)
	v_fma_f32 v6, -v137, v21, v6
	v_mov_b32_e32 v21, s13
	s_or_b32 s13, s4, 21
	v_fma_f32 v25, -v32, v34, v25
	v_mov_b32_e32 v34, s12
	s_lshl_b32 s12, s18, 5
	s_mul_i32 s18, s13, 0x84
	v_mov_b32_e32 v4, s19
	v_fma_f32 v8, -v135, v28, v8
	v_fma_f32 v6, -v138, v70, v6
	v_lshlrev_b32_e32 v70, 2, v7
	v_fma_f32 v5, -v108, v26, v5
	ds_load_b128 v[1:4], v4
	s_waitcnt lgkmcnt(1)
	v_fma_f32 v17, -v150, v17, v25
	ds_load_2addr_b32 v[36:37], v91 offset0:25 offset1:26
	ds_load_b32 v69, v91 offset:108
	v_fma_f32 v8, -v140, v127, v8
	ds_load_2addr_b32 v[53:54], v34 offset0:21 offset1:22
	v_fma_f32 v6, -v139, v55, v6
	v_fma_f32 v7, -v151, v72, v17
	s_lshl_b32 s13, s13, 5
	v_fma_f32 v8, -v142, v50, v8
	v_or_b32_e32 v55, s12, v0
	s_add_i32 s12, s4, s12
	v_fma_f32 v7, -v145, v116, v7
	s_lshl_b32 s12, s12, 2
	s_delay_alu instid0(VALU_DEP_1)
	v_fma_f32 v25, -v146, v100, v7
	s_waitcnt lgkmcnt(3)
	v_mul_f32_e32 v17, v1, v5
	v_fma_f32 v1, -v143, v63, v8
	v_fma_f32 v5, -v90, v111, v6
	;; [unrolled: 1-line block ×3, first 2 shown]
	s_delay_alu instid0(VALU_DEP_3) | instskip(NEXT) | instid1(VALU_DEP_3)
	v_fma_f32 v1, -v148, v99, v1
	v_fma_f32 v26, -v135, v75, v5
	ds_load_2addr_b64 v[5:8], v21 offset0:11 offset1:12
	v_fma_f32 v22, -v138, v47, v22
	s_waitcnt lgkmcnt(1)
	v_fma_f32 v1, -v108, v53, v1
	v_fma_f32 v25, -v140, v128, v26
	s_delay_alu instid0(VALU_DEP_3) | instskip(NEXT) | instid1(VALU_DEP_3)
	v_fma_f32 v22, -v139, v56, v22
	v_fma_f32 v47, -v17, v2, v1
	v_mov_b32_e32 v1, s18
	s_delay_alu instid0(VALU_DEP_4) | instskip(NEXT) | instid1(VALU_DEP_4)
	v_fma_f32 v25, -v142, v51, v25
	v_fma_f32 v26, -v90, v121, v22
	s_or_b32 s18, s4, 22
	ds_load_2addr_b32 v[1:2], v1 offset1:1
	v_fma_f32 v25, -v143, v64, v25
	s_mul_i32 s19, s18, 0x84
	ds_load_b64 v[21:22], v21 offset:104
	v_mov_b32_e32 v19, s19
	s_add_i32 s19, s4, s13
	s_waitcnt lgkmcnt(2)
	v_fma_f32 v5, -v148, v5, v25
	v_fma_f32 v25, -v135, v76, v26
	s_lshl_b32 s19, s19, 2
	s_lshl_b32 s18, s18, 5
	v_mov_b32_e32 v51, s19
	s_or_b32 s19, s4, 23
	v_fma_f32 v49, -v140, v129, v25
	ds_load_2addr_b64 v[25:28], v19 offset1:1
	ds_load_2addr_b32 v[44:45], v34 offset0:23 offset1:24
	s_mul_i32 s21, s19, 0x84
	s_lshl_b32 s19, s19, 5
	s_add_i32 s20, s4, s18
	v_fma_f32 v19, -v142, v52, v49
	ds_load_2addr_b32 v[49:50], v34 offset0:25 offset1:26
	ds_load_b32 v52, v34 offset:108
	s_lshl_b32 s20, s20, 2
	s_waitcnt lgkmcnt(5)
	v_mul_f32_e32 v47, v1, v47
	v_fma_f32 v1, -v108, v54, v5
	v_fma_f32 v5, -v32, v35, v9
	;; [unrolled: 1-line block ×3, first 2 shown]
	ds_load_2addr_b32 v[34:35], v51 offset0:23 offset1:24
	v_fma_f32 v1, -v17, v3, v1
	v_fma_f32 v3, -v150, v18, v5
	;; [unrolled: 1-line block ×4, first 2 shown]
	v_mov_b32_e32 v9, s12
	v_fma_f32 v1, -v47, v2, v1
	v_fma_f32 v2, -v151, v38, v3
	s_waitcnt lgkmcnt(3)
	v_fma_f32 v3, -v108, v44, v5
	v_fma_f32 v5, -v157, v20, v6
	s_or_b32 s12, s4, 24
	v_mul_f32_e32 v18, v25, v1
	v_fma_f32 v1, -v145, v117, v2
	v_fma_f32 v2, -v33, v11, v87
	;; [unrolled: 1-line block ×7, first 2 shown]
	s_waitcnt lgkmcnt(0)
	v_fma_f32 v3, -v47, v34, v3
	v_fma_f32 v4, -v149, v14, v4
	ds_load_b32 v20, v51 offset:108
	v_fma_f32 v1, -v137, v23, v1
	v_fma_f32 v2, -v157, v81, v2
	v_fma_f32 v19, -v18, v26, v3
	v_fma_f32 v4, -v32, v95, v4
	s_delay_alu instid0(VALU_DEP_4) | instskip(NEXT) | instid1(VALU_DEP_4)
	v_fma_f32 v1, -v138, v48, v1
	v_fma_f32 v2, -v158, v134, v2
	s_delay_alu instid0(VALU_DEP_3) | instskip(SKIP_1) | instid1(VALU_DEP_4)
	v_fma_f32 v3, -v150, v36, v4
	v_fma_f32 v4, -v29, v120, v5
	;; [unrolled: 1-line block ×3, first 2 shown]
	s_delay_alu instid0(VALU_DEP_4)
	v_fma_f32 v2, -v149, v15, v2
	v_mov_b32_e32 v5, s21
	v_fma_f32 v3, -v151, v39, v3
	v_fma_f32 v4, -v157, v82, v4
	;; [unrolled: 1-line block ×4, first 2 shown]
	ds_load_2addr_b32 v[5:6], v5 offset1:1
	v_fma_f32 v3, -v145, v73, v3
	v_fma_f32 v4, -v158, v119, v4
	;; [unrolled: 1-line block ×4, first 2 shown]
	s_mul_i32 s21, s12, 0x84
	v_fma_f32 v3, -v146, v112, v3
	v_fma_f32 v4, -v149, v16, v4
	;; [unrolled: 1-line block ×4, first 2 shown]
	s_delay_alu instid0(VALU_DEP_4) | instskip(NEXT) | instid1(VALU_DEP_4)
	v_fma_f32 v10, -v137, v24, v3
	v_fma_f32 v11, -v32, v125, v4
	s_delay_alu instid0(VALU_DEP_4) | instskip(NEXT) | instid1(VALU_DEP_4)
	v_fma_f32 v12, -v142, v57, v1
	v_fma_f32 v13, -v145, v74, v2
	ds_load_b128 v[1:4], v9 offset:96
	v_fma_f32 v9, -v138, v93, v10
	v_fma_f32 v10, -v150, v69, v11
	;; [unrolled: 1-line block ×4, first 2 shown]
	s_waitcnt lgkmcnt(1)
	v_mul_f32_e32 v19, v5, v19
	v_fma_f32 v9, -v139, v66, v9
	v_fma_f32 v10, -v151, v41, v10
	v_fma_f32 v7, -v148, v7, v11
	v_fma_f32 v11, -v137, v30, v12
	v_mov_b32_e32 v12, s21
	v_fma_f32 v9, -v90, v123, v9
	v_fma_f32 v10, -v145, v118, v10
	;; [unrolled: 1-line block ×4, first 2 shown]
	s_add_i32 s21, s4, s19
	v_fma_f32 v14, -v135, v78, v9
	v_fma_f32 v15, -v146, v114, v10
	ds_load_b128 v[9:12], v12
	v_fma_f32 v13, -v139, v67, v13
	s_waitcnt lgkmcnt(1)
	v_fma_f32 v1, -v17, v1, v7
	v_fma_f32 v7, -v140, v42, v14
	;; [unrolled: 1-line block ×3, first 2 shown]
	s_lshl_b32 s21, s21, 2
	v_fma_f32 v15, -v90, v124, v13
	v_fma_f32 v1, -v47, v35, v1
	;; [unrolled: 1-line block ×4, first 2 shown]
	ds_load_2addr_b32 v[13:14], v51 offset0:25 offset1:26
	v_fma_f32 v15, -v135, v61, v15
	v_fma_f32 v1, -v18, v27, v1
	;; [unrolled: 1-line block ×4, first 2 shown]
	s_delay_alu instid0(VALU_DEP_4) | instskip(NEXT) | instid1(VALU_DEP_4)
	v_fma_f32 v15, -v140, v43, v15
	v_fma_f32 v1, -v19, v6, v1
	s_delay_alu instid0(VALU_DEP_4) | instskip(NEXT) | instid1(VALU_DEP_4)
	v_fma_f32 v7, -v148, v8, v7
	v_fma_f32 v5, -v90, v136, v5
	s_delay_alu instid0(VALU_DEP_4)
	v_fma_f32 v6, -v142, v59, v15
	s_waitcnt lgkmcnt(1)
	v_mul_f32_e32 v9, v9, v1
	v_fma_f32 v7, -v108, v49, v7
	v_fma_f32 v5, -v135, v62, v5
	v_mov_b32_e32 v15, s21
	v_fma_f32 v1, -v143, v84, v6
	s_or_b32 s21, s4, 26
	v_fma_f32 v2, -v17, v2, v7
	v_fma_f32 v5, -v140, v141, v5
	v_mov_b32_e32 v7, s20
	v_fma_f32 v6, -v148, v21, v1
	s_mul_i32 s20, s22, 0x84
	s_waitcnt lgkmcnt(0)
	v_fma_f32 v13, -v47, v13, v2
	v_fma_f32 v8, -v142, v60, v5
	ds_load_2addr_b32 v[1:2], v15 offset0:25 offset1:26
	v_fma_f32 v16, -v108, v50, v6
	ds_load_b64 v[5:6], v7 offset:104
	v_fma_f32 v13, -v18, v28, v13
	v_fma_f32 v7, -v143, v97, v8
	v_mov_b32_e32 v8, s20
	v_fma_f32 v3, -v17, v3, v16
	s_lshl_b32 s20, s22, 5
	s_mul_i32 s22, s21, 0x84
	v_fma_f32 v16, -v148, v22, v7
	s_add_i32 s4, s4, s20
	v_fma_f32 v3, -v47, v14, v3
	s_lshl_b32 s4, s4, 2
	ds_load_2addr_b32 v[7:8], v8 offset1:1
	v_fma_f32 v14, -v108, v52, v16
	v_mov_b32_e32 v16, s4
	s_mul_i32 s4, s10, 0x84
	s_delay_alu instid0(VALU_DEP_2)
	v_fma_f32 v4, -v17, v4, v14
	v_mov_b32_e32 v14, s22
	s_waitcnt lgkmcnt(2)
	v_fma_f32 v1, -v19, v1, v13
	s_waitcnt lgkmcnt(1)
	v_fma_f32 v5, -v18, v5, v3
	v_fma_f32 v13, -v47, v20, v4
	s_delay_alu instid0(VALU_DEP_3)
	v_fma_f32 v1, -v9, v10, v1
	v_lshlrev_b32_e32 v10, 2, v55
	ds_load_b32 v15, v15 offset:108
	v_fma_f32 v6, -v18, v6, v13
	ds_load_b64 v[3:4], v14
	ds_load_b32 v14, v16 offset:108
	v_fma_f32 v2, -v19, v2, v5
	v_or_b32_e32 v5, s13, v0
	s_waitcnt lgkmcnt(3)
	v_mul_f32_e32 v1, v7, v1
	v_lshl_or_b32 v13, s21, 7, v85
	v_fma_f32 v2, -v9, v11, v2
	v_or_b32_e32 v11, s18, v0
	v_lshlrev_b32_e32 v5, 2, v5
	s_delay_alu instid0(VALU_DEP_3) | instskip(SKIP_1) | instid1(VALU_DEP_4)
	v_fma_f32 v2, -v1, v8, v2
	v_or_b32_e32 v8, s19, v0
	v_lshlrev_b32_e32 v11, 2, v11
	s_waitcnt lgkmcnt(2)
	v_fma_f32 v6, -v19, v15, v6
	s_waitcnt lgkmcnt(1)
	v_mul_f32_e32 v2, v3, v2
	s_delay_alu instid0(VALU_DEP_2)
	v_fma_f32 v6, -v9, v12, v6
	v_or_b32_e32 v12, s20, v0
	v_mov_b32_e32 v7, s4
	s_mov_b32 s4, s11
	s_waitcnt lgkmcnt(0)
	v_fma_f32 v3, -v1, v14, v6
	v_lshlrev_b32_e32 v12, 2, v12
	ds_load_b32 v7, v7
	v_lshlrev_b32_e32 v6, 2, v8
	v_lshl_or_b32 v8, s12, 7, v85
	v_fma_f32 v3, -v2, v4, v3
	ds_store_b32 v147, v142 offset:4096
	ds_store_b32 v144, v143 offset:4096
	ds_store_b32 v152, v148 offset:4096
	ds_store_b32 v70, v108 offset:4096
	ds_store_b32 v10, v17 offset:4096
	ds_store_b32 v5, v47 offset:4096
	ds_store_b32 v11, v18 offset:4096
	ds_store_b32 v6, v19 offset:4096
	ds_store_b32 v8, v9 offset:4096
	ds_store_b32 v12, v1 offset:4096
	ds_store_b32 v13, v2 offset:4096
	s_waitcnt lgkmcnt(11)
	v_mul_f32_e32 v3, v7, v3
	ds_store_b32 v89, v29 offset:4096
	ds_store_b32 v88, v3
.LBB38_49:
	s_cmp_ge_i32 s4, s15
	s_cbranch_scc1 .LBB38_60
; %bb.50:
	v_lshl_or_b32 v1, v0, 2, 0x1000
	v_lshlrev_b32_e32 v2, 2, v0
	s_add_i32 s10, s4, -1
	s_lshl_b32 s11, s4, 2
	s_mov_b32 s12, 0
	s_mov_b32 s13, s4
	s_branch .LBB38_52
.LBB38_51:                              ;   in Loop: Header=BB38_52 Depth=1
	s_mul_i32 s18, s4, 0x84
	v_add_nc_u16 v6, s13, 1
	v_mov_b32_e32 v5, s18
	s_add_i32 s4, s4, 1
	s_add_i32 s12, s12, 1
	;; [unrolled: 1-line block ×3, first 2 shown]
	v_readfirstlane_b32 s13, v6
	ds_load_b32 v5, v5
	v_add_nc_u32_e32 v3, 0x1000, v3
	s_cmp_ge_i32 s4, s15
	s_waitcnt lgkmcnt(0)
	v_mul_f32_e32 v4, v5, v4
	ds_store_b32 v3, v4
	s_cbranch_scc1 .LBB38_60
.LBB38_52:                              ; =>This Loop Header: Depth=1
                                        ;     Child Loop BB38_55 Depth 2
                                        ;     Child Loop BB38_59 Depth 2
	v_lshl_or_b32 v3, s4, 7, v2
	s_cmp_eq_u32 s4, 0
	ds_load_b32 v4, v3 offset:4096
	s_cbranch_scc1 .LBB38_51
; %bb.53:                               ;   in Loop: Header=BB38_52 Depth=1
	s_add_i32 s18, s10, s12
	s_delay_alu instid0(SALU_CYCLE_1)
	s_cmp_lt_u32 s18, 7
	s_cbranch_scc1 .LBB38_57
; %bb.54:                               ;   in Loop: Header=BB38_52 Depth=1
	v_mov_b32_e32 v5, v1
	s_and_b32 s18, s4, -8
	s_mov_b32 s19, 0
	s_mov_b32 s20, s11
	s_set_inst_prefetch_distance 0x1
	.p2align	6
.LBB38_55:                              ;   Parent Loop BB38_52 Depth=1
                                        ; =>  This Inner Loop Header: Depth=2
	v_mov_b32_e32 v18, s20
	s_add_i32 s19, s19, 8
	s_addk_i32 s20, 0x400
	s_cmp_lg_u32 s18, s19
	ds_load_2addr_b32 v[6:7], v5 offset1:32
	ds_load_2addr_b32 v[8:9], v18 offset1:32
	ds_load_2addr_b32 v[10:11], v5 offset0:64 offset1:96
	ds_load_2addr_b32 v[12:13], v18 offset0:64 offset1:96
	;; [unrolled: 1-line block ×4, first 2 shown]
	s_waitcnt lgkmcnt(4)
	v_fma_f32 v4, -v6, v8, v4
	s_delay_alu instid0(VALU_DEP_1)
	v_fma_f32 v4, -v7, v9, v4
	ds_load_2addr_b32 v[6:7], v5 offset0:192 offset1:224
	ds_load_2addr_b32 v[8:9], v18 offset0:192 offset1:224
	v_add_nc_u32_e32 v5, 0x400, v5
	s_waitcnt lgkmcnt(4)
	v_fma_f32 v4, -v10, v12, v4
	s_delay_alu instid0(VALU_DEP_1) | instskip(SKIP_1) | instid1(VALU_DEP_1)
	v_fma_f32 v4, -v11, v13, v4
	s_waitcnt lgkmcnt(2)
	v_fma_f32 v4, -v14, v16, v4
	s_delay_alu instid0(VALU_DEP_1) | instskip(SKIP_1) | instid1(VALU_DEP_1)
	v_fma_f32 v4, -v15, v17, v4
	s_waitcnt lgkmcnt(0)
	v_fma_f32 v4, -v6, v8, v4
	s_delay_alu instid0(VALU_DEP_1)
	v_fma_f32 v4, -v7, v9, v4
	s_cbranch_scc1 .LBB38_55
; %bb.56:                               ;   in Loop: Header=BB38_52 Depth=1
	s_set_inst_prefetch_distance 0x2
	s_and_b32 s19, s4, 7
	s_delay_alu instid0(SALU_CYCLE_1)
	s_cmp_eq_u32 s19, 0
	s_cbranch_scc0 .LBB38_58
	s_branch .LBB38_51
.LBB38_57:                              ;   in Loop: Header=BB38_52 Depth=1
	s_mov_b32 s18, 0
	s_and_b32 s19, s4, 7
	s_delay_alu instid0(SALU_CYCLE_1)
	s_cmp_eq_u32 s19, 0
	s_cbranch_scc1 .LBB38_51
.LBB38_58:                              ;   in Loop: Header=BB38_52 Depth=1
	s_and_b32 s19, s13, 7
	s_lshl_b32 s18, s18, 7
.LBB38_59:                              ;   Parent Loop BB38_52 Depth=1
                                        ; =>  This Inner Loop Header: Depth=2
	s_delay_alu instid0(SALU_CYCLE_1) | instskip(NEXT) | instid1(SALU_CYCLE_1)
	s_add_i32 s20, s11, s18
	v_dual_mov_b32 v6, s20 :: v_dual_add_nc_u32 v5, s18, v1
	s_add_i32 s19, s19, -1
	s_addk_i32 s18, 0x80
	s_cmp_lg_u32 s19, 0
	ds_load_b32 v5, v5
	ds_load_b32 v6, v6
	s_waitcnt lgkmcnt(0)
	v_fma_f32 v4, -v5, v6, v4
	s_cbranch_scc1 .LBB38_59
	s_branch .LBB38_51
.LBB38_60:
	s_waitcnt vmcnt(0) lgkmcnt(0)
	s_waitcnt_vscnt null, 0x0
	; wave barrier
	s_waitcnt lgkmcnt(0)
	buffer_gl0_inv
	s_and_saveexec_b32 s4, s14
	s_cbranch_execz .LBB38_67
; %bb.61:
	s_cmp_lt_i32 s6, 8
	s_mov_b32 s4, 0
	s_cbranch_scc1 .LBB38_64
; %bb.62:
	v_mad_i64_i32 v[1:2], null, s16, v0, 0
	v_lshl_or_b32 v3, v0, 2, 0x1000
	s_lshl_b32 s4, s15, 2
	s_delay_alu instid0(VALU_DEP_2) | instskip(NEXT) | instid1(VALU_DEP_1)
	v_lshlrev_b64 v[1:2], 2, v[1:2]
	v_add_co_u32 v1, vcc_lo, s5, v1
	s_delay_alu instid0(VALU_DEP_2)
	v_add_co_ci_u32_e32 v2, vcc_lo, s7, v2, vcc_lo
	s_and_b32 s5, s4, 0xe0
	s_mov_b32 s4, 0
	s_mov_b64 s[6:7], 0
	.p2align	6
.LBB38_63:                              ; =>This Inner Loop Header: Depth=1
	ds_load_2addr_b32 v[4:5], v3 offset1:32
	ds_load_2addr_b32 v[6:7], v3 offset0:64 offset1:96
	ds_load_2addr_b32 v[8:9], v3 offset0:128 offset1:160
	;; [unrolled: 1-line block ×3, first 2 shown]
	v_add_co_u32 v12, vcc_lo, v1, s6
	v_add_co_ci_u32_e32 v13, vcc_lo, s7, v2, vcc_lo
	s_add_i32 s4, s4, 8
	v_add_nc_u32_e32 v3, 0x400, v3
	s_add_u32 s6, s6, 32
	s_addc_u32 s7, s7, 0
	s_cmp_lg_u32 s5, s6
	s_waitcnt lgkmcnt(2)
	global_store_b128 v[12:13], v[4:7], off
	s_waitcnt lgkmcnt(0)
	global_store_b128 v[12:13], v[8:11], off offset:16
	s_cbranch_scc1 .LBB38_63
.LBB38_64:
	s_and_b32 s6, s15, 7
	s_mov_b32 s5, 0
	s_cmp_eq_u32 s6, 0
	s_cbranch_scc1 .LBB38_67
; %bb.65:
	v_lshlrev_b32_e32 v2, 2, v0
	s_lshl_b64 s[8:9], s[8:9], 2
	s_lshl_b64 s[10:11], s[4:5], 2
	s_delay_alu instid0(SALU_CYCLE_1) | instskip(NEXT) | instid1(VALU_DEP_1)
	s_add_u32 s2, s2, s10
	v_add_co_u32 v3, s5, s8, v2
	s_delay_alu instid0(VALU_DEP_1) | instskip(SKIP_3) | instid1(VALU_DEP_1)
	v_add_co_ci_u32_e64 v4, null, s9, 0, s5
	s_addc_u32 s3, s3, s11
	s_add_u32 s0, s2, s0
	s_addc_u32 s1, s3, s1
	v_mul_lo_u32 v4, v4, s16
	v_mad_u64_u32 v[0:1], null, v3, s16, s[0:1]
	v_mul_lo_u32 v3, v3, s17
	v_lshl_or_b32 v2, s4, 7, v2
	s_delay_alu instid0(VALU_DEP_1) | instskip(NEXT) | instid1(VALU_DEP_3)
	v_add_nc_u32_e32 v2, 0x1000, v2
	v_add3_u32 v1, v4, v1, v3
.LBB38_66:                              ; =>This Inner Loop Header: Depth=1
	ds_load_b32 v3, v2
	v_add_nc_u32_e32 v2, 0x80, v2
	s_add_i32 s6, s6, -1
	s_delay_alu instid0(SALU_CYCLE_1)
	s_cmp_lg_u32 s6, 0
	s_waitcnt lgkmcnt(0)
	global_store_b32 v[0:1], v3, off
	v_add_co_u32 v0, vcc_lo, v0, 4
	v_add_co_ci_u32_e32 v1, vcc_lo, 0, v1, vcc_lo
	s_cbranch_scc1 .LBB38_66
.LBB38_67:
	s_nop 0
	s_sendmsg sendmsg(MSG_DEALLOC_VGPRS)
	s_endpgm
	.section	.rodata,"a",@progbits
	.p2align	6, 0x0
	.amdhsa_kernel _ZL38rocblas_trsm_small_left_device_sharedBILi32ELi32ELb1EffPKPKfPKPfEv13rocblas_fill_18rocblas_operation_17rocblas_diagonal_iiT3_T4_lilT5_lili
		.amdhsa_group_segment_fixed_size 8192
		.amdhsa_private_segment_fixed_size 0
		.amdhsa_kernarg_size 352
		.amdhsa_user_sgpr_count 14
		.amdhsa_user_sgpr_dispatch_ptr 0
		.amdhsa_user_sgpr_queue_ptr 0
		.amdhsa_user_sgpr_kernarg_segment_ptr 1
		.amdhsa_user_sgpr_dispatch_id 0
		.amdhsa_user_sgpr_private_segment_size 0
		.amdhsa_wavefront_size32 1
		.amdhsa_uses_dynamic_stack 0
		.amdhsa_enable_private_segment 0
		.amdhsa_system_sgpr_workgroup_id_x 1
		.amdhsa_system_sgpr_workgroup_id_y 0
		.amdhsa_system_sgpr_workgroup_id_z 1
		.amdhsa_system_sgpr_workgroup_info 0
		.amdhsa_system_vgpr_workitem_id 0
		.amdhsa_next_free_vgpr 233
		.amdhsa_next_free_sgpr 43
		.amdhsa_reserve_vcc 1
		.amdhsa_float_round_mode_32 0
		.amdhsa_float_round_mode_16_64 0
		.amdhsa_float_denorm_mode_32 3
		.amdhsa_float_denorm_mode_16_64 3
		.amdhsa_dx10_clamp 1
		.amdhsa_ieee_mode 1
		.amdhsa_fp16_overflow 0
		.amdhsa_workgroup_processor_mode 1
		.amdhsa_memory_ordered 1
		.amdhsa_forward_progress 0
		.amdhsa_shared_vgpr_count 0
		.amdhsa_exception_fp_ieee_invalid_op 0
		.amdhsa_exception_fp_denorm_src 0
		.amdhsa_exception_fp_ieee_div_zero 0
		.amdhsa_exception_fp_ieee_overflow 0
		.amdhsa_exception_fp_ieee_underflow 0
		.amdhsa_exception_fp_ieee_inexact 0
		.amdhsa_exception_int_div_zero 0
	.end_amdhsa_kernel
	.section	.text._ZL38rocblas_trsm_small_left_device_sharedBILi32ELi32ELb1EffPKPKfPKPfEv13rocblas_fill_18rocblas_operation_17rocblas_diagonal_iiT3_T4_lilT5_lili,"axG",@progbits,_ZL38rocblas_trsm_small_left_device_sharedBILi32ELi32ELb1EffPKPKfPKPfEv13rocblas_fill_18rocblas_operation_17rocblas_diagonal_iiT3_T4_lilT5_lili,comdat
.Lfunc_end38:
	.size	_ZL38rocblas_trsm_small_left_device_sharedBILi32ELi32ELb1EffPKPKfPKPfEv13rocblas_fill_18rocblas_operation_17rocblas_diagonal_iiT3_T4_lilT5_lili, .Lfunc_end38-_ZL38rocblas_trsm_small_left_device_sharedBILi32ELi32ELb1EffPKPKfPKPfEv13rocblas_fill_18rocblas_operation_17rocblas_diagonal_iiT3_T4_lilT5_lili
                                        ; -- End function
	.section	.AMDGPU.csdata,"",@progbits
; Kernel info:
; codeLenInByte = 36052
; NumSgprs: 45
; NumVgprs: 233
; ScratchSize: 0
; MemoryBound: 0
; FloatMode: 240
; IeeeMode: 1
; LDSByteSize: 8192 bytes/workgroup (compile time only)
; SGPRBlocks: 5
; VGPRBlocks: 29
; NumSGPRsForWavesPerEU: 45
; NumVGPRsForWavesPerEU: 233
; Occupancy: 4
; WaveLimiterHint : 1
; COMPUTE_PGM_RSRC2:SCRATCH_EN: 0
; COMPUTE_PGM_RSRC2:USER_SGPR: 14
; COMPUTE_PGM_RSRC2:TRAP_HANDLER: 0
; COMPUTE_PGM_RSRC2:TGID_X_EN: 1
; COMPUTE_PGM_RSRC2:TGID_Y_EN: 0
; COMPUTE_PGM_RSRC2:TGID_Z_EN: 1
; COMPUTE_PGM_RSRC2:TIDIG_COMP_CNT: 0
	.section	.text._ZL30rocblas_trsm_small_left_deviceILi32ELi32ELb1EffPKPKfPKPfEv13rocblas_fill_18rocblas_operation_17rocblas_diagonal_iiT3_T4_lilT5_lili,"axG",@progbits,_ZL30rocblas_trsm_small_left_deviceILi32ELi32ELb1EffPKPKfPKPfEv13rocblas_fill_18rocblas_operation_17rocblas_diagonal_iiT3_T4_lilT5_lili,comdat
	.globl	_ZL30rocblas_trsm_small_left_deviceILi32ELi32ELb1EffPKPKfPKPfEv13rocblas_fill_18rocblas_operation_17rocblas_diagonal_iiT3_T4_lilT5_lili ; -- Begin function _ZL30rocblas_trsm_small_left_deviceILi32ELi32ELb1EffPKPKfPKPfEv13rocblas_fill_18rocblas_operation_17rocblas_diagonal_iiT3_T4_lilT5_lili
	.p2align	8
	.type	_ZL30rocblas_trsm_small_left_deviceILi32ELi32ELb1EffPKPKfPKPfEv13rocblas_fill_18rocblas_operation_17rocblas_diagonal_iiT3_T4_lilT5_lili,@function
_ZL30rocblas_trsm_small_left_deviceILi32ELi32ELb1EffPKPKfPKPfEv13rocblas_fill_18rocblas_operation_17rocblas_diagonal_iiT3_T4_lilT5_lili: ; @_ZL30rocblas_trsm_small_left_deviceILi32ELi32ELb1EffPKPKfPKPfEv13rocblas_fill_18rocblas_operation_17rocblas_diagonal_iiT3_T4_lilT5_lili
; %bb.0:
	s_clause 0x1
	s_load_b128 s[8:11], s[0:1], 0x38
	s_load_b128 s[4:7], s[0:1], 0x4
	s_mov_b32 s2, s15
	s_mov_b32 s3, 0
	s_mov_b32 s13, exec_lo
	s_lshl_b64 s[22:23], s[2:3], 3
	s_waitcnt lgkmcnt(0)
	s_add_u32 s8, s8, s22
	s_addc_u32 s9, s9, s23
	s_load_b32 s15, s[0:1], 0x14
	s_load_b64 s[8:9], s[8:9], 0x0
	s_min_i32 s2, s6, 32
	s_delay_alu instid0(SALU_CYCLE_1)
	s_add_i32 s12, s2, -1
	v_cmpx_gt_i32_e64 s2, v0
	s_cbranch_execz .LBB39_10
; %bb.1:
	s_clause 0x1
	s_load_b32 s20, s[0:1], 0x28
	s_load_b128 s[16:19], s[0:1], 0x18
	v_lshlrev_b32_e32 v3, 2, v0
	s_waitcnt lgkmcnt(0)
	s_ashr_i32 s21, s20, 31
	s_add_u32 s16, s16, s22
	s_addc_u32 s17, s17, s23
	s_cmp_lt_u32 s12, 3
	s_load_b64 s[16:17], s[16:17], 0x0
	s_cbranch_scc1 .LBB39_4
; %bb.2:
	s_lshl_b64 s[22:23], s[18:19], 2
	v_mov_b32_e32 v4, v3
	s_waitcnt lgkmcnt(0)
	s_add_u32 s3, s16, s22
	s_addc_u32 s22, s17, s23
	v_add_co_u32 v1, s3, s3, v3
	s_delay_alu instid0(VALU_DEP_1)
	v_add_co_ci_u32_e64 v2, null, s22, 0, s3
	s_and_b32 s3, s2, -4
	s_mul_hi_i32 s28, s20, 12
	s_mul_i32 s29, s20, 12
	s_lshl_b64 s[22:23], s[20:21], 4
	s_lshl_b64 s[24:25], s[20:21], 3
	;; [unrolled: 1-line block ×3, first 2 shown]
	s_mov_b32 s30, 0
	.p2align	6
.LBB39_3:                               ; =>This Inner Loop Header: Depth=1
	v_add_co_u32 v5, vcc_lo, v1, s26
	v_add_co_ci_u32_e32 v6, vcc_lo, s27, v2, vcc_lo
	v_add_co_u32 v7, vcc_lo, v1, s24
	v_add_co_ci_u32_e32 v8, vcc_lo, s25, v2, vcc_lo
	;; [unrolled: 2-line block ×3, first 2 shown]
	s_clause 0x3
	global_load_b32 v11, v[1:2], off
	global_load_b32 v5, v[5:6], off
	;; [unrolled: 1-line block ×4, first 2 shown]
	v_add_co_u32 v1, vcc_lo, v1, s22
	v_add_co_ci_u32_e32 v2, vcc_lo, s23, v2, vcc_lo
	s_add_i32 s30, s30, 4
	s_waitcnt vmcnt(2)
	ds_store_2addr_b32 v4, v11, v5 offset1:32
	s_waitcnt vmcnt(0)
	ds_store_2addr_b32 v4, v6, v7 offset0:64 offset1:96
	v_add_nc_u32_e32 v4, 0x200, v4
	s_cmp_eq_u32 s3, s30
	s_cbranch_scc0 .LBB39_3
.LBB39_4:
	s_and_b32 s22, s2, 3
	s_delay_alu instid0(SALU_CYCLE_1)
	s_cmp_eq_u32 s22, 0
	s_cbranch_scc1 .LBB39_7
; %bb.5:
	s_mul_i32 s23, s21, s3
	s_mul_hi_u32 s25, s20, s3
	s_mul_i32 s24, s20, s3
	s_add_i32 s25, s25, s23
	s_lshl_b64 s[18:19], s[18:19], 2
	s_lshl_b64 s[24:25], s[24:25], 2
	v_lshl_or_b32 v4, s3, 7, v3
	s_add_u32 s3, s24, s18
	s_addc_u32 s18, s25, s19
	s_waitcnt lgkmcnt(0)
	s_add_u32 s3, s16, s3
	s_addc_u32 s16, s17, s18
	v_add_co_u32 v1, s3, s3, v3
	s_delay_alu instid0(VALU_DEP_1)
	v_add_co_ci_u32_e64 v2, null, s16, 0, s3
	s_lshl_b64 s[16:17], s[20:21], 2
.LBB39_6:                               ; =>This Inner Loop Header: Depth=1
	global_load_b32 v3, v[1:2], off
	v_add_co_u32 v1, vcc_lo, v1, s16
	v_add_co_ci_u32_e32 v2, vcc_lo, s17, v2, vcc_lo
	s_add_i32 s22, s22, -1
	s_delay_alu instid0(SALU_CYCLE_1)
	s_cmp_lg_u32 s22, 0
	s_waitcnt vmcnt(0)
	ds_store_b32 v4, v3
	v_add_nc_u32_e32 v4, 0x80, v4
	s_cbranch_scc1 .LBB39_6
.LBB39_7:
	v_mul_u32_u24_e32 v1, 33, v0
	s_cmpk_lg_i32 s5, 0x84
	s_delay_alu instid0(VALU_DEP_1)
	v_dual_mov_b32 v2, 1.0 :: v_dual_lshlrev_b32 v1, 2, v1
	s_cbranch_scc0 .LBB39_9
; %bb.8:
	ds_load_b32 v2, v1
	s_waitcnt lgkmcnt(0)
	v_div_scale_f32 v3, null, v2, v2, 1.0
	s_delay_alu instid0(VALU_DEP_1) | instskip(SKIP_2) | instid1(VALU_DEP_1)
	v_rcp_f32_e32 v4, v3
	s_waitcnt_depctr 0xfff
	v_fma_f32 v5, -v3, v4, 1.0
	v_fmac_f32_e32 v4, v5, v4
	v_div_scale_f32 v5, vcc_lo, 1.0, v2, 1.0
	s_delay_alu instid0(VALU_DEP_1) | instskip(NEXT) | instid1(VALU_DEP_1)
	v_mul_f32_e32 v6, v5, v4
	v_fma_f32 v7, -v3, v6, v5
	s_delay_alu instid0(VALU_DEP_1) | instskip(NEXT) | instid1(VALU_DEP_1)
	v_fmac_f32_e32 v6, v7, v4
	v_fma_f32 v3, -v3, v6, v5
	s_delay_alu instid0(VALU_DEP_1) | instskip(NEXT) | instid1(VALU_DEP_1)
	v_div_fmas_f32 v3, v3, v4, v6
	v_div_fixup_f32 v2, v3, v2, 1.0
.LBB39_9:
	ds_store_b32 v1, v2
.LBB39_10:
	s_or_b32 exec_lo, exec_lo, s13
	s_load_b32 s3, s[0:1], 0x60
	s_lshl_b32 s5, s14, 5
	s_waitcnt lgkmcnt(0)
	s_sub_i32 s7, s7, s5
	; wave barrier
	buffer_gl0_inv
	s_add_i32 s3, s3, -1
	s_delay_alu instid0(SALU_CYCLE_1) | instskip(SKIP_1) | instid1(SALU_CYCLE_1)
	s_cmp_ge_u32 s14, s3
	s_cselect_b32 s3, s7, 32
	v_cmp_gt_i32_e32 vcc_lo, s3, v0
	s_mov_b32 s3, -1
	s_and_saveexec_b32 s7, vcc_lo
	s_cbranch_execz .LBB39_58
; %bb.11:
	s_load_b32 s0, s[0:1], 0x48
	v_add_nc_u32_e32 v2, s5, v0
	s_waitcnt lgkmcnt(0)
	s_delay_alu instid0(VALU_DEP_1) | instskip(SKIP_1) | instid1(SALU_CYCLE_1)
	v_mad_i64_i32 v[0:1], null, s0, v2, 0
	s_lshl_b64 s[0:1], s[10:11], 2
	s_add_u32 s5, s8, s0
	s_addc_u32 s7, s9, s1
	s_cmpk_eq_i32 s4, 0x6f
	s_delay_alu instid0(VALU_DEP_1) | instskip(NEXT) | instid1(VALU_DEP_1)
	v_lshlrev_b64 v[69:70], 2, v[0:1]
	v_add_co_u32 v67, vcc_lo, s5, v69
	s_delay_alu instid0(VALU_DEP_2)
	v_add_co_ci_u32_e32 v68, vcc_lo, s7, v70, vcc_lo
	s_cbranch_scc1 .LBB39_38
; %bb.12:
	s_cmp_gt_i32 s6, 31
	s_mov_b32 s4, s12
	s_cbranch_scc0 .LBB39_14
; %bb.13:
	s_ashr_i32 s13, s12, 31
	s_mov_b32 s3, 0
	s_lshl_b64 s[4:5], s[12:13], 2
	s_delay_alu instid0(SALU_CYCLE_1)
	v_add_co_u32 v33, vcc_lo, v67, s4
	v_add_co_ci_u32_e32 v34, vcc_lo, s5, v68, vcc_lo
	s_lshl_b64 s[4:5], s[2:3], 2
	s_mul_i32 s3, s2, 0x84
	v_add_co_u32 v24, vcc_lo, v67, s4
	global_load_b32 v31, v[33:34], off
	v_add_co_ci_u32_e32 v25, vcc_lo, s5, v68, vcc_lo
	s_clause 0x7
	global_load_b128 v[12:15], v[24:25], off offset:-32
	global_load_b96 v[28:30], v[24:25], off offset:-16
	global_load_b128 v[8:11], v[24:25], off offset:-48
	global_load_b128 v[0:3], v[24:25], off offset:-64
	;; [unrolled: 1-line block ×6, first 2 shown]
	s_mul_i32 s4, s12, 0x84
	s_lshl_b32 s5, s2, 5
	s_add_i32 s16, s4, 0xfffffce8
	s_add_i32 s5, s5, s12
	;; [unrolled: 1-line block ×5, first 2 shown]
	s_delay_alu instid0(SALU_CYCLE_1)
	v_dual_mov_b32 v32, s4 :: v_dual_mov_b32 v35, s7
	s_add_i32 s11, s4, 0xfffffe74
	s_add_i32 s13, s4, 0xfffffdf0
	s_add_i32 s14, s4, 0xfffffd6c
	s_add_i32 s18, s4, 0xfffffbe0
	s_add_i32 s19, s4, 0xfffffb5c
	s_add_i32 s20, s4, 0xfffffad8
	s_add_i32 s21, s3, 0xfffff9d0
	s_add_i32 s22, s3, 0xfffff94c
	s_add_i32 s23, s3, 0xfffff8c8
	s_add_i32 s24, s3, 0xfffff844
	s_add_i32 s25, s3, 0xfffff7c0
	s_add_i32 s26, s3, 0xfffff73c
	s_lshl_b32 s4, s5, 2
	v_dual_mov_b32 v36, s16 :: v_dual_mov_b32 v133, s23
	v_dual_mov_b32 v38, s10 :: v_dual_mov_b32 v37, s17
	;; [unrolled: 1-line block ×7, first 2 shown]
	s_add_i32 s10, s4, 0xfffffe80
	s_add_i32 s11, s4, 0xfffffdfc
	s_delay_alu instid0(SALU_CYCLE_1)
	v_dual_mov_b32 v161, s26 :: v_dual_mov_b32 v44, s11
	s_add_i32 s13, s4, 0xfffffd80
	s_add_i32 s14, s4, 0xfffffd78
	;; [unrolled: 1-line block ×59, first 2 shown]
	v_dual_mov_b32 v43, s10 :: v_dual_mov_b32 v48, s16
	v_dual_mov_b32 v45, s13 :: v_dual_mov_b32 v50, s17
	;; [unrolled: 1-line block ×22, first 2 shown]
	v_mov_b32_e32 v109, s45
	v_mov_b32_e32 v111, s47
	;; [unrolled: 1-line block ×11, first 2 shown]
	s_add_i32 s59, s4, 0xfffff870
	s_add_i32 s63, s4, 0xfffff850
	;; [unrolled: 1-line block ×3, first 2 shown]
	v_mov_b32_e32 v141, s61
	v_mov_b32_e32 v149, s64
	ds_load_b32 v180, v36
	ds_load_b32 v181, v37
	;; [unrolled: 1-line block ×6, first 2 shown]
	ds_load_2addr_b32 v[36:37], v35 offset1:1
	ds_load_b32 v185, v43
	ds_load_2addr_b32 v[38:39], v38 offset1:1
	ds_load_2addr_b32 v[40:41], v44 offset1:1
	ds_load_2addr_b32 v[42:43], v42 offset1:1
	ds_load_b32 v150, v45
	ds_load_2addr_b32 v[44:45], v47 offset1:1
	ds_load_2addr_b32 v[46:47], v46 offset1:1
	;; [unrolled: 1-line block ×8, first 2 shown]
	ds_load_b32 v152, v60
	ds_load_2addr_b32 v[60:61], v61 offset1:1
	ds_load_2addr_b32 v[62:63], v62 offset1:1
	;; [unrolled: 1-line block ×7, first 2 shown]
	ds_load_b32 v186, v79
	ds_load_2addr_b32 v[79:80], v80 offset1:1
	ds_load_2addr_b32 v[81:82], v81 offset1:1
	;; [unrolled: 1-line block ×15, first 2 shown]
	ds_load_b32 v66, v109
	ds_load_2addr_b32 v[109:110], v110 offset1:1
	ds_load_2addr_b32 v[111:112], v111 offset1:1
	;; [unrolled: 1-line block ×13, first 2 shown]
	v_mov_b32_e32 v135, s57
	s_add_i32 s60, s4, 0xfffff868
	s_add_i32 s67, s4, 0xfffff7e4
	v_mov_b32_e32 v143, s62
	v_mov_b32_e32 v151, s65
	;; [unrolled: 1-line block ×4, first 2 shown]
	s_add_i32 s10, s4, 0xfffff570
	v_mov_b32_e32 v153, s66
	s_add_i32 s7, s4, 0xfffff668
	v_mov_b32_e32 v139, s60
	v_mov_b32_e32 v155, s67
	ds_load_b32 v187, v135
	ds_load_2addr_b32 v[135:136], v136 offset1:1
	ds_load_2addr_b32 v[137:138], v137 offset1:1
	;; [unrolled: 1-line block ×7, first 2 shown]
	s_add_i32 s68, s4, 0xfffff7dc
	s_add_i32 s72, s4, 0xfffff778
	v_mov_b32_e32 v157, s68
	s_add_i32 s74, s4, 0xfffff768
	v_mov_b32_e32 v163, s72
	s_add_i32 s86, s4, 0xfffff680
	v_mov_b32_e32 v165, s74
	v_mov_b32_e32 v177, s86
	s_add_i32 s80, s4, 0xfffff6f4
	s_add_i32 s76, s4, 0xfffff758
	v_mov_b32_e32 v171, s80
	s_add_i32 s78, s4, 0xfffff748
	v_mov_b32_e32 v167, s76
	v_mov_b32_e32 v169, s78
	s_add_i32 s82, s4, 0xfffff6e4
	s_add_i32 s84, s4, 0xfffff6d4
	v_mov_b32_e32 v173, s82
	v_mov_b32_e32 v175, s84
	s_add_i32 s88, s4, 0xfffff670
	s_add_i32 s11, s4, 0xfffff4cc
	v_mov_b32_e32 v179, s88
	s_add_i32 s5, s4, 0xfffff660
	s_add_i32 s13, s4, 0xfffff280
	s_waitcnt vmcnt(8)
	v_mul_f32_e32 v31, s15, v31
	s_waitcnt lgkmcnt(60)
	s_delay_alu instid0(VALU_DEP_1) | instskip(SKIP_1) | instid1(VALU_DEP_1)
	v_mul_f32_e32 v35, v32, v31
	s_waitcnt lgkmcnt(54)
	v_mul_f32_e32 v31, v35, v150
	s_waitcnt lgkmcnt(51)
	;; [unrolled: 2-line block ×4, first 2 shown]
	v_mul_f32_e32 v55, v35, v152
	ds_load_2addr_b32 v[149:150], v149 offset1:1
	ds_load_2addr_b32 v[151:152], v151 offset1:1
	;; [unrolled: 1-line block ×4, first 2 shown]
	s_waitcnt vmcnt(7)
	v_fma_f32 v31, v15, s15, -v31
	v_fma_f32 v188, v14, s15, -v32
	v_fma_f32 v49, v13, s15, -v49
	v_fma_f32 v189, v12, s15, -v55
	v_mul_f32_e32 v12, v35, v37
	s_waitcnt lgkmcnt(36)
	v_mul_f32_e32 v37, v35, v88
	v_mul_f32_e32 v13, v35, v185
	;; [unrolled: 1-line block ×4, first 2 shown]
	s_waitcnt vmcnt(6)
	v_fma_f32 v30, v30, s15, -v12
	s_waitcnt lgkmcnt(31)
	v_mul_f32_e32 v12, v35, v98
	s_waitcnt vmcnt(5)
	v_fma_f32 v88, v9, s15, -v37
	v_fma_f32 v185, v29, s15, -v13
	;; [unrolled: 1-line block ×3, first 2 shown]
	s_waitcnt lgkmcnt(25)
	v_mul_f32_e32 v41, v35, v66
	v_fma_f32 v98, v8, s15, -v12
	s_waitcnt lgkmcnt(11)
	v_mul_f32_e32 v8, v35, v187
	s_waitcnt lgkmcnt(3)
	v_mul_f32_e32 v9, v35, v150
	v_fma_f32 v66, v10, s15, -v32
	ds_load_2addr_b32 v[12:13], v157 offset1:1
	ds_load_2addr_b32 v[28:29], v158 offset1:1
	;; [unrolled: 1-line block ×4, first 2 shown]
	v_mul_f32_e32 v32, v36, v30
	s_waitcnt vmcnt(4)
	v_fma_f32 v30, v1, s15, -v8
	v_fma_f32 v186, v0, s15, -v9
	ds_load_2addr_b32 v[36:37], v161 offset1:1
	ds_load_2addr_b32 v[0:1], v170 offset1:1
	v_mul_f32_e32 v15, v35, v72
	v_mul_f32_e32 v55, v35, v122
	v_fma_f32 v150, v3, s15, -v41
	v_fma_f32 v170, -v32, v40, v14
	v_fma_f32 v188, -v32, v48, v188
	v_fma_f32 v11, v11, s15, -v15
	v_fma_f32 v122, v2, s15, -v55
	ds_load_b32 v187, v162
	ds_load_2addr_b32 v[2:3], v163 offset1:1
	ds_load_2addr_b32 v[8:9], v164 offset1:1
	;; [unrolled: 1-line block ×3, first 2 shown]
	ds_load_b32 v177, v177
	v_fma_f32 v190, -v32, v54, v49
	ds_load_2addr_b32 v[40:41], v166 offset1:1
	ds_load_2addr_b32 v[48:49], v167 offset1:1
	;; [unrolled: 1-line block ×4, first 2 shown]
	v_fma_f32 v167, -v32, v71, v11
	ds_load_2addr_b32 v[10:11], v171 offset1:1
	ds_load_2addr_b32 v[71:72], v172 offset1:1
	v_fma_f32 v168, -v32, v87, v88
	v_fma_f32 v169, -v32, v97, v98
	;; [unrolled: 1-line block ×3, first 2 shown]
	ds_load_2addr_b32 v[87:88], v173 offset1:1
	ds_load_2addr_b32 v[97:98], v174 offset1:1
	;; [unrolled: 1-line block ×5, first 2 shown]
	s_waitcnt lgkmcnt(16)
	v_mul_f32_e32 v1, v35, v1
	s_waitcnt lgkmcnt(15)
	v_mul_f32_e32 v171, v35, v187
	s_waitcnt vmcnt(3)
	s_delay_alu instid0(VALU_DEP_2)
	v_fma_f32 v1, v18, s15, -v1
	v_fma_f32 v18, -v32, v39, v185
	v_fma_f32 v39, -v32, v45, v31
	;; [unrolled: 1-line block ×3, first 2 shown]
	v_fma_f32 v19, v19, s15, -v171
	v_fma_f32 v0, -v32, v0, v1
	v_mul_f32_e32 v31, v38, v18
	v_fma_f32 v18, -v32, v136, v30
	v_fma_f32 v61, -v32, v80, v66
	s_waitcnt lgkmcnt(14)
	v_fma_f32 v3, -v32, v3, v19
	v_fma_f32 v66, -v32, v110, v150
	;; [unrolled: 1-line block ×7, first 2 shown]
	v_mul_f32_e32 v30, v42, v1
	v_fma_f32 v1, -v31, v109, v66
	s_waitcnt lgkmcnt(6)
	v_fma_f32 v0, -v31, v11, v0
	v_fma_f32 v38, -v32, v149, v186
	v_fma_f32 v45, -v31, v74, v167
	v_fma_f32 v19, -v30, v47, v19
	v_fma_f32 v47, -v31, v2, v3
	v_fma_f32 v2, -v30, v50, v39
	v_fma_f32 v11, -v30, v56, v43
	v_fma_f32 v51, -v31, v79, v61
	v_mul_f32_e32 v3, v46, v19
	v_fma_f32 v19, -v30, v63, v44
	v_fma_f32 v46, -v30, v112, v1
	v_fma_f32 v18, -v31, v135, v18
	v_fma_f32 v38, -v31, v152, v38
	v_fma_f32 v2, -v3, v53, v2
	v_fma_f32 v1, -v3, v59, v11
	v_fma_f32 v39, -v30, v73, v45
	v_fma_f32 v19, -v3, v62, v19
	v_fma_f32 v57, -v31, v90, v168
	v_mul_f32_e32 v2, v52, v2
	v_fma_f32 v60, -v31, v100, v169
	;; [unrolled: 10-line block ×3, first 2 shown]
	v_fma_f32 v10, -v3, v81, v43
	v_fma_f32 v0, -v2, v75, v0
	;; [unrolled: 1-line block ×9, first 2 shown]
	v_mul_f32_e32 v0, v181, v19
	v_fma_f32 v42, -v31, v124, v172
	v_fma_f32 v8, -v3, v8, v9
	;; [unrolled: 1-line block ×10, first 2 shown]
	v_mul_f32_e32 v11, v182, v11
	v_fma_f32 v42, -v3, v126, v42
	v_fma_f32 v39, -v2, v114, v44
	;; [unrolled: 1-line block ×9, first 2 shown]
	v_mul_f32_e32 v10, v183, v10
	v_fma_f32 v18, -v3, v154, v18
	v_fma_f32 v43, -v2, v140, v45
	;; [unrolled: 1-line block ×12, first 2 shown]
	v_mul_f32_e32 v9, v184, v9
	v_fma_f32 v18, -v1, v156, v18
	v_fma_f32 v42, -v0, v142, v42
	;; [unrolled: 1-line block ×9, first 2 shown]
	v_mul_f32_e32 v8, v107, v19
	v_fma_f32 v14, -v1, v14, v15
	v_fma_f32 v13, -v11, v13, v18
	;; [unrolled: 1-line block ×9, first 2 shown]
	v_mul_f32_e32 v15, v119, v19
	v_fma_f32 v14, -v11, v40, v14
	v_mul_f32_e32 v173, v35, v177
	v_fma_f32 v12, -v9, v29, v12
	s_waitcnt lgkmcnt(5)
	v_fma_f32 v19, -v3, v72, v38
	v_fma_f32 v18, -v15, v134, v18
	;; [unrolled: 1-line block ×3, first 2 shown]
	v_mov_b32_e32 v38, s7
	v_fma_f32 v12, -v8, v28, v12
	v_fma_f32 v28, v17, s15, -v173
	v_mul_f32_e32 v14, v133, v18
	v_fma_f32 v29, -v9, v48, v29
	ds_load_2addr_b32 v[17:18], v179 offset1:1
	v_fma_f32 v19, -v2, v71, v19
	s_waitcnt lgkmcnt(1)
	v_fma_f32 v39, -v32, v122, v28
	s_add_i32 s7, s4, 0xfffff658
	v_fma_f32 v29, -v8, v55, v29
	v_mov_b32_e32 v40, s7
	v_fma_f32 v19, -v1, v88, v19
	v_fma_f32 v44, -v31, v121, v39
	v_fma_f32 v13, -v8, v146, v13
	v_fma_f32 v43, -v15, v54, v29
	ds_load_2addr_b32 v[28:29], v38 offset1:1
	v_fma_f32 v19, -v0, v87, v19
	v_fma_f32 v12, -v15, v158, v12
	;; [unrolled: 1-line block ×4, first 2 shown]
	s_add_i32 s7, s4, 0xfffff5e4
	v_fma_f32 v42, -v11, v98, v19
	v_mov_b32_e32 v19, s5
	s_add_i32 s5, s4, 0xfffff5fc
	ds_load_2addr_b32 v[38:39], v19 offset1:1
	ds_load_2addr_b32 v[40:41], v40 offset1:1
	v_mov_b32_e32 v45, s5
	s_waitcnt lgkmcnt(3)
	v_fma_f32 v44, -v30, v18, v44
	s_add_i32 s5, s4, 0xfffff6c4
	v_fma_f32 v13, -v14, v148, v13
	v_fma_f32 v42, -v10, v97, v42
	ds_load_2addr_b32 v[18:19], v45 offset1:1
	v_fma_f32 v17, -v3, v17, v44
	v_mov_b32_e32 v45, s5
	s_add_i32 s5, s4, 0xfffff5f4
	v_fma_f32 v12, -v14, v157, v12
	v_mul_f32_e32 v13, v147, v13
	s_waitcnt lgkmcnt(3)
	v_fma_f32 v17, -v2, v29, v17
	v_mov_b32_e32 v29, s5
	v_fma_f32 v46, -v9, v164, v42
	ds_load_2addr_b32 v[42:43], v45 offset1:1
	v_fma_f32 v12, -v13, v160, v12
	v_fma_f32 v17, -v1, v28, v17
	ds_load_2addr_b32 v[44:45], v29 offset1:1
	s_add_i32 s5, s4, 0xfffff5ec
	v_mov_b32_e32 v49, s7
	v_mov_b32_e32 v47, s5
	s_waitcnt lgkmcnt(4)
	v_fma_f32 v17, -v0, v39, v17
	v_mul_f32_e32 v12, v159, v12
	v_fma_f32 v48, -v13, v161, v48
	v_fma_f32 v50, -v8, v163, v46
	s_waitcnt lgkmcnt(2)
	v_mul_f32_e32 v19, v35, v19
	v_fma_f32 v38, -v11, v38, v17
	ds_load_2addr_b32 v[28:29], v47 offset1:1
	ds_load_2addr_b32 v[46:47], v49 offset1:1
	s_add_i32 s5, s3, 0xfffff6b8
	v_fma_f32 v37, -v12, v37, v48
	v_fma_f32 v16, v16, s15, -v19
	v_fma_f32 v38, -v10, v41, v38
	v_mov_b32_e32 v19, s5
	v_fma_f32 v39, -v15, v166, v50
	s_add_i32 s5, s4, 0xfffff650
	v_fma_f32 v18, -v32, v18, v16
	v_fma_f32 v64, -v9, v40, v38
	v_mov_b32_e32 v40, s5
	s_add_i32 s5, s4, 0xfffff5bc
	ds_load_2addr_b32 v[16:17], v19 offset1:1
	v_dual_mul_f32 v19, v36, v37 :: v_dual_mov_b32 v36, s5
	s_add_i32 s5, s3, 0xfffff5b0
	v_fma_f32 v39, -v14, v165, v39
	s_waitcnt lgkmcnt(3)
	v_fma_f32 v18, -v31, v45, v18
	s_add_i32 s7, s4, 0xfffff580
	s_delay_alu instid0(SALU_CYCLE_1) | instskip(SKIP_1) | instid1(VALU_DEP_3)
	v_dual_mov_b32 v38, s5 :: v_dual_mov_b32 v41, s7
	v_fma_f32 v63, -v13, v43, v39
	v_fma_f32 v18, -v30, v44, v18
	ds_load_2addr_b32 v[36:37], v36 offset1:1
	ds_load_2addr_b32 v[38:39], v38 offset1:1
	ds_load_b32 v48, v41
	s_add_i32 s7, s4, 0xfffff578
	s_add_i32 s5, s4, 0xfffff648
	v_mov_b32_e32 v43, s7
	s_waitcnt lgkmcnt(5)
	v_fma_f32 v18, -v3, v29, v18
	v_mov_b32_e32 v41, s5
	s_add_i32 s5, s4, 0xfffff640
	s_add_i32 s7, s3, 0xfffff634
	v_mov_b32_e32 v61, s5
	v_fma_f32 v18, -v2, v28, v18
	ds_load_2addr_b32 v[28:29], v40 offset1:1
	ds_load_2addr_b32 v[40:41], v41 offset1:1
	;; [unrolled: 1-line block ×3, first 2 shown]
	s_add_i32 s5, s4, 0xfffff5dc
	v_mov_b32_e32 v62, s7
	s_waitcnt lgkmcnt(7)
	v_fma_f32 v18, -v1, v47, v18
	v_mov_b32_e32 v45, s5
	s_add_i32 s5, s4, 0xfffff5d4
	v_fma_f32 v63, -v12, v42, v63
	v_mov_b32_e32 v49, s5
	v_fma_f32 v18, -v0, v46, v18
	ds_load_2addr_b32 v[45:46], v45 offset1:1
	s_waitcnt lgkmcnt(4)
	v_mul_f32_e32 v47, v35, v48
	s_add_i32 s5, s4, 0xfffff5cc
	v_mov_b32_e32 v48, s10
	s_add_i32 s10, s4, 0xfffff5c4
	v_mov_b32_e32 v51, s5
	s_waitcnt vmcnt(0)
	v_fma_f32 v27, v27, s15, -v47
	v_mov_b32_e32 v53, s10
	ds_load_2addr_b32 v[47:48], v48 offset1:1
	ds_load_2addr_b32 v[49:50], v49 offset1:1
	;; [unrolled: 1-line block ×4, first 2 shown]
	s_add_i32 s5, s4, 0xfffff568
	s_waitcnt lgkmcnt(5)
	v_fma_f32 v27, -v32, v44, v27
	v_mov_b32_e32 v44, s5
	s_add_i32 s5, s4, 0xfffff560
	s_add_i32 s10, s4, 0xfffff558
	v_mov_b32_e32 v57, s5
	s_add_i32 s5, s3, 0xfffff52c
	ds_load_2addr_b32 v[55:56], v44 offset1:1
	v_mov_b32_e32 v58, s10
	s_add_i32 s10, s4, 0xfffff4fc
	s_waitcnt lgkmcnt(5)
	v_fma_f32 v18, -v11, v46, v18
	v_fma_f32 v27, -v31, v43, v27
	v_dual_mov_b32 v46, s5 :: v_dual_mov_b32 v59, s10
	ds_load_2addr_b32 v[43:44], v57 offset1:1
	ds_load_2addr_b32 v[57:58], v58 offset1:1
	v_fma_f32 v18, -v10, v45, v18
	s_waitcnt lgkmcnt(6)
	v_fma_f32 v27, -v30, v48, v27
	ds_load_2addr_b32 v[45:46], v46 offset1:1
	ds_load_2addr_b32 v[59:60], v59 offset1:1
	v_fma_f32 v29, -v8, v29, v64
	s_add_i32 s5, s4, 0xfffff4f4
	s_waitcnt lgkmcnt(7)
	v_fma_f32 v18, -v9, v50, v18
	v_fma_f32 v27, -v3, v47, v27
	ds_load_2addr_b32 v[47:48], v61 offset1:1
	ds_load_2addr_b32 v[61:62], v62 offset1:1
	v_fma_f32 v29, -v15, v28, v29
	v_mov_b32_e32 v28, s5
	s_add_i32 s5, s4, 0xfffff4ec
	v_fma_f32 v18, -v8, v49, v18
	s_waitcnt lgkmcnt(6)
	v_fma_f32 v27, -v2, v56, v27
	v_mov_b32_e32 v49, s5
	v_fma_f32 v29, -v14, v41, v29
	v_fma_f32 v17, -v19, v17, v63
	;; [unrolled: 1-line block ×4, first 2 shown]
	ds_load_2addr_b32 v[27:28], v28 offset1:1
	s_add_i32 s7, s4, 0xfffff4e4
	v_fma_f32 v29, -v13, v40, v29
	v_fma_f32 v40, -v14, v51, v18
	s_waitcnt lgkmcnt(6)
	v_fma_f32 v44, -v0, v44, v42
	ds_load_2addr_b32 v[41:42], v49 offset1:1
	s_waitcnt lgkmcnt(4)
	v_dual_mul_f32 v49, v35, v60 :: v_dual_mul_f32 v18, v16, v17
	s_add_i32 s5, s4, 0xfffff550
	v_fma_f32 v43, -v11, v43, v44
	s_add_i32 s10, s4, 0xfffff548
	s_delay_alu instid0(VALU_DEP_2)
	v_fma_f32 v26, v26, s15, -v49
	s_waitcnt lgkmcnt(3)
	v_fma_f32 v52, -v12, v48, v29
	v_mov_b32_e32 v29, s5
	v_fma_f32 v16, -v10, v58, v43
	v_fma_f32 v60, -v13, v54, v40
	;; [unrolled: 1-line block ×3, first 2 shown]
	v_mov_b32_e32 v26, s7
	v_mov_b32_e32 v40, s10
	v_fma_f32 v44, -v9, v57, v16
	s_add_i32 s7, s4, 0xfffff4dc
	s_waitcnt lgkmcnt(1)
	v_fma_f32 v28, -v31, v28, v17
	ds_load_2addr_b32 v[16:17], v26 offset1:1
	s_add_i32 s10, s4, 0xfffff480
	v_mov_b32_e32 v50, s11
	v_mov_b32_e32 v48, s10
	v_fma_f32 v43, -v30, v27, v28
	ds_load_2addr_b32 v[26:27], v29 offset1:1
	ds_load_2addr_b32 v[28:29], v40 offset1:1
	s_add_i32 s5, s4, 0xfffff540
	v_fma_f32 v47, -v19, v47, v52
	s_add_i32 s10, s4, 0xfffff448
	s_waitcnt lgkmcnt(3)
	v_fma_f32 v40, -v3, v42, v43
	v_mov_b32_e32 v42, s7
	s_add_i32 s7, s4, 0xfffff4d4
	v_fma_f32 v47, -v18, v62, v47
	v_mov_b32_e32 v49, s7
	v_fma_f32 v51, -v2, v41, v40
	ds_load_2addr_b32 v[42:43], v42 offset1:1
	ds_load_b32 v58, v48
	ds_load_2addr_b32 v[40:41], v49 offset1:1
	ds_load_2addr_b32 v[48:49], v50 offset1:1
	s_add_i32 s7, s4, 0xfffff478
	s_add_i32 s11, s4, 0xfffff2cc
	s_waitcnt lgkmcnt(6)
	v_fma_f32 v17, -v1, v17, v51
	v_mov_b32_e32 v50, s7
	s_add_i32 s7, s4, 0xfffff538
	v_mov_b32_e32 v51, s5
	s_add_i32 s5, s4, 0xfffff470
	v_fma_f32 v56, -v0, v16, v17
	ds_load_2addr_b32 v[16:17], v50 offset1:1
	v_mov_b32_e32 v54, s7
	s_add_i32 s7, s4, 0xfffff468
	v_mov_b32_e32 v57, s5
	v_mov_b32_e32 v59, s7
	s_waitcnt lgkmcnt(6)
	v_fma_f32 v27, -v8, v27, v44
	ds_load_2addr_b32 v[50:51], v51 offset1:1
	ds_load_2addr_b32 v[54:55], v54 offset1:1
	s_add_i32 s7, s4, 0xfffff4c4
	s_add_i32 s5, s4, 0xfffff460
	s_waitcnt lgkmcnt(6)
	v_fma_f32 v63, -v11, v43, v56
	s_waitcnt lgkmcnt(5)
	v_mul_f32_e32 v58, v35, v58
	ds_load_2addr_b32 v[43:44], v57 offset1:1
	ds_load_2addr_b32 v[56:57], v59 offset1:1
	v_fma_f32 v26, -v15, v26, v27
	v_fma_f32 v27, -v12, v53, v60
	;; [unrolled: 1-line block ×3, first 2 shown]
	v_fma_f32 v25, v25, s15, -v58
	s_delay_alu instid0(VALU_DEP_4) | instskip(NEXT) | instid1(VALU_DEP_4)
	v_fma_f32 v26, -v14, v29, v26
	v_fma_f32 v27, -v19, v37, v27
	s_waitcnt lgkmcnt(6)
	v_fma_f32 v29, -v9, v41, v42
	s_waitcnt lgkmcnt(4)
	v_fma_f32 v25, -v32, v17, v25
	v_mul_f32_e32 v17, v61, v47
	v_fma_f32 v26, -v13, v28, v26
	v_fma_f32 v27, -v18, v36, v27
	;; [unrolled: 1-line block ×4, first 2 shown]
	v_mov_b32_e32 v29, s7
	s_add_i32 s7, s4, 0xfffff450
	s_waitcnt lgkmcnt(3)
	v_fma_f32 v25, -v12, v51, v26
	v_mov_b32_e32 v26, s5
	s_add_i32 s5, s4, 0xfffff458
	v_mov_b32_e32 v36, s7
	s_add_i32 s7, s4, 0xfffff3fc
	v_fma_f32 v28, -v15, v49, v28
	s_waitcnt lgkmcnt(1)
	v_fma_f32 v16, -v30, v44, v16
	v_fma_f32 v53, -v17, v39, v27
	v_mov_b32_e32 v27, s5
	s_add_i32 s5, s4, 0xfffff4bc
	v_mov_b32_e32 v41, s7
	v_mov_b32_e32 v39, s10
	v_mov_b32_e32 v47, s5
	v_fma_f32 v58, -v19, v50, v25
	ds_load_2addr_b32 v[25:26], v26 offset1:1
	v_fma_f32 v59, -v14, v48, v28
	ds_load_2addr_b32 v[27:28], v27 offset1:1
	;; [unrolled: 2-line block ×3, first 2 shown]
	ds_load_2addr_b32 v[39:40], v39 offset1:1
	ds_load_2addr_b32 v[41:42], v41 offset1:1
	ds_load_2addr_b32 v[43:44], v29 offset1:1
	ds_load_2addr_b32 v[47:48], v47 offset1:1
	s_add_i32 s5, s4, 0xfffff4b4
	s_add_i32 s7, s3, 0xfffff4a8
	s_waitcnt lgkmcnt(7)
	v_fma_f32 v16, -v2, v57, v16
	v_mov_b32_e32 v29, s5
	s_add_i32 s5, s4, 0xfffff3f4
	v_mov_b32_e32 v49, s7
	s_add_i32 s7, s4, 0xfffff3e4
	v_fma_f32 v55, -v18, v55, v58
	s_add_i32 s10, s4, 0xfffff368
	s_waitcnt lgkmcnt(2)
	v_mul_f32_e32 v42, v35, v42
	v_fma_f32 v16, -v1, v56, v16
	v_mov_b32_e32 v56, s7
	s_add_i32 s7, s3, 0xfffff424
	s_delay_alu instid0(VALU_DEP_3) | instskip(NEXT) | instid1(VALU_DEP_3)
	v_fma_f32 v24, v24, s15, -v42
	v_fma_f32 v16, -v0, v26, v16
	s_delay_alu instid0(VALU_DEP_2) | instskip(NEXT) | instid1(VALU_DEP_2)
	v_fma_f32 v24, -v32, v41, v24
	v_fma_f32 v16, -v11, v25, v16
	v_mov_b32_e32 v25, s5
	s_add_i32 s5, s4, 0xfffff3ec
	s_delay_alu instid0(SALU_CYCLE_1) | instskip(NEXT) | instid1(VALU_DEP_3)
	v_mov_b32_e32 v51, s5
	v_fma_f32 v16, -v10, v28, v16
	ds_load_2addr_b32 v[25:26], v25 offset1:1
	ds_load_2addr_b32 v[28:29], v29 offset1:1
	;; [unrolled: 1-line block ×5, first 2 shown]
	s_add_i32 s5, s4, 0xfffff440
	v_fma_f32 v16, -v9, v27, v16
	s_waitcnt lgkmcnt(6)
	v_fma_f32 v27, -v13, v44, v59
	v_mov_b32_e32 v44, s5
	s_add_i32 s5, s4, 0xfffff438
	v_fma_f32 v37, -v8, v37, v16
	s_delay_alu instid0(VALU_DEP_3)
	v_fma_f32 v27, -v12, v43, v27
	ds_load_2addr_b32 v[42:43], v44 offset1:1
	v_mul_f32_e32 v16, v38, v53
	v_fma_f32 v38, -v17, v54, v55
	v_fma_f32 v36, -v15, v36, v37
	s_waitcnt lgkmcnt(6)
	v_fma_f32 v41, -v19, v48, v27
	s_waitcnt lgkmcnt(5)
	v_fma_f32 v24, -v31, v26, v24
	v_mov_b32_e32 v27, s5
	s_add_i32 s5, s4, 0xfffff430
	v_fma_f32 v26, -v14, v40, v36
	v_mov_b32_e32 v36, s5
	v_fma_f32 v24, -v30, v25, v24
	v_mov_b32_e32 v37, s7
	v_fma_f32 v44, -v16, v46, v38
	v_fma_f32 v39, -v13, v39, v26
	s_add_i32 s5, s4, 0xfffff380
	s_waitcnt lgkmcnt(2)
	v_fma_f32 v40, -v3, v52, v24
	ds_load_2addr_b32 v[24:25], v27 offset1:1
	ds_load_2addr_b32 v[26:27], v36 offset1:1
	;; [unrolled: 1-line block ×3, first 2 shown]
	v_fma_f32 v41, -v18, v47, v41
	s_add_i32 s7, s4, 0xfffff370
	s_waitcnt lgkmcnt(3)
	v_fma_f32 v39, -v12, v43, v39
	v_fma_f32 v38, -v2, v51, v40
	;; [unrolled: 1-line block ×3, first 2 shown]
	v_mov_b32_e32 v51, s10
	s_add_i32 s10, s4, 0xfffff2fc
	v_fma_f32 v40, -v19, v42, v39
	v_mov_b32_e32 v39, s5
	s_add_i32 s5, s4, 0xfffff3dc
	v_fma_f32 v42, -v1, v57, v38
	v_mov_b32_e32 v38, s5
	s_add_i32 s5, s4, 0xfffff3d4
	ds_load_b32 v48, v39
	v_mov_b32_e32 v43, s5
	s_add_i32 s5, s4, 0xfffff378
	ds_load_2addr_b32 v[38:39], v38 offset1:1
	v_mov_b32_e32 v46, s5
	s_waitcnt lgkmcnt(4)
	v_fma_f32 v57, -v18, v25, v40
	ds_load_2addr_b32 v[40:41], v43 offset1:1
	v_fma_f32 v25, -v0, v56, v42
	s_add_i32 s5, s4, 0xfffff3cc
	ds_load_2addr_b32 v[42:43], v46 offset1:1
	v_mov_b32_e32 v46, s7
	s_add_i32 s7, s4, 0xfffff3c4
	v_mov_b32_e32 v53, s5
	v_mov_b32_e32 v55, s7
	ds_load_2addr_b32 v[46:47], v46 offset1:1
	ds_load_2addr_b32 v[51:52], v51 offset1:1
	;; [unrolled: 1-line block ×4, first 2 shown]
	v_fma_f32 v28, -v16, v28, v29
	v_fma_f32 v24, -v17, v24, v57
	s_waitcnt lgkmcnt(7)
	v_mul_f32_e32 v48, v35, v48
	s_add_i32 s5, s4, 0xfffff360
	s_add_i32 s7, s3, 0xfffff31c
	s_waitcnt lgkmcnt(6)
	v_fma_f32 v39, -v11, v39, v25
	v_mul_f32_e32 v25, v45, v44
	v_fma_f32 v23, v23, s15, -v48
	v_fma_f32 v27, -v16, v27, v24
	v_mov_b32_e32 v57, s11
	v_fma_f32 v29, -v10, v38, v39
	v_fma_f32 v28, -v25, v50, v28
	s_waitcnt lgkmcnt(4)
	v_fma_f32 v23, -v32, v43, v23
	v_fma_f32 v26, -v25, v26, v27
	s_add_i32 s11, s4, 0xfffff158
	v_fma_f32 v29, -v9, v41, v29
	v_mul_f32_e32 v24, v49, v28
	v_fma_f32 v23, -v31, v42, v23
	v_mov_b32_e32 v28, s5
	s_add_i32 s5, s4, 0xfffff358
	v_fma_f32 v27, -v8, v40, v29
	v_fma_f32 v49, -v24, v37, v26
	s_waitcnt lgkmcnt(3)
	v_fma_f32 v23, -v30, v47, v23
	v_mov_b32_e32 v39, s5
	v_mov_b32_e32 v37, s10
	s_waitcnt lgkmcnt(1)
	v_fma_f32 v47, -v15, v54, v27
	ds_load_2addr_b32 v[26:27], v28 offset1:1
	v_fma_f32 v23, -v3, v46, v23
	v_mov_b32_e32 v28, s7
	ds_load_2addr_b32 v[28:29], v28 offset1:1
	ds_load_2addr_b32 v[37:38], v37 offset1:1
	v_fma_f32 v23, -v2, v52, v23
	ds_load_2addr_b32 v[39:40], v39 offset1:1
	s_add_i32 s5, s4, 0xfffff350
	s_add_i32 s7, s4, 0xfffff348
	v_mov_b32_e32 v41, s5
	v_fma_f32 v23, -v1, v51, v23
	v_mov_b32_e32 v43, s7
	s_add_i32 s7, s4, 0xfffff2f4
	s_add_i32 s5, s4, 0xfffff3bc
	v_mov_b32_e32 v45, s7
	s_add_i32 s7, s4, 0xfffff2ec
	ds_load_2addr_b32 v[41:42], v41 offset1:1
	ds_load_2addr_b32 v[43:44], v43 offset1:1
	s_waitcnt lgkmcnt(5)
	v_fma_f32 v23, -v0, v27, v23
	v_dual_mov_b32 v27, s7 :: v_dual_mov_b32 v48, s5
	ds_load_2addr_b32 v[45:46], v45 offset1:1
	v_fma_f32 v50, -v14, v53, v47
	v_fma_f32 v51, -v11, v26, v23
	ds_load_2addr_b32 v[26:27], v27 offset1:1
	ds_load_2addr_b32 v[47:48], v48 offset1:1
	s_waitcnt lgkmcnt(6)
	v_dual_mul_f32 v38, v35, v38 :: v_dual_mul_f32 v23, v36, v49
	v_fma_f32 v50, -v13, v56, v50
	s_waitcnt lgkmcnt(5)
	v_fma_f32 v36, -v10, v40, v51
	s_add_i32 s5, s4, 0xfffff3b4
	v_fma_f32 v22, v22, s15, -v38
	v_mov_b32_e32 v38, s5
	v_fma_f32 v40, -v12, v55, v50
	v_fma_f32 v36, -v9, v39, v36
	s_add_i32 s5, s4, 0xfffff3ac
	v_fma_f32 v22, -v32, v37, v22
	s_add_i32 s7, s3, 0xfffff3a0
	v_mov_b32_e32 v39, s5
	s_waitcnt lgkmcnt(4)
	v_fma_f32 v42, -v8, v42, v36
	s_add_i32 s5, s4, 0xfffff2e4
	v_mov_b32_e32 v49, s7
	s_add_i32 s7, s4, 0xfffff2dc
	s_waitcnt lgkmcnt(2)
	v_fma_f32 v22, -v31, v46, v22
	ds_load_2addr_b32 v[36:37], v38 offset1:1
	ds_load_2addr_b32 v[38:39], v39 offset1:1
	ds_load_2addr_b32 v[49:50], v49 offset1:1
	s_waitcnt lgkmcnt(3)
	v_fma_f32 v48, -v19, v48, v40
	v_fma_f32 v40, -v15, v41, v42
	v_dual_mov_b32 v41, s5 :: v_dual_mov_b32 v42, s7
	v_fma_f32 v22, -v30, v45, v22
	s_add_i32 s10, s4, 0xfffff2a4
	s_delay_alu instid0(VALU_DEP_3)
	v_fma_f32 v46, -v14, v44, v40
	ds_load_2addr_b32 v[40:41], v41 offset1:1
	ds_load_2addr_b32 v[44:45], v42 offset1:1
	v_mov_b32_e32 v55, s13
	v_fma_f32 v22, -v3, v27, v22
	v_mov_b32_e32 v27, s10
	s_add_i32 s10, s3, 0xfffff298
	s_add_i32 s7, s4, 0xfffff2d4
	v_mov_b32_e32 v42, s10
	v_mov_b32_e32 v56, s7
	ds_load_2addr_b32 v[51:52], v27 offset1:1
	ds_load_2addr_b32 v[53:54], v42 offset1:1
	ds_load_b32 v59, v55
	v_fma_f32 v22, -v2, v26, v22
	s_add_i32 s5, s4, 0xfffff340
	ds_load_2addr_b32 v[26:27], v56 offset1:1
	ds_load_2addr_b32 v[55:56], v57 offset1:1
	v_mov_b32_e32 v42, s5
	s_add_i32 s5, s4, 0xfffff278
	v_fma_f32 v61, -v13, v43, v46
	v_mov_b32_e32 v57, s5
	s_add_i32 s5, s4, 0xfffff338
	s_waitcnt lgkmcnt(6)
	v_fma_f32 v22, -v1, v41, v22
	ds_load_2addr_b32 v[41:42], v42 offset1:1
	s_add_i32 s7, s4, 0xfffff330
	ds_load_2addr_b32 v[57:58], v57 offset1:1
	v_mov_b32_e32 v46, s7
	v_fma_f32 v22, -v0, v40, v22
	v_mov_b32_e32 v40, s5
	s_add_i32 s5, s4, 0xfffff270
	s_add_i32 s7, s4, 0xfffff258
	v_mov_b32_e32 v43, s5
	s_waitcnt lgkmcnt(7)
	v_fma_f32 v22, -v11, v45, v22
	s_waitcnt lgkmcnt(4)
	v_mul_f32_e32 v45, v35, v59
	s_add_i32 s5, s4, 0xfffff328
	v_fma_f32 v47, -v18, v47, v48
	v_mov_b32_e32 v59, s5
	v_fma_f32 v62, -v10, v44, v22
	ds_load_2addr_b32 v[43:44], v43 offset1:1
	s_add_i32 s5, s4, 0xfffff268
	v_fma_f32 v63, v21, s15, -v45
	v_mov_b32_e32 v64, s5
	ds_load_2addr_b32 v[21:22], v40 offset1:1
	ds_load_2addr_b32 v[45:46], v46 offset1:1
	;; [unrolled: 1-line block ×3, first 2 shown]
	s_waitcnt lgkmcnt(5)
	v_fma_f32 v40, -v12, v42, v61
	v_fma_f32 v27, -v9, v27, v62
	s_waitcnt lgkmcnt(4)
	v_fma_f32 v42, -v32, v58, v63
	ds_load_2addr_b32 v[61:62], v64 offset1:1
	s_add_i32 s5, s4, 0xfffff260
	s_delay_alu instid0(SALU_CYCLE_1)
	v_dual_mov_b32 v63, s7 :: v_dual_mov_b32 v58, s5
	v_fma_f32 v42, -v31, v57, v42
	v_fma_f32 v64, -v8, v26, v27
	ds_load_2addr_b32 v[26:27], v58 offset1:1
	ds_load_2addr_b32 v[57:58], v63 offset1:1
	s_add_i32 s5, s4, 0xfffff2c4
	v_fma_f32 v48, -v19, v41, v40
	v_fma_f32 v56, -v15, v56, v64
	s_waitcnt lgkmcnt(6)
	v_fma_f32 v42, -v30, v44, v42
	v_mov_b32_e32 v44, s5
	s_add_i32 s5, s4, 0xfffff2bc
	s_add_i32 s7, s4, 0xfffff250
	v_fma_f32 v37, -v17, v37, v47
	v_fma_f32 v42, -v3, v43, v42
	ds_load_2addr_b32 v[40:41], v44 offset1:1
	v_mov_b32_e32 v47, s5
	s_add_i32 s5, s4, 0xfffff2b4
	v_mov_b32_e32 v43, s7
	s_waitcnt lgkmcnt(3)
	v_fma_f32 v42, -v2, v62, v42
	s_add_i32 s7, s4, 0xfffff2ac
	v_fma_f32 v44, -v14, v55, v56
	v_mov_b32_e32 v55, s5
	v_fma_f32 v22, -v18, v22, v48
	v_fma_f32 v42, -v1, v61, v42
	v_mov_b32_e32 v61, s7
	s_add_i32 s5, s4, 0xfffff1fc
	s_add_i32 s7, s4, 0xfffff248
	v_fma_f32 v21, -v17, v21, v22
	s_waitcnt lgkmcnt(2)
	v_fma_f32 v27, -v0, v27, v42
	ds_load_2addr_b32 v[42:43], v43 offset1:1
	ds_load_2addr_b32 v[47:48], v47 offset1:1
	;; [unrolled: 1-line block ×4, first 2 shown]
	v_fma_f32 v36, -v16, v36, v37
	s_add_i32 s10, s4, 0xfffff1c4
	v_fma_f32 v21, -v16, v46, v21
	v_fma_f32 v26, -v11, v26, v27
	v_mov_b32_e32 v27, s5
	s_waitcnt lgkmcnt(4)
	v_fma_f32 v41, -v13, v41, v44
	s_add_i32 s5, s4, 0xfffff240
	v_fma_f32 v21, -v25, v45, v21
	v_fma_f32 v44, -v10, v58, v26
	ds_load_2addr_b32 v[26:27], v27 offset1:1
	v_dual_mov_b32 v58, s7 :: v_dual_mov_b32 v63, s5
	s_add_i32 s5, s4, 0xfffff1f4
	v_fma_f32 v44, -v9, v57, v44
	s_add_i32 s7, s4, 0xfffff238
	ds_load_2addr_b32 v[57:58], v58 offset1:1
	v_mov_b32_e32 v64, s7
	v_fma_f32 v65, -v12, v40, v41
	s_waitcnt lgkmcnt(5)
	v_fma_f32 v66, -v8, v43, v44
	v_mov_b32_e32 v43, s5
	ds_load_2addr_b32 v[40:41], v63 offset1:1
	ds_load_2addr_b32 v[63:64], v64 offset1:1
	s_add_i32 s5, s4, 0xfffff1ec
	s_add_i32 s7, s4, 0xfffff1e4
	v_mov_b32_e32 v71, s5
	ds_load_2addr_b32 v[43:44], v43 offset1:1
	v_mov_b32_e32 v72, s7
	v_fma_f32 v42, -v15, v42, v66
	s_waitcnt lgkmcnt(7)
	v_fma_f32 v48, -v19, v48, v65
	ds_load_2addr_b32 v[65:66], v71 offset1:1
	ds_load_2addr_b32 v[71:72], v72 offset1:1
	s_waitcnt lgkmcnt(6)
	v_mul_f32_e32 v27, v35, v27
	v_fma_f32 v21, -v24, v60, v21
	v_fma_f32 v22, -v18, v47, v48
	s_add_i32 s5, s4, 0xfffff1dc
	s_add_i32 s7, s4, 0xfffff230
	v_fma_f32 v20, v20, s15, -v27
	s_waitcnt lgkmcnt(5)
	v_fma_f32 v37, -v14, v58, v42
	v_fma_f32 v27, -v25, v39, v36
	;; [unrolled: 1-line block ×8, first 2 shown]
	v_mov_b32_e32 v21, s5
	s_waitcnt lgkmcnt(2)
	v_fma_f32 v20, -v31, v44, v20
	v_fma_f32 v27, -v12, v41, v36
	;; [unrolled: 1-line block ×4, first 2 shown]
	s_add_i32 s5, s4, 0xfffff228
	v_fma_f32 v20, -v30, v43, v20
	v_fma_f32 v27, -v19, v40, v27
	v_mul_f32_e32 v22, v49, v26
	v_mov_b32_e32 v26, s7
	v_fma_f32 v49, -v24, v61, v36
	s_waitcnt lgkmcnt(1)
	v_fma_f32 v20, -v3, v66, v20
	v_fma_f32 v44, -v18, v64, v27
	v_mov_b32_e32 v36, s5
	s_add_i32 s7, s4, 0xfffff1d4
	s_add_i32 s5, s4, 0xfffff220
	v_fma_f32 v27, -v2, v65, v20
	ds_load_2addr_b32 v[20:21], v21 offset1:1
	v_mov_b32_e32 v39, s7
	s_add_i32 s7, s4, 0xfffff1cc
	v_mov_b32_e32 v45, s5
	s_waitcnt lgkmcnt(1)
	v_fma_f32 v38, -v1, v72, v27
	ds_load_2addr_b32 v[26:27], v26 offset1:1
	ds_load_2addr_b32 v[36:37], v36 offset1:1
	v_mov_b32_e32 v40, s7
	s_add_i32 s7, s4, 0xfffff180
	s_add_i32 s5, s3, 0xfffff214
	v_fma_f32 v46, -v0, v71, v38
	ds_load_2addr_b32 v[38:39], v39 offset1:1
	v_mov_b32_e32 v42, s10
	v_dual_mov_b32 v50, s7 :: v_dual_mov_b32 v47, s5
	v_fma_f32 v55, -v17, v63, v44
	ds_load_2addr_b32 v[40:41], v40 offset1:1
	ds_load_2addr_b32 v[42:43], v42 offset1:1
	s_add_i32 s5, s4, 0xfffff178
	v_fma_f32 v29, -v22, v29, v48
	v_fma_f32 v48, -v23, v52, v49
	s_add_i32 s10, s4, 0xfffff160
	s_waitcnt lgkmcnt(5)
	v_fma_f32 v21, -v11, v21, v46
	ds_load_b32 v50, v50
	ds_load_2addr_b32 v[44:45], v45 offset1:1
	ds_load_2addr_b32 v[46:47], v47 offset1:1
	v_mul_f32_e32 v29, v28, v29
	v_fma_f32 v28, -v22, v51, v48
	s_add_i32 s7, s3, 0xfffff190
	v_fma_f32 v20, -v10, v20, v21
	s_waitcnt lgkmcnt(7)
	v_fma_f32 v21, -v16, v27, v55
	v_mov_b32_e32 v27, s5
	s_add_i32 s5, s4, 0xfffff170
	v_fma_f32 v28, -v29, v54, v28
	s_waitcnt lgkmcnt(5)
	v_fma_f32 v39, -v9, v39, v20
	v_fma_f32 v26, -v25, v26, v21
	ds_load_2addr_b32 v[20:21], v27 offset1:1
	v_mul_f32_e32 v28, v53, v28
	v_fma_f32 v27, -v8, v38, v39
	v_fma_f32 v37, -v24, v37, v26
	v_mov_b32_e32 v26, s5
	s_add_i32 s5, s4, 0xfffff1bc
	s_waitcnt lgkmcnt(3)
	v_mul_f32_e32 v39, v35, v50
	v_fma_f32 v38, -v15, v41, v27
	v_mov_b32_e32 v41, s5
	ds_load_2addr_b32 v[26:27], v26 offset1:1
	s_add_i32 s5, s4, 0xfffff168
	v_fma_f32 v7, v7, s15, -v39
	v_fma_f32 v55, -v14, v40, v38
	v_mov_b32_e32 v38, s5
	v_fma_f32 v52, -v23, v36, v37
	ds_load_2addr_b32 v[36:37], v41 offset1:1
	v_mov_b32_e32 v40, s11
	s_add_i32 s5, s4, 0xfffff19c
	ds_load_2addr_b32 v[38:39], v38 offset1:1
	s_waitcnt lgkmcnt(3)
	v_fma_f32 v7, -v32, v21, v7
	v_dual_mov_b32 v21, s10 :: v_dual_mov_b32 v48, s5
	s_add_i32 s5, s4, 0xfffff1b4
	v_mov_b32_e32 v50, s7
	s_delay_alu instid0(VALU_DEP_3)
	v_fma_f32 v7, -v31, v20, v7
	ds_load_2addr_b32 v[20:21], v21 offset1:1
	ds_load_2addr_b32 v[40:41], v40 offset1:1
	s_add_i32 s7, s4, 0xfffff1a4
	v_fma_f32 v45, -v22, v45, v52
	ds_load_2addr_b32 v[48:49], v48 offset1:1
	ds_load_2addr_b32 v[50:51], v50 offset1:1
	s_waitcnt lgkmcnt(6)
	v_fma_f32 v7, -v30, v27, v7
	v_fma_f32 v27, -v13, v43, v55
	s_add_i32 s10, s4, 0xfffff0cc
	v_fma_f32 v56, -v29, v44, v45
	s_delay_alu instid0(VALU_DEP_3)
	v_fma_f32 v7, -v3, v26, v7
	v_mov_b32_e32 v26, s5
	s_add_i32 s5, s4, 0xfffff1ac
	v_fma_f32 v52, -v12, v42, v27
	v_mov_b32_e32 v42, s7
	s_waitcnt lgkmcnt(4)
	v_fma_f32 v7, -v2, v39, v7
	v_mov_b32_e32 v39, s5
	s_add_i32 s5, s4, 0xfffff0fc
	v_fma_f32 v37, -v19, v37, v52
	v_mov_b32_e32 v54, s5
	v_fma_f32 v7, -v1, v38, v7
	ds_load_2addr_b32 v[26:27], v26 offset1:1
	ds_load_2addr_b32 v[38:39], v39 offset1:1
	;; [unrolled: 1-line block ×3, first 2 shown]
	s_add_i32 s5, s4, 0xfffff150
	s_add_i32 s7, s4, 0xfffff148
	ds_load_2addr_b32 v[54:55], v54 offset1:1
	s_waitcnt lgkmcnt(7)
	v_fma_f32 v7, -v0, v21, v7
	v_mov_b32_e32 v21, s5
	s_add_i32 s5, s4, 0xfffff0f4
	v_fma_f32 v57, -v18, v36, v37
	v_mov_b32_e32 v36, s5
	v_fma_f32 v7, -v11, v20, v7
	ds_load_2addr_b32 v[20:21], v21 offset1:1
	v_mov_b32_e32 v44, s7
	s_add_i32 s5, s4, 0xfffff0ec
	ds_load_2addr_b32 v[36:37], v36 offset1:1
	ds_load_2addr_b32 v[44:45], v44 offset1:1
	s_waitcnt lgkmcnt(9)
	v_fma_f32 v7, -v10, v41, v7
	v_mov_b32_e32 v41, s5
	s_add_i32 s5, s4, 0xfffff140
	s_add_i32 s7, s4, 0xfffff138
	s_waitcnt lgkmcnt(6)
	v_fma_f32 v27, -v17, v27, v57
	v_fma_f32 v59, -v9, v40, v7
	ds_load_2addr_b32 v[52:53], v41 offset1:1
	s_waitcnt lgkmcnt(4)
	v_mul_f32_e32 v41, v35, v55
	v_dual_mov_b32 v55, s5 :: v_dual_mov_b32 v58, s7
	s_add_i32 s5, s4, 0xfffff0e4
	v_fma_f32 v26, -v16, v26, v27
	s_delay_alu instid0(VALU_DEP_3)
	v_fma_f32 v57, v6, s15, -v41
	ds_load_2addr_b32 v[6:7], v55 offset1:1
	ds_load_2addr_b32 v[40:41], v58 offset1:1
	s_waitcnt lgkmcnt(5)
	v_fma_f32 v21, -v8, v21, v59
	v_mov_b32_e32 v55, s5
	s_add_i32 s5, s4, 0xfffff0dc
	v_fma_f32 v54, -v32, v54, v57
	v_fma_f32 v26, -v25, v39, v26
	;; [unrolled: 1-line block ×3, first 2 shown]
	ds_load_2addr_b32 v[20:21], v55 offset1:1
	s_add_i32 s7, s4, 0xfffff0d4
	s_waitcnt lgkmcnt(5)
	v_fma_f32 v37, -v31, v37, v54
	v_fma_f32 v26, -v24, v38, v26
	s_waitcnt lgkmcnt(4)
	v_fma_f32 v27, -v14, v45, v27
	v_mov_b32_e32 v39, s7
	s_add_i32 s7, s4, 0xfffff078
	v_fma_f32 v36, -v30, v36, v37
	v_mov_b32_e32 v37, s5
	v_fma_f32 v27, -v13, v44, v27
	v_mov_b32_e32 v44, s10
	s_add_i32 s5, s3, 0xfffff10c
	s_waitcnt lgkmcnt(3)
	v_fma_f32 v38, -v3, v53, v36
	ds_load_2addr_b32 v[36:37], v37 offset1:1
	s_waitcnt lgkmcnt(3)
	v_fma_f32 v7, -v12, v7, v27
	v_mov_b32_e32 v27, s5
	s_add_i32 s5, s4, 0xfffff130
	v_fma_f32 v52, -v2, v52, v38
	ds_load_2addr_b32 v[38:39], v39 offset1:1
	ds_load_2addr_b32 v[44:45], v44 offset1:1
	v_fma_f32 v47, -v28, v47, v56
	v_fma_f32 v26, -v23, v43, v26
	s_add_i32 s10, s4, 0xfffff068
	s_waitcnt lgkmcnt(3)
	v_fma_f32 v21, -v1, v21, v52
	v_fma_f32 v52, -v19, v6, v7
	ds_load_2addr_b32 v[6:7], v27 offset1:1
	v_fma_f32 v26, -v22, v42, v26
	v_mov_b32_e32 v42, s10
	v_fma_f32 v20, -v0, v20, v21
	v_fma_f32 v21, -v18, v41, v52
	v_mov_b32_e32 v41, s5
	s_add_i32 s5, s4, 0xfffff080
	v_fma_f32 v26, -v29, v49, v26
	s_add_i32 s10, s4, 0xfffff038
	s_waitcnt lgkmcnt(3)
	v_fma_f32 v20, -v11, v37, v20
	v_mov_b32_e32 v37, s5
	s_add_i32 s5, s4, 0xfffff128
	v_fma_f32 v26, -v28, v48, v26
	s_delay_alu instid0(VALU_DEP_3)
	v_fma_f32 v36, -v10, v36, v20
	ds_load_b32 v52, v37
	v_mov_b32_e32 v37, s7
	v_mul_f32_e32 v27, v46, v47
	v_fma_f32 v47, -v17, v40, v21
	s_waitcnt lgkmcnt(3)
	v_fma_f32 v36, -v9, v39, v36
	ds_load_2addr_b32 v[20:21], v41 offset1:1
	s_add_i32 s7, s4, 0xfffff0c4
	s_delay_alu instid0(SALU_CYCLE_1)
	v_dual_mov_b32 v46, s5 :: v_dual_mov_b32 v39, s7
	v_fma_f32 v38, -v8, v38, v36
	ds_load_2addr_b32 v[36:37], v37 offset1:1
	s_add_i32 s7, s4, 0xfffff070
	s_add_i32 s5, s4, 0xfffff120
	v_mov_b32_e32 v40, s7
	s_waitcnt lgkmcnt(4)
	v_fma_f32 v56, -v15, v45, v38
	ds_load_2addr_b32 v[38:39], v39 offset1:1
	ds_load_2addr_b32 v[40:41], v40 offset1:1
	;; [unrolled: 1-line block ×3, first 2 shown]
	v_mov_b32_e32 v53, s5
	s_add_i32 s5, s4, 0xfffff118
	s_waitcnt lgkmcnt(5)
	v_dual_mul_f32 v57, v35, v52 :: v_dual_mov_b32 v54, s5
	s_add_i32 s5, s4, 0xfffff0bc
	v_fma_f32 v44, -v14, v44, v56
	s_add_i32 s7, s4, 0xfffff0ac
	s_delay_alu instid0(VALU_DEP_2)
	v_fma_f32 v5, v5, s15, -v57
	s_waitcnt lgkmcnt(4)
	v_fma_f32 v21, -v16, v21, v47
	v_mov_b32_e32 v47, s5
	s_add_i32 s5, s4, 0xfffff0b4
	v_mov_b32_e32 v58, s7
	s_waitcnt lgkmcnt(3)
	v_fma_f32 v5, -v32, v37, v5
	v_mov_b32_e32 v56, s5
	s_add_i32 s5, s4, 0xfffff060
	ds_load_2addr_b32 v[45:46], v46 offset1:1
	ds_load_2addr_b32 v[52:53], v53 offset1:1
	;; [unrolled: 1-line block ×3, first 2 shown]
	v_mov_b32_e32 v60, s5
	v_fma_f32 v5, -v31, v36, v5
	ds_load_2addr_b32 v[36:37], v47 offset1:1
	ds_load_2addr_b32 v[56:57], v56 offset1:1
	;; [unrolled: 1-line block ×3, first 2 shown]
	s_waitcnt lgkmcnt(8)
	v_fma_f32 v39, -v13, v39, v44
	s_add_i32 s5, s4, 0xffffeffc
	ds_load_2addr_b32 v[60:61], v60 offset1:1
	s_waitcnt lgkmcnt(8)
	v_fma_f32 v5, -v30, v41, v5
	s_add_i32 s7, s4, 0xfffff058
	v_fma_f32 v44, -v25, v20, v21
	v_mov_b32_e32 v20, s5
	s_add_i32 s5, s4, 0xfffff050
	v_fma_f32 v5, -v3, v40, v5
	v_fma_f32 v40, -v12, v38, v39
	v_mov_b32_e32 v38, s7
	ds_load_2addr_b32 v[20:21], v20 offset1:1
	s_add_i32 s7, s4, 0xfffff048
	s_waitcnt lgkmcnt(8)
	v_fma_f32 v5, -v2, v43, v5
	v_mov_b32_e32 v41, s5
	ds_load_2addr_b32 v[38:39], v38 offset1:1
	v_mov_b32_e32 v43, s7
	s_waitcnt lgkmcnt(5)
	v_fma_f32 v37, -v19, v37, v40
	v_fma_f32 v5, -v1, v42, v5
	ds_load_2addr_b32 v[40:41], v41 offset1:1
	ds_load_2addr_b32 v[42:43], v43 offset1:1
	s_add_i32 s5, s4, 0xffffeff4
	s_add_i32 s7, s4, 0xffffefe4
	s_waitcnt lgkmcnt(4)
	v_fma_f32 v5, -v0, v61, v5
	v_mov_b32_e32 v47, s5
	s_add_i32 s5, s4, 0xffffefec
	v_mov_b32_e32 v63, s7
	v_mov_b32_e32 v49, s5
	v_fma_f32 v5, -v11, v60, v5
	ds_load_2addr_b32 v[61:62], v47 offset1:1
	v_fma_f32 v47, -v18, v36, v37
	s_waitcnt lgkmcnt(4)
	v_mul_f32_e32 v21, v35, v21
	v_fma_f32 v44, -v24, v46, v44
	ds_load_2addr_b32 v[36:37], v49 offset1:1
	ds_load_2addr_b32 v[63:64], v63 offset1:1
	s_add_i32 s7, s4, 0xffffefdc
	s_waitcnt lgkmcnt(5)
	v_fma_f32 v5, -v10, v39, v5
	v_fma_f32 v4, v4, s15, -v21
	v_fma_f32 v46, -v17, v57, v47
	v_fma_f32 v21, -v23, v45, v44
	;; [unrolled: 1-line block ×7, first 2 shown]
	v_mul_f32_e32 v26, v50, v26
	s_waitcnt lgkmcnt(4)
	v_fma_f32 v5, -v8, v41, v5
	s_add_i32 s5, s4, 0xfffff0a4
	v_fma_f32 v53, -v29, v52, v20
	s_waitcnt lgkmcnt(2)
	v_fma_f32 v4, -v31, v62, v4
	v_fma_f32 v5, -v15, v40, v5
	v_mov_b32_e32 v20, s7
	s_add_i32 s7, s4, 0xfffff040
	v_mov_b32_e32 v47, s5
	v_fma_f32 v4, -v30, v61, v4
	v_fma_f32 v45, -v14, v43, v5
	v_mov_b32_e32 v43, s10
	s_add_i32 s10, s4, 0xffffefc4
	s_add_i32 s5, s4, 0xfffff09c
	v_mov_b32_e32 v40, s10
	s_add_i32 s10, s4, 0xfffff028
	v_fma_f32 v42, -v13, v42, v45
	v_mov_b32_e32 v48, s10
	v_fma_f32 v21, -v25, v59, v39
	s_add_i32 s10, s4, 0xffffefbc
	v_mov_b32_e32 v49, s5
	s_add_i32 s5, s4, 0xfffff094
	s_delay_alu instid0(VALU_DEP_2)
	v_fma_f32 v56, -v24, v58, v21
	s_waitcnt lgkmcnt(1)
	v_fma_f32 v21, -v3, v37, v4
	ds_load_2addr_b32 v[4:5], v20 offset1:1
	v_mov_b32_e32 v20, s7
	s_add_i32 s7, s4, 0xffffefd4
	v_fma_f32 v36, -v2, v36, v21
	v_mov_b32_e32 v37, s7
	ds_load_2addr_b32 v[20:21], v20 offset1:1
	s_add_i32 s7, s4, 0xffffefcc
	s_waitcnt lgkmcnt(2)
	v_fma_f32 v38, -v1, v64, v36
	ds_load_2addr_b32 v[36:37], v37 offset1:1
	v_mov_b32_e32 v39, s7
	s_add_i32 s7, s4, 0xfffff030
	v_fma_f32 v46, -v0, v63, v38
	ds_load_2addr_b32 v[38:39], v39 offset1:1
	ds_load_2addr_b32 v[40:41], v40 offset1:1
	;; [unrolled: 1-line block ×3, first 2 shown]
	s_waitcnt lgkmcnt(5)
	v_fma_f32 v5, -v11, v5, v46
	v_mov_b32_e32 v46, s7
	s_add_i32 s7, s3, 0xfffff088
	s_delay_alu instid0(SALU_CYCLE_1) | instskip(NEXT) | instid1(VALU_DEP_3)
	v_mov_b32_e32 v51, s7
	v_fma_f32 v50, -v10, v4, v5
	s_waitcnt lgkmcnt(4)
	v_fma_f32 v21, -v12, v21, v42
	ds_load_2addr_b32 v[4:5], v46 offset1:1
	ds_load_2addr_b32 v[45:46], v48 offset1:1
	ds_load_2addr_b32 v[47:48], v47 offset1:1
	v_mov_b32_e32 v42, s5
	s_waitcnt lgkmcnt(6)
	v_fma_f32 v37, -v9, v37, v50
	v_fma_f32 v20, -v19, v20, v21
	s_add_i32 s5, s4, 0xffffefb4
	s_add_i32 s7, s4, 0xffffefac
	s_delay_alu instid0(VALU_DEP_2)
	v_fma_f32 v21, -v8, v36, v37
	v_mov_b32_e32 v36, s10
	s_waitcnt lgkmcnt(3)
	v_fma_f32 v44, -v18, v44, v20
	s_add_i32 s10, s4, 0xffffefa4
	v_fma_f32 v39, -v15, v39, v21
	ds_load_2addr_b32 v[20:21], v36 offset1:1
	ds_load_2addr_b32 v[36:37], v49 offset1:1
	;; [unrolled: 1-line block ×4, first 2 shown]
	v_fma_f32 v42, -v17, v43, v44
	v_mov_b32_e32 v44, s10
	s_add_i32 s10, s4, 0xffffef9c
	v_fma_f32 v38, -v14, v38, v39
	v_mov_b32_e32 v39, s5
	s_waitcnt lgkmcnt(6)
	v_fma_f32 v5, -v16, v5, v42
	s_waitcnt lgkmcnt(4)
	v_fma_f32 v43, -v23, v48, v56
	v_mov_b32_e32 v42, s7
	v_fma_f32 v41, -v13, v41, v38
	ds_load_2addr_b32 v[38:39], v39 offset1:1
	s_add_i32 s5, s4, 0xfffff020
	v_fma_f32 v56, -v25, v4, v5
	v_mov_b32_e32 v57, s5
	v_fma_f32 v48, -v12, v40, v41
	ds_load_2addr_b32 v[4:5], v42 offset1:1
	ds_load_2addr_b32 v[40:41], v44 offset1:1
	v_fma_f32 v47, -v22, v47, v43
	s_add_i32 s5, s4, 0xfffff018
	ds_load_2addr_b32 v[42:43], v57 offset1:1
	s_waitcnt lgkmcnt(7)
	v_fma_f32 v21, -v19, v21, v48
	v_fma_f32 v44, -v28, v55, v53
	;; [unrolled: 1-line block ×3, first 2 shown]
	s_waitcnt lgkmcnt(6)
	v_fma_f32 v53, -v29, v37, v47
	s_add_i32 s7, s3, 0xfffff004
	v_fma_f32 v20, -v18, v20, v21
	v_mov_b32_e32 v21, s5
	s_add_i32 s5, s4, 0xfffff010
	v_fma_f32 v48, -v27, v54, v44
	v_fma_f32 v54, -v23, v45, v46
	v_mov_b32_e32 v46, s7
	s_waitcnt lgkmcnt(3)
	v_fma_f32 v20, -v17, v39, v20
	v_mov_b32_e32 v39, s5
	s_add_i32 s5, s4, 0xffffef94
	s_addk_i32 s4, 0xef8c
	v_fma_f32 v7, -v26, v7, v48
	v_fma_f32 v37, -v16, v38, v20
	ds_load_2addr_b32 v[20:21], v21 offset1:1
	v_mov_b32_e32 v38, s10
	v_fma_f32 v36, -v28, v36, v53
	s_addk_i32 s3, 0xef80
	s_waitcnt lgkmcnt(3)
	v_fma_f32 v5, -v25, v5, v37
	ds_load_2addr_b32 v[37:38], v38 offset1:1
	ds_load_2addr_b32 v[44:45], v39 offset1:1
	;; [unrolled: 1-line block ×3, first 2 shown]
	s_waitcnt lgkmcnt(4)
	v_fma_f32 v39, -v22, v43, v54
	v_mov_b32_e32 v43, s3
	v_fma_f32 v4, -v24, v4, v5
	v_mov_b32_e32 v5, s5
	v_fma_f32 v36, -v27, v50, v36
	v_fma_f32 v39, -v29, v42, v39
	v_mov_b32_e32 v42, s4
	v_fma_f32 v41, -v23, v41, v4
	ds_load_2addr_b32 v[4:5], v5 offset1:1
	v_mul_f32_e32 v6, v6, v7
	v_fma_f32 v7, -v26, v49, v36
	s_ashr_i32 s3, s2, 31
	v_fma_f32 v48, -v22, v40, v41
	s_waitcnt lgkmcnt(4)
	v_fma_f32 v21, -v28, v21, v39
	ds_load_2addr_b32 v[39:40], v42 offset1:1
	ds_load_2addr_b32 v[41:42], v43 offset1:1
	v_fma_f32 v7, -v6, v52, v7
	s_lshl_b64 s[4:5], s[2:3], 2
	s_waitcnt lgkmcnt(5)
	v_fma_f32 v38, -v29, v38, v48
	v_fma_f32 v20, -v27, v20, v21
	global_store_b32 v[33:34], v35, off
	v_fma_f32 v21, -v28, v37, v38
	s_waitcnt lgkmcnt(4)
	v_fma_f32 v20, -v26, v45, v20
	s_waitcnt lgkmcnt(2)
	s_delay_alu instid0(VALU_DEP_2) | instskip(SKIP_1) | instid1(VALU_DEP_3)
	v_fma_f32 v21, -v27, v5, v21
	v_mul_f32_e32 v5, v51, v7
	v_fma_f32 v7, -v6, v44, v20
	s_delay_alu instid0(VALU_DEP_3) | instskip(NEXT) | instid1(VALU_DEP_2)
	v_fma_f32 v4, -v26, v4, v21
	v_fma_f32 v7, -v5, v47, v7
	s_waitcnt lgkmcnt(1)
	s_delay_alu instid0(VALU_DEP_2) | instskip(NEXT) | instid1(VALU_DEP_2)
	v_fma_f32 v20, -v6, v40, v4
	v_mul_f32_e32 v4, v46, v7
	s_delay_alu instid0(VALU_DEP_2) | instskip(SKIP_3) | instid1(VALU_DEP_3)
	v_fma_f32 v7, -v5, v39, v20
	v_add_co_u32 v20, vcc_lo, v67, s4
	v_add_co_ci_u32_e32 v21, vcc_lo, s5, v68, vcc_lo
	s_waitcnt lgkmcnt(0)
	v_fma_f32 v7, -v4, v42, v7
	s_clause 0x3
	global_store_b96 v[20:21], v[30:32], off offset:-16
	global_store_b128 v[20:21], v[0:3], off offset:-32
	global_store_b128 v[20:21], v[8:11], off offset:-48
	global_store_b128 v[20:21], v[12:15], off offset:-64
	s_sub_i32 s4, s2, 33
	v_mul_f32_e32 v3, v41, v7
	s_clause 0x3
	global_store_b128 v[20:21], v[16:19], off offset:-80
	global_store_b128 v[20:21], v[22:25], off offset:-96
	;; [unrolled: 1-line block ×4, first 2 shown]
.LBB39_14:
	s_cmp_gt_i32 s4, -1
	s_cbranch_scc0 .LBB39_37
; %bb.15:
	s_cmp_lt_u32 s4, 27
	s_cbranch_scc1 .LBB39_20
; %bb.16:
	s_mov_b32 s5, 0
	s_delay_alu instid0(SALU_CYCLE_1)
	s_lshl_b64 s[10:11], s[4:5], 2
	s_cmp_le_i32 s12, s4
	v_add_co_u32 v19, vcc_lo, v67, s10
	v_add_co_ci_u32_e32 v20, vcc_lo, s11, v68, vcc_lo
	s_clause 0x6
	global_load_b128 v[0:3], v[19:20], off offset:-12
	global_load_b128 v[4:7], v[19:20], off offset:-28
	;; [unrolled: 1-line block ×7, first 2 shown]
	s_waitcnt vmcnt(6)
	v_dual_mul_f32 v23, s15, v3 :: v_dual_mul_f32 v18, s15, v1
	s_waitcnt vmcnt(5)
	v_dual_mul_f32 v31, s15, v2 :: v_dual_mul_f32 v16, s15, v7
	v_dual_mul_f32 v17, s15, v0 :: v_dual_mul_f32 v30, s15, v6
	;; [unrolled: 1-line block ×3, first 2 shown]
	s_waitcnt vmcnt(4)
	v_dual_mul_f32 v29, s15, v11 :: v_dual_mul_f32 v28, s15, v10
	v_dual_mul_f32 v7, s15, v9 :: v_dual_mul_f32 v6, s15, v8
	s_waitcnt vmcnt(3)
	v_dual_mul_f32 v5, s15, v15 :: v_dual_mul_f32 v4, s15, v13
	v_dual_mul_f32 v11, s15, v14 :: v_dual_mul_f32 v10, s15, v12
	s_waitcnt vmcnt(2)
	v_dual_mul_f32 v27, s15, v27 :: v_dual_mul_f32 v8, s15, v25
	s_waitcnt vmcnt(1)
	v_dual_mul_f32 v9, s15, v26 :: v_dual_mul_f32 v14, s15, v35
	v_dual_mul_f32 v15, s15, v24 :: v_dual_mul_f32 v12, s15, v33
	;; [unrolled: 1-line block ×3, first 2 shown]
	s_waitcnt vmcnt(0)
	v_dual_mul_f32 v25, s15, v39 :: v_dual_mul_f32 v24, s15, v38
	v_dual_mul_f32 v22, s15, v37 :: v_dual_mul_f32 v21, s15, v36
	s_cbranch_scc1 .LBB39_19
; %bb.17:
	s_lshl_b32 s3, s4, 7
	s_lshl_b32 s5, s2, 2
	s_ashr_i32 s13, s12, 31
	s_add_i32 s3, s3, s5
	s_lshl_b64 s[10:11], s[12:13], 2
	s_addk_i32 s3, 0xf27c
	s_add_u32 s5, s8, s10
	s_addc_u32 s7, s9, s11
	s_add_u32 s5, s5, s0
	s_addc_u32 s7, s7, s1
	v_add_co_u32 v0, vcc_lo, s5, v69
	v_add_co_ci_u32_e32 v1, vcc_lo, s7, v70, vcc_lo
	s_mov_b32 s5, s12
.LBB39_18:                              ; =>This Inner Loop Header: Depth=1
	global_load_b32 v60, v[0:1], off
	v_add_nc_u32_e64 v34, 0xc00, s3
	v_add_nc_u32_e64 v42, 0x800, s3
	v_mov_b32_e32 v58, s3
	v_add_nc_u32_e64 v50, 0x400, s3
	ds_load_2addr_b32 v[32:33], v34 offset0:64 offset1:96
	ds_load_2addr_b32 v[34:35], v34 offset1:32
	ds_load_2addr_b32 v[36:37], v42 offset0:192 offset1:224
	ds_load_2addr_b32 v[38:39], v42 offset0:128 offset1:160
	ds_load_2addr_b32 v[40:41], v42 offset0:64 offset1:96
	ds_load_2addr_b32 v[42:43], v42 offset1:32
	ds_load_2addr_b32 v[44:45], v50 offset0:192 offset1:224
	ds_load_2addr_b32 v[46:47], v50 offset0:128 offset1:160
	;; [unrolled: 4-line block ×3, first 2 shown]
	ds_load_2addr_b32 v[56:57], v58 offset0:64 offset1:96
	ds_load_2addr_b32 v[58:59], v58 offset1:32
	v_add_co_u32 v0, vcc_lo, v0, -4
	v_add_co_ci_u32_e32 v1, vcc_lo, -1, v1, vcc_lo
	s_add_i32 s5, s5, -1
	s_add_i32 s3, s3, -4
	s_cmp_gt_i32 s5, s4
	s_waitcnt vmcnt(0) lgkmcnt(13)
	v_fma_f32 v23, -v60, v33, v23
	v_fma_f32 v31, -v60, v32, v31
	s_waitcnt lgkmcnt(12)
	v_fma_f32 v18, -v60, v35, v18
	v_fma_f32 v17, -v60, v34, v17
	s_waitcnt lgkmcnt(11)
	;; [unrolled: 3-line block ×13, first 2 shown]
	v_fma_f32 v22, -v60, v59, v22
	v_fma_f32 v21, -v60, v58, v21
	s_cbranch_scc1 .LBB39_18
.LBB39_19:
	s_lshl_b32 s5, s4, 5
	s_mul_i32 s3, s4, 0x84
	s_add_i32 s5, s5, s4
	s_add_i32 s7, s3, 0xffffff7c
	s_delay_alu instid0(SALU_CYCLE_1)
	v_dual_mov_b32 v0, s3 :: v_dual_mov_b32 v1, s7
	s_lshl_b32 s5, s5, 2
	s_add_i32 s10, s3, 0xfffffef8
	s_add_i32 s7, s5, 0xffffff00
	ds_load_b32 v36, v0
	v_mov_b32_e32 v32, s7
	s_add_i32 s7, s5, 0xfffffe7c
	s_add_i32 s11, s5, 0xfffff964
	v_mov_b32_e32 v33, s7
	s_add_i32 s7, s3, 0xfffffe74
	ds_load_b32 v40, v32
	ds_load_2addr_b32 v[0:1], v1 offset1:1
	v_dual_mov_b32 v34, s10 :: v_dual_mov_b32 v37, s7
	ds_load_2addr_b32 v[32:33], v33 offset1:1
	ds_load_2addr_b32 v[34:35], v34 offset1:1
	s_add_i32 s10, s3, 0xfffffdf0
	s_add_i32 s7, s5, 0xfffffe00
	s_delay_alu instid0(SALU_CYCLE_1)
	v_dual_mov_b32 v41, s10 :: v_dual_mov_b32 v38, s7
	s_add_i32 s10, s5, 0xfffffdf8
	s_add_i32 s7, s5, 0xfffffd7c
	;; [unrolled: 1-line block ×3, first 2 shown]
	s_waitcnt lgkmcnt(4)
	v_mul_f32_e32 v23, v36, v23
	ds_load_2addr_b32 v[36:37], v37 offset1:1
	ds_load_b32 v44, v38
	s_waitcnt lgkmcnt(5)
	v_fma_f32 v42, -v23, v40, v18
	s_waitcnt lgkmcnt(4)
	v_fma_f32 v1, -v23, v1, v31
	v_mov_b32_e32 v39, s10
	v_mov_b32_e32 v31, s7
	s_add_i32 s10, s5, 0xfffffcfc
	s_waitcnt lgkmcnt(3)
	v_fma_f32 v17, -v23, v33, v17
	v_mul_f32_e32 v18, v0, v1
	ds_load_2addr_b32 v[38:39], v39 offset1:1
	ds_load_2addr_b32 v[0:1], v41 offset1:1
	;; [unrolled: 1-line block ×3, first 2 shown]
	v_mov_b32_e32 v43, s10
	s_add_i32 s7, s3, 0xfffffd6c
	s_waitcnt lgkmcnt(5)
	v_fma_f32 v31, -v18, v35, v42
	s_add_i32 s10, s5, 0xfffffd74
	v_fma_f32 v32, -v18, v32, v17
	ds_load_2addr_b32 v[42:43], v43 offset1:1
	v_mov_b32_e32 v33, s7
	v_mul_f32_e32 v17, v34, v31
	v_mov_b32_e32 v31, s10
	s_add_i32 s7, s5, 0xfffffcf4
	s_waitcnt lgkmcnt(4)
	v_fma_f32 v16, -v23, v44, v16
	ds_load_2addr_b32 v[33:34], v33 offset1:1
	v_fma_f32 v35, -v17, v37, v32
	ds_load_2addr_b32 v[31:32], v31 offset1:1
	v_mov_b32_e32 v37, s7
	s_add_i32 s7, s5, 0xfffffcec
	s_add_i32 s10, s5, 0xfffffc68
	s_waitcnt lgkmcnt(5)
	v_fma_f32 v39, -v18, v39, v16
	v_mul_f32_e32 v16, v36, v35
	ds_load_2addr_b32 v[35:36], v37 offset1:1
	v_mov_b32_e32 v37, s7
	s_add_i32 s7, s5, 0xfffffc80
	s_waitcnt lgkmcnt(4)
	v_fma_f32 v30, -v23, v41, v30
	v_mov_b32_e32 v41, s7
	s_add_i32 s7, s5, 0xfffffc78
	v_fma_f32 v39, -v17, v38, v39
	ds_load_2addr_b32 v[37:38], v37 offset1:1
	v_fma_f32 v30, -v18, v40, v30
	ds_load_b32 v41, v41
	v_mov_b32_e32 v40, s7
	s_waitcnt lgkmcnt(5)
	v_fma_f32 v3, -v23, v43, v3
	v_fma_f32 v1, -v16, v1, v39
	s_waitcnt lgkmcnt(3)
	v_fma_f32 v30, -v17, v32, v30
	s_add_i32 s7, s5, 0xfffffc70
	ds_load_2addr_b32 v[39:40], v40 offset1:1
	v_fma_f32 v32, -v18, v42, v3
	v_mul_f32_e32 v3, v0, v1
	v_fma_f32 v0, -v16, v31, v30
	v_dual_mov_b32 v30, s7 :: v_dual_mov_b32 v31, s10
	s_waitcnt lgkmcnt(3)
	v_fma_f32 v1, -v17, v36, v32
	s_add_i32 s10, s3, 0xfffffce8
	v_fma_f32 v32, -v3, v34, v0
	s_add_i32 s7, s5, 0xfffffbfc
	s_delay_alu instid0(VALU_DEP_2)
	v_fma_f32 v36, -v16, v35, v1
	ds_load_2addr_b32 v[0:1], v30 offset1:1
	ds_load_2addr_b32 v[30:31], v31 offset1:1
	v_mov_b32_e32 v34, s7
	s_waitcnt lgkmcnt(3)
	v_fma_f32 v2, -v23, v41, v2
	v_mov_b32_e32 v41, s10
	v_fma_f32 v36, -v3, v38, v36
	s_add_i32 s7, s5, 0xfffffbf4
	ds_load_2addr_b32 v[34:35], v34 offset1:1
	v_mov_b32_e32 v42, s7
	s_waitcnt lgkmcnt(3)
	v_fma_f32 v40, -v18, v40, v2
	ds_load_b32 v43, v41
	v_mul_f32_e32 v2, v33, v32
	s_add_i32 s7, s5, 0xfffffb80
	s_add_i32 s10, s5, 0xfffffbec
	v_fma_f32 v38, -v17, v39, v40
	ds_load_2addr_b32 v[32:33], v42 offset1:1
	v_fma_f32 v45, -v2, v37, v36
	v_mov_b32_e32 v40, s10
	s_add_i32 s10, s5, 0xfffffbe4
	s_waitcnt lgkmcnt(4)
	v_fma_f32 v46, -v16, v1, v38
	v_mov_b32_e32 v42, s10
	s_add_i32 s10, s5, 0xfffffae4
	s_delay_alu instid0(VALU_DEP_2) | instskip(SKIP_2) | instid1(VALU_DEP_2)
	v_fma_f32 v0, -v3, v0, v46
	s_waitcnt lgkmcnt(1)
	v_mul_f32_e32 v1, v43, v45
	v_fma_f32 v0, -v2, v31, v0
	s_delay_alu instid0(VALU_DEP_1) | instskip(SKIP_2) | instid1(SALU_CYCLE_1)
	v_fma_f32 v0, -v1, v30, v0
	v_mov_b32_e32 v39, s7
	s_add_i32 s7, s5, 0xfffffb78
	v_mov_b32_e32 v41, s7
	s_add_i32 s7, s5, 0xfffffb70
	ds_load_b32 v44, v39
	ds_load_2addr_b32 v[36:37], v41 offset1:1
	ds_load_2addr_b32 v[38:39], v40 offset1:1
	;; [unrolled: 1-line block ×3, first 2 shown]
	v_fma_f32 v29, -v23, v35, v29
	v_mov_b32_e32 v35, s7
	s_add_i32 s7, s5, 0xfffffb68
	s_delay_alu instid0(SALU_CYCLE_1) | instskip(NEXT) | instid1(VALU_DEP_3)
	v_mov_b32_e32 v42, s7
	v_fma_f32 v29, -v18, v34, v29
	ds_load_2addr_b32 v[34:35], v35 offset1:1
	s_add_i32 s7, s3, 0xfffffc64
	s_delay_alu instid0(SALU_CYCLE_1)
	v_mov_b32_e32 v31, s7
	s_waitcnt lgkmcnt(5)
	v_fma_f32 v29, -v17, v33, v29
	s_add_i32 s7, s5, 0xfffffafc
	ds_load_2addr_b32 v[42:43], v42 offset1:1
	v_mov_b32_e32 v30, s7
	s_add_i32 s7, s3, 0xfffffbe0
	v_fma_f32 v29, -v16, v32, v29
	s_waitcnt lgkmcnt(5)
	v_fma_f32 v28, -v23, v44, v28
	v_mov_b32_e32 v33, s7
	s_add_i32 s7, s5, 0xfffffb60
	s_waitcnt lgkmcnt(3)
	v_fma_f32 v32, -v3, v39, v29
	v_fma_f32 v28, -v18, v37, v28
	ds_load_b32 v37, v31
	v_mov_b32_e32 v39, s10
	s_add_i32 s10, s5, 0xfffffa74
	v_fma_f32 v31, -v17, v36, v28
	ds_load_2addr_b32 v[28:29], v30 offset1:1
	s_waitcnt lgkmcnt(3)
	v_fma_f32 v30, -v16, v35, v31
	v_mov_b32_e32 v31, s7
	s_add_i32 s7, s5, 0xfffffaf4
	v_fma_f32 v35, -v2, v38, v32
	v_mov_b32_e32 v32, s7
	ds_load_b32 v38, v33
	v_fma_f32 v34, -v3, v34, v30
	ds_load_2addr_b32 v[30:31], v31 offset1:1
	s_add_i32 s7, s5, 0xfffffaec
	ds_load_2addr_b32 v[32:33], v32 offset1:1
	v_mov_b32_e32 v36, s7
	s_waitcnt lgkmcnt(4)
	v_mul_f32_e32 v0, v37, v0
	v_fma_f32 v41, -v1, v41, v35
	s_add_i32 s7, s5, 0xfffffa7c
	v_fma_f32 v43, -v2, v43, v34
	ds_load_2addr_b32 v[34:35], v36 offset1:1
	ds_load_2addr_b32 v[36:37], v39 offset1:1
	s_waitcnt lgkmcnt(5)
	v_fma_f32 v7, -v23, v29, v7
	v_fma_f32 v29, -v0, v40, v41
	v_mov_b32_e32 v39, s7
	v_fma_f32 v40, -v1, v42, v43
	s_add_i32 s7, s3, 0xfffffb5c
	v_fma_f32 v41, -v18, v28, v7
	s_waitcnt lgkmcnt(4)
	v_mul_f32_e32 v7, v38, v29
	ds_load_2addr_b32 v[28:29], v39 offset1:1
	s_waitcnt lgkmcnt(4)
	v_fma_f32 v44, -v0, v31, v40
	v_mov_b32_e32 v38, s10
	s_waitcnt lgkmcnt(3)
	v_fma_f32 v31, -v17, v33, v41
	v_mov_b32_e32 v33, s7
	s_add_i32 s7, s5, 0xfffffadc
	s_add_i32 s10, s5, 0xfffffa64
	v_mov_b32_e32 v40, s7
	v_fma_f32 v39, -v16, v32, v31
	ds_load_2addr_b32 v[31:32], v38 offset1:1
	s_add_i32 s7, s5, 0xfffffa6c
	s_delay_alu instid0(SALU_CYCLE_1)
	v_dual_mov_b32 v42, s10 :: v_dual_mov_b32 v41, s7
	ds_load_b32 v33, v33
	s_waitcnt lgkmcnt(4)
	v_fma_f32 v35, -v3, v35, v39
	ds_load_2addr_b32 v[38:39], v40 offset1:1
	ds_load_2addr_b32 v[40:41], v41 offset1:1
	;; [unrolled: 1-line block ×3, first 2 shown]
	s_add_i32 s7, s5, 0xfffffa00
	s_add_i32 s10, s3, 0xfffffad8
	s_waitcnt lgkmcnt(5)
	v_fma_f32 v6, -v23, v29, v6
	v_fma_f32 v29, -v7, v30, v44
	v_fma_f32 v30, -v2, v34, v35
	v_mov_b32_e32 v34, s10
	s_add_i32 s10, s3, 0xfffffa54
	v_fma_f32 v6, -v18, v28, v6
	v_mov_b32_e32 v28, s7
	v_fma_f32 v30, -v1, v37, v30
	s_add_i32 s7, s5, 0xfffff9f8
	v_mov_b32_e32 v35, s10
	s_waitcnt lgkmcnt(4)
	v_fma_f32 v6, -v17, v32, v6
	ds_load_b32 v32, v28
	v_fma_f32 v28, -v0, v36, v30
	v_mov_b32_e32 v30, s7
	s_add_i32 s7, s5, 0xfffffa5c
	v_fma_f32 v31, -v16, v31, v6
	s_waitcnt lgkmcnt(4)
	v_mul_f32_e32 v6, v33, v29
	s_waitcnt lgkmcnt(3)
	v_fma_f32 v33, -v7, v39, v28
	ds_load_2addr_b32 v[28:29], v30 offset1:1
	s_add_i32 s10, s5, 0xfffff9d8
	s_waitcnt lgkmcnt(3)
	v_fma_f32 v30, -v3, v41, v31
	v_mov_b32_e32 v31, s7
	v_fma_f32 v37, -v6, v38, v33
	s_add_i32 s7, s5, 0xfffff9f0
	ds_load_b32 v36, v34
	v_fma_f32 v33, -v2, v40, v30
	v_mov_b32_e32 v34, s7
	s_add_i32 s7, s5, 0xfffff9e8
	s_delay_alu instid0(SALU_CYCLE_1)
	v_mov_b32_e32 v40, s7
	s_waitcnt lgkmcnt(3)
	v_fma_f32 v38, -v1, v43, v33
	s_waitcnt lgkmcnt(2)
	v_fma_f32 v39, -v23, v32, v5
	ds_load_2addr_b32 v[32:33], v34 offset1:1
	s_add_i32 s7, s5, 0xfffff97c
	v_fma_f32 v41, -v0, v42, v38
	v_mov_b32_e32 v42, s10
	ds_load_2addr_b32 v[30:31], v31 offset1:1
	s_waitcnt lgkmcnt(3)
	v_fma_f32 v29, -v18, v29, v39
	v_mov_b32_e32 v38, s7
	s_add_i32 s7, s5, 0xfffff9e0
	s_add_i32 s10, s5, 0xfffff96c
	s_delay_alu instid0(VALU_DEP_2)
	v_fma_f32 v43, -v17, v28, v29
	ds_load_2addr_b32 v[38:39], v38 offset1:1
	ds_load_2addr_b32 v[34:35], v35 offset1:1
	s_waitcnt lgkmcnt(4)
	v_mul_f32_e32 v5, v36, v37
	ds_load_2addr_b32 v[36:37], v40 offset1:1
	v_mov_b32_e32 v40, s7
	s_add_i32 s7, s5, 0xfffff974
	v_mov_b32_e32 v45, s10
	s_add_i32 s10, s5, 0xfffff8f0
	s_waitcnt lgkmcnt(3)
	v_fma_f32 v44, -v7, v31, v41
	v_fma_f32 v31, -v16, v33, v43
	v_mov_b32_e32 v33, s7
	ds_load_2addr_b32 v[28:29], v40 offset1:1
	ds_load_2addr_b32 v[40:41], v42 offset1:1
	s_add_i32 s7, s5, 0xfffff900
	v_fma_f32 v30, -v6, v30, v44
	v_fma_f32 v43, -v3, v32, v31
	ds_load_2addr_b32 v[31:32], v33 offset1:1
	v_mov_b32_e32 v42, s7
	s_add_i32 s7, s5, 0xfffff8f8
	s_waitcnt lgkmcnt(5)
	v_fma_f32 v11, -v23, v39, v11
	s_waitcnt lgkmcnt(3)
	v_fma_f32 v37, -v2, v37, v43
	v_mov_b32_e32 v39, s11
	ds_load_b32 v46, v42
	v_mov_b32_e32 v33, s7
	ds_load_2addr_b32 v[42:43], v45 offset1:1
	v_fma_f32 v11, -v18, v38, v11
	v_fma_f32 v48, -v1, v36, v37
	s_add_i32 s7, s3, 0xfffff9d0
	ds_load_2addr_b32 v[44:45], v33 offset1:1
	v_mov_b32_e32 v33, s10
	s_add_i32 s10, s5, 0xfffff8e8
	s_add_i32 s11, s5, 0xfffff864
	v_mov_b32_e32 v38, s10
	s_add_i32 s10, s3, 0xfffff94c
	ds_load_2addr_b32 v[36:37], v33 offset1:1
	s_waitcnt lgkmcnt(4)
	v_fma_f32 v11, -v17, v32, v11
	ds_load_2addr_b32 v[32:33], v38 offset1:1
	ds_load_2addr_b32 v[38:39], v39 offset1:1
	v_fma_f32 v11, -v16, v31, v11
	s_waitcnt lgkmcnt(5)
	v_fma_f32 v4, -v23, v46, v4
	v_fma_f32 v31, -v5, v35, v30
	;; [unrolled: 1-line block ×3, first 2 shown]
	s_waitcnt lgkmcnt(4)
	v_fma_f32 v11, -v3, v43, v11
	s_waitcnt lgkmcnt(3)
	v_fma_f32 v4, -v18, v45, v4
	v_fma_f32 v28, -v7, v28, v35
	s_delay_alu instid0(VALU_DEP_3) | instskip(NEXT) | instid1(VALU_DEP_3)
	v_fma_f32 v11, -v2, v42, v11
	v_fma_f32 v4, -v17, v44, v4
	v_mov_b32_e32 v44, s10
	s_add_i32 s10, s5, 0xfffff86c
	v_fma_f32 v28, -v6, v41, v28
	s_waitcnt lgkmcnt(0)
	v_fma_f32 v11, -v1, v39, v11
	v_mov_b32_e32 v39, s10
	s_add_i32 s10, s3, 0xfffff8c8
	s_delay_alu instid0(SALU_CYCLE_1)
	v_dual_mov_b32 v47, s7 :: v_dual_mov_b32 v54, s10
	s_add_i32 s7, s5, 0xfffff95c
	v_fma_f32 v37, -v16, v37, v4
	v_mov_b32_e32 v29, s7
	s_add_i32 s7, s5, 0xfffff954
	ds_load_2addr_b32 v[46:47], v47 offset1:1
	v_mov_b32_e32 v43, s7
	ds_load_2addr_b32 v[29:30], v29 offset1:1
	ds_load_2addr_b32 v[42:43], v43 offset1:1
	;; [unrolled: 1-line block ×3, first 2 shown]
	s_add_i32 s7, s5, 0xfffff87c
	v_mul_f32_e32 v4, v34, v31
	v_fma_f32 v31, -v3, v36, v37
	v_mov_b32_e32 v34, s7
	s_add_i32 s7, s5, 0xfffff8e0
	s_add_i32 s10, s5, 0xfffff7f0
	v_mov_b32_e32 v35, s7
	v_fma_f32 v31, -v2, v33, v31
	ds_load_2addr_b32 v[33:34], v34 offset1:1
	s_add_i32 s7, s5, 0xfffff8d8
	v_fma_f32 v11, -v0, v38, v11
	ds_load_2addr_b32 v[35:36], v35 offset1:1
	v_mov_b32_e32 v37, s7
	s_add_i32 s7, s5, 0xfffff874
	v_fma_f32 v32, -v1, v32, v31
	v_dual_mov_b32 v38, s7 :: v_dual_mov_b32 v41, s11
	s_waitcnt lgkmcnt(4)
	v_fma_f32 v11, -v7, v30, v11
	ds_load_2addr_b32 v[30:31], v37 offset1:1
	s_add_i32 s7, s5, 0xfffff8d0
	ds_load_2addr_b32 v[37:38], v38 offset1:1
	ds_load_2addr_b32 v[48:49], v39 offset1:1
	;; [unrolled: 1-line block ×3, first 2 shown]
	v_fma_f32 v11, -v6, v29, v11
	v_mov_b32_e32 v52, s7
	v_fma_f32 v28, -v5, v40, v28
	ds_load_2addr_b32 v[52:53], v52 offset1:1
	ds_load_2addr_b32 v[54:55], v54 offset1:1
	s_waitcnt lgkmcnt(7)
	v_fma_f32 v10, -v23, v34, v10
	s_add_i32 s7, s5, 0xfffff800
	s_waitcnt lgkmcnt(6)
	v_fma_f32 v32, -v0, v36, v32
	v_fma_f32 v28, -v4, v47, v28
	s_add_i32 s11, s5, 0xfffff700
	v_fma_f32 v10, -v18, v33, v10
	s_delay_alu instid0(VALU_DEP_3)
	v_fma_f32 v29, -v7, v35, v32
	v_fma_f32 v32, -v5, v43, v11
	v_mul_f32_e32 v11, v46, v28
	s_waitcnt lgkmcnt(4)
	v_fma_f32 v10, -v17, v38, v10
	v_fma_f32 v29, -v6, v31, v29
	;; [unrolled: 1-line block ×3, first 2 shown]
	s_delay_alu instid0(VALU_DEP_3) | instskip(NEXT) | instid1(VALU_DEP_3)
	v_fma_f32 v10, -v16, v37, v10
	v_fma_f32 v29, -v5, v30, v29
	v_mov_b32_e32 v30, s7
	s_add_i32 s7, s5, 0xfffff7f8
	v_fma_f32 v28, -v11, v45, v28
	s_waitcnt lgkmcnt(3)
	v_fma_f32 v10, -v3, v49, v10
	v_mov_b32_e32 v31, s7
	ds_load_b32 v36, v30
	s_add_i32 s7, s5, 0xfffff85c
	v_fma_f32 v32, -v2, v48, v10
	v_mul_f32_e32 v10, v44, v28
	s_waitcnt lgkmcnt(3)
	s_delay_alu instid0(VALU_DEP_2) | instskip(SKIP_2) | instid1(SALU_CYCLE_1)
	v_fma_f32 v34, -v1, v51, v32
	v_mov_b32_e32 v32, s10
	s_add_i32 s10, s5, 0xfffff854
	v_mov_b32_e32 v37, s10
	s_add_i32 s10, s5, 0xfffff84c
	ds_load_2addr_b32 v[32:33], v32 offset1:1
	s_waitcnt lgkmcnt(3)
	v_fma_f32 v30, -v4, v53, v29
	ds_load_2addr_b32 v[28:29], v31 offset1:1
	v_fma_f32 v42, -v0, v50, v34
	v_fma_f32 v44, -v11, v52, v30
	v_mov_b32_e32 v30, s7
	s_waitcnt lgkmcnt(2)
	v_fma_f32 v27, -v23, v36, v27
	ds_load_2addr_b32 v[36:37], v37 offset1:1
	s_add_i32 s7, s5, 0xfffff7e8
	v_fma_f32 v44, -v10, v55, v44
	ds_load_2addr_b32 v[30:31], v30 offset1:1
	v_mov_b32_e32 v35, s7
	s_add_i32 s7, s5, 0xfffff77c
	s_delay_alu instid0(SALU_CYCLE_1)
	v_mov_b32_e32 v38, s7
	s_add_i32 s7, s3, 0xfffff844
	ds_load_2addr_b32 v[34:35], v35 offset1:1
	v_mov_b32_e32 v40, s7
	s_add_i32 s7, s5, 0xfffff774
	ds_load_2addr_b32 v[38:39], v38 offset1:1
	s_waitcnt lgkmcnt(4)
	v_fma_f32 v27, -v18, v29, v27
	v_mov_b32_e32 v29, s10
	s_add_i32 s10, s5, 0xfffff7c8
	s_delay_alu instid0(SALU_CYCLE_1) | instskip(NEXT) | instid1(VALU_DEP_3)
	v_mov_b32_e32 v46, s10
	v_fma_f32 v43, -v17, v28, v27
	ds_load_2addr_b32 v[27:28], v29 offset1:1
	ds_load_2addr_b32 v[40:41], v40 offset1:1
	v_mov_b32_e32 v29, s7
	s_add_i32 s7, s3, 0xfffff7c0
	s_add_i32 s10, s5, 0xfffff764
	s_waitcnt lgkmcnt(4)
	v_fma_f32 v31, -v7, v31, v42
	v_fma_f32 v33, -v16, v33, v43
	ds_load_2addr_b32 v[42:43], v29 offset1:1
	v_mov_b32_e32 v45, s7
	s_add_i32 s7, s5, 0xfffff76c
	v_fma_f32 v31, -v6, v30, v31
	v_fma_f32 v32, -v3, v32, v33
	v_mov_b32_e32 v33, s7
	s_add_i32 s7, s5, 0xfffff7e0
	v_mov_b32_e32 v50, s10
	v_fma_f32 v37, -v5, v37, v31
	s_waitcnt lgkmcnt(4)
	v_fma_f32 v35, -v2, v35, v32
	ds_load_2addr_b32 v[31:32], v33 offset1:1
	s_waitcnt lgkmcnt(4)
	v_fma_f32 v33, -v23, v39, v9
	v_mov_b32_e32 v39, s7
	v_fma_f32 v52, -v4, v36, v37
	ds_load_2addr_b32 v[29:30], v45 offset1:1
	v_fma_f32 v48, -v1, v34, v35
	v_fma_f32 v36, -v18, v38, v33
	ds_load_2addr_b32 v[33:34], v39 offset1:1
	s_add_i32 s7, s5, 0xfffff7d8
	v_mul_f32_e32 v9, v54, v44
	v_mov_b32_e32 v39, s7
	s_waitcnt lgkmcnt(3)
	v_fma_f32 v35, -v17, v43, v36
	s_add_i32 s7, s5, 0xfffff7d0
	s_add_i32 s10, s5, 0xfffff75c
	v_mov_b32_e32 v44, s7
	s_add_i32 s7, s5, 0xfffff744
	v_fma_f32 v49, -v16, v42, v35
	v_mov_b32_e32 v35, s7
	s_add_i32 s7, s3, 0xfffff73c
	s_delay_alu instid0(SALU_CYCLE_1)
	v_dual_mov_b32 v42, s11 :: v_dual_mov_b32 v37, s7
	s_add_i32 s7, s5, 0xfffff6f8
	ds_load_2addr_b32 v[35:36], v35 offset1:1
	ds_load_2addr_b32 v[37:38], v37 offset1:1
	ds_load_b32 v53, v42
	v_mov_b32_e32 v51, s7
	ds_load_2addr_b32 v[42:43], v39 offset1:1
	ds_load_2addr_b32 v[44:45], v44 offset1:1
	;; [unrolled: 1-line block ×3, first 2 shown]
	s_waitcnt lgkmcnt(6)
	v_fma_f32 v34, -v0, v34, v48
	v_fma_f32 v32, -v3, v32, v49
	ds_load_2addr_b32 v[48:49], v50 offset1:1
	ds_load_2addr_b32 v[50:51], v51 offset1:1
	s_add_i32 s7, s5, 0xfffff6f0
	v_fma_f32 v28, -v11, v28, v52
	v_fma_f32 v39, -v7, v33, v34
	;; [unrolled: 1-line block ×3, first 2 shown]
	v_mov_b32_e32 v31, s7
	v_mov_b32_e32 v33, s10
	s_add_i32 s7, s5, 0xfffff754
	s_add_i32 s10, s5, 0xfffff6d8
	v_mov_b32_e32 v52, s7
	ds_load_2addr_b32 v[31:32], v31 offset1:1
	ds_load_2addr_b32 v[33:34], v33 offset1:1
	s_add_i32 s7, s5, 0xfffff74c
	v_mov_b32_e32 v58, s10
	v_mov_b32_e32 v54, s7
	s_waitcnt lgkmcnt(7)
	v_fma_f32 v8, -v23, v53, v8
	s_add_i32 s7, s5, 0xfffff6e8
	ds_load_2addr_b32 v[52:53], v52 offset1:1
	ds_load_2addr_b32 v[54:55], v54 offset1:1
	v_mov_b32_e32 v57, s7
	s_waitcnt lgkmcnt(4)
	v_fma_f32 v8, -v18, v51, v8
	v_fma_f32 v49, -v1, v49, v56
	;; [unrolled: 1-line block ×3, first 2 shown]
	s_add_i32 s7, s5, 0xfffff6e0
	ds_load_2addr_b32 v[56:57], v57 offset1:1
	v_fma_f32 v8, -v17, v50, v8
	v_fma_f32 v43, -v0, v48, v49
	v_mov_b32_e32 v51, s7
	s_add_i32 s7, s5, 0xfffff67c
	v_fma_f32 v27, -v10, v27, v28
	s_waitcnt lgkmcnt(4)
	v_fma_f32 v8, -v16, v32, v8
	v_fma_f32 v28, -v5, v42, v39
	s_waitcnt lgkmcnt(3)
	v_fma_f32 v32, -v7, v34, v43
	ds_load_2addr_b32 v[48:49], v51 offset1:1
	ds_load_2addr_b32 v[50:51], v58 offset1:1
	s_add_i32 s11, s5, 0xfffff4f8
	v_fma_f32 v8, -v3, v31, v8
	v_mov_b32_e32 v31, s7
	v_fma_f32 v34, -v4, v45, v28
	v_fma_f32 v32, -v6, v33, v32
	v_fma_f32 v33, -v9, v41, v27
	s_add_i32 s7, s5, 0xfffff674
	ds_load_2addr_b32 v[27:28], v31 offset1:1
	v_fma_f32 v31, -v11, v44, v34
	s_waitcnt lgkmcnt(5)
	v_fma_f32 v32, -v5, v53, v32
	s_waitcnt lgkmcnt(3)
	v_fma_f32 v8, -v2, v57, v8
	v_mov_b32_e32 v39, s7
	s_add_i32 s7, s5, 0xfffff66c
	s_add_i32 s10, s5, 0xfffff664
	s_delay_alu instid0(VALU_DEP_2)
	v_fma_f32 v34, -v1, v56, v8
	v_mul_f32_e32 v8, v40, v33
	v_fma_f32 v33, -v10, v47, v31
	v_fma_f32 v40, -v4, v52, v32
	ds_load_2addr_b32 v[31:32], v39 offset1:1
	s_waitcnt lgkmcnt(3)
	v_fma_f32 v34, -v0, v49, v34
	v_mov_b32_e32 v39, s7
	v_mov_b32_e32 v41, s10
	v_fma_f32 v42, -v9, v46, v33
	v_fma_f32 v43, -v11, v55, v40
	;; [unrolled: 1-line block ×3, first 2 shown]
	ds_load_2addr_b32 v[33:34], v39 offset1:1
	ds_load_2addr_b32 v[39:40], v41 offset1:1
	s_waitcnt lgkmcnt(3)
	v_fma_f32 v15, -v23, v28, v15
	s_add_i32 s7, s5, 0xfffff6d0
	s_add_i32 s10, s5, 0xfffff600
	v_fma_f32 v28, -v10, v54, v43
	v_mov_b32_e32 v43, s7
	v_fma_f32 v15, -v18, v27, v15
	v_fma_f32 v55, -v8, v30, v42
	v_mov_b32_e32 v30, s10
	s_add_i32 s7, s5, 0xfffff6c8
	v_fma_f32 v36, -v9, v36, v28
	ds_load_2addr_b32 v[27:28], v43 offset1:1
	s_add_i32 s10, s5, 0xfffff6c0
	ds_load_b32 v47, v30
	s_waitcnt lgkmcnt(4)
	v_fma_f32 v15, -v17, v32, v15
	v_mov_b32_e32 v32, s7
	s_add_i32 s7, s5, 0xfffff5f8
	v_fma_f32 v41, -v6, v51, v44
	s_delay_alu instid0(VALU_DEP_3) | instskip(SKIP_2) | instid1(VALU_DEP_3)
	v_fma_f32 v15, -v16, v31, v15
	v_mov_b32_e32 v31, s7
	s_add_i32 s7, s3, 0xfffff6b8
	v_fma_f32 v45, -v5, v50, v41
	v_mov_b32_e32 v43, s7
	s_waitcnt lgkmcnt(3)
	v_fma_f32 v15, -v3, v34, v15
	ds_load_2addr_b32 v[30:31], v31 offset1:1
	v_mov_b32_e32 v34, s10
	s_add_i32 s7, s5, 0xfffff65c
	s_add_i32 s10, s5, 0xfffff654
	v_fma_f32 v15, -v2, v33, v15
	ds_load_2addr_b32 v[32:33], v32 offset1:1
	ds_load_2addr_b32 v[41:42], v34 offset1:1
	;; [unrolled: 1-line block ×3, first 2 shown]
	v_mov_b32_e32 v34, s7
	s_add_i32 s7, s5, 0xfffff5f0
	v_mov_b32_e32 v48, s10
	s_waitcnt lgkmcnt(6)
	v_fma_f32 v15, -v1, v40, v15
	v_mov_b32_e32 v40, s7
	s_waitcnt lgkmcnt(5)
	v_fma_f32 v28, -v4, v28, v45
	ds_load_2addr_b32 v[45:46], v34 offset1:1
	s_waitcnt lgkmcnt(5)
	v_fma_f32 v47, -v23, v47, v14
	v_fma_f32 v34, -v0, v39, v15
	ds_load_2addr_b32 v[14:15], v40 offset1:1
	ds_load_2addr_b32 v[39:40], v48 offset1:1
	s_add_i32 s10, s5, 0xfffff5e8
	s_add_i32 s7, s5, 0xfffff64c
	v_fma_f32 v27, -v11, v27, v28
	v_mov_b32_e32 v48, s7
	s_waitcnt lgkmcnt(6)
	v_fma_f32 v31, -v18, v31, v47
	v_mov_b32_e32 v47, s10
	s_add_i32 s10, s5, 0xfffff644
	s_add_i32 s7, s5, 0xfffff5e0
	v_mov_b32_e32 v49, s10
	v_fma_f32 v56, -v17, v30, v31
	ds_load_2addr_b32 v[30:31], v47 offset1:1
	s_add_i32 s10, s5, 0xfffff5d8
	v_mov_b32_e32 v51, s7
	v_mov_b32_e32 v53, s10
	ds_load_2addr_b32 v[47:48], v48 offset1:1
	ds_load_2addr_b32 v[49:50], v49 offset1:1
	;; [unrolled: 1-line block ×4, first 2 shown]
	s_waitcnt lgkmcnt(7)
	v_fma_f32 v34, -v7, v46, v34
	s_waitcnt lgkmcnt(6)
	v_fma_f32 v46, -v16, v15, v56
	v_mul_f32_e32 v15, v29, v55
	v_fma_f32 v29, -v8, v35, v36
	s_add_i32 s7, s5, 0xfffff63c
	v_fma_f32 v28, -v6, v45, v34
	v_fma_f32 v14, -v3, v14, v46
	s_add_i32 s10, s3, 0xfffff634
	v_fma_f32 v34, -v15, v38, v29
	v_fma_f32 v27, -v10, v33, v27
	s_waitcnt lgkmcnt(5)
	v_fma_f32 v28, -v5, v40, v28
	v_mov_b32_e32 v29, s7
	s_waitcnt lgkmcnt(4)
	v_fma_f32 v14, -v2, v31, v14
	v_mov_b32_e32 v31, s10
	v_fma_f32 v32, -v9, v32, v27
	v_fma_f32 v33, -v4, v39, v28
	s_add_i32 s7, s5, 0xfffff5d0
	v_fma_f32 v14, -v1, v30, v14
	ds_load_2addr_b32 v[27:28], v29 offset1:1
	ds_load_2addr_b32 v[29:30], v31 offset1:1
	v_fma_f32 v32, -v8, v42, v32
	s_waitcnt lgkmcnt(5)
	v_fma_f32 v33, -v11, v48, v33
	s_add_i32 s10, s5, 0xfffff500
	s_waitcnt lgkmcnt(3)
	v_fma_f32 v31, -v0, v52, v14
	v_mul_f32_e32 v14, v37, v34
	v_fma_f32 v45, -v15, v41, v32
	v_fma_f32 v36, -v10, v47, v33
	s_delay_alu instid0(VALU_DEP_4) | instskip(SKIP_2) | instid1(VALU_DEP_3)
	v_fma_f32 v34, -v7, v51, v31
	v_mov_b32_e32 v31, s7
	s_add_i32 s7, s5, 0xfffff57c
	v_fma_f32 v39, -v9, v50, v36
	v_mov_b32_e32 v35, s7
	s_waitcnt lgkmcnt(2)
	v_fma_f32 v37, -v6, v54, v34
	ds_load_2addr_b32 v[31:32], v31 offset1:1
	s_add_i32 s7, s5, 0xfffff5c8
	v_fma_f32 v47, -v8, v49, v39
	ds_load_2addr_b32 v[33:34], v35 offset1:1
	v_mov_b32_e32 v35, s7
	s_add_i32 s7, s5, 0xfffff574
	v_fma_f32 v46, -v5, v53, v37
	v_mov_b32_e32 v37, s7
	s_add_i32 s7, s5, 0xfffff5c0
	ds_load_2addr_b32 v[35:36], v35 offset1:1
	v_mov_b32_e32 v40, s7
	s_add_i32 s7, s5, 0xfffff5b8
	ds_load_2addr_b32 v[37:38], v37 offset1:1
	;; [unrolled: 3-line block ×3, first 2 shown]
	ds_load_2addr_b32 v[41:42], v41 offset1:1
	v_mov_b32_e32 v48, s7
	s_waitcnt lgkmcnt(7)
	v_fma_f32 v28, -v15, v28, v47
	s_waitcnt lgkmcnt(5)
	v_fma_f32 v32, -v4, v32, v46
	v_fma_f32 v46, -v14, v44, v45
	s_add_i32 s7, s3, 0xfffff5b0
	ds_load_2addr_b32 v[44:45], v48 offset1:1
	s_waitcnt lgkmcnt(5)
	v_fma_f32 v34, -v23, v34, v13
	v_fma_f32 v31, -v11, v31, v32
	;; [unrolled: 1-line block ×3, first 2 shown]
	v_mov_b32_e32 v28, s10
	s_add_i32 s10, s5, 0xfffff564
	v_fma_f32 v32, -v18, v33, v34
	s_waitcnt lgkmcnt(4)
	v_fma_f32 v52, -v10, v36, v31
	v_mov_b32_e32 v31, s10
	s_add_i32 s10, s5, 0xfffff55c
	v_mov_b32_e32 v49, s7
	s_waitcnt lgkmcnt(3)
	v_fma_f32 v27, -v17, v38, v32
	s_add_i32 s7, s5, 0xfffff4f0
	v_mov_b32_e32 v32, s11
	ds_load_b32 v38, v28
	v_mov_b32_e32 v34, s10
	v_fma_f32 v33, -v16, v37, v27
	v_dual_mov_b32 v36, s7 :: v_dual_mul_f32 v13, v43, v46
	s_add_i32 s10, s5, 0xfffff4e8
	s_add_i32 s7, s5, 0xfffff554
	s_waitcnt lgkmcnt(1)
	v_fma_f32 v43, -v3, v45, v33
	ds_load_2addr_b32 v[33:34], v34 offset1:1
	ds_load_2addr_b32 v[27:28], v31 offset1:1
	ds_load_2addr_b32 v[36:37], v36 offset1:1
	ds_load_2addr_b32 v[31:32], v32 offset1:1
	v_mov_b32_e32 v45, s10
	v_fma_f32 v50, -v2, v44, v43
	s_add_i32 s11, s5, 0xfffff54c
	s_delay_alu instid0(SALU_CYCLE_1)
	v_dual_mov_b32 v46, s7 :: v_dual_mov_b32 v47, s11
	ds_load_2addr_b32 v[43:44], v45 offset1:1
	s_add_i32 s7, s5, 0xfffff4e0
	v_fma_f32 v30, -v13, v30, v51
	s_waitcnt lgkmcnt(5)
	v_fma_f32 v12, -v23, v38, v12
	ds_load_2addr_b32 v[45:46], v46 offset1:1
	ds_load_2addr_b32 v[47:48], v47 offset1:1
	s_add_i32 s10, s5, 0xfffff4d0
	s_add_i32 s11, s5, 0xfffff4c8
	s_waitcnt lgkmcnt(5)
	v_fma_f32 v28, -v1, v28, v50
	ds_load_2addr_b32 v[49:50], v49 offset1:1
	s_waitcnt lgkmcnt(4)
	v_fma_f32 v12, -v18, v32, v12
	v_fma_f32 v32, -v9, v35, v52
	;; [unrolled: 1-line block ×3, first 2 shown]
	s_delay_alu instid0(VALU_DEP_3) | instskip(SKIP_1) | instid1(VALU_DEP_4)
	v_fma_f32 v28, -v17, v31, v12
	v_mov_b32_e32 v31, s7
	v_fma_f32 v32, -v8, v40, v32
	s_delay_alu instid0(VALU_DEP_4)
	v_fma_f32 v34, -v7, v34, v27
	v_mul_f32_e32 v12, v29, v30
	v_fma_f32 v29, -v16, v37, v28
	ds_load_2addr_b32 v[27:28], v31 offset1:1
	s_add_i32 s7, s5, 0xfffff4d8
	v_fma_f32 v30, -v15, v39, v32
	v_mov_b32_e32 v32, s7
	v_fma_f32 v29, -v3, v36, v29
	v_fma_f32 v31, -v6, v33, v34
	s_add_i32 s7, s5, 0xfffff544
	v_fma_f32 v37, -v14, v42, v30
	v_mov_b32_e32 v38, s7
	s_waitcnt lgkmcnt(4)
	v_fma_f32 v33, -v2, v44, v29
	ds_load_2addr_b32 v[29:30], v32 offset1:1
	s_waitcnt lgkmcnt(4)
	v_fma_f32 v31, -v5, v46, v31
	v_mov_b32_e32 v32, s10
	v_mov_b32_e32 v34, s11
	v_fma_f32 v35, -v1, v43, v33
	s_add_i32 s10, s5, 0xfffff47c
	v_fma_f32 v36, -v4, v45, v31
	ds_load_2addr_b32 v[31:32], v32 offset1:1
	ds_load_2addr_b32 v[33:34], v34 offset1:1
	s_add_i32 s7, s5, 0xfffff53c
	v_fma_f32 v45, -v13, v41, v37
	s_waitcnt lgkmcnt(3)
	v_fma_f32 v28, -v0, v28, v35
	v_fma_f32 v39, -v11, v48, v36
	ds_load_2addr_b32 v[35:36], v38 offset1:1
	v_mov_b32_e32 v37, s7
	s_add_i32 s7, s5, 0xfffff534
	v_fma_f32 v27, -v7, v27, v28
	v_mov_b32_e32 v28, s10
	v_fma_f32 v41, -v10, v47, v39
	s_add_i32 s10, s3, 0xfffff52c
	s_add_i32 s11, s5, 0xfffff464
	s_waitcnt lgkmcnt(3)
	v_fma_f32 v27, -v6, v30, v27
	v_mov_b32_e32 v39, s10
	s_add_i32 s10, s5, 0xfffff46c
	v_mov_b32_e32 v44, s11
	v_fma_f32 v50, -v12, v50, v45
	v_fma_f32 v42, -v5, v29, v27
	ds_load_2addr_b32 v[27:28], v28 offset1:1
	v_mov_b32_e32 v38, s7
	s_add_i32 s7, s5, 0xfffff474
	ds_load_2addr_b32 v[29:30], v37 offset1:1
	ds_load_2addr_b32 v[37:38], v38 offset1:1
	;; [unrolled: 1-line block ×3, first 2 shown]
	v_mov_b32_e32 v43, s7
	s_waitcnt lgkmcnt(4)
	v_fma_f32 v36, -v9, v36, v41
	v_fma_f32 v32, -v4, v32, v42
	s_add_i32 s7, s5, 0xfffff4c0
	s_add_i32 s11, s3, 0xfffff3a0
	ds_load_2addr_b32 v[41:42], v43 offset1:1
	v_dual_mov_b32 v43, s10 :: v_dual_mov_b32 v46, s7
	v_fma_f32 v47, -v8, v35, v36
	v_fma_f32 v48, -v11, v31, v32
	ds_load_2addr_b32 v[31:32], v43 offset1:1
	ds_load_2addr_b32 v[35:36], v44 offset1:1
	;; [unrolled: 1-line block ×3, first 2 shown]
	s_add_i32 s7, s5, 0xfffff4b8
	s_add_i32 s10, s3, 0xfffff4a8
	s_waitcnt lgkmcnt(7)
	v_fma_f32 v26, -v23, v28, v26
	v_fma_f32 v28, -v10, v34, v48
	v_mov_b32_e32 v34, s10
	s_waitcnt lgkmcnt(6)
	v_fma_f32 v30, -v15, v30, v47
	s_add_i32 s10, s5, 0xfffff454
	v_fma_f32 v26, -v18, v27, v26
	v_fma_f32 v45, -v9, v33, v28
	v_mov_b32_e32 v27, s7
	v_fma_f32 v30, -v14, v29, v30
	s_add_i32 s7, s5, 0xfffff4b0
	s_waitcnt lgkmcnt(3)
	v_fma_f32 v28, -v17, v42, v26
	ds_load_2addr_b32 v[26:27], v27 offset1:1
	v_mov_b32_e32 v33, s7
	s_add_i32 s7, s5, 0xfffff45c
	v_fma_f32 v38, -v13, v38, v30
	v_fma_f32 v41, -v16, v41, v28
	s_waitcnt lgkmcnt(1)
	v_fma_f32 v42, -v8, v44, v45
	v_mov_b32_e32 v30, s7
	s_add_i32 s7, s5, 0xfffff400
	ds_load_2addr_b32 v[28:29], v33 offset1:1
	ds_load_2addr_b32 v[33:34], v34 offset1:1
	v_fma_f32 v32, -v3, v32, v41
	v_fma_f32 v41, -v15, v43, v42
	v_mov_b32_e32 v42, s7
	s_add_i32 s7, s5, 0xfffff3f8
	v_mov_b32_e32 v44, s10
	v_fma_f32 v32, -v2, v31, v32
	ds_load_2addr_b32 v[30:31], v30 offset1:1
	ds_load_b32 v51, v42
	v_mov_b32_e32 v43, s7
	s_add_i32 s7, s5, 0xfffff44c
	s_add_i32 s10, s5, 0xfffff444
	s_waitcnt lgkmcnt(4)
	v_fma_f32 v52, -v14, v27, v41
	v_fma_f32 v27, -v1, v36, v32
	ds_load_2addr_b32 v[41:42], v43 offset1:1
	ds_load_2addr_b32 v[43:44], v44 offset1:1
	v_mov_b32_e32 v32, s7
	s_add_i32 s7, s5, 0xfffff3f0
	v_mov_b32_e32 v47, s10
	v_fma_f32 v27, -v0, v35, v27
	v_mov_b32_e32 v36, s7
	ds_load_2addr_b32 v[35:36], v36 offset1:1
	ds_load_2addr_b32 v[45:46], v32 offset1:1
	;; [unrolled: 1-line block ×3, first 2 shown]
	s_add_i32 s7, s5, 0xfffff3e8
	v_fma_f32 v37, -v12, v37, v38
	s_waitcnt lgkmcnt(6)
	v_fma_f32 v54, -v7, v31, v27
	v_mov_b32_e32 v53, s7
	s_waitcnt lgkmcnt(5)
	v_fma_f32 v25, -v23, v51, v25
	v_mul_f32_e32 v27, v49, v50
	v_fma_f32 v26, -v13, v26, v52
	v_fma_f32 v30, -v6, v30, v54
	ds_load_2addr_b32 v[31:32], v53 offset1:1
	s_waitcnt lgkmcnt(5)
	v_fma_f32 v25, -v18, v42, v25
	v_fma_f32 v37, -v27, v40, v37
	;; [unrolled: 1-line block ×3, first 2 shown]
	s_waitcnt lgkmcnt(4)
	v_fma_f32 v30, -v5, v44, v30
	s_add_i32 s7, s5, 0xfffff3e0
	v_fma_f32 v25, -v17, v41, v25
	v_mul_f32_e32 v26, v39, v37
	v_fma_f32 v28, -v27, v28, v29
	v_fma_f32 v29, -v4, v43, v30
	v_mov_b32_e32 v30, s7
	s_waitcnt lgkmcnt(3)
	v_fma_f32 v25, -v16, v36, v25
	s_add_i32 s7, s5, 0xfffff3d8
	v_fma_f32 v42, -v26, v34, v28
	s_waitcnt lgkmcnt(2)
	v_fma_f32 v34, -v11, v46, v29
	ds_load_2addr_b32 v[28:29], v30 offset1:1
	v_fma_f32 v25, -v3, v35, v25
	v_mov_b32_e32 v30, s7
	s_add_i32 s7, s5, 0xfffff43c
	v_fma_f32 v43, -v10, v45, v34
	v_mov_b32_e32 v44, s7
	s_waitcnt lgkmcnt(1)
	v_fma_f32 v25, -v2, v32, v25
	ds_load_2addr_b32 v[34:35], v30 offset1:1
	s_add_i32 s7, s5, 0xfffff3d0
	v_mov_b32_e32 v30, s11
	s_add_i32 s10, s5, 0xfffff3c8
	v_mov_b32_e32 v32, s13
	v_mov_b32_e32 v38, s7
	;; [unrolled: 1-line block ×3, first 2 shown]
	v_fma_f32 v25, -v1, v31, v25
	ds_load_2addr_b32 v[30:31], v30 offset1:1
	ds_load_2addr_b32 v[36:37], v32 offset1:1
	;; [unrolled: 1-line block ×4, first 2 shown]
	s_add_i32 s7, s5, 0xfffff374
	s_add_i32 s10, s5, 0xfffff36c
	v_mov_b32_e32 v32, s7
	s_add_i32 s7, s5, 0xfffff434
	s_waitcnt lgkmcnt(5)
	v_fma_f32 v29, -v0, v29, v25
	v_mul_f32_e32 v25, v33, v42
	v_fma_f32 v42, -v9, v48, v43
	ds_load_2addr_b32 v[32:33], v32 offset1:1
	v_fma_f32 v43, -v7, v28, v29
	ds_load_2addr_b32 v[28:29], v44 offset1:1
	v_fma_f32 v46, -v8, v47, v42
	v_mov_b32_e32 v42, s7
	s_add_i32 s7, s5, 0xfffff42c
	s_waitcnt lgkmcnt(6)
	v_fma_f32 v35, -v6, v35, v43
	v_mov_b32_e32 v43, s10
	s_add_i32 s10, s3, 0xfffff424
	s_waitcnt lgkmcnt(4)
	v_fma_f32 v24, -v23, v37, v24
	v_mov_b32_e32 v45, s10
	v_fma_f32 v44, -v5, v34, v35
	ds_load_2addr_b32 v[34:35], v43 offset1:1
	v_mov_b32_e32 v43, s7
	v_fma_f32 v24, -v18, v36, v24
	s_add_i32 s7, s5, 0xfffff364
	s_waitcnt lgkmcnt(4)
	v_fma_f32 v39, -v4, v39, v44
	s_add_i32 s10, s5, 0xfffff3c0
	ds_load_2addr_b32 v[36:37], v42 offset1:1
	ds_load_2addr_b32 v[42:43], v43 offset1:1
	ds_load_2addr_b32 v[44:45], v45 offset1:1
	s_waitcnt lgkmcnt(5)
	v_fma_f32 v24, -v17, v33, v24
	v_mov_b32_e32 v33, s7
	v_fma_f32 v38, -v11, v38, v39
	s_waitcnt lgkmcnt(4)
	v_fma_f32 v29, -v15, v29, v46
	v_mov_b32_e32 v39, s10
	v_fma_f32 v24, -v16, v32, v24
	s_add_i32 s7, s5, 0xfffff35c
	s_add_i32 s10, s5, 0xfffff34c
	v_fma_f32 v52, -v14, v28, v29
	ds_load_2addr_b32 v[28:29], v33 offset1:1
	ds_load_2addr_b32 v[32:33], v39 offset1:1
	v_fma_f32 v41, -v10, v41, v38
	v_mov_b32_e32 v46, s10
	s_add_i32 s10, s5, 0xfffff300
	s_waitcnt lgkmcnt(5)
	v_fma_f32 v24, -v3, v35, v24
	v_mov_b32_e32 v35, s7
	s_add_i32 s7, s5, 0xfffff354
	s_delay_alu instid0(SALU_CYCLE_1)
	v_dual_mov_b32 v53, s10 :: v_dual_mov_b32 v38, s7
	s_add_i32 s7, s5, 0xfffff324
	v_fma_f32 v24, -v2, v34, v24
	ds_load_2addr_b32 v[34:35], v35 offset1:1
	ds_load_2addr_b32 v[38:39], v38 offset1:1
	;; [unrolled: 1-line block ×3, first 2 shown]
	v_mov_b32_e32 v48, s7
	s_add_i32 s7, s3, 0xfffff31c
	s_add_i32 s10, s5, 0xfffff2f0
	v_mov_b32_e32 v50, s7
	s_add_i32 s7, s5, 0xfffff2f8
	ds_load_2addr_b32 v[48:49], v48 offset1:1
	ds_load_2addr_b32 v[50:51], v50 offset1:1
	ds_load_b32 v56, v53
	s_waitcnt lgkmcnt(7)
	v_fma_f32 v24, -v1, v29, v24
	v_mov_b32_e32 v29, s7
	s_add_i32 s7, s5, 0xfffff3b8
	v_fma_f32 v57, -v9, v40, v41
	v_mov_b32_e32 v40, s7
	v_fma_f32 v24, -v0, v28, v24
	ds_load_2addr_b32 v[28:29], v29 offset1:1
	s_add_i32 s7, s5, 0xfffff3b0
	v_fma_f32 v37, -v13, v37, v52
	v_mov_b32_e32 v52, s7
	s_waitcnt lgkmcnt(6)
	v_fma_f32 v24, -v7, v35, v24
	v_mov_b32_e32 v35, s10
	s_add_i32 s10, s5, 0xfffff3a8
	s_add_i32 s7, s5, 0xfffff2e8
	v_mov_b32_e32 v54, s10
	v_fma_f32 v24, -v6, v34, v24
	ds_load_2addr_b32 v[34:35], v35 offset1:1
	ds_load_2addr_b32 v[40:41], v40 offset1:1
	;; [unrolled: 1-line block ×4, first 2 shown]
	s_sub_i32 s10, s4, 27
	v_fma_f32 v33, -v8, v33, v57
	s_waitcnt lgkmcnt(5)
	v_fma_f32 v22, -v23, v56, v22
	v_fma_f32 v24, -v5, v39, v24
	v_mov_b32_e32 v39, s7
	s_add_i32 s7, s5, 0xfffff2e0
	v_fma_f32 v62, -v12, v36, v37
	v_fma_f32 v36, -v15, v32, v33
	;; [unrolled: 1-line block ×3, first 2 shown]
	s_waitcnt lgkmcnt(4)
	v_fma_f32 v22, -v18, v29, v22
	v_mov_b32_e32 v29, s7
	s_add_i32 s7, s5, 0xfffff2d8
	ds_load_2addr_b32 v[56:57], v39 offset1:1
	v_mov_b32_e32 v39, s7
	s_lshl_b32 s7, s10, 5
	v_fma_f32 v22, -v17, v28, v22
	s_add_i32 s7, s7, s4
	ds_load_2addr_b32 v[28:29], v29 offset1:1
	ds_load_2addr_b32 v[58:59], v39 offset1:1
	s_lshl_b32 s7, s7, 2
	s_waitcnt lgkmcnt(5)
	v_fma_f32 v41, -v14, v41, v36
	s_add_i32 s10, s7, -4
	v_fma_f32 v22, -v16, v35, v22
	v_mov_b32_e32 v35, s10
	s_add_i32 s10, s5, 0xfffff344
	v_fma_f32 v24, -v11, v47, v24
	s_sub_i32 s11, s7, 28
	v_fma_f32 v22, -v3, v34, v22
	ds_load_2addr_b32 v[32:33], v35 offset1:1
	v_mov_b32_e32 v34, s10
	s_add_i32 s10, s7, -12
	v_fma_f32 v24, -v10, v46, v24
	v_mov_b32_e32 v36, s10
	s_waitcnt lgkmcnt(3)
	v_fma_f32 v22, -v2, v57, v22
	ds_load_2addr_b32 v[34:35], v34 offset1:1
	s_sub_i32 s10, s7, 20
	v_mov_b32_e32 v46, s11
	ds_load_2addr_b32 v[36:37], v36 offset1:1
	v_fma_f32 v22, -v1, v56, v22
	s_add_i32 s11, s5, 0xfffff2d0
	v_mov_b32_e32 v38, s10
	ds_load_2addr_b32 v[38:39], v38 offset1:1
	ds_load_2addr_b32 v[46:47], v46 offset1:1
	s_waitcnt lgkmcnt(6)
	v_fma_f32 v22, -v0, v29, v22
	v_mov_b32_e32 v29, s11
	s_waitcnt lgkmcnt(4)
	v_fma_f32 v21, -v23, v33, v21
	s_add_i32 s10, s5, 0xfffff33c
	s_add_i32 s11, s5, 0xfffff32c
	v_fma_f32 v28, -v7, v28, v22
	v_mov_b32_e32 v60, s10
	v_fma_f32 v32, -v18, v32, v21
	ds_load_2addr_b32 v[21:22], v29 offset1:1
	s_add_i32 s10, s5, 0xfffff334
	v_fma_f32 v28, -v6, v59, v28
	v_mov_b32_e32 v59, s10
	s_add_i32 s10, s5, 0xfffff2c8
	s_waitcnt lgkmcnt(3)
	v_fma_f32 v29, -v17, v37, v32
	v_mov_b32_e32 v61, s11
	v_fma_f32 v56, -v5, v58, v28
	v_mov_b32_e32 v28, s10
	s_add_i32 s10, s5, 0xfffff2c0
	v_fma_f32 v29, -v16, v36, v29
	v_mov_b32_e32 v32, s10
	s_sub_i32 s10, s7, 36
	s_add_i32 s11, s5, 0xfffff2b8
	s_delay_alu instid0(SALU_CYCLE_1)
	v_dual_mov_b32 v57, s10 :: v_dual_mov_b32 v36, s11
	s_waitcnt lgkmcnt(2)
	v_fma_f32 v39, -v3, v39, v29
	ds_load_2addr_b32 v[28:29], v28 offset1:1
	ds_load_2addr_b32 v[32:33], v32 offset1:1
	;; [unrolled: 1-line block ×3, first 2 shown]
	s_sub_i32 s10, s7, 44
	s_waitcnt lgkmcnt(3)
	v_fma_f32 v22, -v4, v22, v56
	ds_load_2addr_b32 v[56:57], v57 offset1:1
	v_fma_f32 v63, -v2, v38, v39
	ds_load_2addr_b32 v[38:39], v60 offset1:1
	v_mov_b32_e32 v64, s10
	ds_load_2addr_b32 v[58:59], v59 offset1:1
	ds_load_2addr_b32 v[60:61], v61 offset1:1
	v_fma_f32 v24, -v9, v35, v24
	v_fma_f32 v35, -v11, v21, v22
	v_fma_f32 v47, -v1, v47, v63
	ds_load_2addr_b32 v[21:22], v64 offset1:1
	s_sub_i32 s10, s7, 52
	s_sub_i32 s11, s7, 60
	v_mov_b32_e32 v63, s10
	v_fma_f32 v65, -v0, v46, v47
	v_mov_b32_e32 v64, s11
	v_fma_f32 v24, -v8, v34, v24
	s_waitcnt lgkmcnt(7)
	v_fma_f32 v29, -v10, v29, v35
	ds_load_2addr_b32 v[34:35], v63 offset1:1
	ds_load_2addr_b32 v[46:47], v64 offset1:1
	v_fma_f32 v40, -v13, v40, v41
	v_fma_f32 v43, -v27, v43, v62
	s_waitcnt lgkmcnt(6)
	v_fma_f32 v57, -v7, v57, v65
	v_fma_f32 v28, -v9, v28, v29
	s_add_i32 s10, s7, 0xffffffbc
	v_fma_f32 v40, -v12, v53, v40
	s_waitcnt lgkmcnt(5)
	v_fma_f32 v24, -v15, v39, v24
	v_fma_f32 v29, -v6, v56, v57
	;; [unrolled: 1-line block ×4, first 2 shown]
	s_add_i32 s11, s5, 0xfffff2a8
	v_fma_f32 v24, -v14, v38, v24
	s_waitcnt lgkmcnt(2)
	v_fma_f32 v22, -v5, v22, v29
	v_fma_f32 v29, -v27, v52, v40
	;; [unrolled: 1-line block ×4, first 2 shown]
	v_mov_b32_e32 v39, s11
	v_fma_f32 v21, -v4, v21, v22
	v_mov_b32_e32 v22, s10
	v_fma_f32 v45, -v26, v55, v29
	s_add_i32 s10, s5, 0xfffff2b0
	v_fma_f32 v41, -v14, v37, v28
	s_waitcnt lgkmcnt(1)
	v_fma_f32 v29, -v11, v35, v21
	ds_load_2addr_b32 v[21:22], v22 offset1:1
	v_mov_b32_e32 v28, s10
	s_add_i32 s10, s7, 0xffffffb4
	s_add_i32 s11, s7, 0xffffffa4
	v_fma_f32 v32, -v10, v34, v29
	v_mov_b32_e32 v33, s10
	ds_load_2addr_b32 v[28:29], v28 offset1:1
	s_add_i32 s10, s7, 0xffffffac
	v_mov_b32_e32 v37, s11
	s_waitcnt lgkmcnt(2)
	v_fma_f32 v34, -v9, v47, v32
	ds_load_2addr_b32 v[32:33], v33 offset1:1
	v_mov_b32_e32 v35, s10
	v_fma_f32 v24, -v13, v59, v24
	s_addk_i32 s5, 0xf2a0
	v_fma_f32 v42, -v8, v46, v34
	ds_load_2addr_b32 v[34:35], v35 offset1:1
	ds_load_2addr_b32 v[37:38], v37 offset1:1
	;; [unrolled: 1-line block ×3, first 2 shown]
	v_fma_f32 v24, -v12, v58, v24
	s_add_i32 s10, s3, 0xfffff298
	v_fma_f32 v36, -v13, v36, v41
	s_waitcnt lgkmcnt(5)
	v_fma_f32 v22, -v15, v22, v42
	v_mov_b32_e32 v42, s5
	v_mov_b32_e32 v46, s10
	v_fma_f32 v47, -v27, v61, v24
	s_add_i32 s5, s7, 0xffffff9c
	v_fma_f32 v52, -v14, v21, v22
	s_waitcnt lgkmcnt(4)
	v_fma_f32 v29, -v12, v29, v36
	ds_load_2addr_b32 v[21:22], v42 offset1:1
	ds_load_2addr_b32 v[41:42], v46 offset1:1
	v_mul_f32_e32 v24, v44, v43
	v_fma_f32 v36, -v25, v54, v45
	s_waitcnt lgkmcnt(5)
	v_fma_f32 v33, -v13, v33, v52
	v_fma_f32 v43, -v26, v60, v47
	;; [unrolled: 1-line block ×3, first 2 shown]
	s_addk_i32 s3, 0xf214
	v_fma_f32 v31, -v24, v31, v36
	v_fma_f32 v29, -v12, v32, v33
	v_mov_b32_e32 v32, s5
	v_fma_f32 v33, -v25, v49, v43
	s_waitcnt lgkmcnt(2)
	v_fma_f32 v36, -v26, v40, v28
	v_mul_f32_e32 v31, v30, v31
	v_fma_f32 v35, -v27, v35, v29
	ds_load_2addr_b32 v[28:29], v32 offset1:1
	v_fma_f32 v30, -v24, v48, v33
	v_fma_f32 v32, -v25, v39, v36
	s_ashr_i32 s5, s4, 31
	v_fma_f32 v33, -v26, v34, v35
	v_mov_b32_e32 v34, s3
	v_fma_f32 v30, -v31, v51, v30
	s_waitcnt lgkmcnt(2)
	v_fma_f32 v22, -v24, v22, v32
	s_lshl_b64 s[10:11], s[4:5], 2
	v_fma_f32 v35, -v25, v38, v33
	ds_load_2addr_b32 v[32:33], v34 offset1:1
	v_mul_f32_e32 v30, v50, v30
	v_fma_f32 v21, -v31, v21, v22
	s_sub_i32 s4, s4, 28
	v_fma_f32 v22, -v24, v37, v35
	s_waitcnt lgkmcnt(2)
	s_delay_alu instid0(VALU_DEP_2) | instskip(SKIP_1) | instid1(VALU_DEP_2)
	v_fma_f32 v21, -v30, v42, v21
	s_waitcnt lgkmcnt(1)
	v_fma_f32 v22, -v31, v29, v22
	s_delay_alu instid0(VALU_DEP_2) | instskip(SKIP_1) | instid1(VALU_DEP_3)
	v_mul_f32_e32 v29, v41, v21
	v_add_co_u32 v21, vcc_lo, v67, s10
	v_fma_f32 v28, -v30, v28, v22
	v_add_co_ci_u32_e32 v22, vcc_lo, s11, v68, vcc_lo
	s_clause 0x3
	global_store_b96 v[21:22], v[16:18], off offset:-12
	global_store_b128 v[21:22], v[0:3], off offset:-28
	global_store_b128 v[21:22], v[4:7], off offset:-44
	;; [unrolled: 1-line block ×3, first 2 shown]
	s_waitcnt lgkmcnt(0)
	v_fma_f32 v28, -v29, v33, v28
	s_clause 0x1
	global_store_b128 v[21:22], v[12:15], off offset:-76
	global_store_b128 v[21:22], v[24:27], off offset:-92
	v_mul_f32_e32 v28, v32, v28
	s_clause 0x1
	global_store_b32 v[19:20], v23, off
	global_store_b128 v[21:22], v[28:31], off offset:-108
.LBB39_20:
	s_cmp_lt_i32 s4, 0
	s_cbranch_scc1 .LBB39_37
; %bb.21:
	s_add_i32 s3, s4, 1
	s_mov_b32 s10, s4
	s_and_b32 s3, s3, 3
	s_delay_alu instid0(SALU_CYCLE_1)
	s_cmp_eq_u32 s3, 0
	s_cbranch_scc1 .LBB39_26
; %bb.22:
	s_lshl_b32 s5, s4, 7
	s_lshl_b32 s7, s2, 2
	s_ashr_i32 s13, s12, 31
	s_add_i32 s5, s5, s7
	s_lshl_b64 s[10:11], s[12:13], 2
	s_add_i32 s5, s5, -4
	s_add_u32 s7, s8, s10
	s_addc_u32 s10, s9, s11
	s_add_u32 s7, s7, s0
	s_addc_u32 s10, s10, s1
	v_add_co_u32 v0, vcc_lo, s7, v69
	v_add_co_ci_u32_e32 v1, vcc_lo, s10, v70, vcc_lo
	s_mov_b32 s11, 0
	s_mov_b32 s10, s4
	;; [unrolled: 1-line block ×3, first 2 shown]
	s_set_inst_prefetch_distance 0x1
	s_branch .LBB39_24
	.p2align	6
.LBB39_23:                              ;   in Loop: Header=BB39_24 Depth=1
	s_mul_i32 s13, s10, 0x84
	s_ashr_i32 s17, s10, 31
	v_mov_b32_e32 v2, s13
	s_mov_b32 s16, s10
	s_add_i32 s7, s7, 1
	s_lshl_b64 s[16:17], s[16:17], 2
	s_add_i32 s10, s10, -1
	ds_load_b32 v5, v2
	v_add_co_u32 v2, vcc_lo, v67, s16
	v_add_co_ci_u32_e32 v3, vcc_lo, s17, v68, vcc_lo
	s_addk_i32 s5, 0xff80
	s_cmp_lg_u32 s7, s3
	s_waitcnt lgkmcnt(0)
	v_mul_f32_e32 v4, v5, v4
	global_store_b32 v[2:3], v4, off
	s_cbranch_scc0 .LBB39_26
.LBB39_24:                              ; =>This Loop Header: Depth=1
                                        ;     Child Loop BB39_25 Depth 2
	s_lshl_b64 s[16:17], s[10:11], 2
	s_cmp_le_i32 s12, s10
	v_add_co_u32 v2, vcc_lo, v67, s16
	v_add_co_ci_u32_e32 v3, vcc_lo, s17, v68, vcc_lo
	s_mov_b32 s13, s5
	s_mov_b32 s14, s12
	global_load_b32 v2, v[2:3], off
	s_waitcnt vmcnt(0)
	v_dual_mul_f32 v4, s15, v2 :: v_dual_mov_b32 v3, v1
	v_mov_b32_e32 v2, v0
	s_cbranch_scc1 .LBB39_23
.LBB39_25:                              ;   Parent Loop BB39_24 Depth=1
                                        ; =>  This Inner Loop Header: Depth=2
	global_load_b32 v5, v[2:3], off
	v_mov_b32_e32 v6, s13
	v_add_co_u32 v2, vcc_lo, v2, -4
	v_add_co_ci_u32_e32 v3, vcc_lo, -1, v3, vcc_lo
	ds_load_b32 v6, v6
	s_add_i32 s14, s14, -1
	s_add_i32 s13, s13, -4
	s_cmp_gt_i32 s14, s10
	s_waitcnt vmcnt(0) lgkmcnt(0)
	v_fma_f32 v4, -v5, v6, v4
	s_cbranch_scc1 .LBB39_25
	s_branch .LBB39_23
.LBB39_26:
	s_set_inst_prefetch_distance 0x2
	s_cmp_lt_u32 s4, 3
	s_cbranch_scc1 .LBB39_37
; %bb.27:
	s_lshl_b32 s3, s10, 7
	s_lshl_b32 s4, s2, 2
	s_ashr_i32 s13, s12, 31
	s_add_i32 s11, s3, s4
	s_lshl_b64 s[4:5], s[12:13], 2
	s_add_i32 s3, s11, -4
	s_add_u32 s4, s8, s4
	s_addc_u32 s5, s9, s5
	s_add_u32 s4, s4, s0
	s_addc_u32 s5, s5, s1
	v_add_co_u32 v0, vcc_lo, s4, v69
	v_add_co_ci_u32_e32 v1, vcc_lo, s5, v70, vcc_lo
	s_add_i32 s7, s11, 0xffffff7c
	s_add_i32 s13, s11, 0xfffffefc
	;; [unrolled: 1-line block ×3, first 2 shown]
	s_mov_b32 s11, 0
	s_branch .LBB39_29
.LBB39_28:                              ;   in Loop: Header=BB39_29 Depth=1
	s_add_i32 s4, s5, 0xffffff7c
	s_addk_i32 s3, 0xfe00
	v_mov_b32_e32 v4, s4
	s_add_i32 s4, s10, -4
	s_addk_i32 s7, 0xfe00
	s_addk_i32 s13, 0xfe00
	;; [unrolled: 1-line block ×3, first 2 shown]
	ds_load_b32 v4, v4
	s_cmp_lt_i32 s10, 4
	s_mov_b32 s10, s4
	s_waitcnt lgkmcnt(0)
	v_mul_f32_e32 v4, v4, v6
	global_store_b32 v[2:3], v4, off offset:-12
	s_cbranch_scc1 .LBB39_37
.LBB39_29:                              ; =>This Loop Header: Depth=1
                                        ;     Child Loop BB39_30 Depth 2
                                        ;     Child Loop BB39_32 Depth 2
	;; [unrolled: 1-line block ×4, first 2 shown]
	s_lshl_b64 s[4:5], s[10:11], 2
	s_cmp_le_i32 s12, s10
	v_add_co_u32 v2, vcc_lo, v67, s4
	v_add_co_ci_u32_e32 v3, vcc_lo, s5, v68, vcc_lo
	s_mov_b32 s4, s3
	s_mov_b32 s5, s12
	global_load_b32 v2, v[2:3], off
	s_waitcnt vmcnt(0)
	v_dual_mul_f32 v4, s15, v2 :: v_dual_mov_b32 v3, v1
	v_mov_b32_e32 v2, v0
	s_cbranch_scc1 .LBB39_31
.LBB39_30:                              ;   Parent Loop BB39_29 Depth=1
                                        ; =>  This Inner Loop Header: Depth=2
	global_load_b32 v5, v[2:3], off
	v_mov_b32_e32 v6, s4
	v_add_co_u32 v2, vcc_lo, v2, -4
	v_add_co_ci_u32_e32 v3, vcc_lo, -1, v3, vcc_lo
	ds_load_b32 v6, v6
	s_add_i32 s5, s5, -1
	s_add_i32 s4, s4, -4
	s_cmp_gt_i32 s5, s10
	s_waitcnt vmcnt(0) lgkmcnt(0)
	v_fma_f32 v4, -v5, v6, v4
	s_cbranch_scc1 .LBB39_30
.LBB39_31:                              ;   in Loop: Header=BB39_29 Depth=1
	s_add_i32 s4, s10, -1
	s_mov_b32 s5, s11
	s_mul_i32 s16, s10, 0x84
	s_lshl_b64 s[4:5], s[4:5], 2
	s_delay_alu instid0(SALU_CYCLE_1)
	v_add_co_u32 v2, vcc_lo, v67, s4
	v_add_co_ci_u32_e32 v3, vcc_lo, s5, v68, vcc_lo
	s_ashr_i32 s5, s10, 31
	s_mov_b32 s4, s10
	global_load_b32 v5, v[2:3], off
	v_mov_b32_e32 v2, s16
	s_lshl_b64 s[4:5], s[4:5], 2
	s_cmp_lt_i32 s12, s10
	ds_load_b32 v6, v2
	v_add_co_u32 v2, vcc_lo, v67, s4
	v_add_co_ci_u32_e32 v3, vcc_lo, s5, v68, vcc_lo
	s_mov_b32 s4, s7
	s_mov_b32 s5, s2
	s_waitcnt lgkmcnt(0)
	v_mul_f32_e32 v7, v6, v4
	global_store_b32 v[2:3], v7, off
	s_waitcnt vmcnt(0)
	v_dual_mul_f32 v6, s15, v5 :: v_dual_mov_b32 v5, v1
	v_mov_b32_e32 v4, v0
	s_cbranch_scc1 .LBB39_33
.LBB39_32:                              ;   Parent Loop BB39_29 Depth=1
                                        ; =>  This Inner Loop Header: Depth=2
	global_load_b32 v7, v[4:5], off
	v_mov_b32_e32 v8, s4
	v_add_co_u32 v4, vcc_lo, v4, -4
	v_add_co_ci_u32_e32 v5, vcc_lo, -1, v5, vcc_lo
	ds_load_b32 v8, v8
	s_add_i32 s5, s5, -1
	s_add_i32 s4, s4, -4
	s_cmp_gt_i32 s5, s10
	s_waitcnt vmcnt(0) lgkmcnt(0)
	v_fma_f32 v6, -v7, v8, v6
	s_cbranch_scc1 .LBB39_32
.LBB39_33:                              ;   in Loop: Header=BB39_29 Depth=1
	s_add_i32 s4, s10, -2
	s_mov_b32 s5, s11
	s_addk_i32 s16, 0xff7c
	s_lshl_b64 s[18:19], s[4:5], 2
	s_cmp_le_i32 s12, s4
	v_add_co_u32 v4, vcc_lo, v67, s18
	v_add_co_ci_u32_e32 v5, vcc_lo, s19, v68, vcc_lo
	s_mov_b32 s5, s13
	s_mov_b32 s17, s12
	global_load_b32 v4, v[4:5], off
	v_mov_b32_e32 v5, s16
	ds_load_b32 v5, v5
	s_waitcnt vmcnt(0) lgkmcnt(0)
	v_dual_mul_f32 v7, v5, v6 :: v_dual_mul_f32 v6, s15, v4
	v_dual_mov_b32 v5, v1 :: v_dual_mov_b32 v4, v0
	global_store_b32 v[2:3], v7, off offset:-4
	s_cbranch_scc1 .LBB39_35
.LBB39_34:                              ;   Parent Loop BB39_29 Depth=1
                                        ; =>  This Inner Loop Header: Depth=2
	global_load_b32 v7, v[4:5], off
	v_mov_b32_e32 v8, s5
	v_add_co_u32 v4, vcc_lo, v4, -4
	v_add_co_ci_u32_e32 v5, vcc_lo, -1, v5, vcc_lo
	ds_load_b32 v8, v8
	s_add_i32 s17, s17, -1
	s_add_i32 s5, s5, -4
	s_cmp_gt_i32 s17, s4
	s_waitcnt vmcnt(0) lgkmcnt(0)
	v_fma_f32 v6, -v7, v8, v6
	s_cbranch_scc1 .LBB39_34
.LBB39_35:                              ;   in Loop: Header=BB39_29 Depth=1
	s_add_i32 s4, s10, -3
	s_mov_b32 s5, s11
	s_mov_b32 s17, s12
	s_lshl_b64 s[18:19], s[4:5], 2
	s_add_i32 s5, s16, 0xffffff7c
	v_add_co_u32 v4, vcc_lo, v67, s18
	v_add_co_ci_u32_e32 v5, vcc_lo, s19, v68, vcc_lo
	s_cmp_le_i32 s12, s4
	s_mov_b32 s16, s14
	global_load_b32 v4, v[4:5], off
	v_mov_b32_e32 v5, s5
	ds_load_b32 v5, v5
	s_waitcnt vmcnt(0) lgkmcnt(0)
	v_dual_mul_f32 v7, v5, v6 :: v_dual_mul_f32 v6, s15, v4
	v_dual_mov_b32 v5, v1 :: v_dual_mov_b32 v4, v0
	global_store_b32 v[2:3], v7, off offset:-8
	s_cbranch_scc1 .LBB39_28
.LBB39_36:                              ;   Parent Loop BB39_29 Depth=1
                                        ; =>  This Inner Loop Header: Depth=2
	global_load_b32 v7, v[4:5], off
	v_mov_b32_e32 v8, s16
	v_add_co_u32 v4, vcc_lo, v4, -4
	v_add_co_ci_u32_e32 v5, vcc_lo, -1, v5, vcc_lo
	ds_load_b32 v8, v8
	s_add_i32 s17, s17, -1
	s_add_i32 s16, s16, -4
	s_cmp_gt_i32 s17, s4
	s_waitcnt vmcnt(0) lgkmcnt(0)
	v_fma_f32 v6, -v7, v8, v6
	s_cbranch_scc1 .LBB39_36
	s_branch .LBB39_28
.LBB39_37:
	s_mov_b32 s3, 0
.LBB39_38:
	s_delay_alu instid0(SALU_CYCLE_1)
	s_and_b32 vcc_lo, exec_lo, s3
	s_cbranch_vccz .LBB39_58
; %bb.39:
	s_cmp_gt_i32 s6, 31
	s_mov_b32 s4, 0
	s_cselect_b32 s3, -1, 0
	s_delay_alu instid0(SALU_CYCLE_1)
	s_and_b32 vcc_lo, exec_lo, s3
	s_cbranch_vccz .LBB39_41
; %bb.40:
	s_clause 0x7
	global_load_b128 v[43:46], v[67:68], off
	global_load_b128 v[39:42], v[67:68], off offset:16
	global_load_b128 v[35:38], v[67:68], off offset:32
	;; [unrolled: 1-line block ×7, first 2 shown]
	v_dual_mov_b32 v111, 0 :: v_dual_mov_b32 v8, 0x4a4
	v_mov_b32_e32 v19, 0x4ac
	s_mov_b32 s4, 32
	ds_load_b128 v[59:62], v111
	ds_load_b128 v[87:90], v111 offset:16
	ds_load_2addr_b32 v[103:104], v111 offset0:165 offset1:166
	ds_load_2addr_b64 v[143:146], v111 offset0:33 offset1:34
	ds_load_2addr_b64 v[147:150], v111 offset0:35 offset1:36
	ds_load_2addr_b32 v[17:18], v111 offset0:33 offset1:34
	ds_load_2addr_b32 v[163:164], v111 offset0:35 offset1:36
	;; [unrolled: 1-line block ×4, first 2 shown]
	ds_load_b128 v[63:66], v111 offset:528
	ds_load_b128 v[55:58], v111 offset:544
	;; [unrolled: 1-line block ×3, first 2 shown]
	ds_load_2addr_b32 v[169:170], v111 offset0:99 offset1:100
	ds_load_2addr_b32 v[171:172], v111 offset0:101 offset1:102
	;; [unrolled: 1-line block ×4, first 2 shown]
	ds_load_2addr_b64 v[51:54], v111 offset0:99 offset1:100
	ds_load_2addr_b64 v[47:50], v111 offset0:101 offset1:102
	;; [unrolled: 1-line block ×3, first 2 shown]
	ds_load_2addr_b32 v[97:98], v111 offset0:233 offset1:234
	ds_load_2addr_b32 v[95:96], v111 offset0:235 offset1:236
	ds_load_2addr_b32 v[83:84], v8 offset1:1
	ds_load_2addr_b32 v[81:82], v19 offset1:1
	ds_load_b128 v[91:94], v111 offset:32
	ds_load_b128 v[151:154], v111 offset:48
	;; [unrolled: 1-line block ×3, first 2 shown]
	ds_load_2addr_b32 v[107:108], v111 offset0:167 offset1:168
	ds_load_2addr_b32 v[105:106], v111 offset0:169 offset1:170
	;; [unrolled: 1-line block ×3, first 2 shown]
	s_waitcnt vmcnt(7)
	v_dual_mul_f32 v8, s15, v43 :: v_dual_mov_b32 v71, 0x5ac
	s_waitcnt lgkmcnt(28)
	s_delay_alu instid0(VALU_DEP_1)
	v_mul_f32_e32 v8, v59, v8
	v_mov_b32_e32 v74, 0x6b4
	v_mov_b32_e32 v72, 0x4b4
	v_mov_b32_e32 v73, 0x5b4
	s_waitcnt lgkmcnt(27)
	v_dual_mov_b32 v179, 0x6bc :: v_dual_mul_f32 v90, v8, v90
	v_mul_f32_e32 v43, v8, v60
	ds_load_2addr_b32 v[101:102], v111 offset0:173 offset1:174
	ds_load_2addr_b32 v[77:78], v71 offset1:1
	ds_load_2addr_b32 v[85:86], v72 offset1:1
	;; [unrolled: 1-line block ×3, first 2 shown]
	v_mul_f32_e32 v73, v8, v61
	ds_load_2addr_b32 v[71:72], v74 offset1:1
	ds_load_2addr_b64 v[155:158], v111 offset0:37 offset1:38
	ds_load_2addr_b64 v[159:162], v111 offset0:39 offset1:40
	ds_load_2addr_b32 v[177:178], v111 offset0:41 offset1:42
	v_mul_f32_e32 v74, v8, v62
	ds_load_b128 v[59:62], v111 offset:64
	v_fma_f32 v181, v44, s15, -v43
	v_fma_f32 v182, v45, s15, -v73
	v_dual_mov_b32 v180, 0x7bc :: v_dual_mul_f32 v89, v8, v89
	v_fma_f32 v183, v46, s15, -v74
	ds_load_b128 v[43:46], v111 offset:80
	s_waitcnt lgkmcnt(15)
	v_dual_mov_b32 v139, 0x6c4 :: v_dual_mul_f32 v110, v8, v94
	v_dual_mov_b32 v140, 0x7c4 :: v_dual_mul_f32 v109, v8, v93
	s_waitcnt vmcnt(6)
	v_fma_f32 v186, v41, s15, -v89
	v_fma_f32 v187, v42, s15, -v90
	ds_load_2addr_b32 v[89:90], v111 offset0:43 offset1:44
	ds_load_2addr_b32 v[93:94], v111 offset0:45 offset1:46
	v_mov_b32_e32 v122, 0x8d4
	v_dual_mov_b32 v141, 0x4c4 :: v_dual_mul_f32 v92, v8, v92
	v_dual_mov_b32 v142, 0x5c4 :: v_dual_mul_f32 v91, v8, v91
	;; [unrolled: 1-line block ×4, first 2 shown]
	s_waitcnt lgkmcnt(16)
	v_dual_mov_b32 v129, 0x8c4 :: v_dual_mul_f32 v152, v8, v152
	v_dual_mov_b32 v116, 0x5cc :: v_dual_mul_f32 v153, v8, v153
	s_waitcnt lgkmcnt(2)
	v_mul_f32_e32 v43, v8, v43
	v_dual_mov_b32 v127, 0x8cc :: v_dual_mul_f32 v44, v8, v44
	v_mov_b32_e32 v130, 0x958
	s_waitcnt vmcnt(5)
	v_fma_f32 v188, v35, s15, -v91
	s_waitcnt vmcnt(2)
	v_fma_f32 v194, v9, s15, -v43
	v_mul_f32_e32 v9, v17, v181
	v_fma_f32 v189, v36, s15, -v92
	v_fma_f32 v37, v37, s15, -v109
	;; [unrolled: 1-line block ×3, first 2 shown]
	ds_load_2addr_b32 v[35:36], v111 offset0:47 offset1:48
	ds_load_2addr_b32 v[109:110], v111 offset0:175 offset1:176
	v_dual_mov_b32 v117, 0x7cc :: v_dual_mul_f32 v42, v8, v62
	v_dual_mov_b32 v120, 0x6d4 :: v_dual_mul_f32 v41, v8, v61
	v_fma_f32 v184, v39, s15, -v87
	v_fma_f32 v185, v40, s15, -v88
	;; [unrolled: 1-line block ×4, first 2 shown]
	ds_load_2addr_b32 v[91:92], v79 offset1:1
	ds_load_2addr_b32 v[87:88], v80 offset1:1
	;; [unrolled: 1-line block ×4, first 2 shown]
	v_fma_f32 v181, v10, s15, -v44
	v_fma_f32 v10, -v9, v18, v182
	ds_load_2addr_b32 v[179:180], v111 offset0:49 offset1:50
	v_dual_mov_b32 v119, 0x6cc :: v_dual_mul_f32 v40, v8, v60
	v_dual_mov_b32 v123, 0x9cc :: v_dual_mul_f32 v46, v8, v46
	;; [unrolled: 1-line block ×7, first 2 shown]
	v_fma_f32 v192, v15, s15, -v41
	v_fma_f32 v193, v16, s15, -v42
	v_fma_f32 v15, -v9, v163, v183
	v_fma_f32 v16, -v9, v164, v184
	ds_load_2addr_b32 v[163:164], v111 offset0:51 offset1:52
	v_fma_f32 v17, -v9, v165, v185
	s_waitcnt lgkmcnt(8)
	v_fma_f32 v24, -v9, v93, v24
	v_fma_f32 v25, -v9, v94, v25
	ds_load_2addr_b32 v[93:94], v111 offset0:53 offset1:54
	v_fma_f32 v190, v13, s15, -v39
	v_fma_f32 v191, v14, s15, -v40
	;; [unrolled: 1-line block ×4, first 2 shown]
	ds_load_b128 v[11:14], v111 offset:96
	v_fma_f32 v23, v23, s15, -v151
	v_fma_f32 v26, v26, s15, -v154
	ds_load_b128 v[39:42], v111 offset:560
	v_fma_f32 v165, -v9, v166, v186
	v_fma_f32 v166, -v9, v167, v187
	;; [unrolled: 1-line block ×8, first 2 shown]
	ds_load_2addr_b64 v[15:18], v111 offset0:41 offset1:42
	v_fma_f32 v89, -v9, v89, v38
	v_fma_f32 v23, -v9, v90, v23
	s_waitcnt lgkmcnt(11)
	v_fma_f32 v26, -v9, v35, v26
	v_fma_f32 v90, -v9, v36, v190
	ds_load_2addr_b32 v[143:144], v111 offset0:55 offset1:56
	ds_load_b128 v[151:154], v111 offset:576
	ds_load_b128 v[59:62], v111 offset:1072
	;; [unrolled: 1-line block ×4, first 2 shown]
	v_fma_f32 v149, -v10, v149, v167
	v_fma_f32 v150, -v10, v150, v168
	s_waitcnt lgkmcnt(10)
	v_fma_f32 v145, -v9, v179, v191
	v_fma_f32 v167, -v10, v155, v177
	;; [unrolled: 1-line block ×8, first 2 shown]
	ds_load_2addr_b64 v[23:26], v111 offset0:43 offset1:44
	ds_load_2addr_b32 v[89:90], v111 offset0:57 offset1:58
	v_fma_f32 v165, -v10, v147, v165
	v_fma_f32 v187, -v10, v162, v145
	;; [unrolled: 1-line block ×3, first 2 shown]
	s_waitcnt lgkmcnt(11)
	v_fma_f32 v146, -v9, v163, v193
	v_fma_f32 v147, -v9, v164, v194
	s_waitcnt lgkmcnt(10)
	v_fma_f32 v93, -v9, v93, v181
	s_waitcnt lgkmcnt(9)
	v_dual_mov_b32 v138, 0x4dc :: v_dual_mul_f32 v11, v8, v11
	v_dual_mov_b32 v121, 0x7d4 :: v_dual_mul_f32 v12, v8, v12
	s_waitcnt lgkmcnt(7)
	v_fma_f32 v180, -v10, v15, v145
	v_fma_f32 v181, -v10, v16, v146
	;; [unrolled: 1-line block ×4, first 2 shown]
	ds_load_b128 v[15:18], v111 offset:112
	ds_load_2addr_b32 v[145:146], v111 offset0:107 offset1:108
	s_waitcnt vmcnt(1)
	v_fma_f32 v4, v4, s15, -v11
	v_fma_f32 v5, v5, s15, -v12
	v_fma_f32 v11, -v9, v94, v195
	s_waitcnt lgkmcnt(8)
	v_fma_f32 v12, -v9, v143, v196
	v_mov_b32_e32 v132, 0x5dc
	v_fma_f32 v4, -v9, v144, v4
	s_waitcnt lgkmcnt(2)
	v_fma_f32 v5, -v9, v89, v5
	v_fma_f32 v166, -v10, v148, v166
	ds_load_2addr_b32 v[147:148], v111 offset0:109 offset1:110
	ds_load_2addr_b32 v[143:144], v111 offset0:111 offset1:112
	v_fma_f32 v89, -v10, v23, v11
	v_fma_f32 v190, -v10, v24, v12
	v_mul_f32_e32 v11, v169, v178
	v_fma_f32 v169, -v10, v25, v4
	ds_load_2addr_b32 v[24:25], v111 offset0:113 offset1:114
	ds_load_2addr_b32 v[93:94], v111 offset0:59 offset1:60
	v_fma_f32 v191, -v10, v26, v5
	ds_load_2addr_b32 v[4:5], v111 offset0:61 offset1:62
	ds_load_b32 v12, v111 offset:252
	ds_load_2addr_b32 v[155:156], v111 offset0:115 offset1:116
	ds_load_2addr_b32 v[157:158], v111 offset0:117 offset1:118
	;; [unrolled: 1-line block ×3, first 2 shown]
	v_fma_f32 v23, -v11, v170, v182
	v_fma_f32 v26, -v11, v171, v183
	;; [unrolled: 1-line block ×5, first 2 shown]
	s_waitcnt lgkmcnt(9)
	v_fma_f32 v145, -v11, v145, v168
	ds_load_2addr_b32 v[161:162], v141 offset1:1
	ds_load_2addr_b32 v[163:164], v142 offset1:1
	;; [unrolled: 1-line block ×4, first 2 shown]
	ds_load_b128 v[139:142], v111 offset:592
	v_dual_mov_b32 v134, 0x8dc :: v_dual_mul_f32 v23, v63, v23
	v_fma_f32 v173, -v11, v146, v177
	s_waitcnt lgkmcnt(11)
	v_fma_f32 v24, -v11, v24, v187
	v_fma_f32 v25, -v11, v25, v180
	;; [unrolled: 1-line block ×4, first 2 shown]
	v_mov_b32_e32 v125, 0xad4
	v_fma_f32 v150, -v11, v175, v150
	v_fma_f32 v65, -v23, v65, v170
	;; [unrolled: 1-line block ×3, first 2 shown]
	s_waitcnt lgkmcnt(7)
	v_fma_f32 v39, -v11, v155, v181
	v_fma_f32 v180, -v23, v152, v24
	v_mul_f32_e32 v24, v103, v26
	v_fma_f32 v181, -v23, v153, v25
	s_waitcnt lgkmcnt(6)
	v_fma_f32 v25, -v11, v157, v189
	v_fma_f32 v170, -v23, v66, v171
	;; [unrolled: 1-line block ×6, first 2 shown]
	ds_load_2addr_b32 v[63:64], v111 offset0:121 offset1:122
	s_waitcnt lgkmcnt(6)
	v_fma_f32 v26, -v11, v159, v190
	s_waitcnt lgkmcnt(1)
	v_fma_f32 v159, -v23, v140, v25
	v_fma_f32 v25, -v24, v104, v65
	v_fma_f32 v147, -v11, v147, v179
	v_fma_f32 v174, -v11, v143, v185
	v_fma_f32 v175, -v11, v144, v186
	ds_load_2addr_b64 v[143:146], v111 offset0:103 offset1:104
	v_dual_mov_b32 v112, 0x9dc :: v_dual_mul_f32 v25, v51, v25
	v_fma_f32 v148, -v11, v148, v184
	v_fma_f32 v184, -v23, v142, v26
	;; [unrolled: 1-line block ×9, first 2 shown]
	ds_load_2addr_b64 v[147:150], v111 offset0:105 offset1:106
	v_fma_f32 v40, -v11, v156, v188
	v_fma_f32 v175, -v23, v151, v175
	;; [unrolled: 1-line block ×3, first 2 shown]
	ds_load_2addr_b64 v[151:154], v111 offset0:167 offset1:168
	v_fma_f32 v39, -v11, v158, v89
	ds_load_2addr_b64 v[155:158], v111 offset0:169 offset1:170
	ds_load_b128 v[55:58], v111 offset:608
	ds_load_2addr_b32 v[65:66], v111 offset0:177 offset1:178
	v_fma_f32 v170, -v25, v53, v51
	v_fma_f32 v171, -v25, v54, v103
	;; [unrolled: 1-line block ×3, first 2 shown]
	ds_load_2addr_b32 v[53:54], v111 offset0:181 offset1:182
	v_fma_f32 v172, -v25, v47, v107
	v_fma_f32 v173, -v25, v48, v99
	ds_load_2addr_b32 v[47:48], v111 offset0:231 offset1:232
	v_fma_f32 v174, -v23, v42, v174
	v_fma_f32 v101, -v24, v101, v178
	;; [unrolled: 1-line block ×4, first 2 shown]
	ds_load_b128 v[39:42], v111 offset:624
	v_fma_f32 v26, -v25, v52, v26
	ds_load_2addr_b32 v[51:52], v111 offset0:179 offset1:180
	v_fma_f32 v176, -v25, v49, v100
	v_fma_f32 v177, -v25, v50, v101
	;; [unrolled: 1-line block ×4, first 2 shown]
	ds_load_2addr_b64 v[103:106], v111 offset0:231 offset1:232
	v_fma_f32 v108, -v24, v102, v179
	ds_load_2addr_b64 v[99:102], v111 offset0:233 offset1:234
	s_waitcnt lgkmcnt(11)
	v_fma_f32 v175, -v25, v144, v49
	v_fma_f32 v178, -v25, v145, v50
	ds_load_2addr_b32 v[49:50], v111 offset0:183 offset1:184
	ds_load_2addr_b32 v[139:140], v111 offset0:237 offset1:238
	v_mov_b32_e32 v137, 0xb58
	v_fma_f32 v174, -v25, v143, v108
	s_waitcnt lgkmcnt(6)
	v_mul_f32_e32 v26, v47, v26
	v_fma_f32 v107, -v11, v160, v169
	v_fma_f32 v108, -v24, v66, v181
	;; [unrolled: 1-line block ×3, first 2 shown]
	ds_load_2addr_b32 v[141:142], v111 offset0:239 offset1:240
	v_fma_f32 v47, -v26, v48, v170
	v_mov_b32_e32 v114, 0xbdc
	s_waitcnt lgkmcnt(5)
	v_fma_f32 v52, -v24, v52, v89
	v_fma_f32 v89, -v24, v54, v183
	;; [unrolled: 1-line block ×3, first 2 shown]
	v_mul_f32_e32 v31, v31, v47
	v_fma_f32 v55, -v25, v147, v108
	ds_load_2addr_b64 v[107:110], v111 offset0:107 offset1:108
	v_fma_f32 v179, -v25, v146, v65
	ds_load_2addr_b32 v[65:66], v111 offset0:241 offset1:242
	ds_load_2addr_b32 v[143:144], v111 offset0:243 offset1:244
	;; [unrolled: 1-line block ×3, first 2 shown]
	s_waitcnt lgkmcnt(6)
	v_fma_f32 v180, -v24, v49, v184
	v_fma_f32 v48, -v26, v97, v171
	;; [unrolled: 1-line block ×6, first 2 shown]
	s_waitcnt lgkmcnt(5)
	v_fma_f32 v96, -v26, v139, v177
	v_fma_f32 v139, -v31, v32, v48
	;; [unrolled: 1-line block ×3, first 2 shown]
	ds_load_2addr_b32 v[32:33], v111 offset0:247 offset1:248
	v_fma_f32 v51, -v24, v51, v182
	v_fma_f32 v53, -v24, v53, v159
	;; [unrolled: 1-line block ×6, first 2 shown]
	ds_load_b64 v[51:52], v111 offset:888
	ds_load_2addr_b64 v[47:50], v111 offset0:109 offset1:110
	s_waitcnt lgkmcnt(7)
	v_fma_f32 v98, -v26, v141, v175
	v_fma_f32 v140, -v26, v142, v178
	;; [unrolled: 1-line block ×3, first 2 shown]
	s_waitcnt lgkmcnt(6)
	v_fma_f32 v59, -v25, v107, v89
	v_fma_f32 v169, -v25, v150, v53
	ds_load_2addr_b32 v[147:148], v111 offset0:185 offset1:186
	ds_load_2addr_b32 v[149:150], v111 offset0:187 offset1:188
	;; [unrolled: 1-line block ×3, first 2 shown]
	s_waitcnt lgkmcnt(8)
	v_fma_f32 v141, -v26, v65, v179
	v_fma_f32 v55, -v26, v66, v55
	ds_load_2addr_b32 v[65:66], v111 offset0:249 offset1:250
	v_fma_f32 v177, -v31, v60, v96
	v_fma_f32 v178, -v31, v61, v97
	;; [unrolled: 1-line block ×3, first 2 shown]
	ds_load_b128 v[95:98], v111 offset:1104
	s_waitcnt lgkmcnt(9)
	v_fma_f32 v89, -v26, v143, v159
	v_fma_f32 v171, -v26, v144, v160
	ds_load_2addr_b32 v[143:144], v111 offset0:251 offset1:252
	s_waitcnt lgkmcnt(9)
	v_fma_f32 v172, -v26, v146, v59
	ds_load_2addr_b32 v[59:60], v111 offset0:253 offset1:254
	ds_load_2addr_b32 v[61:62], v129 offset1:1
	v_fma_f32 v129, -v25, v108, v180
	v_mov_b32_e32 v131, 0x6dc
	v_fma_f32 v109, -v25, v109, v181
	v_fma_f32 v180, -v31, v43, v140
	;; [unrolled: 1-line block ×5, first 2 shown]
	ds_load_2addr_b64 v[43:46], v115 offset1:1
	ds_load_2addr_b32 v[107:108], v127 offset1:1
	s_waitcnt lgkmcnt(12)
	v_fma_f32 v115, -v26, v32, v129
	v_mul_f32_e32 v32, v83, v139
	v_fma_f32 v109, -v26, v33, v109
	v_fma_f32 v169, -v26, v145, v169
	ds_load_2addr_b32 v[145:146], v123 offset1:1
	ds_load_2addr_b32 v[159:160], v136 offset1:1
	;; [unrolled: 1-line block ×3, first 2 shown]
	v_fma_f32 v33, -v32, v84, v170
	v_mov_b32_e32 v126, 0x4e4
	v_fma_f32 v34, -v32, v81, v34
	s_waitcnt lgkmcnt(8)
	v_fma_f32 v118, -v31, v95, v171
	v_fma_f32 v123, -v31, v96, v169
	v_mul_f32_e32 v33, v27, v33
	v_fma_f32 v127, -v31, v97, v172
	v_fma_f32 v129, -v31, v98, v115
	ds_load_b128 v[95:98], v111 offset:1120
	ds_load_2addr_b32 v[169:170], v116 offset1:1
	ds_load_2addr_b32 v[171:172], v119 offset1:1
	v_fma_f32 v119, -v32, v82, v142
	v_fma_f32 v34, -v33, v28, v34
	v_mov_b32_e32 v133, 0x7dc
	ds_load_2addr_b32 v[173:174], v117 offset1:1
	ds_load_2addr_b32 v[175:176], v135 offset1:1
	v_fma_f32 v85, -v32, v85, v177
	v_fma_f32 v86, -v32, v86, v178
	v_mul_f32_e32 v34, v77, v34
	v_fma_f32 v135, -v32, v91, v179
	v_fma_f32 v119, -v33, v29, v119
	;; [unrolled: 1-line block ×3, first 2 shown]
	ds_load_2addr_b64 v[81:84], v137 offset1:1
	ds_load_2addr_b32 v[91:92], v138 offset1:1
	v_fma_f32 v137, -v32, v161, v141
	v_fma_f32 v85, -v33, v30, v85
	;; [unrolled: 1-line block ×5, first 2 shown]
	s_waitcnt lgkmcnt(7)
	v_fma_f32 v89, -v32, v139, v89
	v_fma_f32 v139, -v32, v140, v118
	v_mov_b32_e32 v128, 0x5e4
	v_fma_f32 v55, -v32, v162, v55
	v_mul_f32_e32 v19, v19, v77
	ds_load_b128 v[115:118], v111 offset:1136
	ds_load_b128 v[27:30], v111 offset:1600
	v_fma_f32 v123, -v32, v159, v123
	v_fma_f32 v162, -v33, v153, v136
	;; [unrolled: 1-line block ×6, first 2 shown]
	ds_load_b128 v[135:138], v111 offset:1616
	v_fma_f32 v178, -v33, v157, v139
	ds_load_2addr_b64 v[139:142], v111 offset0:171 offset1:172
	ds_load_2addr_b32 v[151:152], v120 offset1:1
	v_fma_f32 v55, -v33, v155, v55
	v_fma_f32 v89, -v33, v156, v89
	;; [unrolled: 1-line block ×3, first 2 shown]
	ds_load_2addr_b32 v[153:154], v121 offset1:1
	v_fma_f32 v120, -v32, v160, v127
	ds_load_2addr_b32 v[155:156], v122 offset1:1
	ds_load_2addr_b32 v[157:158], v124 offset1:1
	;; [unrolled: 1-line block ×3, first 2 shown]
	ds_load_2addr_b64 v[75:78], v130 offset1:1
	v_fma_f32 v119, -v34, v88, v162
	v_fma_f32 v20, -v19, v20, v85
	;; [unrolled: 1-line block ×4, first 2 shown]
	ds_load_2addr_b64 v[85:88], v111 offset0:173 offset1:174
	ds_load_2addr_b32 v[161:162], v132 offset1:1
	v_dual_mov_b32 v113, 0xadc :: v_dual_mul_f32 v20, v71, v20
	s_waitcnt lgkmcnt(12)
	v_fma_f32 v71, -v32, v91, v129
	v_fma_f32 v121, -v34, v163, v177
	s_waitcnt lgkmcnt(10)
	v_fma_f32 v91, -v19, v27, v119
	v_fma_f32 v55, -v34, v164, v55
	;; [unrolled: 1-line block ×3, first 2 shown]
	s_waitcnt lgkmcnt(8)
	v_fma_f32 v71, -v33, v140, v71
	v_fma_f32 v22, -v20, v79, v22
	;; [unrolled: 1-line block ×4, first 2 shown]
	v_mul_f32_e32 v21, v103, v21
	v_fma_f32 v127, -v19, v28, v121
	v_fma_f32 v72, -v20, v80, v91
	;; [unrolled: 1-line block ×7, first 2 shown]
	s_waitcnt lgkmcnt(0)
	v_fma_f32 v71, -v34, v161, v71
	v_fma_f32 v79, -v20, v165, v127
	v_mul_f32_e32 v22, v73, v22
	ds_load_b64 v[163:164], v111 offset:1400
	v_fma_f32 v123, -v34, v175, v123
	v_fma_f32 v161, -v19, v138, v71
	;; [unrolled: 1-line block ×3, first 2 shown]
	ds_load_2addr_b32 v[169:170], v131 offset1:1
	ds_load_2addr_b32 v[175:176], v133 offset1:1
	;; [unrolled: 1-line block ×3, first 2 shown]
	ds_load_b128 v[129:132], v111 offset:2640
	v_fma_f32 v89, -v19, v30, v89
	ds_load_b128 v[27:30], v111 offset:2128
	ds_load_b128 v[119:122], v111 offset:2144
	v_fma_f32 v124, -v19, v137, v125
	v_fma_f32 v125, -v21, v106, v79
	ds_load_b128 v[103:106], v111 offset:2656
	ds_load_2addr_b32 v[79:80], v112 offset1:1
	v_fma_f32 v55, -v20, v166, v55
	ds_load_2addr_b32 v[165:166], v114 offset1:1
	v_fma_f32 v91, -v20, v172, v91
	v_fma_f32 v114, -v22, v74, v71
	v_fma_f32 v89, -v20, v171, v89
	v_fma_f32 v95, -v31, v95, v109
	v_fma_f32 v55, -v21, v99, v55
	v_fma_f32 v109, -v21, v101, v91
	v_fma_f32 v91, -v22, v167, v125
	v_mul_f32_e32 v35, v35, v114
	v_fma_f32 v89, -v21, v100, v89
	v_fma_f32 v55, -v22, v168, v55
	;; [unrolled: 1-line block ×3, first 2 shown]
	ds_load_2addr_b32 v[112:113], v113 offset1:1
	ds_load_2addr_b64 v[71:74], v111 offset0:235 offset1:236
	v_fma_f32 v36, -v35, v36, v91
	v_fma_f32 v89, -v22, v173, v89
	;; [unrolled: 1-line block ×3, first 2 shown]
	ds_load_2addr_b32 v[171:172], v126 offset1:1
	ds_load_2addr_b32 v[127:128], v128 offset1:1
	v_fma_f32 v114, -v20, v152, v124
	v_mul_f32_e32 v36, v61, v36
	v_fma_f32 v37, -v35, v37, v55
	v_fma_f32 v38, -v35, v38, v89
	;; [unrolled: 1-line block ×4, first 2 shown]
	ds_load_b128 v[123:126], v111 offset:1632
	v_fma_f32 v37, -v36, v62, v37
	v_fma_f32 v38, -v36, v107, v38
	;; [unrolled: 1-line block ×3, first 2 shown]
	ds_load_2addr_b64 v[137:140], v111 offset0:45 offset1:46
	s_waitcnt lgkmcnt(10)
	v_fma_f32 v27, -v35, v27, v55
	v_mul_f32_e32 v37, v43, v37
	v_fma_f32 v95, -v32, v92, v95
	v_fma_f32 v43, -v20, v169, v161
	s_waitcnt lgkmcnt(4)
	v_fma_f32 v61, -v21, v71, v114
	v_fma_f32 v27, -v36, v108, v27
	;; [unrolled: 1-line block ×3, first 2 shown]
	v_mul_f32_e32 v13, v8, v13
	v_fma_f32 v55, -v11, v63, v191
	v_fma_f32 v43, -v21, v72, v43
	;; [unrolled: 1-line block ×3, first 2 shown]
	v_mul_f32_e32 v38, v145, v38
	v_fma_f32 v6, v6, s15, -v13
	v_fma_f32 v13, -v35, v28, v62
	v_fma_f32 v44, -v33, v141, v95
	;; [unrolled: 1-line block ×11, first 2 shown]
	v_mul_f32_e32 v27, v129, v27
	v_fma_f32 v30, -v35, v30, v43
	v_fma_f32 v28, -v24, v147, v28
	s_waitcnt lgkmcnt(1)
	v_fma_f32 v43, -v19, v123, v44
	v_fma_f32 v13, -v38, v157, v13
	s_waitcnt lgkmcnt(0)
	v_fma_f32 v6, -v10, v137, v6
	v_fma_f32 v29, -v36, v156, v29
	;; [unrolled: 1-line block ×7, first 2 shown]
	v_mov_b32_e32 v45, 0x8e4
	ds_load_b64 v[89:90], v111 offset:376
	v_mul_f32_e32 v28, v159, v13
	v_fma_f32 v13, -v37, v76, v30
	v_fma_f32 v30, -v26, v65, v44
	;; [unrolled: 1-line block ×3, first 2 shown]
	v_mov_b32_e32 v44, 0x6e4
	v_fma_f32 v29, -v37, v75, v29
	v_fma_f32 v6, -v23, v57, v6
	;; [unrolled: 1-line block ×4, first 2 shown]
	ds_load_2addr_b32 v[55:56], v44 offset1:1
	v_fma_f32 v29, -v38, v158, v29
	v_fma_f32 v6, -v24, v148, v6
	;; [unrolled: 1-line block ×7, first 2 shown]
	ds_load_2addr_b32 v[46:47], v45 offset1:1
	v_fma_f32 v30, -v33, v142, v30
	v_fma_f32 v43, -v36, v178, v43
	;; [unrolled: 1-line block ×4, first 2 shown]
	ds_load_2addr_b32 v[65:66], v111 offset0:125 offset1:126
	v_mov_b32_e32 v44, 0x7e4
	v_fma_f32 v13, -v27, v132, v13
	v_mul_f32_e32 v29, v81, v29
	v_fma_f32 v30, -v34, v127, v30
	v_fma_f32 v43, -v37, v77, v43
	ds_load_2addr_b32 v[61:62], v44 offset1:1
	v_fma_f32 v13, -v28, v112, v13
	v_mul_f32_e32 v45, v8, v14
	v_fma_f32 v30, -v19, v124, v30
	v_fma_f32 v43, -v38, v80, v43
	;; [unrolled: 1-line block ×4, first 2 shown]
	ds_load_2addr_b32 v[13:14], v111 offset0:123 offset1:124
	s_waitcnt lgkmcnt(4)
	v_fma_f32 v30, -v20, v55, v30
	v_fma_f32 v43, -v27, v103, v43
	v_fma_f32 v7, v7, s15, -v45
	v_fma_f32 v6, -v32, v172, v6
	v_mov_b32_e32 v45, 0x9e4
	v_fma_f32 v55, -v21, v74, v30
	v_fma_f32 v43, -v28, v113, v43
	v_mul_f32_e32 v30, v165, v44
	ds_load_2addr_b64 v[99:102], v111 offset0:237 offset1:238
	ds_load_b64 v[91:92], v111 offset:1912
	v_mov_b32_e32 v57, 0xae4
	v_fma_f32 v43, -v29, v83, v43
	s_waitcnt lgkmcnt(3)
	v_fma_f32 v44, -v22, v61, v55
	v_fma_f32 v55, -v9, v93, v7
	ds_load_b128 v[133:136], v111 offset:1648
	v_mov_b32_e32 v63, 0xce4
	v_fma_f32 v75, -v30, v166, v43
	v_fma_f32 v44, -v35, v120, v44
	;; [unrolled: 1-line block ×3, first 2 shown]
	ds_load_2addr_b32 v[6:7], v45 offset1:1
	v_fma_f32 v45, -v10, v138, v55
	v_mul_f32_e32 v15, v8, v15
	v_fma_f32 v55, -v36, v46, v44
	v_fma_f32 v61, -v34, v128, v43
	s_waitcnt lgkmcnt(4)
	v_fma_f32 v13, -v11, v13, v45
	ds_load_b128 v[43:46], v111 offset:3168
	v_fma_f32 v55, -v37, v78, v55
	ds_load_2addr_b32 v[78:79], v57 offset1:1
	v_fma_f32 v57, -v19, v125, v61
	v_fma_f32 v13, -v23, v58, v13
	v_mov_b32_e32 v58, 0x4ec
	v_mov_b32_e32 v61, 0xbe4
	ds_load_2addr_b32 v[80:81], v58 offset1:1
	ds_load_2addr_b32 v[82:83], v61 offset1:1
	;; [unrolled: 1-line block ×3, first 2 shown]
	v_fma_f32 v56, -v20, v56, v57
	v_fma_f32 v13, -v24, v149, v13
	s_waitcnt lgkmcnt(5)
	v_fma_f32 v6, -v38, v6, v55
	v_mov_b32_e32 v55, 0x968
	s_waitcnt vmcnt(0)
	v_fma_f32 v0, v0, s15, -v15
	v_fma_f32 v61, -v21, v99, v56
	v_fma_f32 v13, -v25, v48, v13
	v_mov_b32_e32 v48, 0x5ec
	v_fma_f32 v6, -v27, v104, v6
	ds_load_2addr_b64 v[55:58], v55 offset1:1
	v_fma_f32 v61, -v22, v62, v61
	v_fma_f32 v13, -v26, v143, v13
	ds_load_2addr_b32 v[103:104], v48 offset1:1
	v_fma_f32 v0, -v9, v94, v0
	v_mov_b32_e32 v15, 0xb68
	v_fma_f32 v48, -v35, v121, v61
	v_fma_f32 v13, -v31, v98, v13
	v_mov_b32_e32 v61, 0x6ec
	v_fma_f32 v0, -v10, v139, v0
	v_mov_b32_e32 v72, 0x8ec
	v_fma_f32 v71, -v36, v47, v48
	s_waitcnt lgkmcnt(4)
	v_fma_f32 v13, -v32, v80, v13
	ds_load_2addr_b32 v[47:48], v61 offset1:1
	ds_load_2addr_b64 v[61:64], v15 offset1:1
	v_mov_b32_e32 v15, 0x7ec
	v_fma_f32 v0, -v11, v14, v0
	v_fma_f32 v13, -v33, v86, v13
	v_fma_f32 v6, -v28, v78, v6
	ds_load_2addr_b32 v[85:86], v15 offset1:1
	ds_load_2addr_b32 v[93:94], v72 offset1:1
	v_fma_f32 v0, -v23, v39, v0
	s_waitcnt lgkmcnt(5)
	v_fma_f32 v55, -v37, v55, v71
	s_waitcnt lgkmcnt(4)
	v_fma_f32 v15, -v34, v103, v13
	v_mul_f32_e32 v13, v43, v75
	v_fma_f32 v6, -v29, v84, v6
	v_fma_f32 v0, -v24, v150, v0
	;; [unrolled: 1-line block ×4, first 2 shown]
	v_mov_b32_e32 v15, 0xd68
	v_fma_f32 v6, -v30, v82, v6
	v_fma_f32 v0, -v25, v49, v0
	v_mov_b32_e32 v39, 0x9ec
	s_waitcnt lgkmcnt(3)
	v_fma_f32 v14, -v20, v47, v14
	v_fma_f32 v7, -v27, v105, v7
	ds_load_2addr_b64 v[75:78], v15 offset1:1
	v_fma_f32 v6, -v13, v44, v6
	ds_load_2addr_b32 v[43:44], v39 offset1:1
	v_fma_f32 v15, -v21, v100, v14
	v_fma_f32 v0, -v26, v144, v0
	v_fma_f32 v7, -v28, v79, v7
	v_mul_f32_e32 v14, v95, v6
	ds_load_b128 v[71:74], v111 offset:3184
	s_waitcnt lgkmcnt(4)
	v_fma_f32 v6, -v22, v85, v15
	v_dual_mul_f32 v15, v8, v16 :: v_dual_mov_b32 v16, 0xaec
	v_fma_f32 v0, -v31, v115, v0
	v_fma_f32 v7, -v29, v61, v7
	s_delay_alu instid0(VALU_DEP_4) | instskip(NEXT) | instid1(VALU_DEP_4)
	v_fma_f32 v6, -v35, v122, v6
	v_fma_f32 v1, v1, s15, -v15
	ds_load_2addr_b32 v[79:80], v16 offset1:1
	v_fma_f32 v0, -v32, v81, v0
	v_fma_f32 v7, -v30, v83, v7
	s_waitcnt lgkmcnt(4)
	v_fma_f32 v6, -v36, v93, v6
	v_fma_f32 v1, -v9, v4, v1
	v_mov_b32_e32 v4, 0xbec
	v_fma_f32 v0, -v33, v87, v0
	v_fma_f32 v7, -v13, v45, v7
	;; [unrolled: 1-line block ×3, first 2 shown]
	v_mov_b32_e32 v15, 0xcec
	v_fma_f32 v1, -v10, v140, v1
	v_fma_f32 v0, -v34, v104, v0
	ds_load_2addr_b32 v[55:56], v4 offset1:1
	v_mov_b32_e32 v49, 0x5f4
	ds_load_2addr_b32 v[81:82], v15 offset1:1
	s_waitcnt lgkmcnt(4)
	v_fma_f32 v4, -v38, v43, v6
	v_fma_f32 v6, -v14, v96, v7
	;; [unrolled: 1-line block ×4, first 2 shown]
	v_mov_b32_e32 v16, 0xdec
	v_fma_f32 v4, -v27, v106, v4
	v_mul_f32_e32 v15, v75, v6
	v_fma_f32 v1, -v23, v40, v1
	v_mul_f32_e32 v6, v8, v17
	v_mul_f32_e32 v17, v8, v18
	v_fma_f32 v0, -v20, v48, v0
	s_waitcnt lgkmcnt(2)
	v_fma_f32 v39, -v28, v79, v4
	v_fma_f32 v4, -v24, v53, v1
	v_fma_f32 v2, v2, s15, -v6
	v_fma_f32 v45, v3, s15, -v17
	v_fma_f32 v40, -v21, v101, v0
	ds_load_2addr_b32 v[0:1], v111 offset0:127 offset1:191
	v_mov_b32_e32 v43, 0x4f4
	v_fma_f32 v2, -v9, v5, v2
	v_fma_f32 v12, -v9, v12, v45
	v_fma_f32 v18, -v25, v50, v4
	ds_load_b128 v[4:7], v111 offset:2160
	v_add_nc_u32_e64 v65, 0xfc, 0
	v_fma_f32 v47, -v10, v89, v2
	ds_load_2addr_b32 v[16:17], v16 offset1:1
	ds_load_2addr_b32 v[2:3], v43 offset1:1
	v_fma_f32 v43, -v29, v62, v39
	v_fma_f32 v12, -v10, v90, v12
	;; [unrolled: 1-line block ×5, first 2 shown]
	v_mov_b32_e32 v53, 0x6f4
	s_delay_alu instid0(VALU_DEP_3)
	v_fma_f32 v41, -v23, v41, v39
	ds_load_2addr_stride64_b32 v[39:40], v65 offset0:3 offset1:4
	ds_load_b64 v[47:48], v111 offset:2424
	ds_load_2addr_b32 v[49:50], v49 offset1:1
	s_waitcnt lgkmcnt(6)
	v_fma_f32 v0, -v11, v0, v12
	v_fma_f32 v18, -v31, v116, v18
	v_fma_f32 v12, -v24, v54, v41
	s_delay_alu instid0(VALU_DEP_3)
	v_fma_f32 v0, -v23, v42, v0
	ds_load_2addr_b32 v[41:42], v53 offset1:1
	v_fma_f32 v12, -v25, v51, v12
	s_waitcnt lgkmcnt(4)
	v_fma_f32 v2, -v32, v2, v18
	v_fma_f32 v4, -v35, v4, v45
	;; [unrolled: 1-line block ×6, first 2 shown]
	v_mov_b32_e32 v12, 0x7f4
	v_fma_f32 v0, -v25, v52, v0
	ds_load_2addr_stride64_b32 v[51:52], v65 offset0:5 offset1:6
	ds_load_2addr_stride64_b32 v[53:54], v65 offset0:7 offset1:8
	ds_load_2addr_stride64_b32 v[59:60], v65 offset0:9 offset1:10
	v_fma_f32 v1, -v31, v117, v1
	v_fma_f32 v4, -v36, v94, v4
	ds_load_2addr_b32 v[61:62], v12 offset1:1
	s_waitcnt lgkmcnt(7)
	v_fma_f32 v0, -v26, v39, v0
	s_waitcnt lgkmcnt(5)
	v_fma_f32 v39, -v34, v49, v2
	v_fma_f32 v1, -v32, v3, v1
	;; [unrolled: 1-line block ×3, first 2 shown]
	v_mov_b32_e32 v45, 0x8f4
	v_fma_f32 v12, -v31, v118, v0
	v_fma_f32 v39, -v19, v134, v39
	;; [unrolled: 1-line block ×3, first 2 shown]
	ds_load_b128 v[0:3], v111 offset:2672
	v_fma_f32 v4, -v38, v44, v4
	v_fma_f32 v12, -v32, v40, v12
	s_waitcnt lgkmcnt(5)
	v_fma_f32 v41, -v20, v41, v39
	ds_load_2addr_b32 v[39:40], v45 offset1:1
	v_fma_f32 v43, -v34, v50, v43
	v_mov_b32_e32 v44, 0x9f4
	v_fma_f32 v12, -v33, v164, v12
	v_fma_f32 v49, -v21, v102, v41
	v_mov_b32_e32 v45, 0xaf4
	v_fma_f32 v43, -v19, v135, v43
	v_fma_f32 v18, -v13, v46, v18
	s_waitcnt lgkmcnt(5)
	v_fma_f32 v12, -v34, v51, v12
	s_delay_alu instid0(VALU_DEP_3)
	v_fma_f32 v50, -v20, v42, v43
	ds_load_2addr_b32 v[41:42], v44 offset1:1
	ds_load_2addr_b32 v[43:44], v45 offset1:1
	s_waitcnt lgkmcnt(4)
	v_fma_f32 v45, -v22, v61, v49
	v_fma_f32 v12, -v19, v136, v12
	v_fma_f32 v51, -v21, v91, v50
	s_waitcnt lgkmcnt(3)
	v_fma_f32 v0, -v27, v0, v4
	v_fma_f32 v4, -v35, v5, v45
	v_fma_f32 v5, -v20, v52, v12
	ds_load_b64 v[49:50], v111 offset:2936
	v_fma_f32 v12, -v22, v62, v51
	v_fma_f32 v0, -v28, v80, v0
	s_waitcnt lgkmcnt(3)
	v_fma_f32 v4, -v36, v39, v4
	v_fma_f32 v5, -v21, v92, v5
	;; [unrolled: 1-line block ×5, first 2 shown]
	s_delay_alu instid0(VALU_DEP_4)
	v_fma_f32 v5, -v22, v53, v5
	v_fma_f32 v4, -v37, v58, v4
	;; [unrolled: 1-line block ×3, first 2 shown]
	v_mov_b32_e32 v18, 0xbf4
	v_fma_f32 v0, -v30, v56, v0
	v_fma_f32 v7, -v35, v7, v5
	s_waitcnt lgkmcnt(2)
	v_fma_f32 v39, -v38, v41, v4
	v_fma_f32 v6, -v37, v47, v6
	ds_load_2addr_b32 v[4:5], v18 offset1:1
	v_fma_f32 v18, -v13, v71, v0
	v_fma_f32 v7, -v36, v54, v7
	v_fma_f32 v1, -v27, v1, v39
	v_fma_f32 v0, -v38, v42, v6
	v_mov_b32_e32 v6, 0xcf4
	v_mov_b32_e32 v41, 0xdf4
	v_fma_f32 v39, -v37, v48, v7
	s_waitcnt lgkmcnt(2)
	v_fma_f32 v1, -v28, v43, v1
	v_fma_f32 v0, -v27, v2, v0
	ds_load_2addr_b32 v[6:7], v6 offset1:1
	v_mov_b32_e32 v2, 0xef4
	v_fma_f32 v45, -v38, v59, v39
	ds_load_2addr_stride64_b32 v[39:40], v65 offset0:11 offset1:12
	v_fma_f32 v1, -v29, v64, v1
	v_fma_f32 v46, -v28, v44, v0
	;; [unrolled: 1-line block ×4, first 2 shown]
	ds_load_2addr_b32 v[41:42], v41 offset1:1
	ds_load_2addr_b32 v[43:44], v2 offset1:1
	v_fma_f32 v18, -v14, v82, v18
	s_waitcnt lgkmcnt(4)
	v_fma_f32 v4, -v30, v4, v1
	ds_load_b128 v[0:3], v111 offset:3696
	v_fma_f32 v48, -v29, v49, v46
	ds_load_b64 v[45:46], v111 offset:3448
	v_fma_f32 v47, -v28, v60, v47
	v_fma_f32 v4, -v13, v72, v4
	v_mul_f32_e32 v16, v16, v12
	v_fma_f32 v5, -v30, v5, v48
	v_fma_f32 v18, -v15, v77, v18
	;; [unrolled: 1-line block ×3, first 2 shown]
	s_waitcnt lgkmcnt(5)
	v_fma_f32 v6, -v14, v6, v4
	v_fma_f32 v47, -v13, v73, v5
	ds_load_2addr_stride64_b32 v[4:5], v65 offset0:13 offset1:14
	s_waitcnt lgkmcnt(5)
	v_fma_f32 v12, -v30, v39, v12
	v_fma_f32 v17, -v16, v17, v18
	;; [unrolled: 1-line block ×4, first 2 shown]
	ds_load_b64 v[6:7], v111 offset:3960
	v_fma_f32 v12, -v13, v74, v12
	s_waitcnt lgkmcnt(3)
	v_mul_f32_e32 v0, v0, v17
	v_fma_f32 v17, -v16, v41, v18
	s_waitcnt lgkmcnt(2)
	v_fma_f32 v18, -v15, v45, v39
	v_fma_f32 v12, -v14, v40, v12
	s_delay_alu instid0(VALU_DEP_3) | instskip(NEXT) | instid1(VALU_DEP_3)
	v_fma_f32 v1, -v0, v1, v17
	v_fma_f32 v17, -v16, v42, v18
	ds_load_b32 v18, v111 offset:4092
	v_fma_f32 v12, -v15, v46, v12
	s_clause 0x3
	global_store_b128 v[67:68], v[8:11], off
	global_store_b128 v[67:68], v[23:26], off offset:16
	global_store_b128 v[67:68], v[31:34], off offset:32
	;; [unrolled: 1-line block ×3, first 2 shown]
	v_mul_f32_e32 v1, v43, v1
	v_fma_f32 v2, -v0, v2, v17
	s_clause 0x1
	global_store_b128 v[67:68], v[35:38], off offset:64
	global_store_b128 v[67:68], v[27:30], off offset:80
	s_waitcnt lgkmcnt(2)
	v_fma_f32 v4, -v16, v4, v12
	v_fma_f32 v2, -v1, v44, v2
	s_delay_alu instid0(VALU_DEP_2) | instskip(SKIP_1) | instid1(VALU_DEP_2)
	v_fma_f32 v3, -v0, v3, v4
	s_waitcnt lgkmcnt(1)
	v_mul_f32_e32 v2, v6, v2
	s_delay_alu instid0(VALU_DEP_2) | instskip(NEXT) | instid1(VALU_DEP_1)
	v_fma_f32 v3, -v1, v5, v3
	v_fma_f32 v3, -v2, v7, v3
	s_waitcnt lgkmcnt(0)
	s_delay_alu instid0(VALU_DEP_1)
	v_mul_f32_e32 v3, v18, v3
	s_clause 0x1
	global_store_b128 v[67:68], v[13:16], off offset:96
	global_store_b128 v[67:68], v[0:3], off offset:112
.LBB39_41:
	s_cmp_lt_i32 s4, s2
	s_cbranch_scc0 .LBB39_58
; %bb.42:
	s_or_b32 s5, s4, 27
	s_delay_alu instid0(SALU_CYCLE_1)
	s_cmp_ge_u32 s5, s2
	s_cbranch_scc1 .LBB39_47
; %bb.43:
	s_lshl_b32 s6, s4, 2
	s_delay_alu instid0(SALU_CYCLE_1)
	v_add_co_u32 v51, vcc_lo, v67, s6
	v_add_co_ci_u32_e32 v52, vcc_lo, 0, v68, vcc_lo
	s_and_not1_b32 vcc_lo, exec_lo, s3
	s_mov_b32 s3, 0
	s_clause 0x6
	global_load_b128 v[0:3], v[51:52], off
	global_load_b128 v[9:12], v[51:52], off offset:16
	global_load_b128 v[13:16], v[51:52], off offset:32
	;; [unrolled: 1-line block ×6, first 2 shown]
	s_waitcnt vmcnt(6)
	v_dual_mul_f32 v6, s15, v0 :: v_dual_mul_f32 v5, s15, v1
	v_mul_f32_e32 v4, s15, v2
	s_waitcnt vmcnt(5)
	v_dual_mul_f32 v8, s15, v3 :: v_dual_mul_f32 v101, s15, v12
	s_waitcnt vmcnt(4)
	v_dual_mul_f32 v2, s15, v9 :: v_dual_mul_f32 v99, s15, v15
	;; [unrolled: 2-line block ×3, first 2 shown]
	v_dual_mul_f32 v3, s15, v11 :: v_dual_mul_f32 v24, s15, v13
	v_dual_mul_f32 v95, s15, v19 :: v_dual_mul_f32 v100, s15, v14
	v_mul_f32_e32 v93, s15, v20
	s_waitcnt vmcnt(2)
	v_dual_mul_f32 v98, s15, v16 :: v_dual_mul_f32 v91, s15, v26
	v_dual_mul_f32 v96, s15, v18 :: v_dual_mul_f32 v89, s15, v28
	s_waitcnt vmcnt(1)
	v_dual_mul_f32 v92, s15, v25 :: v_dual_mul_f32 v87, s15, v30
	v_dual_mul_f32 v90, s15, v27 :: v_dual_mul_f32 v85, s15, v32
	;; [unrolled: 3-line block ×3, first 2 shown]
	v_mul_f32_e32 v84, s15, v33
	v_mul_f32_e32 v82, s15, v35
	s_cbranch_vccnz .LBB39_46
; %bb.44:
	v_dual_mov_b32 v0, v67 :: v_dual_mov_b32 v1, v68
.LBB39_45:                              ; =>This Inner Loop Header: Depth=1
	global_load_b32 v7, v[0:1], off
	v_mov_b32_e32 v21, s6
	v_add_co_u32 v0, vcc_lo, v0, 4
	v_add_co_ci_u32_e32 v1, vcc_lo, 0, v1, vcc_lo
	ds_load_b128 v[9:12], v21
	ds_load_b128 v[13:16], v21 offset:16
	ds_load_b128 v[17:20], v21 offset:32
	;; [unrolled: 1-line block ×6, first 2 shown]
	s_add_i32 s3, s3, 1
	s_addk_i32 s6, 0x80
	s_cmp_lt_u32 s3, s4
	s_waitcnt vmcnt(0) lgkmcnt(6)
	v_fma_f32 v6, -v7, v9, v6
	v_fma_f32 v5, -v7, v10, v5
	v_fma_f32 v4, -v7, v11, v4
	v_fma_f32 v8, -v7, v12, v8
	s_waitcnt lgkmcnt(5)
	v_fma_f32 v2, -v7, v13, v2
	v_fma_f32 v102, -v7, v14, v102
	v_fma_f32 v3, -v7, v15, v3
	v_fma_f32 v101, -v7, v16, v101
	s_waitcnt lgkmcnt(4)
	;; [unrolled: 5-line block ×6, first 2 shown]
	v_fma_f32 v84, -v7, v37, v84
	v_fma_f32 v83, -v7, v38, v83
	;; [unrolled: 1-line block ×4, first 2 shown]
	s_cbranch_scc1 .LBB39_45
.LBB39_46:
	s_mul_i32 s3, s4, 0x84
	s_or_b32 s6, s4, 9
	v_mov_b32_e32 v0, s3
	s_lshl_b32 s3, s4, 5
	s_mul_i32 s7, s6, 0x84
	s_add_i32 s3, s4, s3
	s_lshl_b32 s6, s6, 5
	ds_load_b128 v[16:19], v0
	s_lshl_b32 s3, s3, 2
	ds_load_b128 v[43:46], v0 offset:16
	ds_load_2addr_b32 v[9:10], v0 offset0:33 offset1:34
	ds_load_2addr_b64 v[47:50], v0 offset0:33 offset1:34
	ds_load_2addr_b32 v[71:72], v0 offset0:99 offset1:100
	ds_load_b128 v[31:34], v0 offset:528
	ds_load_2addr_b32 v[25:26], v0 offset0:165 offset1:166
	ds_load_2addr_b32 v[55:56], v0 offset0:198 offset1:231
	ds_load_b128 v[20:23], v0 offset:32
	ds_load_b32 v103, v0 offset:1056
	v_mov_b32_e32 v94, s3
	s_add_i32 s10, s3, 0x424
	s_add_i32 s6, s4, s6
	ds_load_2addr_b64 v[39:42], v94 offset0:35 offset1:36
	ds_load_b128 v[12:15], v94 offset:928
	ds_load_2addr_b32 v[105:106], v94 offset0:35 offset1:36
	ds_load_2addr_b32 v[77:78], v94 offset0:37 offset1:38
	;; [unrolled: 1-line block ×4, first 2 shown]
	s_lshl_b32 s6, s6, 2
	s_add_i32 s12, s3, 0x434
	v_mov_b32_e32 v126, s6
	s_or_b32 s6, s4, 11
	s_add_i32 s13, s3, 0x454
	s_waitcnt lgkmcnt(15)
	v_mul_f32_e32 v0, v16, v6
	s_delay_alu instid0(VALU_DEP_1)
	v_fma_f32 v1, -v0, v17, v5
	v_fma_f32 v11, -v0, v18, v4
	;; [unrolled: 1-line block ×3, first 2 shown]
	s_waitcnt lgkmcnt(14)
	v_fma_f32 v43, -v0, v43, v2
	s_waitcnt lgkmcnt(7)
	v_fma_f32 v20, -v0, v20, v24
	v_mul_f32_e32 v1, v9, v1
	v_fma_f32 v22, -v0, v22, v99
	s_delay_alu instid0(VALU_DEP_2)
	v_fma_f32 v17, -v1, v10, v11
	s_waitcnt lgkmcnt(3)
	v_fma_f32 v105, -v1, v105, v16
	s_waitcnt lgkmcnt(0)
	v_fma_f32 v22, -v1, v64, v22
	v_mul_f32_e32 v2, v47, v17
	v_fma_f32 v47, -v0, v44, v102
	v_fma_f32 v102, -v1, v106, v43
	s_delay_alu instid0(VALU_DEP_3) | instskip(SKIP_1) | instid1(VALU_DEP_4)
	v_fma_f32 v48, -v2, v48, v105
	v_fma_f32 v105, -v0, v45, v3
	v_fma_f32 v47, -v1, v77, v47
	s_delay_alu instid0(VALU_DEP_4) | instskip(NEXT) | instid1(VALU_DEP_4)
	v_fma_f32 v49, -v2, v49, v102
	v_mul_f32_e32 v3, v71, v48
	ds_load_2addr_b32 v[75:76], v94 offset0:101 offset1:102
	ds_load_2addr_b32 v[65:66], v94 offset0:103 offset1:104
	;; [unrolled: 1-line block ×4, first 2 shown]
	v_fma_f32 v48, -v1, v78, v105
	v_fma_f32 v47, -v2, v50, v47
	ds_load_2addr_b32 v[57:58], v94 offset0:201 offset1:202
	ds_load_2addr_b32 v[53:54], v94 offset0:203 offset1:204
	ds_load_b128 v[35:38], v94 offset:544
	ds_load_b128 v[4:7], v94 offset:560
	v_fma_f32 v49, -v3, v72, v49
	ds_load_2addr_b64 v[27:30], v94 offset0:37 offset1:38
	ds_load_2addr_b64 v[8:11], v94 offset0:39 offset1:40
	v_fma_f32 v39, -v2, v39, v48
	ds_load_2addr_b32 v[79:80], v94 offset0:167 offset1:168
	ds_load_b128 v[16:19], v94 offset:608
	v_fma_f32 v48, -v1, v74, v20
	v_mul_f32_e32 v24, v31, v49
	v_fma_f32 v31, -v0, v21, v100
	ds_load_2addr_b32 v[20:21], v94 offset0:199 offset1:200
	ds_load_b64 v[43:44], v94 offset:360
	v_fma_f32 v41, -v2, v41, v48
	v_fma_f32 v31, -v1, v63, v31
	s_waitcnt lgkmcnt(13)
	v_fma_f32 v47, -v3, v75, v47
	v_fma_f32 v39, -v3, v76, v39
	s_delay_alu instid0(VALU_DEP_3) | instskip(NEXT) | instid1(VALU_DEP_3)
	v_fma_f32 v31, -v2, v42, v31
	v_fma_f32 v32, -v24, v32, v47
	v_mov_b32_e32 v104, s10
	s_delay_alu instid0(VALU_DEP_4) | instskip(SKIP_4) | instid1(VALU_DEP_3)
	v_fma_f32 v33, -v24, v33, v39
	s_waitcnt lgkmcnt(5)
	v_fma_f32 v22, -v2, v27, v22
	v_mul_f32_e32 v25, v25, v32
	v_fma_f32 v32, -v3, v66, v41
	v_fma_f32 v22, -v3, v62, v22
	s_delay_alu instid0(VALU_DEP_3) | instskip(SKIP_1) | instid1(VALU_DEP_4)
	v_fma_f32 v26, -v25, v26, v33
	v_fma_f32 v33, -v3, v61, v31
	v_fma_f32 v35, -v24, v35, v32
	s_delay_alu instid0(VALU_DEP_4)
	v_fma_f32 v22, -v24, v37, v22
	ds_load_2addr_b32 v[31:32], v94 offset0:185 offset1:186
	v_mul_f32_e32 v26, v55, v26
	v_fma_f32 v27, -v24, v36, v33
	s_waitcnt lgkmcnt(4)
	v_fma_f32 v33, -v25, v80, v35
	ds_load_b32 v45, v94 offset:236
	v_fma_f32 v22, -v25, v60, v22
	v_fma_f32 v39, -v25, v59, v27
	s_delay_alu instid0(VALU_DEP_2) | instskip(NEXT) | instid1(VALU_DEP_2)
	v_fma_f32 v77, -v26, v58, v22
	v_fma_f32 v37, -v26, v57, v39
	v_mov_b32_e32 v39, s7
	v_fma_f32 v46, -v0, v46, v101
	v_fma_f32 v22, -v0, v23, v98
	s_or_b32 s7, s4, 10
	s_delay_alu instid0(SALU_CYCLE_1) | instskip(NEXT) | instid1(VALU_DEP_2)
	s_mul_i32 s10, s7, 0x84
	v_fma_f32 v46, -v1, v73, v46
	s_lshl_b32 s7, s7, 5
	s_delay_alu instid0(SALU_CYCLE_1) | instskip(NEXT) | instid1(VALU_DEP_1)
	s_add_i32 s7, s4, s7
	v_fma_f32 v40, -v2, v40, v46
	s_lshl_b32 s7, s7, 2
	s_delay_alu instid0(VALU_DEP_1)
	v_fma_f32 v40, -v3, v65, v40
	ds_load_2addr_b32 v[63:64], v94 offset0:171 offset1:172
	ds_load_2addr_b32 v[65:66], v94 offset0:173 offset1:174
	;; [unrolled: 1-line block ×3, first 2 shown]
	v_fma_f32 v34, -v24, v34, v40
	s_waitcnt lgkmcnt(6)
	v_fma_f32 v40, -v26, v21, v33
	s_delay_alu instid0(VALU_DEP_2) | instskip(NEXT) | instid1(VALU_DEP_1)
	v_fma_f32 v34, -v25, v79, v34
	v_fma_f32 v20, -v26, v20, v34
	s_delay_alu instid0(VALU_DEP_1)
	v_mul_f32_e32 v27, v56, v20
	ds_load_2addr_b32 v[20:21], v94 offset0:43 offset1:44
	ds_load_b128 v[33:36], v94 offset:944
	ds_load_2addr_b32 v[61:62], v104 offset1:1
	ds_load_2addr_b32 v[49:50], v94 offset0:107 offset1:108
	ds_load_2addr_b32 v[59:60], v39 offset1:1
	v_fma_f32 v12, -v27, v12, v40
	ds_load_b128 v[39:42], v94 offset:48
	v_fma_f32 v13, -v27, v13, v37
	ds_load_2addr_b32 v[73:74], v94 offset0:45 offset1:46
	ds_load_2addr_b32 v[75:76], v94 offset0:47 offset1:48
	;; [unrolled: 1-line block ×3, first 2 shown]
	v_fma_f32 v14, -v27, v14, v77
	v_mul_f32_e32 v12, v103, v12
	ds_load_2addr_b32 v[98:99], v94 offset0:109 offset1:110
	ds_load_2addr_b32 v[100:101], v94 offset0:111 offset1:112
	;; [unrolled: 1-line block ×4, first 2 shown]
	s_waitcnt lgkmcnt(12)
	v_fma_f32 v20, -v1, v20, v22
	s_waitcnt lgkmcnt(10)
	v_fma_f32 v13, -v12, v61, v13
	v_mov_b32_e32 v22, s10
	s_add_i32 s10, s3, 0x42c
	v_fma_f32 v20, -v2, v28, v20
	s_waitcnt lgkmcnt(7)
	v_fma_f32 v28, -v0, v39, v97
	v_mul_f32_e32 v13, v59, v13
	v_mov_b32_e32 v23, s10
	ds_load_2addr_b64 v[55:58], v22 offset1:1
	v_fma_f32 v20, -v3, v49, v20
	v_fma_f32 v28, -v1, v21, v28
	s_mul_i32 s10, s6, 0x84
	ds_load_b128 v[46:49], v94 offset:64
	v_fma_f32 v14, -v12, v62, v14
	v_fma_f32 v39, -v24, v38, v20
	;; [unrolled: 1-line block ×3, first 2 shown]
	ds_load_2addr_b32 v[37:38], v23 offset1:1
	ds_load_b128 v[20:23], v94 offset:992
	v_fma_f32 v14, -v13, v60, v14
	v_fma_f32 v39, -v25, v63, v39
	v_fma_f32 v28, -v3, v50, v28
	v_mov_b32_e32 v50, s12
	v_fma_f32 v41, -v0, v41, v95
	s_lshl_b32 s6, s6, 5
	v_fma_f32 v29, -v26, v53, v39
	v_fma_f32 v4, -v24, v4, v28
	v_mov_b32_e32 v39, s10
	s_or_b32 s10, s4, 12
	s_waitcnt lgkmcnt(3)
	v_mul_f32_e32 v14, v55, v14
	v_fma_f32 v15, -v27, v15, v29
	v_fma_f32 v4, -v25, v64, v4
	ds_load_2addr_b32 v[28:29], v126 offset0:13 offset1:14
	ds_load_2addr_b32 v[106:107], v126 offset0:15 offset1:16
	s_mul_i32 s11, s10, 0x84
	s_add_i32 s6, s4, s6
	v_fma_f32 v4, -v26, v54, v4
	ds_load_2addr_b32 v[53:54], v39 offset1:1
	s_waitcnt lgkmcnt(4)
	v_fma_f32 v15, -v12, v37, v15
	v_fma_f32 v37, -v0, v40, v96
	s_lshl_b32 s6, s6, 2
	v_fma_f32 v4, -v27, v33, v4
	s_delay_alu instid0(VALU_DEP_3) | instskip(NEXT) | instid1(VALU_DEP_3)
	v_fma_f32 v15, -v13, v104, v15
	v_fma_f32 v37, -v1, v73, v37
	s_delay_alu instid0(VALU_DEP_2)
	v_fma_f32 v15, -v14, v56, v15
	ds_load_2addr_b32 v[55:56], v94 offset0:205 offset1:206
	v_fma_f32 v30, -v2, v30, v37
	s_waitcnt lgkmcnt(1)
	v_mul_f32_e32 v15, v53, v15
	v_fma_f32 v33, -v12, v38, v4
	s_delay_alu instid0(VALU_DEP_3) | instskip(SKIP_1) | instid1(VALU_DEP_2)
	v_fma_f32 v4, -v3, v98, v30
	v_mov_b32_e32 v30, s11
	v_fma_f32 v59, -v24, v5, v4
	ds_load_b128 v[37:40], v30
	ds_load_2addr_b32 v[4:5], v50 offset1:1
	v_fma_f32 v30, -v1, v74, v41
	v_fma_f32 v41, -v13, v105, v33
	ds_load_2addr_b32 v[95:96], v94 offset0:207 offset1:208
	ds_load_2addr_b32 v[104:105], v94 offset0:209 offset1:210
	;; [unrolled: 1-line block ×3, first 2 shown]
	v_fma_f32 v33, -v25, v65, v59
	v_fma_f32 v8, -v2, v8, v30
	s_waitcnt lgkmcnt(5)
	s_delay_alu instid0(VALU_DEP_2) | instskip(NEXT) | instid1(VALU_DEP_2)
	v_fma_f32 v30, -v26, v55, v33
	v_fma_f32 v8, -v3, v99, v8
	s_delay_alu instid0(VALU_DEP_2) | instskip(NEXT) | instid1(VALU_DEP_2)
	v_fma_f32 v30, -v27, v34, v30
	v_fma_f32 v6, -v24, v6, v8
	;; [unrolled: 1-line block ×3, first 2 shown]
	s_waitcnt lgkmcnt(3)
	s_delay_alu instid0(VALU_DEP_3)
	v_fma_f32 v4, -v12, v4, v30
	v_mov_b32_e32 v30, s7
	s_lshl_b32 s7, s10, 5
	v_fma_f32 v6, -v25, v66, v6
	s_add_i32 s7, s4, s7
	v_fma_f32 v8, -v15, v54, v8
	s_lshl_b32 s7, s7, 2
	v_fma_f32 v28, -v13, v28, v4
	v_mov_b32_e32 v50, s7
	s_add_i32 s7, s3, 0x444
	v_mov_b32_e32 v150, s6
	s_or_b32 s6, s4, 13
	v_fma_f32 v6, -v26, v56, v6
	s_mul_i32 s11, s6, 0x84
	v_mul_f32_e32 v4, v37, v8
	ds_load_2addr_b32 v[33:34], v150 offset0:13 offset1:14
	v_mov_b32_e32 v41, s11
	ds_load_b32 v151, v126 offset:108
	ds_load_2addr_b64 v[53:56], v30 offset0:7 offset1:8
	ds_load_2addr_b32 v[64:65], v41 offset1:1
	v_fma_f32 v8, -v14, v58, v28
	v_fma_f32 v6, -v27, v35, v6
	ds_load_2addr_b32 v[97:98], v150 offset0:15 offset1:16
	ds_load_2addr_b32 v[110:111], v150 offset0:17 offset1:18
	;; [unrolled: 1-line block ×3, first 2 shown]
	v_fma_f32 v28, -v0, v46, v92
	ds_load_b128 v[57:60], v94 offset:576
	s_add_i32 s11, s3, 0x43c
	v_fma_f32 v5, -v12, v5, v6
	v_fma_f32 v6, -v0, v42, v93
	s_or_b32 s10, s4, 14
	s_lshl_b32 s6, s6, 5
	s_delay_alu instid0(VALU_DEP_2) | instskip(NEXT) | instid1(VALU_DEP_2)
	v_fma_f32 v5, -v13, v29, v5
	v_fma_f32 v6, -v1, v75, v6
	s_add_i32 s6, s4, s6
	s_waitcnt lgkmcnt(7)
	v_fma_f32 v8, -v15, v33, v8
	s_lshl_b32 s6, s6, 2
	v_fma_f32 v6, -v2, v9, v6
	s_waitcnt lgkmcnt(5)
	v_fma_f32 v29, -v14, v53, v5
	v_fma_f32 v8, -v4, v38, v8
	v_mov_b32_e32 v152, s6
	s_or_b32 s6, s4, 15
	v_fma_f32 v6, -v3, v100, v6
	v_fma_f32 v9, -v15, v34, v29
	s_waitcnt lgkmcnt(4)
	v_mul_f32_e32 v5, v64, v8
	v_fma_f32 v8, -v1, v76, v28
	v_mov_b32_e32 v28, s11
	v_fma_f32 v33, -v24, v7, v6
	ds_load_b128 v[61:64], v94 offset:592
	s_mul_i32 s11, s10, 0x84
	v_fma_f32 v8, -v2, v10, v8
	v_fma_f32 v10, -v4, v39, v9
	ds_load_2addr_b32 v[28:29], v28 offset1:1
	v_fma_f32 v33, -v25, v71, v33
	v_mov_b32_e32 v35, s11
	v_fma_f32 v34, -v3, v101, v8
	ds_load_b128 v[6:9], v94 offset:960
	v_fma_f32 v37, -v5, v65, v10
	v_fma_f32 v33, -v26, v95, v33
	s_mul_i32 s11, s6, 0x84
	s_waitcnt lgkmcnt(3)
	v_fma_f32 v34, -v24, v57, v34
	v_mov_b32_e32 v39, s11
	s_lshl_b32 s6, s6, 5
	v_fma_f32 v10, -v27, v36, v33
	s_add_i32 s6, s4, s6
	v_fma_f32 v34, -v25, v72, v34
	ds_load_2addr_b64 v[71:74], v35 offset1:1
	ds_load_2addr_b32 v[41:42], v152 offset0:15 offset1:16
	ds_load_2addr_b32 v[65:66], v152 offset0:17 offset1:18
	;; [unrolled: 1-line block ×3, first 2 shown]
	s_lshl_b32 s6, s6, 2
	s_lshl_b32 s10, s10, 5
	v_fma_f32 v38, -v26, v96, v34
	ds_load_b128 v[33:36], v94 offset:976
	s_waitcnt lgkmcnt(6)
	v_fma_f32 v10, -v12, v28, v10
	v_fma_f32 v28, -v0, v47, v91
	v_mov_b32_e32 v148, s6
	s_add_i32 s6, s4, s10
	s_waitcnt lgkmcnt(5)
	v_fma_f32 v6, -v27, v6, v38
	v_fma_f32 v10, -v13, v106, v10
	;; [unrolled: 1-line block ×3, first 2 shown]
	s_lshl_b32 s6, s6, 2
	s_or_b32 s10, s4, 17
	v_fma_f32 v6, -v12, v29, v6
	ds_load_2addr_b32 v[28:29], v94 offset0:177 offset1:178
	v_fma_f32 v38, -v2, v11, v38
	v_fma_f32 v46, -v14, v54, v10
	ds_load_2addr_b32 v[10:11], v39 offset1:1
	ds_load_b128 v[75:78], v50 offset:64
	v_fma_f32 v47, -v13, v107, v6
	v_mov_b32_e32 v39, s7
	v_fma_f32 v38, -v3, v102, v38
	s_or_b32 s7, s4, 16
	s_waitcnt lgkmcnt(7)
	v_mul_f32_e32 v6, v71, v37
	v_fma_f32 v37, -v15, v97, v46
	s_mul_i32 s11, s7, 0x84
	v_fma_f32 v38, -v24, v58, v38
	v_fma_f32 v46, -v14, v55, v47
	v_mov_b32_e32 v47, s11
	ds_load_b64 v[116:117], v30 offset:104
	ds_load_2addr_b32 v[57:58], v39 offset1:1
	ds_load_2addr_b32 v[92:93], v94 offset0:179 offset1:180
	ds_load_2addr_b32 v[118:119], v94 offset0:181 offset1:182
	;; [unrolled: 1-line block ×4, first 2 shown]
	v_fma_f32 v37, -v4, v40, v37
	v_fma_f32 v46, -v15, v98, v46
	ds_load_b128 v[95:98], v47
	s_waitcnt lgkmcnt(9)
	v_fma_f32 v28, -v25, v28, v38
	v_fma_f32 v47, -v0, v48, v90
	v_fma_f32 v41, -v5, v41, v37
	ds_load_2addr_b64 v[37:40], v94 offset0:41 offset1:42
	s_waitcnt lgkmcnt(8)
	v_fma_f32 v46, -v4, v75, v46
	v_fma_f32 v28, -v26, v104, v28
	s_add_i32 s11, s3, 0x44c
	s_lshl_b32 s7, s7, 5
	s_delay_alu instid0(VALU_DEP_2) | instskip(NEXT) | instid1(VALU_DEP_2)
	v_fma_f32 v46, -v5, v42, v46
	v_fma_f32 v7, -v27, v7, v28
	;; [unrolled: 1-line block ×3, first 2 shown]
	ds_load_2addr_b32 v[41:42], v126 offset0:19 offset1:20
	ds_load_2addr_b32 v[122:123], v126 offset0:21 offset1:22
	;; [unrolled: 1-line block ×3, first 2 shown]
	s_add_i32 s7, s4, s7
	ds_load_2addr_b32 v[126:127], v126 offset0:25 offset1:26
	s_waitcnt lgkmcnt(10)
	v_fma_f32 v7, -v12, v57, v7
	s_lshl_b32 s7, s7, 2
	s_waitcnt lgkmcnt(6)
	s_delay_alu instid0(VALU_DEP_1)
	v_fma_f32 v48, -v13, v99, v7
	v_mul_f32_e32 v7, v10, v28
	v_fma_f32 v28, -v1, v79, v47
	v_fma_f32 v10, -v6, v73, v46
	ds_load_2addr_b32 v[79:80], v94 offset0:51 offset1:52
	v_fma_f32 v46, -v14, v56, v48
	ds_load_2addr_b64 v[53:56], v94 offset0:43 offset1:44
	s_waitcnt lgkmcnt(6)
	v_fma_f32 v28, -v2, v37, v28
	v_fma_f32 v10, -v7, v11, v10
	;; [unrolled: 1-line block ×4, first 2 shown]
	s_delay_alu instid0(VALU_DEP_4) | instskip(NEXT) | instid1(VALU_DEP_2)
	v_fma_f32 v28, -v3, v103, v28
	v_fma_f32 v37, -v4, v76, v37
	ds_load_2addr_b32 v[75:76], v148 offset0:17 offset1:18
	v_fma_f32 v11, -v24, v59, v28
	v_fma_f32 v28, -v5, v65, v37
	v_mul_f32_e32 v37, v95, v10
	s_delay_alu instid0(VALU_DEP_3)
	v_fma_f32 v29, -v25, v29, v11
	ds_load_2addr_b32 v[10:11], v94 offset0:115 offset1:116
	s_waitcnt lgkmcnt(3)
	v_fma_f32 v59, -v1, v79, v47
	v_fma_f32 v46, -v6, v74, v28
	;; [unrolled: 1-line block ×3, first 2 shown]
	ds_load_2addr_b32 v[28:29], v94 offset0:53 offset1:54
	ds_load_2addr_b32 v[128:129], v94 offset0:55 offset1:56
	ds_load_2addr_b32 v[130:131], v94 offset0:57 offset1:58
	v_fma_f32 v38, -v2, v38, v59
	ds_load_2addr_b32 v[132:133], v148 offset0:19 offset1:20
	ds_load_2addr_b32 v[134:135], v148 offset0:21 offset1:22
	;; [unrolled: 1-line block ×3, first 2 shown]
	v_fma_f32 v8, -v27, v8, v57
	s_waitcnt lgkmcnt(7)
	v_fma_f32 v65, -v7, v75, v46
	ds_load_2addr_b64 v[46:49], v30 offset0:9 offset1:10
	ds_load_b128 v[71:74], v94 offset:80
	ds_load_2addr_b32 v[138:139], v94 offset0:117 offset1:118
	ds_load_2addr_b32 v[140:141], v94 offset0:119 offset1:120
	ds_load_2addr_b32 v[142:143], v94 offset0:121 offset1:122
	v_fma_f32 v8, -v12, v58, v8
	v_mov_b32_e32 v75, s6
	s_lshl_b32 s6, s10, 5
	s_waitcnt lgkmcnt(11)
	v_fma_f32 v10, -v3, v10, v38
	v_mov_b32_e32 v38, s11
	v_fma_f32 v8, -v13, v100, v8
	s_add_i32 s6, s4, s6
	s_mul_i32 s11, s10, 0x84
	v_fma_f32 v10, -v24, v60, v10
	ds_load_2addr_b32 v[106:107], v38 offset1:1
	ds_load_2addr_b64 v[57:60], v30 offset0:11 offset1:12
	s_lshl_b32 s6, s6, 2
	ds_load_b128 v[99:102], v94 offset:96
	v_fma_f32 v10, -v25, v92, v10
	v_mov_b32_e32 v153, s6
	s_or_b32 s6, s4, 18
	ds_load_2addr_b64 v[89:92], v75 offset0:9 offset1:10
	s_waitcnt lgkmcnt(8)
	v_fma_f32 v8, -v14, v46, v8
	v_fma_f32 v10, -v26, v108, v10
	s_waitcnt lgkmcnt(7)
	v_fma_f32 v30, -v0, v71, v88
	s_mul_i32 s10, s6, 0x84
	s_lshl_b32 s6, s6, 5
	v_fma_f32 v8, -v15, v111, v8
	v_fma_f32 v9, -v27, v9, v10
	s_add_i32 s6, s4, s6
	v_fma_f32 v10, -v1, v80, v30
	s_lshl_b32 s6, s6, 2
	v_mov_b32_e32 v38, s11
	ds_load_2addr_b32 v[79:80], v153 offset0:19 offset1:20
	ds_load_2addr_b32 v[144:145], v153 offset0:21 offset1:22
	;; [unrolled: 1-line block ×3, first 2 shown]
	s_waitcnt lgkmcnt(6)
	v_fma_f32 v9, -v12, v106, v9
	v_fma_f32 v8, -v4, v77, v8
	;; [unrolled: 1-line block ×3, first 2 shown]
	ds_load_2addr_b32 v[110:111], v38 offset1:1
	s_or_b32 s11, s4, 20
	v_fma_f32 v9, -v13, v41, v9
	v_fma_f32 v30, -v5, v66, v8
	;; [unrolled: 1-line block ×3, first 2 shown]
	s_mul_i32 s12, s11, 0x84
	s_delay_alu instid0(VALU_DEP_3)
	v_fma_f32 v41, -v14, v47, v9
	ds_load_2addr_b64 v[8:11], v75 offset0:11 offset1:12
	v_mov_b32_e32 v38, s10
	s_waitcnt lgkmcnt(5)
	v_fma_f32 v30, -v6, v89, v30
	s_or_b32 s10, s4, 19
	ds_load_2addr_b64 v[103:106], v38 offset1:1
	v_fma_f32 v38, -v24, v61, v39
	v_fma_f32 v39, -v15, v112, v41
	;; [unrolled: 1-line block ×4, first 2 shown]
	s_delay_alu instid0(VALU_DEP_4) | instskip(NEXT) | instid1(VALU_DEP_4)
	v_fma_f32 v46, -v25, v93, v38
	v_fma_f32 v39, -v4, v78, v39
	s_waitcnt lgkmcnt(2)
	v_mul_f32_e32 v38, v110, v41
	v_fma_f32 v30, -v37, v97, v30
	v_fma_f32 v41, -v26, v109, v46
	;; [unrolled: 1-line block ×4, first 2 shown]
	s_delay_alu instid0(VALU_DEP_4)
	v_fma_f32 v30, -v38, v111, v30
	ds_load_b64 v[71:72], v75 offset:104
	v_fma_f32 v33, -v27, v33, v41
	v_fma_f32 v41, -v6, v90, v39
	;; [unrolled: 1-line block ×3, first 2 shown]
	ds_load_b128 v[75:78], v50 offset:80
	s_waitcnt lgkmcnt(2)
	v_mul_f32_e32 v39, v103, v30
	ds_load_b32 v93, v148 offset:108
	ds_load_2addr_b32 v[65:66], v148 offset0:25 offset1:26
	v_fma_f32 v30, -v12, v107, v33
	v_fma_f32 v33, -v7, v132, v41
	v_fma_f32 v28, -v2, v40, v28
	ds_load_2addr_b32 v[40:41], v94 offset0:213 offset1:214
	v_mov_b32_e32 v46, s13
	v_fma_f32 v30, -v13, v42, v30
	v_mov_b32_e32 v42, s12
	v_fma_f32 v28, -v3, v138, v28
	v_fma_f32 v33, -v37, v98, v33
	ds_load_b128 v[87:90], v42
	ds_load_2addr_b32 v[46:47], v46 offset1:1
	v_fma_f32 v28, -v24, v62, v28
	v_fma_f32 v30, -v14, v48, v30
	;; [unrolled: 1-line block ×4, first 2 shown]
	v_mov_b32_e32 v42, s7
	v_fma_f32 v28, -v25, v118, v28
	s_mul_i32 s7, s10, 0x84
	ds_load_b128 v[95:98], v50 offset:96
	v_fma_f32 v33, -v1, v29, v33
	ds_load_2addr_b32 v[61:62], v94 offset0:215 offset1:216
	ds_load_2addr_b32 v[148:149], v94 offset0:217 offset1:218
	ds_load_b128 v[107:110], v42 offset:80
	s_waitcnt lgkmcnt(6)
	v_fma_f32 v28, -v26, v40, v28
	v_mov_b32_e32 v40, s7
	v_fma_f32 v53, -v2, v53, v33
	v_fma_f32 v30, -v15, v113, v30
	ds_load_b128 v[111:114], v42 offset:96
	v_fma_f32 v50, -v27, v34, v28
	ds_load_2addr_b32 v[28:29], v150 offset0:21 offset1:22
	ds_load_2addr_b32 v[33:34], v40 offset1:1
	v_fma_f32 v48, -v39, v104, v48
	v_fma_f32 v30, -v4, v75, v30
	s_waitcnt lgkmcnt(7)
	v_fma_f32 v40, -v12, v46, v50
	v_fma_f32 v46, -v3, v139, v53
	s_add_i32 s12, s3, 0x45c
	s_lshl_b32 s7, s10, 5
	v_fma_f32 v30, -v5, v115, v30
	v_fma_f32 v40, -v13, v122, v40
	;; [unrolled: 1-line block ×3, first 2 shown]
	s_add_i32 s7, s4, s7
	s_or_b32 s10, s4, 21
	s_lshl_b32 s7, s7, 2
	v_fma_f32 v40, -v14, v49, v40
	v_fma_f32 v42, -v25, v119, v46
	s_delay_alu instid0(VALU_DEP_1) | instskip(SKIP_1) | instid1(VALU_DEP_3)
	v_fma_f32 v46, -v26, v41, v42
	s_waitcnt lgkmcnt(1)
	v_fma_f32 v28, -v15, v28, v40
	s_waitcnt lgkmcnt(0)
	v_mul_f32_e32 v40, v33, v48
	v_fma_f32 v33, -v27, v35, v46
	s_delay_alu instid0(VALU_DEP_3) | instskip(SKIP_1) | instid1(VALU_DEP_3)
	v_fma_f32 v28, -v4, v76, v28
	v_fma_f32 v35, -v0, v74, v85
	;; [unrolled: 1-line block ×3, first 2 shown]
	v_mov_b32_e32 v47, s7
	s_delay_alu instid0(VALU_DEP_3) | instskip(SKIP_1) | instid1(VALU_DEP_3)
	v_fma_f32 v35, -v1, v128, v35
	s_mul_i32 s7, s10, 0x84
	v_fma_f32 v33, -v13, v123, v33
	s_delay_alu instid0(VALU_DEP_1) | instskip(NEXT) | instid1(VALU_DEP_1)
	v_fma_f32 v33, -v14, v57, v33
	v_fma_f32 v29, -v15, v29, v33
	v_mov_b32_e32 v33, s12
	v_fma_f32 v30, -v6, v91, v30
	s_delay_alu instid0(VALU_DEP_1)
	v_fma_f32 v30, -v7, v133, v30
	ds_load_2addr_b32 v[132:133], v152 offset0:21 offset1:22
	v_fma_f32 v30, -v37, v107, v30
	ds_load_2addr_b32 v[49:50], v150 offset0:23 offset1:24
	ds_load_2addr_b32 v[103:104], v150 offset0:25 offset1:26
	ds_load_b32 v107, v150 offset:108
	ds_load_2addr_b32 v[41:42], v153 offset0:25 offset1:26
	ds_load_b32 v115, v153 offset:108
	v_fma_f32 v30, -v38, v80, v30
	ds_load_2addr_b32 v[75:76], v152 offset0:23 offset1:24
	ds_load_2addr_b32 v[79:80], v152 offset0:25 offset1:26
	ds_load_b32 v118, v152 offset:108
	v_fma_f32 v30, -v39, v105, v30
	s_delay_alu instid0(VALU_DEP_1) | instskip(SKIP_4) | instid1(VALU_DEP_3)
	v_fma_f32 v46, -v40, v34, v30
	s_waitcnt lgkmcnt(8)
	v_fma_f32 v28, -v5, v132, v28
	v_fma_f32 v30, -v2, v54, v35
	;; [unrolled: 1-line block ×4, first 2 shown]
	s_delay_alu instid0(VALU_DEP_3) | instskip(NEXT) | instid1(VALU_DEP_2)
	v_fma_f32 v30, -v3, v140, v30
	v_fma_f32 v28, -v7, v134, v28
	s_delay_alu instid0(VALU_DEP_1) | instskip(NEXT) | instid1(VALU_DEP_1)
	v_fma_f32 v28, -v37, v108, v28
	v_fma_f32 v48, -v38, v144, v28
	s_delay_alu instid0(VALU_DEP_4)
	v_fma_f32 v28, -v24, v64, v30
	ds_load_2addr_b32 v[53:54], v33 offset1:1
	ds_load_2addr_b32 v[29:30], v47 offset0:21 offset1:22
	v_fma_f32 v33, -v5, v133, v34
	v_mov_b32_e32 v34, s7
	s_lshl_b32 s7, s10, 5
	v_fma_f32 v28, -v25, v120, v28
	s_add_i32 s7, s4, s7
	v_fma_f32 v8, -v6, v8, v33
	s_lshl_b32 s7, s7, 2
	s_or_b32 s10, s4, 24
	v_fma_f32 v28, -v26, v61, v28
	v_mov_b32_e32 v61, s6
	v_mov_b32_e32 v57, s7
	v_fma_f32 v8, -v7, v135, v8
	s_or_b32 s6, s4, 22
	v_fma_f32 v28, -v27, v36, v28
	ds_load_2addr_b32 v[63:64], v34 offset1:1
	ds_load_2addr_b64 v[33:36], v61 offset0:11 offset1:12
	ds_load_2addr_b32 v[73:74], v57 offset0:23 offset1:24
	ds_load_2addr_b32 v[85:86], v57 offset0:25 offset1:26
	ds_load_b32 v77, v57 offset:108
	s_mul_i32 s7, s6, 0x84
	v_fma_f32 v8, -v37, v109, v8
	s_mulk_i32 s10, 0x84
	s_waitcnt lgkmcnt(6)
	v_fma_f32 v53, -v12, v53, v28
	v_mul_f32_e32 v28, v87, v46
	v_fma_f32 v46, -v39, v106, v48
	v_fma_f32 v8, -v38, v145, v8
	s_delay_alu instid0(VALU_DEP_4)
	v_fma_f32 v48, -v13, v124, v53
	v_fma_f32 v53, -v0, v99, v84
	v_mov_b32_e32 v84, s7
	s_waitcnt lgkmcnt(5)
	v_fma_f32 v29, -v40, v29, v46
	s_lshl_b32 s7, s11, 5
	v_fma_f32 v48, -v14, v58, v48
	v_fma_f32 v53, -v1, v129, v53
	ds_load_2addr_b32 v[57:58], v47 offset0:23 offset1:24
	ds_load_2addr_b32 v[91:92], v47 offset0:25 offset1:26
	ds_load_b32 v87, v47 offset:108
	s_waitcnt lgkmcnt(6)
	v_fma_f32 v8, -v39, v33, v8
	v_fma_f32 v29, -v28, v88, v29
	;; [unrolled: 1-line block ×4, first 2 shown]
	ds_load_2addr_b64 v[46:49], v84 offset1:1
	v_fma_f32 v8, -v40, v30, v8
	v_mul_f32_e32 v29, v63, v29
	v_fma_f32 v33, -v4, v78, v99
	v_fma_f32 v53, -v3, v141, v53
	s_add_i32 s11, s3, 0x464
	v_fma_f32 v8, -v28, v89, v8
	s_add_i32 s7, s4, s7
	v_fma_f32 v30, -v5, v75, v33
	v_fma_f32 v16, -v24, v16, v53
	;; [unrolled: 1-line block ×4, first 2 shown]
	s_lshl_b32 s7, s7, 2
	v_fma_f32 v9, -v6, v9, v30
	v_fma_f32 v16, -v25, v121, v16
	;; [unrolled: 1-line block ×3, first 2 shown]
	s_delay_alu instid0(VALU_DEP_3) | instskip(NEXT) | instid1(VALU_DEP_3)
	v_fma_f32 v9, -v7, v136, v9
	v_fma_f32 v16, -v26, v62, v16
	ds_load_b64 v[61:62], v61 offset:104
	s_waitcnt lgkmcnt(1)
	v_mul_f32_e32 v30, v46, v8
	v_fma_f32 v8, -v2, v56, v33
	v_fma_f32 v9, -v37, v110, v9
	;; [unrolled: 1-line block ×3, first 2 shown]
	v_dual_mov_b32 v20, s10 :: v_dual_mov_b32 v33, s11
	s_delay_alu instid0(VALU_DEP_4) | instskip(NEXT) | instid1(VALU_DEP_4)
	v_fma_f32 v8, -v3, v142, v8
	v_fma_f32 v46, -v38, v146, v9
	s_delay_alu instid0(VALU_DEP_4) | instskip(SKIP_1) | instid1(VALU_DEP_3)
	v_fma_f32 v16, -v12, v54, v16
	s_or_b32 s10, s4, 23
	v_fma_f32 v17, -v24, v17, v8
	ds_load_b128 v[53:56], v20
	ds_load_2addr_b32 v[8:9], v33 offset1:1
	v_fma_f32 v20, -v39, v34, v46
	v_fma_f32 v33, -v0, v101, v82
	;; [unrolled: 1-line block ×4, first 2 shown]
	ds_load_2addr_b32 v[16:17], v94 offset0:123 offset1:187
	v_fma_f32 v20, -v40, v57, v20
	v_fma_f32 v33, -v1, v131, v33
	;; [unrolled: 1-line block ×10, first 2 shown]
	v_add_nc_u32_e64 v34, 0x6c, s3
	v_fma_f32 v43, -v3, v143, v20
	v_fma_f32 v33, -v4, v95, v33
	s_mul_i32 s3, s10, 0x84
	s_waitcnt lgkmcnt(1)
	v_fma_f32 v8, -v12, v8, v21
	v_fma_f32 v31, -v2, v44, v31
	ds_load_2addr_stride64_b32 v[20:21], v34 offset0:3 offset1:4
	v_fma_f32 v18, -v24, v18, v43
	v_fma_f32 v33, -v5, v76, v33
	;; [unrolled: 1-line block ×3, first 2 shown]
	s_waitcnt lgkmcnt(1)
	v_fma_f32 v16, -v3, v16, v31
	v_fma_f32 v34, -v29, v73, v57
	;; [unrolled: 1-line block ×6, first 2 shown]
	v_mov_b32_e32 v19, s3
	v_fma_f32 v18, -v26, v149, v18
	v_fma_f32 v10, -v7, v137, v10
	;; [unrolled: 1-line block ×4, first 2 shown]
	s_lshl_b32 s3, s6, 5
	v_fma_f32 v17, -v27, v22, v18
	v_mov_b32_e32 v18, s7
	v_fma_f32 v10, -v37, v111, v10
	v_fma_f32 v22, -v4, v96, v8
	s_waitcnt lgkmcnt(0)
	v_fma_f32 v20, -v26, v20, v16
	v_fma_f32 v31, -v12, v9, v17
	ds_load_2addr_b32 v[8:9], v19 offset1:1
	ds_load_b128 v[16:19], v18 offset:96
	v_fma_f32 v10, -v38, v147, v10
	v_fma_f32 v22, -v5, v79, v22
	;; [unrolled: 1-line block ×4, first 2 shown]
	s_lshl_b32 s6, s10, 5
	v_fma_f32 v10, -v39, v35, v10
	v_fma_f32 v11, -v6, v11, v22
	;; [unrolled: 1-line block ×9, first 2 shown]
	s_add_i32 s6, s4, s6
	s_add_i32 s3, s4, s3
	v_fma_f32 v11, -v37, v112, v11
	v_fma_f32 v20, -v14, v117, v20
	;; [unrolled: 1-line block ×3, first 2 shown]
	s_waitcnt lgkmcnt(0)
	v_fma_f32 v10, -v28, v16, v10
	v_mul_f32_e32 v31, v8, v22
	v_fma_f32 v11, -v38, v41, v11
	v_fma_f32 v8, -v15, v107, v20
	;; [unrolled: 1-line block ×4, first 2 shown]
	s_lshl_b32 s6, s6, 2
	v_fma_f32 v11, -v39, v36, v11
	v_fma_f32 v8, -v4, v98, v8
	v_fma_f32 v16, -v6, v71, v16
	v_fma_f32 v10, -v30, v48, v10
	s_lshl_b32 s3, s3, 2
	v_fma_f32 v11, -v40, v91, v11
	v_fma_f32 v8, -v5, v118, v8
	;; [unrolled: 1-line block ×4, first 2 shown]
	v_mov_b32_e32 v22, s6
	v_fma_f32 v11, -v28, v17, v11
	v_fma_f32 v10, -v6, v72, v8
	;; [unrolled: 1-line block ×3, first 2 shown]
	v_mul_f32_e32 v8, v53, v9
	s_or_b32 s7, s4, 25
	s_delay_alu instid0(VALU_DEP_3)
	v_fma_f32 v9, -v7, v93, v10
	v_fma_f32 v10, -v29, v85, v11
	v_fma_f32 v11, -v38, v42, v16
	v_mov_b32_e32 v16, s3
	s_mul_i32 s3, s7, 0x84
	v_fma_f32 v20, -v37, v114, v9
	v_fma_f32 v23, -v30, v49, v10
	;; [unrolled: 1-line block ×3, first 2 shown]
	ds_load_2addr_b32 v[9:10], v22 offset0:25 offset1:26
	ds_load_b64 v[16:17], v16 offset:104
	v_mov_b32_e32 v21, s3
	v_fma_f32 v20, -v38, v115, v20
	s_lshl_b32 s6, s7, 5
	v_fma_f32 v11, -v40, v92, v11
	ds_load_b32 v22, v22 offset:108
	s_or_b32 s3, s4, 26
	v_fma_f32 v32, -v39, v62, v20
	ds_load_2addr_b32 v[20:21], v21 offset1:1
	v_fma_f32 v11, -v28, v18, v11
	s_add_i32 s6, s4, s6
	s_mulk_i32 s3, 0x84
	v_fma_f32 v18, -v40, v87, v32
	s_lshl_b32 s6, s6, 2
	v_fma_f32 v11, -v29, v86, v11
	v_mov_b32_e32 v32, s6
	s_or_b32 s4, s4, 28
	v_fma_f32 v18, -v28, v19, v18
	v_mov_b32_e32 v19, s3
	s_waitcnt lgkmcnt(3)
	v_fma_f32 v9, -v31, v9, v23
	s_waitcnt lgkmcnt(2)
	v_fma_f32 v11, -v30, v16, v11
	s_mul_i32 s3, s5, 0x84
	v_fma_f32 v16, -v29, v77, v18
	ds_load_b64 v[18:19], v19
	ds_load_b32 v23, v32 offset:108
	v_fma_f32 v9, -v8, v54, v9
	v_fma_f32 v10, -v31, v10, v11
	;; [unrolled: 1-line block ×3, first 2 shown]
	s_waitcnt lgkmcnt(2)
	s_delay_alu instid0(VALU_DEP_3) | instskip(NEXT) | instid1(VALU_DEP_3)
	v_dual_mov_b32 v16, s3 :: v_dual_mul_f32 v9, v20, v9
	v_fma_f32 v10, -v8, v55, v10
	s_delay_alu instid0(VALU_DEP_3)
	v_fma_f32 v11, -v31, v22, v11
	ds_load_b32 v16, v16
	s_clause 0x1
	global_store_b128 v[51:52], v[0:3], off
	global_store_b128 v[51:52], v[24:27], off offset:16
	v_fma_f32 v10, -v9, v21, v10
	v_fma_f32 v11, -v8, v56, v11
	s_waitcnt lgkmcnt(2)
	s_delay_alu instid0(VALU_DEP_2) | instskip(SKIP_1) | instid1(VALU_DEP_2)
	v_mul_f32_e32 v10, v18, v10
	s_waitcnt lgkmcnt(1)
	v_fma_f32 v11, -v9, v23, v11
	s_delay_alu instid0(VALU_DEP_1) | instskip(SKIP_1) | instid1(VALU_DEP_1)
	v_fma_f32 v11, -v10, v19, v11
	s_waitcnt lgkmcnt(0)
	v_mul_f32_e32 v11, v16, v11
	s_clause 0x4
	global_store_b128 v[51:52], v[12:15], off offset:32
	global_store_b128 v[51:52], v[4:7], off offset:48
	;; [unrolled: 1-line block ×5, first 2 shown]
.LBB39_47:
	s_cmp_ge_i32 s4, s2
	s_cbranch_scc1 .LBB39_58
; %bb.48:
	s_add_i32 s3, s4, -1
	s_lshl_b32 s6, s4, 2
	s_add_u32 s0, s8, s0
	s_addc_u32 s1, s9, s1
	v_add_co_u32 v6, vcc_lo, s0, v69
	v_add_co_ci_u32_e32 v7, vcc_lo, s1, v70, vcc_lo
	s_mov_b32 s1, 0
	s_delay_alu instid0(VALU_DEP_2) | instskip(NEXT) | instid1(VALU_DEP_2)
	v_add_co_u32 v0, vcc_lo, v6, 28
	v_add_co_ci_u32_e32 v1, vcc_lo, 0, v7, vcc_lo
	s_mov_b32 s8, s4
	s_mov_b32 s7, 0
	s_branch .LBB39_50
.LBB39_49:                              ;   in Loop: Header=BB39_50 Depth=1
	s_mul_i32 s0, s4, 0x84
	v_add_nc_u16 v5, s8, 1
	v_mov_b32_e32 v4, s0
	s_add_i32 s4, s4, 1
	s_add_i32 s7, s7, 1
	;; [unrolled: 1-line block ×3, first 2 shown]
	v_readfirstlane_b32 s8, v5
	ds_load_b32 v4, v4
	s_cmp_ge_i32 s4, s2
	s_waitcnt lgkmcnt(0)
	v_mul_f32_e32 v4, v4, v8
	global_store_b32 v[2:3], v4, off
	s_cbranch_scc1 .LBB39_58
.LBB39_50:                              ; =>This Loop Header: Depth=1
                                        ;     Child Loop BB39_53 Depth 2
                                        ;     Child Loop BB39_57 Depth 2
	s_ashr_i32 s5, s4, 31
	s_delay_alu instid0(SALU_CYCLE_1)
	s_lshl_b64 s[10:11], s[4:5], 2
	s_cmp_eq_u32 s4, 0
	v_add_co_u32 v2, vcc_lo, v67, s10
	v_add_co_ci_u32_e32 v3, vcc_lo, s11, v68, vcc_lo
	global_load_b32 v4, v[2:3], off
	s_waitcnt vmcnt(0)
	v_mul_f32_e32 v8, s15, v4
	s_cbranch_scc1 .LBB39_49
; %bb.51:                               ;   in Loop: Header=BB39_50 Depth=1
	s_add_i32 s0, s3, s7
	s_delay_alu instid0(SALU_CYCLE_1)
	s_cmp_lt_u32 s0, 7
	s_cbranch_scc1 .LBB39_55
; %bb.52:                               ;   in Loop: Header=BB39_50 Depth=1
	v_dual_mov_b32 v5, v1 :: v_dual_mov_b32 v4, v0
	s_and_b32 s0, s4, -8
	s_mov_b32 s5, 0
	s_mov_b32 s9, s6
	s_set_inst_prefetch_distance 0x1
	.p2align	6
.LBB39_53:                              ;   Parent Loop BB39_50 Depth=1
                                        ; =>  This Inner Loop Header: Depth=2
	s_clause 0x1
	global_load_b128 v[9:12], v[4:5], off offset:-28
	global_load_b128 v[13:16], v[4:5], off offset:-12
	v_mov_b32_e32 v23, s9
	v_add_co_u32 v4, vcc_lo, v4, 32
	v_add_co_ci_u32_e32 v5, vcc_lo, 0, v5, vcc_lo
	ds_load_2addr_b32 v[17:18], v23 offset1:32
	ds_load_2addr_b32 v[19:20], v23 offset0:64 offset1:96
	ds_load_2addr_b32 v[21:22], v23 offset0:128 offset1:160
	s_add_i32 s5, s5, 8
	s_addk_i32 s9, 0x400
	s_cmp_lg_u32 s0, s5
	s_waitcnt vmcnt(1) lgkmcnt(2)
	v_fma_f32 v8, -v9, v17, v8
	s_delay_alu instid0(VALU_DEP_1) | instskip(SKIP_3) | instid1(VALU_DEP_1)
	v_fma_f32 v10, -v10, v18, v8
	ds_load_2addr_b32 v[8:9], v23 offset0:192 offset1:224
	s_waitcnt lgkmcnt(2)
	v_fma_f32 v10, -v11, v19, v10
	v_fma_f32 v10, -v12, v20, v10
	s_waitcnt vmcnt(0) lgkmcnt(1)
	s_delay_alu instid0(VALU_DEP_1) | instskip(NEXT) | instid1(VALU_DEP_1)
	v_fma_f32 v10, -v13, v21, v10
	v_fma_f32 v10, -v14, v22, v10
	s_waitcnt lgkmcnt(0)
	s_delay_alu instid0(VALU_DEP_1) | instskip(NEXT) | instid1(VALU_DEP_1)
	v_fma_f32 v8, -v15, v8, v10
	v_fma_f32 v8, -v16, v9, v8
	s_cbranch_scc1 .LBB39_53
; %bb.54:                               ;   in Loop: Header=BB39_50 Depth=1
	s_set_inst_prefetch_distance 0x2
	s_and_b32 s5, s4, 7
	s_delay_alu instid0(SALU_CYCLE_1)
	s_cmp_eq_u32 s5, 0
	s_cbranch_scc0 .LBB39_56
	s_branch .LBB39_49
.LBB39_55:                              ;   in Loop: Header=BB39_50 Depth=1
	s_mov_b32 s0, 0
	s_and_b32 s5, s4, 7
	s_delay_alu instid0(SALU_CYCLE_1)
	s_cmp_eq_u32 s5, 0
	s_cbranch_scc1 .LBB39_49
.LBB39_56:                              ;   in Loop: Header=BB39_50 Depth=1
	s_lshl_b64 s[10:11], s[0:1], 2
	s_and_b32 s5, s8, 7
	v_add_co_u32 v4, vcc_lo, v6, s10
	v_add_co_ci_u32_e32 v5, vcc_lo, s11, v7, vcc_lo
	s_lshl_b32 s0, s0, 7
.LBB39_57:                              ;   Parent Loop BB39_50 Depth=1
                                        ; =>  This Inner Loop Header: Depth=2
	global_load_b32 v9, v[4:5], off
	s_add_i32 s9, s6, s0
	v_add_co_u32 v4, vcc_lo, v4, 4
	v_mov_b32_e32 v10, s9
	v_add_co_ci_u32_e32 v5, vcc_lo, 0, v5, vcc_lo
	s_add_i32 s5, s5, -1
	s_addk_i32 s0, 0x80
	ds_load_b32 v10, v10
	s_cmp_lg_u32 s5, 0
	s_waitcnt vmcnt(0) lgkmcnt(0)
	v_fma_f32 v8, -v9, v10, v8
	s_cbranch_scc1 .LBB39_57
	s_branch .LBB39_49
.LBB39_58:
	s_nop 0
	s_sendmsg sendmsg(MSG_DEALLOC_VGPRS)
	s_endpgm
	.section	.rodata,"a",@progbits
	.p2align	6, 0x0
	.amdhsa_kernel _ZL30rocblas_trsm_small_left_deviceILi32ELi32ELb1EffPKPKfPKPfEv13rocblas_fill_18rocblas_operation_17rocblas_diagonal_iiT3_T4_lilT5_lili
		.amdhsa_group_segment_fixed_size 4096
		.amdhsa_private_segment_fixed_size 0
		.amdhsa_kernarg_size 352
		.amdhsa_user_sgpr_count 14
		.amdhsa_user_sgpr_dispatch_ptr 0
		.amdhsa_user_sgpr_queue_ptr 0
		.amdhsa_user_sgpr_kernarg_segment_ptr 1
		.amdhsa_user_sgpr_dispatch_id 0
		.amdhsa_user_sgpr_private_segment_size 0
		.amdhsa_wavefront_size32 1
		.amdhsa_uses_dynamic_stack 0
		.amdhsa_enable_private_segment 0
		.amdhsa_system_sgpr_workgroup_id_x 1
		.amdhsa_system_sgpr_workgroup_id_y 0
		.amdhsa_system_sgpr_workgroup_id_z 1
		.amdhsa_system_sgpr_workgroup_info 0
		.amdhsa_system_vgpr_workitem_id 0
		.amdhsa_next_free_vgpr 197
		.amdhsa_next_free_sgpr 89
		.amdhsa_reserve_vcc 1
		.amdhsa_float_round_mode_32 0
		.amdhsa_float_round_mode_16_64 0
		.amdhsa_float_denorm_mode_32 3
		.amdhsa_float_denorm_mode_16_64 3
		.amdhsa_dx10_clamp 1
		.amdhsa_ieee_mode 1
		.amdhsa_fp16_overflow 0
		.amdhsa_workgroup_processor_mode 1
		.amdhsa_memory_ordered 1
		.amdhsa_forward_progress 0
		.amdhsa_shared_vgpr_count 0
		.amdhsa_exception_fp_ieee_invalid_op 0
		.amdhsa_exception_fp_denorm_src 0
		.amdhsa_exception_fp_ieee_div_zero 0
		.amdhsa_exception_fp_ieee_overflow 0
		.amdhsa_exception_fp_ieee_underflow 0
		.amdhsa_exception_fp_ieee_inexact 0
		.amdhsa_exception_int_div_zero 0
	.end_amdhsa_kernel
	.section	.text._ZL30rocblas_trsm_small_left_deviceILi32ELi32ELb1EffPKPKfPKPfEv13rocblas_fill_18rocblas_operation_17rocblas_diagonal_iiT3_T4_lilT5_lili,"axG",@progbits,_ZL30rocblas_trsm_small_left_deviceILi32ELi32ELb1EffPKPKfPKPfEv13rocblas_fill_18rocblas_operation_17rocblas_diagonal_iiT3_T4_lilT5_lili,comdat
.Lfunc_end39:
	.size	_ZL30rocblas_trsm_small_left_deviceILi32ELi32ELb1EffPKPKfPKPfEv13rocblas_fill_18rocblas_operation_17rocblas_diagonal_iiT3_T4_lilT5_lili, .Lfunc_end39-_ZL30rocblas_trsm_small_left_deviceILi32ELi32ELb1EffPKPKfPKPfEv13rocblas_fill_18rocblas_operation_17rocblas_diagonal_iiT3_T4_lilT5_lili
                                        ; -- End function
	.section	.AMDGPU.csdata,"",@progbits
; Kernel info:
; codeLenInByte = 35088
; NumSgprs: 91
; NumVgprs: 197
; ScratchSize: 0
; MemoryBound: 0
; FloatMode: 240
; IeeeMode: 1
; LDSByteSize: 4096 bytes/workgroup (compile time only)
; SGPRBlocks: 11
; VGPRBlocks: 24
; NumSGPRsForWavesPerEU: 91
; NumVGPRsForWavesPerEU: 197
; Occupancy: 7
; WaveLimiterHint : 1
; COMPUTE_PGM_RSRC2:SCRATCH_EN: 0
; COMPUTE_PGM_RSRC2:USER_SGPR: 14
; COMPUTE_PGM_RSRC2:TRAP_HANDLER: 0
; COMPUTE_PGM_RSRC2:TGID_X_EN: 1
; COMPUTE_PGM_RSRC2:TGID_Y_EN: 0
; COMPUTE_PGM_RSRC2:TGID_Z_EN: 1
; COMPUTE_PGM_RSRC2:TIDIG_COMP_CNT: 0
	.section	.text._ZL31rocblas_trsm_small_right_deviceIffPKPKfPKPfLi32EEv13rocblas_fill_18rocblas_operation_17rocblas_diagonal_iiT0_T1_lilT2_lili,"axG",@progbits,_ZL31rocblas_trsm_small_right_deviceIffPKPKfPKPfLi32EEv13rocblas_fill_18rocblas_operation_17rocblas_diagonal_iiT0_T1_lilT2_lili,comdat
	.globl	_ZL31rocblas_trsm_small_right_deviceIffPKPKfPKPfLi32EEv13rocblas_fill_18rocblas_operation_17rocblas_diagonal_iiT0_T1_lilT2_lili ; -- Begin function _ZL31rocblas_trsm_small_right_deviceIffPKPKfPKPfLi32EEv13rocblas_fill_18rocblas_operation_17rocblas_diagonal_iiT0_T1_lilT2_lili
	.p2align	8
	.type	_ZL31rocblas_trsm_small_right_deviceIffPKPKfPKPfLi32EEv13rocblas_fill_18rocblas_operation_17rocblas_diagonal_iiT0_T1_lilT2_lili,@function
_ZL31rocblas_trsm_small_right_deviceIffPKPKfPKPfLi32EEv13rocblas_fill_18rocblas_operation_17rocblas_diagonal_iiT0_T1_lilT2_lili: ; @_ZL31rocblas_trsm_small_right_deviceIffPKPKfPKPfLi32EEv13rocblas_fill_18rocblas_operation_17rocblas_diagonal_iiT0_T1_lilT2_lili
; %bb.0:
	s_clause 0x1
	s_load_b128 s[8:11], s[0:1], 0x38
	s_load_b64 s[12:13], s[0:1], 0x10
	s_mov_b32 s20, s15
	s_mov_b32 s21, 0
	s_mov_b32 s15, exec_lo
	s_lshl_b64 s[22:23], s[20:21], 3
	s_waitcnt lgkmcnt(0)
	s_add_u32 s2, s8, s22
	s_addc_u32 s3, s9, s23
	s_load_b128 s[4:7], s[0:1], 0x0
	s_load_b64 s[2:3], s[2:3], 0x0
	s_min_i32 s20, s12, 32
	s_delay_alu instid0(SALU_CYCLE_1)
	s_add_i32 s28, s20, -1
	v_cmpx_gt_i32_e64 s20, v0
	s_cbranch_execz .LBB40_9
; %bb.1:
	s_clause 0x1
	s_load_b32 s8, s[0:1], 0x28
	s_load_b128 s[16:19], s[0:1], 0x18
	s_waitcnt lgkmcnt(0)
	s_ashr_i32 s9, s8, 31
	s_add_u32 s16, s16, s22
	s_addc_u32 s17, s17, s23
	s_cmp_lt_u32 s28, 3
	s_load_b64 s[16:17], s[16:17], 0x0
	s_cbranch_scc1 .LBB40_4
; %bb.2:
	v_lshlrev_b32_e32 v3, 2, v0
	s_lshl_b64 s[22:23], s[18:19], 2
	s_mul_hi_i32 s29, s8, 12
	s_waitcnt lgkmcnt(0)
	s_add_u32 s21, s16, s22
	s_addc_u32 s22, s17, s23
	v_add_co_u32 v1, s21, s21, v3
	s_delay_alu instid0(VALU_DEP_1)
	v_add_co_ci_u32_e64 v2, null, s22, 0, s21
	s_and_b32 s21, s20, -4
	s_mul_i32 s30, s8, 12
	s_lshl_b64 s[22:23], s[8:9], 4
	s_lshl_b64 s[24:25], s[8:9], 3
	;; [unrolled: 1-line block ×3, first 2 shown]
	s_mov_b32 s31, 0
	.p2align	6
.LBB40_3:                               ; =>This Inner Loop Header: Depth=1
	v_add_co_u32 v4, vcc_lo, v1, s26
	v_add_co_ci_u32_e32 v5, vcc_lo, s27, v2, vcc_lo
	v_add_co_u32 v6, vcc_lo, v1, s24
	v_add_co_ci_u32_e32 v7, vcc_lo, s25, v2, vcc_lo
	;; [unrolled: 2-line block ×3, first 2 shown]
	s_clause 0x3
	global_load_b32 v10, v[1:2], off
	global_load_b32 v4, v[4:5], off
	;; [unrolled: 1-line block ×4, first 2 shown]
	v_add_co_u32 v1, vcc_lo, v1, s22
	v_add_co_ci_u32_e32 v2, vcc_lo, s23, v2, vcc_lo
	s_add_i32 s31, s31, 4
	s_waitcnt vmcnt(2)
	ds_store_2addr_b32 v3, v10, v4 offset1:32
	s_waitcnt vmcnt(0)
	ds_store_2addr_b32 v3, v5, v6 offset0:64 offset1:96
	v_add_nc_u32_e32 v3, 0x200, v3
	s_cmp_eq_u32 s21, s31
	s_cbranch_scc0 .LBB40_3
.LBB40_4:
	s_and_b32 s22, s20, 3
	s_delay_alu instid0(SALU_CYCLE_1)
	s_cmp_eq_u32 s22, 0
	s_cbranch_scc1 .LBB40_7
; %bb.5:
	s_mul_i32 s23, s9, s21
	s_mul_hi_u32 s24, s8, s21
	s_lshl_b64 s[18:19], s[18:19], 2
	s_add_i32 s25, s24, s23
	s_mul_i32 s24, s8, s21
	v_lshlrev_b32_e32 v1, 2, v0
	s_lshl_b64 s[24:25], s[24:25], 2
	s_delay_alu instid0(SALU_CYCLE_1)
	s_add_u32 s18, s24, s18
	s_addc_u32 s19, s25, s19
	s_waitcnt lgkmcnt(0)
	s_add_u32 s16, s16, s18
	v_lshl_or_b32 v3, s21, 7, v1
	s_addc_u32 s17, s17, s19
	v_add_co_u32 v1, s16, s16, v1
	s_delay_alu instid0(VALU_DEP_1)
	v_add_co_ci_u32_e64 v2, null, s17, 0, s16
	s_lshl_b64 s[8:9], s[8:9], 2
.LBB40_6:                               ; =>This Inner Loop Header: Depth=1
	global_load_b32 v4, v[1:2], off
	v_add_co_u32 v1, vcc_lo, v1, s8
	v_add_co_ci_u32_e32 v2, vcc_lo, s9, v2, vcc_lo
	s_add_i32 s22, s22, -1
	s_delay_alu instid0(SALU_CYCLE_1)
	s_cmp_lg_u32 s22, 0
	s_waitcnt vmcnt(0)
	ds_store_b32 v3, v4
	v_add_nc_u32_e32 v3, 0x80, v3
	s_cbranch_scc1 .LBB40_6
.LBB40_7:
	s_cmpk_eq_i32 s6, 0x84
	s_cbranch_scc0 .LBB40_9
; %bb.8:
	v_mul_u32_u24_e32 v1, 33, v0
	s_delay_alu instid0(VALU_DEP_1)
	v_dual_mov_b32 v2, 1.0 :: v_dual_lshlrev_b32 v1, 2, v1
	ds_store_b32 v1, v2
.LBB40_9:
	s_or_b32 exec_lo, exec_lo, s15
	s_waitcnt lgkmcnt(0)
	s_load_b32 s6, s[0:1], 0x60
	s_lshl_b64 s[8:9], s[10:11], 2
	s_load_b32 s0, s[0:1], 0x48
	s_add_u32 s1, s2, s8
	s_addc_u32 s10, s3, s9
	s_lshl_b32 s11, s14, 5
	s_mov_b32 s23, 0
	s_sub_i32 s7, s7, s11
	s_waitcnt lgkmcnt(0)
	s_add_i32 s6, s6, -1
	s_delay_alu instid0(SALU_CYCLE_1) | instskip(SKIP_4) | instid1(SALU_CYCLE_1)
	s_cmp_ge_u32 s14, s6
	s_cselect_b32 s11, s7, 32
	s_ashr_i32 s15, s14, 31
	v_cmp_gt_i32_e32 vcc_lo, s11, v0
	s_lshl_b64 s[6:7], s[14:15], 7
	s_add_u32 s18, s1, s6
	s_addc_u32 s19, s10, s7
	s_cmp_gt_i32 s12, 0
	s_cselect_b32 s1, -1, 0
	s_delay_alu instid0(SALU_CYCLE_1) | instskip(NEXT) | instid1(SALU_CYCLE_1)
	s_and_b32 s21, vcc_lo, s1
	s_and_saveexec_b32 s22, s21
	s_cbranch_execz .LBB40_16
; %bb.10:
	s_ashr_i32 s1, s0, 31
	s_cmp_lt_u32 s12, 4
	s_cbranch_scc1 .LBB40_13
; %bb.11:
	v_lshlrev_b32_e32 v1, 2, v0
	v_lshl_or_b32 v3, v0, 2, 0x1000
	s_and_b32 s23, s12, 0x7ffffffc
	s_mul_hi_i32 s24, s0, 12
	s_mul_i32 s25, s0, 12
	v_add_co_u32 v1, s10, s18, v1
	s_delay_alu instid0(VALU_DEP_1)
	v_add_co_ci_u32_e64 v2, null, s19, 0, s10
	s_lshl_b64 s[10:11], s[0:1], 4
	s_lshl_b64 s[14:15], s[0:1], 3
	;; [unrolled: 1-line block ×3, first 2 shown]
	s_mov_b32 s26, 0
	s_set_inst_prefetch_distance 0x1
	.p2align	6
.LBB40_12:                              ; =>This Inner Loop Header: Depth=1
	v_add_co_u32 v4, vcc_lo, v1, s16
	v_add_co_ci_u32_e32 v5, vcc_lo, s17, v2, vcc_lo
	v_add_co_u32 v6, vcc_lo, v1, s14
	v_add_co_ci_u32_e32 v7, vcc_lo, s15, v2, vcc_lo
	;; [unrolled: 2-line block ×3, first 2 shown]
	s_clause 0x3
	global_load_b32 v10, v[1:2], off
	global_load_b32 v4, v[4:5], off
	;; [unrolled: 1-line block ×4, first 2 shown]
	v_add_co_u32 v1, vcc_lo, v1, s10
	v_add_co_ci_u32_e32 v2, vcc_lo, s11, v2, vcc_lo
	s_add_i32 s26, s26, 4
	s_delay_alu instid0(SALU_CYCLE_1)
	s_cmp_lg_u32 s23, s26
	s_waitcnt vmcnt(2)
	v_dual_mul_f32 v7, s13, v10 :: v_dual_mul_f32 v4, s13, v4
	s_waitcnt vmcnt(0)
	v_dual_mul_f32 v5, s13, v5 :: v_dual_mul_f32 v6, s13, v6
	ds_store_2addr_b32 v3, v7, v4 offset1:32
	ds_store_2addr_b32 v3, v5, v6 offset0:64 offset1:96
	v_add_nc_u32_e32 v3, 0x200, v3
	s_cbranch_scc1 .LBB40_12
.LBB40_13:
	s_set_inst_prefetch_distance 0x2
	s_and_b32 s14, s12, 3
	s_delay_alu instid0(SALU_CYCLE_1)
	s_cmp_eq_u32 s14, 0
	s_cbranch_scc1 .LBB40_16
; %bb.14:
	s_mul_hi_i32 s11, s0, s23
	s_mul_i32 s10, s0, s23
	v_lshlrev_b32_e32 v1, 2, v0
	s_lshl_b64 s[10:11], s[10:11], 2
	s_delay_alu instid0(SALU_CYCLE_1)
	s_add_u32 s10, s10, s6
	s_addc_u32 s11, s11, s7
	s_add_u32 s10, s10, s8
	v_lshl_or_b32 v2, s23, 7, v1
	s_addc_u32 s11, s11, s9
	s_add_u32 s10, s2, s10
	s_addc_u32 s11, s3, s11
	v_add_co_u32 v1, s10, s10, v1
	v_add_nc_u32_e32 v3, 0x1000, v2
	v_add_co_ci_u32_e64 v2, null, s11, 0, s10
	s_lshl_b64 s[10:11], s[0:1], 2
.LBB40_15:                              ; =>This Inner Loop Header: Depth=1
	global_load_b32 v4, v[1:2], off
	v_add_co_u32 v1, vcc_lo, v1, s10
	v_add_co_ci_u32_e32 v2, vcc_lo, s11, v2, vcc_lo
	s_add_i32 s14, s14, -1
	s_delay_alu instid0(SALU_CYCLE_1)
	s_cmp_lg_u32 s14, 0
	s_waitcnt vmcnt(0)
	v_mul_f32_e32 v4, s13, v4
	ds_store_b32 v3, v4
	v_add_nc_u32_e32 v3, 0x80, v3
	s_cbranch_scc1 .LBB40_15
.LBB40_16:
	s_or_b32 exec_lo, exec_lo, s22
	s_cmpk_eq_i32 s5, 0x6f
	s_waitcnt lgkmcnt(0)
	s_cselect_b32 s1, -1, 0
	s_cmpk_eq_i32 s4, 0x79
	; wave barrier
	buffer_gl0_inv
	s_cselect_b32 s10, -1, 0
	s_cmpk_lg_i32 s4, 0x79
	s_cselect_b32 s5, -1, 0
	s_and_b32 s10, s10, s1
	s_delay_alu instid0(SALU_CYCLE_1)
	s_and_not1_b32 vcc_lo, exec_lo, s10
	s_mov_b32 s10, -1
	s_cbranch_vccz .LBB40_80
; %bb.17:
	s_cmpk_lg_i32 s4, 0x7a
	s_cselect_b32 s4, -1, 0
	s_xor_b32 s1, s1, -1
	s_delay_alu instid0(SALU_CYCLE_1)
	s_or_b32 s4, s4, s1
	s_cmp_gt_i32 s12, 3
	s_cselect_b32 s1, -1, 0
	s_and_b32 vcc_lo, exec_lo, s4
	s_mov_b32 s4, -1
	s_cbranch_vccz .LBB40_59
; %bb.18:
	s_and_not1_b32 vcc_lo, exec_lo, s5
	s_cbranch_vccnz .LBB40_38
; %bb.19:
	s_and_not1_b32 vcc_lo, exec_lo, s1
	s_mov_b32 s10, 0
	s_cbranch_vccnz .LBB40_26
; %bb.20:
	v_lshl_or_b32 v3, v0, 2, 0x1000
	s_mov_b32 s4, 0
	s_mov_b32 s5, 0
.LBB40_21:                              ; =>This Loop Header: Depth=1
                                        ;     Child Loop BB40_23 Depth 2
	s_delay_alu instid0(SALU_CYCLE_1)
	s_lshl_b32 s11, s5, 5
	s_lshl_b32 s13, s5, 7
	s_or_b32 s10, s11, 32
	v_or_b32_e32 v1, s11, v0
	v_or_b32_e32 v2, s10, v0
	v_lshl_or_b32 v7, v0, 2, s13
	s_cmp_eq_u32 s5, 0
	s_delay_alu instid0(VALU_DEP_3) | instskip(NEXT) | instid1(VALU_DEP_3)
	v_lshlrev_b32_e32 v4, 2, v1
	v_lshlrev_b32_e32 v5, 2, v2
	s_delay_alu instid0(VALU_DEP_3)
	v_add_nc_u32_e32 v1, 0x1000, v7
	ds_load_b32 v9, v4 offset:4096
	ds_load_b32 v8, v5 offset:4096
	ds_load_2addr_b32 v[1:2], v1 offset0:64 offset1:96
	s_cbranch_scc1 .LBB40_24
; %bb.22:                               ;   in Loop: Header=BB40_21 Depth=1
	v_mov_b32_e32 v6, v3
	s_mov_b32 s11, 0
	s_mov_b32 s13, s4
.LBB40_23:                              ;   Parent Loop BB40_21 Depth=1
                                        ; =>  This Inner Loop Header: Depth=2
	s_delay_alu instid0(SALU_CYCLE_1)
	v_mov_b32_e32 v22, s13
	s_add_i32 s11, s11, 4
	s_addk_i32 s13, 0x200
	s_cmp_ge_u32 s11, s5
	ds_load_2addr_b32 v[26:27], v6 offset1:32
	ds_load_b128 v[10:13], v22
	ds_load_b128 v[14:17], v22 offset:128
	ds_load_2addr_b32 v[28:29], v6 offset0:64 offset1:96
	ds_load_b128 v[18:21], v22 offset:256
	ds_load_b128 v[22:25], v22 offset:384
	v_add_nc_u32_e32 v6, 0x200, v6
	s_waitcnt lgkmcnt(4)
	v_fma_f32 v9, -v26, v10, v9
	v_fma_f32 v8, -v26, v11, v8
	v_fma_f32 v1, -v26, v12, v1
	v_fma_f32 v2, -v26, v13, v2
	s_waitcnt lgkmcnt(3)
	v_fma_f32 v9, -v27, v14, v9
	v_fma_f32 v8, -v27, v15, v8
	v_fma_f32 v1, -v27, v16, v1
	v_fma_f32 v2, -v27, v17, v2
	;; [unrolled: 5-line block ×4, first 2 shown]
	s_cbranch_scc0 .LBB40_23
.LBB40_24:                              ;   in Loop: Header=BB40_21 Depth=1
	s_mul_i32 s11, s5, 0x84
	s_delay_alu instid0(SALU_CYCLE_1)
	v_dual_mov_b32 v16, s11 :: v_dual_add_nc_u32 v5, 0x1000, v5
	s_add_i32 s10, s10, s5
	s_add_i32 s4, s4, 16
	s_lshl_b32 s10, s10, 2
	ds_load_b128 v[10:13], v16
	ds_load_2addr_b32 v[14:15], v16 offset0:33 offset1:34
	s_waitcnt lgkmcnt(1)
	v_div_scale_f32 v17, null, v10, v10, v9
	v_div_scale_f32 v20, vcc_lo, v9, v10, v9
	s_delay_alu instid0(VALU_DEP_2) | instskip(SKIP_2) | instid1(VALU_DEP_1)
	v_rcp_f32_e32 v18, v17
	s_waitcnt_depctr 0xfff
	v_fma_f32 v19, -v17, v18, 1.0
	v_fmac_f32_e32 v18, v19, v18
	s_delay_alu instid0(VALU_DEP_1) | instskip(NEXT) | instid1(VALU_DEP_1)
	v_dual_mul_f32 v19, v20, v18 :: v_dual_add_nc_u32 v4, 0x1000, v4
	v_fma_f32 v21, -v17, v19, v20
	s_delay_alu instid0(VALU_DEP_1) | instskip(NEXT) | instid1(VALU_DEP_1)
	v_dual_fmac_f32 v19, v21, v18 :: v_dual_add_nc_u32 v6, 0x1100, v7
	v_fma_f32 v17, -v17, v19, v20
	s_delay_alu instid0(VALU_DEP_1) | instskip(NEXT) | instid1(VALU_DEP_1)
	v_div_fmas_f32 v17, v17, v18, v19
	v_div_fixup_f32 v10, v17, v10, v9
	s_delay_alu instid0(VALU_DEP_1)
	v_fma_f32 v11, -v10, v11, v8
	v_fma_f32 v1, -v10, v12, v1
	;; [unrolled: 1-line block ×3, first 2 shown]
	ds_load_b32 v12, v16 offset:396
	s_waitcnt lgkmcnt(1)
	v_div_scale_f32 v17, null, v14, v14, v11
	v_div_scale_f32 v19, vcc_lo, v11, v14, v11
	s_delay_alu instid0(VALU_DEP_2) | instskip(SKIP_2) | instid1(VALU_DEP_1)
	v_rcp_f32_e32 v18, v17
	s_waitcnt_depctr 0xfff
	v_fma_f32 v8, -v17, v18, 1.0
	v_dual_fmac_f32 v18, v8, v18 :: v_dual_add_nc_u32 v7, 0x1180, v7
	s_delay_alu instid0(VALU_DEP_1) | instskip(NEXT) | instid1(VALU_DEP_1)
	v_mul_f32_e32 v20, v19, v18
	v_fma_f32 v8, -v17, v20, v19
	s_delay_alu instid0(VALU_DEP_1) | instskip(SKIP_2) | instid1(VALU_DEP_1)
	v_fmac_f32_e32 v20, v8, v18
	ds_load_b64 v[8:9], v16 offset:264
	v_fma_f32 v17, -v17, v20, v19
	v_div_fmas_f32 v17, v17, v18, v20
	s_delay_alu instid0(VALU_DEP_1) | instskip(NEXT) | instid1(VALU_DEP_1)
	v_div_fixup_f32 v11, v17, v14, v11
	v_fma_f32 v1, -v11, v15, v1
	s_waitcnt lgkmcnt(0)
	s_delay_alu instid0(VALU_DEP_1) | instskip(SKIP_1) | instid1(VALU_DEP_2)
	v_div_scale_f32 v14, null, v8, v8, v1
	v_div_scale_f32 v17, vcc_lo, v1, v8, v1
	v_rcp_f32_e32 v15, v14
	s_waitcnt_depctr 0xfff
	v_fma_f32 v16, -v14, v15, 1.0
	s_delay_alu instid0(VALU_DEP_1) | instskip(SKIP_2) | instid1(SALU_CYCLE_1)
	v_dual_fmac_f32 v15, v16, v15 :: v_dual_mov_b32 v16, s10
	s_add_i32 s10, s5, 4
	s_add_i32 s5, s5, 7
	s_cmp_ge_i32 s5, s20
	s_delay_alu instid0(VALU_DEP_1) | instskip(SKIP_2) | instid1(VALU_DEP_1)
	v_mul_f32_e32 v18, v17, v15
	ds_load_b32 v16, v16 offset:12
	v_fma_f32 v19, -v14, v18, v17
	v_fmac_f32_e32 v18, v19, v15
	s_delay_alu instid0(VALU_DEP_1) | instskip(NEXT) | instid1(VALU_DEP_1)
	v_fma_f32 v14, -v14, v18, v17
	v_div_fmas_f32 v13, v14, v15, v18
	s_waitcnt lgkmcnt(0)
	v_fma_f32 v2, -v11, v16, v2
	s_delay_alu instid0(VALU_DEP_2) | instskip(NEXT) | instid1(VALU_DEP_1)
	v_div_fixup_f32 v1, v13, v8, v1
	v_fma_f32 v2, -v1, v9, v2
	s_delay_alu instid0(VALU_DEP_1) | instskip(SKIP_1) | instid1(VALU_DEP_2)
	v_div_scale_f32 v8, null, v12, v12, v2
	v_div_scale_f32 v14, vcc_lo, v2, v12, v2
	v_rcp_f32_e32 v9, v8
	s_waitcnt_depctr 0xfff
	v_fma_f32 v13, -v8, v9, 1.0
	s_delay_alu instid0(VALU_DEP_1) | instskip(NEXT) | instid1(VALU_DEP_1)
	v_fmac_f32_e32 v9, v13, v9
	v_mul_f32_e32 v13, v14, v9
	s_delay_alu instid0(VALU_DEP_1) | instskip(NEXT) | instid1(VALU_DEP_1)
	v_fma_f32 v15, -v8, v13, v14
	v_fmac_f32_e32 v13, v15, v9
	s_delay_alu instid0(VALU_DEP_1) | instskip(NEXT) | instid1(VALU_DEP_1)
	v_fma_f32 v8, -v8, v13, v14
	v_div_fmas_f32 v8, v8, v9, v13
	s_delay_alu instid0(VALU_DEP_1)
	v_div_fixup_f32 v2, v8, v12, v2
	ds_store_b32 v4, v10
	ds_store_b32 v5, v11
	;; [unrolled: 1-line block ×4, first 2 shown]
	s_cbranch_scc1 .LBB40_26
; %bb.25:                               ;   in Loop: Header=BB40_21 Depth=1
	s_mov_b32 s5, s10
	s_branch .LBB40_21
.LBB40_26:
	s_cmp_ge_i32 s10, s20
	s_cbranch_scc1 .LBB40_37
; %bb.27:
	v_lshl_or_b32 v1, v0, 2, 0x1000
	v_lshlrev_b32_e32 v2, 2, v0
	s_add_i32 s4, s10, -1
	s_lshl_b32 s5, s10, 2
	s_mov_b32 s11, 0
	s_mov_b32 s13, s10
	s_branch .LBB40_29
.LBB40_28:                              ;   in Loop: Header=BB40_29 Depth=1
	s_mul_i32 s14, s10, 0x84
	s_delay_alu instid0(SALU_CYCLE_1)
	v_dual_mov_b32 v5, s14 :: v_dual_add_nc_u32 v4, 0x1000, v4
	s_add_i32 s10, s10, 1
	s_add_i32 s11, s11, 1
	;; [unrolled: 1-line block ×3, first 2 shown]
	s_cmp_ge_i32 s10, s20
	ds_load_b32 v5, v5
	s_waitcnt lgkmcnt(0)
	v_div_scale_f32 v6, null, v5, v5, v3
	v_div_scale_f32 v9, vcc_lo, v3, v5, v3
	s_delay_alu instid0(VALU_DEP_2) | instskip(SKIP_2) | instid1(VALU_DEP_1)
	v_rcp_f32_e32 v7, v6
	s_waitcnt_depctr 0xfff
	v_fma_f32 v8, -v6, v7, 1.0
	v_fmac_f32_e32 v7, v8, v7
	s_delay_alu instid0(VALU_DEP_1) | instskip(NEXT) | instid1(VALU_DEP_1)
	v_mul_f32_e32 v8, v9, v7
	v_fma_f32 v10, -v6, v8, v9
	s_delay_alu instid0(VALU_DEP_1) | instskip(NEXT) | instid1(VALU_DEP_1)
	v_fmac_f32_e32 v8, v10, v7
	v_fma_f32 v6, -v6, v8, v9
	s_delay_alu instid0(VALU_DEP_1) | instskip(SKIP_1) | instid1(VALU_DEP_2)
	v_div_fmas_f32 v6, v6, v7, v8
	v_add_nc_u16 v7, s13, 1
	v_div_fixup_f32 v3, v6, v5, v3
	s_delay_alu instid0(VALU_DEP_2)
	v_readfirstlane_b32 s13, v7
	ds_store_b32 v4, v3
	s_cbranch_scc1 .LBB40_37
.LBB40_29:                              ; =>This Loop Header: Depth=1
                                        ;     Child Loop BB40_32 Depth 2
                                        ;     Child Loop BB40_36 Depth 2
	v_lshl_or_b32 v4, s10, 7, v2
	s_cmp_eq_u32 s10, 0
	ds_load_b32 v3, v4 offset:4096
	s_cbranch_scc1 .LBB40_28
; %bb.30:                               ;   in Loop: Header=BB40_29 Depth=1
	s_add_i32 s14, s4, s11
	s_delay_alu instid0(SALU_CYCLE_1)
	s_cmp_lt_u32 s14, 7
	s_cbranch_scc1 .LBB40_34
; %bb.31:                               ;   in Loop: Header=BB40_29 Depth=1
	v_mov_b32_e32 v5, v1
	s_and_b32 s14, s10, -8
	s_mov_b32 s15, 0
	s_mov_b32 s16, s5
	s_set_inst_prefetch_distance 0x1
	.p2align	6
.LBB40_32:                              ;   Parent Loop BB40_29 Depth=1
                                        ; =>  This Inner Loop Header: Depth=2
	v_mov_b32_e32 v18, s16
	s_add_i32 s15, s15, 8
	s_addk_i32 s16, 0x400
	s_cmp_eq_u32 s14, s15
	ds_load_2addr_b32 v[6:7], v5 offset1:32
	ds_load_2addr_b32 v[8:9], v18 offset1:32
	ds_load_2addr_b32 v[10:11], v5 offset0:64 offset1:96
	ds_load_2addr_b32 v[12:13], v18 offset0:64 offset1:96
	;; [unrolled: 1-line block ×4, first 2 shown]
	s_waitcnt lgkmcnt(4)
	v_fma_f32 v3, -v6, v8, v3
	s_delay_alu instid0(VALU_DEP_1)
	v_fma_f32 v3, -v7, v9, v3
	ds_load_2addr_b32 v[6:7], v5 offset0:192 offset1:224
	ds_load_2addr_b32 v[8:9], v18 offset0:192 offset1:224
	v_add_nc_u32_e32 v5, 0x400, v5
	s_waitcnt lgkmcnt(4)
	v_fma_f32 v3, -v10, v12, v3
	s_delay_alu instid0(VALU_DEP_1) | instskip(SKIP_1) | instid1(VALU_DEP_1)
	v_fma_f32 v3, -v11, v13, v3
	s_waitcnt lgkmcnt(2)
	v_fma_f32 v3, -v14, v16, v3
	s_delay_alu instid0(VALU_DEP_1) | instskip(SKIP_1) | instid1(VALU_DEP_1)
	v_fma_f32 v3, -v15, v17, v3
	s_waitcnt lgkmcnt(0)
	v_fma_f32 v3, -v6, v8, v3
	s_delay_alu instid0(VALU_DEP_1)
	v_fma_f32 v3, -v7, v9, v3
	s_cbranch_scc0 .LBB40_32
; %bb.33:                               ;   in Loop: Header=BB40_29 Depth=1
	s_set_inst_prefetch_distance 0x2
	s_and_b32 s15, s10, 7
	s_delay_alu instid0(SALU_CYCLE_1)
	s_cmp_eq_u32 s15, 0
	s_cbranch_scc0 .LBB40_35
	s_branch .LBB40_28
.LBB40_34:                              ;   in Loop: Header=BB40_29 Depth=1
	s_mov_b32 s14, 0
	s_and_b32 s15, s10, 7
	s_delay_alu instid0(SALU_CYCLE_1)
	s_cmp_eq_u32 s15, 0
	s_cbranch_scc1 .LBB40_28
.LBB40_35:                              ;   in Loop: Header=BB40_29 Depth=1
	s_and_b32 s15, s13, 7
	s_lshl_b32 s14, s14, 7
.LBB40_36:                              ;   Parent Loop BB40_29 Depth=1
                                        ; =>  This Inner Loop Header: Depth=2
	s_delay_alu instid0(SALU_CYCLE_1) | instskip(NEXT) | instid1(SALU_CYCLE_1)
	s_add_i32 s16, s5, s14
	v_dual_mov_b32 v6, s16 :: v_dual_add_nc_u32 v5, s14, v1
	s_add_i32 s15, s15, -1
	s_addk_i32 s14, 0x80
	s_cmp_lg_u32 s15, 0
	ds_load_b32 v5, v5
	ds_load_b32 v6, v6
	s_waitcnt lgkmcnt(0)
	v_fma_f32 v3, -v5, v6, v3
	s_cbranch_scc1 .LBB40_36
	s_branch .LBB40_28
.LBB40_37:
	s_mov_b32 s4, 0
.LBB40_38:
	s_delay_alu instid0(SALU_CYCLE_1)
	s_and_b32 vcc_lo, exec_lo, s4
	s_cbranch_vccz .LBB40_58
; %bb.39:
	s_and_not1_b32 vcc_lo, exec_lo, s1
	s_mov_b32 s10, s28
	s_cbranch_vccnz .LBB40_45
; %bb.40:
	v_lshlrev_b32_e32 v1, 2, v0
	s_mul_i32 s4, s20, 0x84
	s_mov_b32 s5, s28
	s_addk_i32 s4, 0xfdf0
	s_delay_alu instid0(VALU_DEP_1) | instskip(NEXT) | instid1(VALU_DEP_1)
	v_lshl_or_b32 v2, s20, 7, v1
	v_add_nc_u32_e32 v2, 0xe00, v2
.LBB40_41:                              ; =>This Loop Header: Depth=1
                                        ;     Child Loop BB40_42 Depth 2
	s_add_i32 s15, s5, -1
	s_lshl_b32 s13, s5, 5
	s_lshl_b32 s14, s15, 5
	v_or_b32_e32 v3, s13, v0
	s_sub_i32 s10, s13, 64
	v_or_b32_e32 v4, s14, v0
	v_or_b32_e32 v5, s10, v0
	s_add_i32 s11, s5, -3
	v_lshlrev_b32_e32 v7, 2, v3
	v_lshl_or_b32 v10, s11, 7, v1
	v_dual_mov_b32 v11, v2 :: v_dual_lshlrev_b32 v8, 2, v4
	v_lshlrev_b32_e32 v9, 2, v5
	ds_load_b32 v6, v7 offset:4096
	ds_load_b32 v5, v8 offset:4096
	;; [unrolled: 1-line block ×4, first 2 shown]
	s_cmp_le_i32 s28, s5
	s_mov_b32 s16, s4
	s_mov_b32 s17, s28
	s_cbranch_scc1 .LBB40_43
.LBB40_42:                              ;   Parent Loop BB40_41 Depth=1
                                        ; =>  This Inner Loop Header: Depth=2
	v_mov_b32_e32 v30, s16
	s_add_i32 s17, s17, -4
	s_addk_i32 s16, 0xfe00
	s_cmp_le_i32 s17, s5
	ds_load_2addr_b32 v[12:13], v11 offset0:64 offset1:96
	ds_load_2addr_b32 v[14:15], v30 offset0:98 offset1:99
	;; [unrolled: 1-line block ×5, first 2 shown]
	ds_load_2addr_b32 v[22:23], v11 offset1:32
	ds_load_2addr_b32 v[24:25], v30 offset0:34 offset1:35
	ds_load_2addr_b32 v[26:27], v30 offset0:32 offset1:33
	;; [unrolled: 1-line block ×3, first 2 shown]
	ds_load_2addr_b32 v[30:31], v30 offset1:1
	v_add_nc_u32_e32 v11, 0xfffffe00, v11
	s_waitcnt lgkmcnt(8)
	v_fma_f32 v6, -v13, v15, v6
	v_fma_f32 v5, -v13, v14, v5
	s_waitcnt lgkmcnt(7)
	v_fma_f32 v4, -v13, v17, v4
	v_fma_f32 v3, -v13, v16, v3
	;; [unrolled: 3-line block ×8, first 2 shown]
	s_cbranch_scc0 .LBB40_42
.LBB40_43:                              ;   in Loop: Header=BB40_41 Depth=1
	s_add_i32 s15, s13, s15
	s_add_i32 s14, s14, s11
	s_lshl_b32 s15, s15, 2
	s_delay_alu instid0(SALU_CYCLE_1)
	v_dual_mov_b32 v11, s15 :: v_dual_add_nc_u32 v8, 0x1000, v8
	s_mul_i32 s15, s5, 0x84
	s_lshl_b32 s14, s14, 2
	s_add_i32 s13, s13, s11
	s_add_i32 s16, s15, 0xffffff7c
	ds_load_2addr_b32 v[11:12], v11 offset1:1
	s_lshl_b32 s13, s13, 2
	v_dual_mov_b32 v13, s16 :: v_dual_add_nc_u32 v10, 0x1000, v10
	v_dual_mov_b32 v14, s13 :: v_dual_add_nc_u32 v7, 0x1000, v7
	s_add_i32 s10, s10, s11
	s_add_i32 s4, s4, -16
	s_lshl_b32 s10, s10, 2
	s_waitcnt lgkmcnt(0)
	v_div_scale_f32 v18, null, v12, v12, v6
	v_div_scale_f32 v21, vcc_lo, v6, v12, v6
	s_delay_alu instid0(VALU_DEP_2) | instskip(SKIP_2) | instid1(VALU_DEP_1)
	v_rcp_f32_e32 v19, v18
	s_waitcnt_depctr 0xfff
	v_fma_f32 v20, -v18, v19, 1.0
	v_fmac_f32_e32 v19, v20, v19
	s_delay_alu instid0(VALU_DEP_1) | instskip(NEXT) | instid1(VALU_DEP_1)
	v_dual_mul_f32 v20, v21, v19 :: v_dual_add_nc_u32 v9, 0x1000, v9
	v_fma_f32 v22, -v18, v20, v21
	s_delay_alu instid0(VALU_DEP_1) | instskip(SKIP_4) | instid1(VALU_DEP_1)
	v_dual_mov_b32 v15, s14 :: v_dual_fmac_f32 v20, v22, v19
	ds_load_b32 v17, v13
	ds_load_2addr_b32 v[13:14], v14 offset1:1
	ds_load_2addr_b32 v[15:16], v15 offset1:1
	v_fma_f32 v18, -v18, v20, v21
	v_div_fmas_f32 v18, v18, v19, v20
	s_delay_alu instid0(VALU_DEP_1) | instskip(NEXT) | instid1(VALU_DEP_1)
	v_div_fixup_f32 v12, v18, v12, v6
	v_fma_f32 v11, -v12, v11, v5
	s_waitcnt lgkmcnt(1)
	v_fma_f32 v4, -v12, v14, v4
	v_fma_f32 v3, -v12, v13, v3
	s_delay_alu instid0(VALU_DEP_3) | instskip(SKIP_1) | instid1(VALU_DEP_2)
	v_div_scale_f32 v5, null, v17, v17, v11
	v_div_scale_f32 v19, vcc_lo, v11, v17, v11
	v_rcp_f32_e32 v18, v5
	s_waitcnt_depctr 0xfff
	v_fma_f32 v6, -v5, v18, 1.0
	s_delay_alu instid0(VALU_DEP_1) | instskip(NEXT) | instid1(VALU_DEP_1)
	v_fmac_f32_e32 v18, v6, v18
	v_mul_f32_e32 v20, v19, v18
	s_delay_alu instid0(VALU_DEP_1) | instskip(NEXT) | instid1(VALU_DEP_1)
	v_fma_f32 v6, -v5, v20, v19
	v_fmac_f32_e32 v20, v6, v18
	v_mov_b32_e32 v6, s10
	s_add_i32 s10, s15, 0xfffffe74
	s_delay_alu instid0(SALU_CYCLE_1) | instskip(NEXT) | instid1(VALU_DEP_3)
	v_mov_b32_e32 v14, s10
	v_fma_f32 v19, -v5, v20, v19
	ds_load_2addr_b32 v[5:6], v6 offset1:1
	s_add_i32 s10, s5, -4
	s_cmp_lt_i32 s5, 7
	ds_load_b32 v14, v14
	v_div_fmas_f32 v18, v19, v18, v20
	s_delay_alu instid0(VALU_DEP_1) | instskip(SKIP_1) | instid1(VALU_DEP_1)
	v_div_fixup_f32 v11, v18, v17, v11
	s_waitcnt lgkmcnt(2)
	v_fma_f32 v4, -v11, v16, v4
	v_fma_f32 v3, -v11, v15, v3
	s_waitcnt lgkmcnt(1)
	s_delay_alu instid0(VALU_DEP_2) | instskip(SKIP_1) | instid1(VALU_DEP_2)
	v_div_scale_f32 v16, null, v6, v6, v4
	v_div_scale_f32 v19, vcc_lo, v4, v6, v4
	v_rcp_f32_e32 v17, v16
	s_waitcnt_depctr 0xfff
	v_fma_f32 v18, -v16, v17, 1.0
	s_delay_alu instid0(VALU_DEP_1) | instskip(NEXT) | instid1(VALU_DEP_1)
	v_fmac_f32_e32 v17, v18, v17
	v_mul_f32_e32 v18, v19, v17
	s_delay_alu instid0(VALU_DEP_1) | instskip(NEXT) | instid1(VALU_DEP_1)
	v_fma_f32 v20, -v16, v18, v19
	v_fmac_f32_e32 v18, v20, v17
	s_delay_alu instid0(VALU_DEP_1) | instskip(NEXT) | instid1(VALU_DEP_1)
	v_fma_f32 v16, -v16, v18, v19
	v_div_fmas_f32 v13, v16, v17, v18
	s_delay_alu instid0(VALU_DEP_1) | instskip(NEXT) | instid1(VALU_DEP_1)
	v_div_fixup_f32 v4, v13, v6, v4
	v_fma_f32 v3, -v4, v5, v3
	s_waitcnt lgkmcnt(0)
	s_delay_alu instid0(VALU_DEP_1) | instskip(SKIP_1) | instid1(VALU_DEP_2)
	v_div_scale_f32 v5, null, v14, v14, v3
	v_div_scale_f32 v15, vcc_lo, v3, v14, v3
	v_rcp_f32_e32 v6, v5
	s_waitcnt_depctr 0xfff
	v_fma_f32 v13, -v5, v6, 1.0
	s_delay_alu instid0(VALU_DEP_1) | instskip(NEXT) | instid1(VALU_DEP_1)
	v_fmac_f32_e32 v6, v13, v6
	v_mul_f32_e32 v13, v15, v6
	s_delay_alu instid0(VALU_DEP_1) | instskip(NEXT) | instid1(VALU_DEP_1)
	v_fma_f32 v16, -v5, v13, v15
	v_fmac_f32_e32 v13, v16, v6
	s_delay_alu instid0(VALU_DEP_1) | instskip(NEXT) | instid1(VALU_DEP_1)
	v_fma_f32 v5, -v5, v13, v15
	v_div_fmas_f32 v5, v5, v6, v13
	s_delay_alu instid0(VALU_DEP_1)
	v_div_fixup_f32 v3, v5, v14, v3
	ds_store_b32 v7, v12
	ds_store_b32 v8, v11
	;; [unrolled: 1-line block ×4, first 2 shown]
	s_cbranch_scc1 .LBB40_45
; %bb.44:                               ;   in Loop: Header=BB40_41 Depth=1
	s_mov_b32 s5, s10
	s_branch .LBB40_41
.LBB40_45:
	s_cmp_lt_i32 s10, 0
	s_cbranch_scc1 .LBB40_58
; %bb.46:
	s_bitcmp1_b32 s10, 0
	s_cselect_b32 s4, -1, 0
	s_delay_alu instid0(SALU_CYCLE_1)
	s_and_b32 vcc_lo, exec_lo, s4
	s_mov_b32 s4, s10
	s_cbranch_vccnz .LBB40_51
; %bb.47:
	v_lshlrev_b32_e32 v1, 2, v0
	s_cmp_le_i32 s28, s10
	s_delay_alu instid0(VALU_DEP_1)
	v_lshl_or_b32 v2, s10, 7, v1
	ds_load_b32 v1, v2 offset:4096
	s_cbranch_scc1 .LBB40_50
; %bb.48:
	s_lshl_b32 s4, s20, 7
	s_lshl_b32 s5, s10, 2
	v_lshl_or_b32 v3, v0, 2, s4
	s_add_i32 s4, s4, s5
	s_mov_b32 s5, s28
	s_addk_i32 s4, 0xff80
	s_delay_alu instid0(VALU_DEP_1)
	v_add_nc_u32_e32 v3, 0xf80, v3
.LBB40_49:                              ; =>This Inner Loop Header: Depth=1
	v_mov_b32_e32 v4, s4
	s_add_i32 s5, s5, -1
	s_addk_i32 s4, 0xff80
	s_cmp_gt_i32 s5, s10
	ds_load_b32 v5, v3
	ds_load_b32 v4, v4
	v_add_nc_u32_e32 v3, 0xffffff80, v3
	s_waitcnt lgkmcnt(0)
	v_fma_f32 v1, -v5, v4, v1
	s_cbranch_scc1 .LBB40_49
.LBB40_50:
	s_mul_i32 s4, s10, 0x84
	s_delay_alu instid0(SALU_CYCLE_1) | instskip(SKIP_4) | instid1(VALU_DEP_1)
	v_dual_mov_b32 v3, s4 :: v_dual_add_nc_u32 v2, 0x1000, v2
	s_add_i32 s4, s10, -1
	ds_load_b32 v3, v3
	s_waitcnt lgkmcnt(0)
	v_div_scale_f32 v4, null, v3, v3, v1
	v_rcp_f32_e32 v5, v4
	s_waitcnt_depctr 0xfff
	v_fma_f32 v6, -v4, v5, 1.0
	s_delay_alu instid0(VALU_DEP_1) | instskip(SKIP_1) | instid1(VALU_DEP_1)
	v_fmac_f32_e32 v5, v6, v5
	v_div_scale_f32 v6, vcc_lo, v1, v3, v1
	v_mul_f32_e32 v7, v6, v5
	s_delay_alu instid0(VALU_DEP_1) | instskip(NEXT) | instid1(VALU_DEP_1)
	v_fma_f32 v8, -v4, v7, v6
	v_fmac_f32_e32 v7, v8, v5
	s_delay_alu instid0(VALU_DEP_1) | instskip(NEXT) | instid1(VALU_DEP_1)
	v_fma_f32 v4, -v4, v7, v6
	v_div_fmas_f32 v4, v4, v5, v7
	s_delay_alu instid0(VALU_DEP_1)
	v_div_fixup_f32 v1, v4, v3, v1
	ds_store_b32 v2, v1
.LBB40_51:
	s_cmp_eq_u32 s10, 0
	s_cbranch_scc1 .LBB40_58
; %bb.52:
	s_lshl_b32 s5, s20, 7
	s_lshl_b32 s10, s4, 2
	v_lshl_or_b32 v1, v0, 2, s5
	v_lshlrev_b32_e32 v2, 2, v0
	s_add_i32 s10, s5, s10
	s_delay_alu instid0(SALU_CYCLE_1) | instskip(NEXT) | instid1(VALU_DEP_2)
	s_add_i32 s5, s10, 0xffffff80
	v_add_nc_u32_e32 v1, 0xf80, v1
	s_addk_i32 s10, 0xff7c
	s_branch .LBB40_54
.LBB40_53:                              ;   in Loop: Header=BB40_54 Depth=1
	s_addk_i32 s11, 0xff7c
	v_add_nc_u32_e32 v3, 0x1000, v5
	v_mov_b32_e32 v5, s11
	s_add_i32 s11, s4, -2
	s_add_i32 s5, s5, -8
	;; [unrolled: 1-line block ×3, first 2 shown]
	s_cmp_lt_i32 s4, 2
	ds_load_b32 v5, v5
	s_mov_b32 s4, s11
	s_waitcnt lgkmcnt(0)
	v_div_scale_f32 v6, null, v5, v5, v4
	v_div_scale_f32 v9, vcc_lo, v4, v5, v4
	s_delay_alu instid0(VALU_DEP_2) | instskip(SKIP_2) | instid1(VALU_DEP_1)
	v_rcp_f32_e32 v7, v6
	s_waitcnt_depctr 0xfff
	v_fma_f32 v8, -v6, v7, 1.0
	v_fmac_f32_e32 v7, v8, v7
	s_delay_alu instid0(VALU_DEP_1) | instskip(NEXT) | instid1(VALU_DEP_1)
	v_mul_f32_e32 v8, v9, v7
	v_fma_f32 v10, -v6, v8, v9
	s_delay_alu instid0(VALU_DEP_1) | instskip(NEXT) | instid1(VALU_DEP_1)
	v_fmac_f32_e32 v8, v10, v7
	v_fma_f32 v6, -v6, v8, v9
	s_delay_alu instid0(VALU_DEP_1) | instskip(NEXT) | instid1(VALU_DEP_1)
	v_div_fmas_f32 v6, v6, v7, v8
	v_div_fixup_f32 v4, v6, v5, v4
	ds_store_b32 v3, v4
	s_cbranch_scc1 .LBB40_58
.LBB40_54:                              ; =>This Loop Header: Depth=1
                                        ;     Child Loop BB40_55 Depth 2
                                        ;     Child Loop BB40_57 Depth 2
	v_lshl_or_b32 v4, s4, 7, v2
	s_delay_alu instid0(VALU_DEP_2)
	v_mov_b32_e32 v5, v1
	s_cmp_le_i32 s28, s4
	s_mov_b32 s11, s5
	s_mov_b32 s13, s28
	ds_load_b32 v3, v4 offset:4096
	s_cbranch_scc1 .LBB40_56
.LBB40_55:                              ;   Parent Loop BB40_54 Depth=1
                                        ; =>  This Inner Loop Header: Depth=2
	v_mov_b32_e32 v6, s11
	s_add_i32 s13, s13, -1
	s_addk_i32 s11, 0xff80
	s_cmp_le_i32 s13, s4
	ds_load_b32 v7, v5
	ds_load_b32 v6, v6
	v_add_nc_u32_e32 v5, 0xffffff80, v5
	s_waitcnt lgkmcnt(0)
	v_fma_f32 v3, -v7, v6, v3
	s_cbranch_scc0 .LBB40_55
.LBB40_56:                              ;   in Loop: Header=BB40_54 Depth=1
	s_mul_i32 s11, s4, 0x84
	v_add_nc_u32_e32 v6, 0x1000, v4
	v_mov_b32_e32 v4, s11
	s_lshl_b32 s13, s4, 7
	s_mov_b32 s14, s20
	s_addk_i32 s13, 0xff80
	s_cmp_lt_i32 s28, s4
	ds_load_b32 v7, v4
	v_lshl_or_b32 v5, v0, 2, s13
	s_mov_b32 s13, s10
	ds_load_b32 v4, v5 offset:4096
	s_waitcnt lgkmcnt(1)
	v_div_scale_f32 v8, null, v7, v7, v3
	s_delay_alu instid0(VALU_DEP_1) | instskip(SKIP_2) | instid1(VALU_DEP_1)
	v_rcp_f32_e32 v9, v8
	s_waitcnt_depctr 0xfff
	v_fma_f32 v10, -v8, v9, 1.0
	v_fmac_f32_e32 v9, v10, v9
	v_div_scale_f32 v10, vcc_lo, v3, v7, v3
	s_delay_alu instid0(VALU_DEP_1) | instskip(NEXT) | instid1(VALU_DEP_1)
	v_mul_f32_e32 v11, v10, v9
	v_fma_f32 v12, -v8, v11, v10
	s_delay_alu instid0(VALU_DEP_1) | instskip(NEXT) | instid1(VALU_DEP_1)
	v_fmac_f32_e32 v11, v12, v9
	v_fma_f32 v8, -v8, v11, v10
	s_delay_alu instid0(VALU_DEP_1) | instskip(NEXT) | instid1(VALU_DEP_1)
	v_div_fmas_f32 v8, v8, v9, v11
	v_div_fixup_f32 v7, v8, v7, v3
	v_mov_b32_e32 v3, v1
	ds_store_b32 v6, v7
	s_cbranch_scc1 .LBB40_53
.LBB40_57:                              ;   Parent Loop BB40_54 Depth=1
                                        ; =>  This Inner Loop Header: Depth=2
	v_mov_b32_e32 v6, s13
	s_add_i32 s14, s14, -1
	s_addk_i32 s13, 0xff80
	s_cmp_gt_i32 s14, s4
	ds_load_b32 v7, v3
	ds_load_b32 v6, v6
	v_add_nc_u32_e32 v3, 0xffffff80, v3
	s_waitcnt lgkmcnt(0)
	v_fma_f32 v4, -v7, v6, v4
	s_cbranch_scc1 .LBB40_57
	s_branch .LBB40_53
.LBB40_58:
	s_mov_b32 s4, 0
.LBB40_59:
	s_delay_alu instid0(SALU_CYCLE_1)
	s_and_not1_b32 vcc_lo, exec_lo, s4
	s_cbranch_vccnz .LBB40_79
; %bb.60:
	s_and_not1_b32 vcc_lo, exec_lo, s1
	s_mov_b32 s5, s28
	s_cbranch_vccnz .LBB40_66
; %bb.61:
	v_lshlrev_b32_e32 v1, 2, v0
	s_mul_i32 s1, s20, 0x84
	s_mov_b32 s4, s28
	s_addk_i32 s1, 0xfdf0
	s_delay_alu instid0(VALU_DEP_1) | instskip(NEXT) | instid1(VALU_DEP_1)
	v_lshl_or_b32 v2, s20, 7, v1
	v_add_nc_u32_e32 v2, 0xe00, v2
.LBB40_62:                              ; =>This Loop Header: Depth=1
                                        ;     Child Loop BB40_63 Depth 2
	s_lshl_b32 s5, s4, 5
	s_add_i32 s10, s4, -1
	v_or_b32_e32 v3, s5, v0
	s_sub_i32 s11, s5, 64
	s_addk_i32 s5, 0xffa0
	v_or_b32_e32 v4, s11, v0
	v_or_b32_e32 v5, s5, v0
	v_lshlrev_b32_e32 v7, 2, v3
	v_lshl_or_b32 v8, s10, 7, v1
	v_mov_b32_e32 v11, v2
	v_lshlrev_b32_e32 v9, 2, v4
	v_lshlrev_b32_e32 v10, 2, v5
	ds_load_b32 v6, v7 offset:4096
	ds_load_b32 v5, v8 offset:4096
	;; [unrolled: 1-line block ×4, first 2 shown]
	s_cmp_le_i32 s28, s4
	s_mov_b32 s13, s1
	s_mov_b32 s14, s28
	s_cbranch_scc1 .LBB40_64
.LBB40_63:                              ;   Parent Loop BB40_62 Depth=1
                                        ; =>  This Inner Loop Header: Depth=2
	v_mov_b32_e32 v30, s13
	s_add_i32 s14, s14, -4
	s_add_i32 s13, s13, -16
	s_cmp_le_i32 s14, s4
	ds_load_2addr_b32 v[12:13], v11 offset0:64 offset1:96
	ds_load_2addr_b32 v[14:15], v30 offset0:98 offset1:99
	;; [unrolled: 1-line block ×5, first 2 shown]
	ds_load_2addr_b32 v[22:23], v11 offset1:32
	ds_load_2addr_b32 v[24:25], v30 offset0:96 offset1:97
	ds_load_2addr_b32 v[26:27], v30 offset0:64 offset1:65
	;; [unrolled: 1-line block ×3, first 2 shown]
	ds_load_2addr_b32 v[30:31], v30 offset1:1
	v_add_nc_u32_e32 v11, 0xfffffe00, v11
	s_waitcnt lgkmcnt(8)
	v_fma_f32 v6, -v13, v15, v6
	s_waitcnt lgkmcnt(7)
	v_fma_f32 v5, -v13, v17, v5
	;; [unrolled: 2-line block ×4, first 2 shown]
	v_fma_f32 v6, -v12, v14, v6
	v_fma_f32 v5, -v12, v16, v5
	;; [unrolled: 1-line block ×3, first 2 shown]
	s_delay_alu instid0(VALU_DEP_4)
	v_fma_f32 v3, -v12, v20, v3
	s_waitcnt lgkmcnt(3)
	v_fma_f32 v6, -v23, v25, v6
	s_waitcnt lgkmcnt(2)
	;; [unrolled: 2-line block ×4, first 2 shown]
	v_fma_f32 v3, -v23, v31, v3
	v_fma_f32 v6, -v22, v24, v6
	v_fma_f32 v5, -v22, v26, v5
	v_fma_f32 v4, -v22, v28, v4
	s_delay_alu instid0(VALU_DEP_4)
	v_fma_f32 v3, -v22, v30, v3
	s_cbranch_scc0 .LBB40_63
.LBB40_64:                              ;   in Loop: Header=BB40_62 Depth=1
	s_mul_i32 s13, s4, 0x84
	s_delay_alu instid0(SALU_CYCLE_1)
	v_dual_mov_b32 v11, s13 :: v_dual_add_nc_u32 v8, 0x1000, v8
	s_add_i32 s11, s11, s4
	s_add_i32 s14, s13, 0xffffff7c
	s_lshl_b32 s11, s11, 2
	v_add_nc_u32_e32 v10, 0x1000, v10
	ds_load_b32 v15, v11
	v_mov_b32_e32 v11, s14
	s_add_i32 s15, s13, 0xfffffef8
	v_mov_b32_e32 v13, s11
	v_dual_mov_b32 v14, s15 :: v_dual_add_nc_u32 v7, 0x1000, v7
	ds_load_2addr_b32 v[11:12], v11 offset1:1
	ds_load_b32 v16, v13
	ds_load_2addr_b32 v[13:14], v14 offset1:1
	s_add_i32 s5, s5, s10
	s_addk_i32 s1, 0xfe00
	s_lshl_b32 s5, s5, 2
	s_waitcnt lgkmcnt(3)
	v_div_scale_f32 v17, null, v15, v15, v6
	v_div_scale_f32 v20, vcc_lo, v6, v15, v6
	s_delay_alu instid0(VALU_DEP_2) | instskip(SKIP_2) | instid1(VALU_DEP_1)
	v_rcp_f32_e32 v18, v17
	s_waitcnt_depctr 0xfff
	v_fma_f32 v19, -v17, v18, 1.0
	v_dual_fmac_f32 v18, v19, v18 :: v_dual_add_nc_u32 v9, 0x1000, v9
	s_delay_alu instid0(VALU_DEP_1) | instskip(NEXT) | instid1(VALU_DEP_1)
	v_mul_f32_e32 v19, v20, v18
	v_fma_f32 v21, -v17, v19, v20
	s_delay_alu instid0(VALU_DEP_1) | instskip(NEXT) | instid1(VALU_DEP_1)
	v_fmac_f32_e32 v19, v21, v18
	v_fma_f32 v17, -v17, v19, v20
	s_delay_alu instid0(VALU_DEP_1) | instskip(NEXT) | instid1(VALU_DEP_1)
	v_div_fmas_f32 v17, v17, v18, v19
	v_div_fixup_f32 v6, v17, v15, v6
	s_waitcnt lgkmcnt(2)
	s_delay_alu instid0(VALU_DEP_1) | instskip(SKIP_2) | instid1(VALU_DEP_2)
	v_fma_f32 v5, -v6, v12, v5
	s_waitcnt lgkmcnt(1)
	v_fma_f32 v4, -v6, v16, v4
	v_div_scale_f32 v12, null, v11, v11, v5
	v_div_scale_f32 v18, vcc_lo, v5, v11, v5
	s_delay_alu instid0(VALU_DEP_2) | instskip(SKIP_2) | instid1(VALU_DEP_1)
	v_rcp_f32_e32 v15, v12
	s_waitcnt_depctr 0xfff
	v_fma_f32 v17, -v12, v15, 1.0
	v_fmac_f32_e32 v15, v17, v15
	s_delay_alu instid0(VALU_DEP_1) | instskip(NEXT) | instid1(VALU_DEP_1)
	v_mul_f32_e32 v17, v18, v15
	v_fma_f32 v19, -v12, v17, v18
	s_delay_alu instid0(VALU_DEP_1) | instskip(NEXT) | instid1(VALU_DEP_1)
	v_fmac_f32_e32 v17, v19, v15
	v_fma_f32 v12, -v12, v17, v18
	s_delay_alu instid0(VALU_DEP_1) | instskip(NEXT) | instid1(VALU_DEP_1)
	v_div_fmas_f32 v12, v12, v15, v17
	v_div_fixup_f32 v15, v12, v11, v5
	v_mov_b32_e32 v5, s5
	s_add_i32 s5, s13, 0xfffffe74
	s_delay_alu instid0(SALU_CYCLE_1)
	v_mov_b32_e32 v11, s5
	s_waitcnt lgkmcnt(0)
	v_fma_f32 v14, -v15, v14, v4
	s_add_i32 s5, s4, -4
	s_cmp_lt_i32 s4, 7
	ds_load_2addr_b32 v[11:12], v11 offset1:1
	v_div_scale_f32 v16, null, v13, v13, v14
	v_div_scale_f32 v18, vcc_lo, v14, v13, v14
	s_delay_alu instid0(VALU_DEP_2) | instskip(SKIP_2) | instid1(VALU_DEP_1)
	v_rcp_f32_e32 v17, v16
	s_waitcnt_depctr 0xfff
	v_fma_f32 v4, -v16, v17, 1.0
	v_fmac_f32_e32 v17, v4, v17
	ds_load_2addr_b32 v[4:5], v5 offset1:1
	v_mul_f32_e32 v19, v18, v17
	s_delay_alu instid0(VALU_DEP_1) | instskip(NEXT) | instid1(VALU_DEP_1)
	v_fma_f32 v20, -v16, v19, v18
	v_fmac_f32_e32 v19, v20, v17
	s_delay_alu instid0(VALU_DEP_1) | instskip(SKIP_2) | instid1(VALU_DEP_2)
	v_fma_f32 v16, -v16, v19, v18
	s_waitcnt lgkmcnt(0)
	v_fma_f32 v3, -v6, v5, v3
	v_div_fmas_f32 v5, v16, v17, v19
	s_delay_alu instid0(VALU_DEP_2) | instskip(NEXT) | instid1(VALU_DEP_2)
	v_fma_f32 v3, -v15, v4, v3
	v_div_fixup_f32 v4, v5, v13, v14
	s_delay_alu instid0(VALU_DEP_1) | instskip(NEXT) | instid1(VALU_DEP_1)
	v_fma_f32 v3, -v4, v12, v3
	v_div_scale_f32 v5, null, v11, v11, v3
	v_div_scale_f32 v14, vcc_lo, v3, v11, v3
	s_delay_alu instid0(VALU_DEP_2) | instskip(SKIP_2) | instid1(VALU_DEP_1)
	v_rcp_f32_e32 v12, v5
	s_waitcnt_depctr 0xfff
	v_fma_f32 v13, -v5, v12, 1.0
	v_fmac_f32_e32 v12, v13, v12
	s_delay_alu instid0(VALU_DEP_1) | instskip(NEXT) | instid1(VALU_DEP_1)
	v_mul_f32_e32 v13, v14, v12
	v_fma_f32 v16, -v5, v13, v14
	s_delay_alu instid0(VALU_DEP_1) | instskip(NEXT) | instid1(VALU_DEP_1)
	v_fmac_f32_e32 v13, v16, v12
	v_fma_f32 v5, -v5, v13, v14
	s_delay_alu instid0(VALU_DEP_1) | instskip(NEXT) | instid1(VALU_DEP_1)
	v_div_fmas_f32 v5, v5, v12, v13
	v_div_fixup_f32 v3, v5, v11, v3
	ds_store_b32 v7, v6
	ds_store_b32 v8, v15
	;; [unrolled: 1-line block ×4, first 2 shown]
	s_cbranch_scc1 .LBB40_66
; %bb.65:                               ;   in Loop: Header=BB40_62 Depth=1
	s_mov_b32 s4, s5
	s_branch .LBB40_62
.LBB40_66:
	s_cmp_lt_i32 s5, 0
	s_cbranch_scc1 .LBB40_79
; %bb.67:
	s_bitcmp1_b32 s5, 0
	s_cselect_b32 s1, -1, 0
	s_delay_alu instid0(SALU_CYCLE_1)
	s_and_b32 vcc_lo, exec_lo, s1
	s_mov_b32 s1, s5
	s_cbranch_vccnz .LBB40_72
; %bb.68:
	v_lshlrev_b32_e32 v3, 2, v0
	s_cmp_le_i32 s28, s5
	s_delay_alu instid0(VALU_DEP_1)
	v_lshl_or_b32 v2, s5, 7, v3
	ds_load_b32 v1, v2 offset:4096
	s_cbranch_scc1 .LBB40_71
; %bb.69:
	v_lshl_or_b32 v3, s20, 7, v3
	s_lshl_b32 s1, s5, 7
	s_lshl_b32 s4, s20, 2
	s_delay_alu instid0(SALU_CYCLE_1) | instskip(NEXT) | instid1(VALU_DEP_1)
	s_add_i32 s1, s1, s4
	v_add_nc_u32_e32 v3, 0xf80, v3
	s_add_i32 s1, s1, -4
	s_mov_b32 s4, s28
.LBB40_70:                              ; =>This Inner Loop Header: Depth=1
	v_mov_b32_e32 v4, s1
	s_add_i32 s4, s4, -1
	s_add_i32 s1, s1, -4
	s_cmp_gt_i32 s4, s5
	ds_load_b32 v5, v3
	ds_load_b32 v4, v4
	v_add_nc_u32_e32 v3, 0xffffff80, v3
	s_waitcnt lgkmcnt(0)
	v_fma_f32 v1, -v5, v4, v1
	s_cbranch_scc1 .LBB40_70
.LBB40_71:
	s_mul_i32 s1, s5, 0x84
	s_delay_alu instid0(SALU_CYCLE_1) | instskip(SKIP_4) | instid1(VALU_DEP_1)
	v_dual_mov_b32 v3, s1 :: v_dual_add_nc_u32 v2, 0x1000, v2
	s_add_i32 s1, s5, -1
	ds_load_b32 v3, v3
	s_waitcnt lgkmcnt(0)
	v_div_scale_f32 v4, null, v3, v3, v1
	v_rcp_f32_e32 v5, v4
	s_waitcnt_depctr 0xfff
	v_fma_f32 v6, -v4, v5, 1.0
	s_delay_alu instid0(VALU_DEP_1) | instskip(SKIP_1) | instid1(VALU_DEP_1)
	v_fmac_f32_e32 v5, v6, v5
	v_div_scale_f32 v6, vcc_lo, v1, v3, v1
	v_mul_f32_e32 v7, v6, v5
	s_delay_alu instid0(VALU_DEP_1) | instskip(NEXT) | instid1(VALU_DEP_1)
	v_fma_f32 v8, -v4, v7, v6
	v_fmac_f32_e32 v7, v8, v5
	s_delay_alu instid0(VALU_DEP_1) | instskip(NEXT) | instid1(VALU_DEP_1)
	v_fma_f32 v4, -v4, v7, v6
	v_div_fmas_f32 v4, v4, v5, v7
	s_delay_alu instid0(VALU_DEP_1)
	v_div_fixup_f32 v1, v4, v3, v1
	ds_store_b32 v2, v1
.LBB40_72:
	s_cmp_eq_u32 s5, 0
	s_cbranch_scc1 .LBB40_79
; %bb.73:
	v_lshlrev_b32_e32 v1, 2, v0
	s_lshl_b32 s4, s1, 7
	s_lshl_b32 s5, s20, 2
	s_delay_alu instid0(SALU_CYCLE_1) | instskip(NEXT) | instid1(VALU_DEP_1)
	s_add_i32 s5, s4, s5
	v_lshl_or_b32 v2, s20, 7, v1
	s_add_i32 s4, s5, -4
	s_addk_i32 s5, 0xff7c
	s_delay_alu instid0(VALU_DEP_1)
	v_add_nc_u32_e32 v2, 0xf80, v2
	s_branch .LBB40_75
.LBB40_74:                              ;   in Loop: Header=BB40_75 Depth=1
	s_addk_i32 s10, 0xff7c
	v_add_nc_u32_e32 v3, 0x1000, v5
	v_mov_b32_e32 v5, s10
	s_add_i32 s10, s1, -2
	s_addk_i32 s4, 0xff00
	s_addk_i32 s5, 0xff00
	s_cmp_lt_i32 s1, 2
	ds_load_b32 v5, v5
	s_mov_b32 s1, s10
	s_waitcnt lgkmcnt(0)
	v_div_scale_f32 v6, null, v5, v5, v4
	v_div_scale_f32 v9, vcc_lo, v4, v5, v4
	s_delay_alu instid0(VALU_DEP_2) | instskip(SKIP_2) | instid1(VALU_DEP_1)
	v_rcp_f32_e32 v7, v6
	s_waitcnt_depctr 0xfff
	v_fma_f32 v8, -v6, v7, 1.0
	v_fmac_f32_e32 v7, v8, v7
	s_delay_alu instid0(VALU_DEP_1) | instskip(NEXT) | instid1(VALU_DEP_1)
	v_mul_f32_e32 v8, v9, v7
	v_fma_f32 v10, -v6, v8, v9
	s_delay_alu instid0(VALU_DEP_1) | instskip(NEXT) | instid1(VALU_DEP_1)
	v_fmac_f32_e32 v8, v10, v7
	v_fma_f32 v6, -v6, v8, v9
	s_delay_alu instid0(VALU_DEP_1) | instskip(NEXT) | instid1(VALU_DEP_1)
	v_div_fmas_f32 v6, v6, v7, v8
	v_div_fixup_f32 v4, v6, v5, v4
	ds_store_b32 v3, v4
	s_cbranch_scc1 .LBB40_79
.LBB40_75:                              ; =>This Loop Header: Depth=1
                                        ;     Child Loop BB40_76 Depth 2
                                        ;     Child Loop BB40_78 Depth 2
	v_lshl_or_b32 v4, s1, 7, v1
	s_delay_alu instid0(VALU_DEP_2)
	v_mov_b32_e32 v5, v2
	s_cmp_le_i32 s28, s1
	s_mov_b32 s10, s4
	s_mov_b32 s11, s28
	ds_load_b32 v3, v4 offset:4096
	s_cbranch_scc1 .LBB40_77
.LBB40_76:                              ;   Parent Loop BB40_75 Depth=1
                                        ; =>  This Inner Loop Header: Depth=2
	v_mov_b32_e32 v6, s10
	s_add_i32 s11, s11, -1
	s_add_i32 s10, s10, -4
	s_cmp_le_i32 s11, s1
	ds_load_b32 v7, v5
	ds_load_b32 v6, v6
	v_add_nc_u32_e32 v5, 0xffffff80, v5
	s_waitcnt lgkmcnt(0)
	v_fma_f32 v3, -v7, v6, v3
	s_cbranch_scc0 .LBB40_76
.LBB40_77:                              ;   in Loop: Header=BB40_75 Depth=1
	s_mul_i32 s10, s1, 0x84
	v_add_nc_u32_e32 v6, 0x1000, v4
	v_mov_b32_e32 v4, s10
	s_lshl_b32 s11, s1, 7
	s_mov_b32 s13, s20
	s_addk_i32 s11, 0xff80
	s_cmp_lt_i32 s28, s1
	ds_load_b32 v7, v4
	v_lshl_or_b32 v5, v0, 2, s11
	s_mov_b32 s11, s5
	ds_load_b32 v4, v5 offset:4096
	s_waitcnt lgkmcnt(1)
	v_div_scale_f32 v8, null, v7, v7, v3
	s_delay_alu instid0(VALU_DEP_1) | instskip(SKIP_2) | instid1(VALU_DEP_1)
	v_rcp_f32_e32 v9, v8
	s_waitcnt_depctr 0xfff
	v_fma_f32 v10, -v8, v9, 1.0
	v_fmac_f32_e32 v9, v10, v9
	v_div_scale_f32 v10, vcc_lo, v3, v7, v3
	s_delay_alu instid0(VALU_DEP_1) | instskip(NEXT) | instid1(VALU_DEP_1)
	v_mul_f32_e32 v11, v10, v9
	v_fma_f32 v12, -v8, v11, v10
	s_delay_alu instid0(VALU_DEP_1) | instskip(NEXT) | instid1(VALU_DEP_1)
	v_fmac_f32_e32 v11, v12, v9
	v_fma_f32 v8, -v8, v11, v10
	s_delay_alu instid0(VALU_DEP_1) | instskip(NEXT) | instid1(VALU_DEP_1)
	v_div_fmas_f32 v8, v8, v9, v11
	v_div_fixup_f32 v7, v8, v7, v3
	v_mov_b32_e32 v3, v2
	ds_store_b32 v6, v7
	s_cbranch_scc1 .LBB40_74
.LBB40_78:                              ;   Parent Loop BB40_75 Depth=1
                                        ; =>  This Inner Loop Header: Depth=2
	v_mov_b32_e32 v6, s11
	s_add_i32 s13, s13, -1
	s_add_i32 s11, s11, -4
	s_cmp_gt_i32 s13, s1
	ds_load_b32 v7, v3
	ds_load_b32 v6, v6
	v_add_nc_u32_e32 v3, 0xffffff80, v3
	s_waitcnt lgkmcnt(0)
	v_fma_f32 v4, -v7, v6, v4
	s_cbranch_scc1 .LBB40_78
	s_branch .LBB40_74
.LBB40_79:
	s_mov_b32 s10, 0
.LBB40_80:
	s_delay_alu instid0(SALU_CYCLE_1)
	s_and_not1_b32 vcc_lo, exec_lo, s10
	s_cbranch_vccnz .LBB40_99
; %bb.81:
	s_cmp_lt_i32 s12, 4
	s_mov_b32 s5, 0
	s_cbranch_scc1 .LBB40_88
; %bb.82:
	v_lshl_or_b32 v1, v0, 2, 0x1000
	s_mov_b32 s1, 0
	s_mov_b32 s4, 0
.LBB40_83:                              ; =>This Loop Header: Depth=1
                                        ;     Child Loop BB40_85 Depth 2
	s_delay_alu instid0(SALU_CYCLE_1) | instskip(NEXT) | instid1(SALU_CYCLE_1)
	s_lshl_b32 s5, s4, 5
	s_or_b32 s11, s5, 32
	v_or_b32_e32 v2, s5, v0
	s_or_b32 s10, s5, 64
	v_or_b32_e32 v3, s11, v0
	;; [unrolled: 2-line block ×3, first 2 shown]
	v_or_b32_e32 v5, s5, v0
	v_lshlrev_b32_e32 v6, 2, v2
	v_lshlrev_b32_e32 v7, 2, v3
	s_cmp_eq_u32 s4, 0
	v_lshlrev_b32_e32 v8, 2, v4
	v_lshlrev_b32_e32 v9, 2, v5
	ds_load_b32 v5, v6 offset:4096
	ds_load_b32 v4, v7 offset:4096
	;; [unrolled: 1-line block ×4, first 2 shown]
	s_cbranch_scc1 .LBB40_86
; %bb.84:                               ;   in Loop: Header=BB40_83 Depth=1
	v_mov_b32_e32 v10, v1
	s_mov_b32 s13, 0
	s_mov_b32 s14, s1
.LBB40_85:                              ;   Parent Loop BB40_83 Depth=1
                                        ; =>  This Inner Loop Header: Depth=2
	s_delay_alu instid0(SALU_CYCLE_1)
	v_mov_b32_e32 v23, s14
	s_add_i32 s13, s13, 4
	s_add_i32 s14, s14, 16
	s_cmp_ge_u32 s13, s4
	ds_load_2addr_b32 v[27:28], v10 offset1:32
	ds_load_b128 v[11:14], v23
	ds_load_b128 v[15:18], v23 offset:128
	ds_load_b128 v[19:22], v23 offset:256
	;; [unrolled: 1-line block ×3, first 2 shown]
	ds_load_2addr_b32 v[29:30], v10 offset0:64 offset1:96
	v_add_nc_u32_e32 v10, 0x200, v10
	s_waitcnt lgkmcnt(4)
	v_fma_f32 v5, -v27, v11, v5
	s_waitcnt lgkmcnt(3)
	v_fma_f32 v4, -v27, v15, v4
	;; [unrolled: 2-line block ×4, first 2 shown]
	v_fma_f32 v5, -v28, v12, v5
	v_fma_f32 v4, -v28, v16, v4
	;; [unrolled: 1-line block ×3, first 2 shown]
	s_delay_alu instid0(VALU_DEP_4)
	v_fma_f32 v2, -v28, v24, v2
	s_waitcnt lgkmcnt(0)
	v_fma_f32 v5, -v29, v13, v5
	v_fma_f32 v4, -v29, v17, v4
	;; [unrolled: 1-line block ×4, first 2 shown]
	s_delay_alu instid0(VALU_DEP_4) | instskip(NEXT) | instid1(VALU_DEP_4)
	v_fma_f32 v5, -v30, v14, v5
	v_fma_f32 v4, -v30, v18, v4
	s_delay_alu instid0(VALU_DEP_4) | instskip(NEXT) | instid1(VALU_DEP_4)
	v_fma_f32 v3, -v30, v22, v3
	v_fma_f32 v2, -v30, v26, v2
	s_cbranch_scc0 .LBB40_85
.LBB40_86:                              ;   in Loop: Header=BB40_83 Depth=1
	s_mul_i32 s13, s4, 0x84
	s_delay_alu instid0(SALU_CYCLE_1)
	v_dual_mov_b32 v10, s13 :: v_dual_add_nc_u32 v7, 0x1000, v7
	s_add_i32 s11, s11, s4
	s_add_i32 s10, s10, s4
	s_lshl_b32 s11, s11, 2
	s_lshl_b32 s10, s10, 2
	ds_load_b32 v15, v10
	s_add_i32 s5, s5, s4
	v_dual_mov_b32 v10, s11 :: v_dual_add_nc_u32 v9, 0x1000, v9
	s_lshl_b32 s5, s5, 2
	v_mov_b32_e32 v12, s10
	ds_load_b64 v[10:11], v10
	ds_load_b96 v[12:14], v12
	s_addk_i32 s1, 0x200
	s_waitcnt lgkmcnt(2)
	v_div_scale_f32 v16, null, v15, v15, v5
	v_div_scale_f32 v19, vcc_lo, v5, v15, v5
	s_delay_alu instid0(VALU_DEP_2) | instskip(SKIP_2) | instid1(VALU_DEP_1)
	v_rcp_f32_e32 v17, v16
	s_waitcnt_depctr 0xfff
	v_fma_f32 v18, -v16, v17, 1.0
	v_dual_fmac_f32 v17, v18, v17 :: v_dual_add_nc_u32 v6, 0x1000, v6
	s_delay_alu instid0(VALU_DEP_1) | instskip(NEXT) | instid1(VALU_DEP_1)
	v_mul_f32_e32 v18, v19, v17
	v_fma_f32 v20, -v16, v18, v19
	s_delay_alu instid0(VALU_DEP_1) | instskip(NEXT) | instid1(VALU_DEP_1)
	v_fmac_f32_e32 v18, v20, v17
	v_fma_f32 v16, -v16, v18, v19
	s_delay_alu instid0(VALU_DEP_1) | instskip(NEXT) | instid1(VALU_DEP_1)
	v_div_fmas_f32 v16, v16, v17, v18
	v_div_fixup_f32 v5, v16, v15, v5
	s_waitcnt lgkmcnt(1)
	s_delay_alu instid0(VALU_DEP_1) | instskip(SKIP_2) | instid1(VALU_DEP_2)
	v_fma_f32 v4, -v5, v10, v4
	s_waitcnt lgkmcnt(0)
	v_fma_f32 v3, -v5, v12, v3
	v_div_scale_f32 v10, null, v11, v11, v4
	v_div_scale_f32 v17, vcc_lo, v4, v11, v4
	s_delay_alu instid0(VALU_DEP_2) | instskip(SKIP_2) | instid1(VALU_DEP_1)
	v_rcp_f32_e32 v15, v10
	s_waitcnt_depctr 0xfff
	v_fma_f32 v16, -v10, v15, 1.0
	v_dual_fmac_f32 v15, v16, v15 :: v_dual_add_nc_u32 v8, 0x1000, v8
	s_delay_alu instid0(VALU_DEP_1) | instskip(NEXT) | instid1(VALU_DEP_1)
	v_mul_f32_e32 v16, v17, v15
	v_fma_f32 v18, -v10, v16, v17
	s_delay_alu instid0(VALU_DEP_1) | instskip(NEXT) | instid1(VALU_DEP_1)
	v_fmac_f32_e32 v16, v18, v15
	v_fma_f32 v10, -v10, v16, v17
	s_delay_alu instid0(VALU_DEP_1) | instskip(NEXT) | instid1(VALU_DEP_1)
	v_div_fmas_f32 v10, v10, v15, v16
	v_div_fixup_f32 v4, v10, v11, v4
	v_mov_b32_e32 v11, s5
	s_add_i32 s5, s4, 4
	s_add_i32 s4, s4, 7
	s_delay_alu instid0(SALU_CYCLE_1) | instskip(SKIP_1) | instid1(VALU_DEP_1)
	s_cmp_ge_i32 s4, s20
	v_fma_f32 v3, -v4, v13, v3
	v_div_scale_f32 v15, null, v14, v14, v3
	v_div_scale_f32 v17, vcc_lo, v3, v14, v3
	s_delay_alu instid0(VALU_DEP_2) | instskip(SKIP_2) | instid1(VALU_DEP_1)
	v_rcp_f32_e32 v16, v15
	s_waitcnt_depctr 0xfff
	v_fma_f32 v10, -v15, v16, 1.0
	v_fmac_f32_e32 v16, v10, v16
	ds_load_b128 v[10:13], v11
	v_mul_f32_e32 v18, v17, v16
	s_delay_alu instid0(VALU_DEP_1) | instskip(NEXT) | instid1(VALU_DEP_1)
	v_fma_f32 v19, -v15, v18, v17
	v_fmac_f32_e32 v18, v19, v16
	s_delay_alu instid0(VALU_DEP_1) | instskip(SKIP_2) | instid1(VALU_DEP_2)
	v_fma_f32 v15, -v15, v18, v17
	s_waitcnt lgkmcnt(0)
	v_fma_f32 v2, -v5, v10, v2
	v_div_fmas_f32 v10, v15, v16, v18
	s_delay_alu instid0(VALU_DEP_2) | instskip(NEXT) | instid1(VALU_DEP_2)
	v_fma_f32 v2, -v4, v11, v2
	v_div_fixup_f32 v3, v10, v14, v3
	s_delay_alu instid0(VALU_DEP_1) | instskip(NEXT) | instid1(VALU_DEP_1)
	v_fma_f32 v2, -v3, v12, v2
	v_div_scale_f32 v10, null, v13, v13, v2
	v_div_scale_f32 v14, vcc_lo, v2, v13, v2
	s_delay_alu instid0(VALU_DEP_2) | instskip(SKIP_2) | instid1(VALU_DEP_1)
	v_rcp_f32_e32 v11, v10
	s_waitcnt_depctr 0xfff
	v_fma_f32 v12, -v10, v11, 1.0
	v_fmac_f32_e32 v11, v12, v11
	s_delay_alu instid0(VALU_DEP_1) | instskip(NEXT) | instid1(VALU_DEP_1)
	v_mul_f32_e32 v12, v14, v11
	v_fma_f32 v15, -v10, v12, v14
	s_delay_alu instid0(VALU_DEP_1) | instskip(NEXT) | instid1(VALU_DEP_1)
	v_fmac_f32_e32 v12, v15, v11
	v_fma_f32 v10, -v10, v12, v14
	s_delay_alu instid0(VALU_DEP_1) | instskip(NEXT) | instid1(VALU_DEP_1)
	v_div_fmas_f32 v10, v10, v11, v12
	v_div_fixup_f32 v2, v10, v13, v2
	ds_store_b32 v6, v5
	ds_store_b32 v7, v4
	;; [unrolled: 1-line block ×4, first 2 shown]
	s_cbranch_scc1 .LBB40_88
; %bb.87:                               ;   in Loop: Header=BB40_83 Depth=1
	s_mov_b32 s4, s5
	s_branch .LBB40_83
.LBB40_88:
	s_cmp_ge_i32 s5, s20
	s_cbranch_scc1 .LBB40_99
; %bb.89:
	v_lshl_or_b32 v1, v0, 2, 0x1000
	v_lshlrev_b32_e32 v2, 2, v0
	s_add_i32 s1, s5, -1
	s_lshl_b32 s4, s5, 7
	s_mov_b32 s10, 0
	s_mov_b32 s11, s5
	s_branch .LBB40_91
.LBB40_90:                              ;   in Loop: Header=BB40_91 Depth=1
	s_mul_i32 s13, s5, 0x84
	s_delay_alu instid0(SALU_CYCLE_1)
	v_dual_mov_b32 v5, s13 :: v_dual_add_nc_u32 v4, 0x1000, v4
	s_add_i32 s5, s5, 1
	s_add_i32 s10, s10, 1
	s_addk_i32 s4, 0x80
	s_cmp_ge_i32 s5, s20
	ds_load_b32 v5, v5
	s_waitcnt lgkmcnt(0)
	v_div_scale_f32 v6, null, v5, v5, v3
	v_div_scale_f32 v9, vcc_lo, v3, v5, v3
	s_delay_alu instid0(VALU_DEP_2) | instskip(SKIP_2) | instid1(VALU_DEP_1)
	v_rcp_f32_e32 v7, v6
	s_waitcnt_depctr 0xfff
	v_fma_f32 v8, -v6, v7, 1.0
	v_fmac_f32_e32 v7, v8, v7
	s_delay_alu instid0(VALU_DEP_1) | instskip(NEXT) | instid1(VALU_DEP_1)
	v_mul_f32_e32 v8, v9, v7
	v_fma_f32 v10, -v6, v8, v9
	s_delay_alu instid0(VALU_DEP_1) | instskip(NEXT) | instid1(VALU_DEP_1)
	v_fmac_f32_e32 v8, v10, v7
	v_fma_f32 v6, -v6, v8, v9
	s_delay_alu instid0(VALU_DEP_1) | instskip(SKIP_1) | instid1(VALU_DEP_2)
	v_div_fmas_f32 v6, v6, v7, v8
	v_add_nc_u16 v7, s11, 1
	v_div_fixup_f32 v3, v6, v5, v3
	s_delay_alu instid0(VALU_DEP_2)
	v_readfirstlane_b32 s11, v7
	ds_store_b32 v4, v3
	s_cbranch_scc1 .LBB40_99
.LBB40_91:                              ; =>This Loop Header: Depth=1
                                        ;     Child Loop BB40_94 Depth 2
                                        ;     Child Loop BB40_98 Depth 2
	v_lshl_or_b32 v4, s5, 7, v2
	s_cmp_eq_u32 s5, 0
	ds_load_b32 v3, v4 offset:4096
	s_cbranch_scc1 .LBB40_90
; %bb.92:                               ;   in Loop: Header=BB40_91 Depth=1
	s_add_i32 s13, s1, s10
	s_delay_alu instid0(SALU_CYCLE_1)
	s_cmp_lt_u32 s13, 7
	s_cbranch_scc1 .LBB40_96
; %bb.93:                               ;   in Loop: Header=BB40_91 Depth=1
	v_mov_b32_e32 v5, v1
	s_and_b32 s13, s5, -8
	s_mov_b32 s14, 0
	s_mov_b32 s15, s4
	s_set_inst_prefetch_distance 0x1
	.p2align	6
.LBB40_94:                              ;   Parent Loop BB40_91 Depth=1
                                        ; =>  This Inner Loop Header: Depth=2
	v_mov_b32_e32 v10, s15
	s_add_i32 s14, s14, 8
	s_add_i32 s15, s15, 32
	s_cmp_eq_u32 s13, s14
	ds_load_2addr_b32 v[14:15], v5 offset1:32
	ds_load_b128 v[6:9], v10
	ds_load_2addr_b32 v[16:17], v5 offset0:64 offset1:96
	ds_load_2addr_b32 v[18:19], v5 offset0:128 offset1:160
	ds_load_b128 v[10:13], v10 offset:16
	s_waitcnt lgkmcnt(3)
	v_fma_f32 v3, -v14, v6, v3
	s_delay_alu instid0(VALU_DEP_1) | instskip(SKIP_4) | instid1(VALU_DEP_1)
	v_fma_f32 v3, -v15, v7, v3
	ds_load_2addr_b32 v[6:7], v5 offset0:192 offset1:224
	v_add_nc_u32_e32 v5, 0x400, v5
	s_waitcnt lgkmcnt(3)
	v_fma_f32 v3, -v16, v8, v3
	v_fma_f32 v3, -v17, v9, v3
	s_waitcnt lgkmcnt(1)
	s_delay_alu instid0(VALU_DEP_1) | instskip(NEXT) | instid1(VALU_DEP_1)
	v_fma_f32 v3, -v18, v10, v3
	v_fma_f32 v3, -v19, v11, v3
	s_waitcnt lgkmcnt(0)
	s_delay_alu instid0(VALU_DEP_1) | instskip(NEXT) | instid1(VALU_DEP_1)
	v_fma_f32 v3, -v6, v12, v3
	v_fma_f32 v3, -v7, v13, v3
	s_cbranch_scc0 .LBB40_94
; %bb.95:                               ;   in Loop: Header=BB40_91 Depth=1
	s_set_inst_prefetch_distance 0x2
	s_and_b32 s14, s5, 7
	s_delay_alu instid0(SALU_CYCLE_1)
	s_cmp_eq_u32 s14, 0
	s_cbranch_scc0 .LBB40_97
	s_branch .LBB40_90
.LBB40_96:                              ;   in Loop: Header=BB40_91 Depth=1
	s_mov_b32 s13, 0
	s_and_b32 s14, s5, 7
	s_delay_alu instid0(SALU_CYCLE_1)
	s_cmp_eq_u32 s14, 0
	s_cbranch_scc1 .LBB40_90
.LBB40_97:                              ;   in Loop: Header=BB40_91 Depth=1
	v_lshl_add_u32 v5, s13, 7, v1
	s_and_b32 s14, s11, 7
	s_lshl_b32 s13, s13, 2
.LBB40_98:                              ;   Parent Loop BB40_91 Depth=1
                                        ; =>  This Inner Loop Header: Depth=2
	s_delay_alu instid0(SALU_CYCLE_1)
	s_add_i32 s15, s4, s13
	s_add_i32 s14, s14, -1
	v_mov_b32_e32 v6, s15
	s_add_i32 s13, s13, 4
	s_cmp_lg_u32 s14, 0
	ds_load_b32 v7, v5
	ds_load_b32 v6, v6
	v_add_nc_u32_e32 v5, 0x80, v5
	s_waitcnt lgkmcnt(0)
	v_fma_f32 v3, -v7, v6, v3
	s_cbranch_scc1 .LBB40_98
	s_branch .LBB40_90
.LBB40_99:
	s_and_saveexec_b32 s1, s21
	s_cbranch_execz .LBB40_106
; %bb.100:
	v_lshlrev_b32_e32 v3, 2, v0
	s_ashr_i32 s1, s0, 31
	s_cmp_lt_u32 s12, 4
	s_mov_b32 s13, 0
	s_cbranch_scc1 .LBB40_103
; %bb.101:
	v_add_co_u32 v1, s4, s18, v3
	s_delay_alu instid0(VALU_DEP_1)
	v_add_co_ci_u32_e64 v2, null, s19, 0, s4
	v_lshl_or_b32 v0, v0, 2, 0x1000
	s_and_b32 s13, s12, 0x7ffffffc
	s_mul_hi_i32 s16, s0, 12
	s_mul_i32 s17, s0, 12
	s_lshl_b64 s[4:5], s[0:1], 4
	s_lshl_b64 s[10:11], s[0:1], 3
	;; [unrolled: 1-line block ×3, first 2 shown]
	s_mov_b32 s18, 0
	.p2align	6
.LBB40_102:                             ; =>This Inner Loop Header: Depth=1
	ds_load_2addr_b32 v[4:5], v0 offset1:32
	ds_load_2addr_b32 v[6:7], v0 offset0:64 offset1:96
	v_add_co_u32 v8, vcc_lo, v1, s14
	v_add_co_ci_u32_e32 v9, vcc_lo, s15, v2, vcc_lo
	v_add_co_u32 v10, vcc_lo, v1, s10
	v_add_co_ci_u32_e32 v11, vcc_lo, s11, v2, vcc_lo
	;; [unrolled: 2-line block ×3, first 2 shown]
	v_add_nc_u32_e32 v0, 0x200, v0
	s_add_i32 s18, s18, 4
	s_delay_alu instid0(SALU_CYCLE_1)
	s_cmp_lg_u32 s13, s18
	s_waitcnt lgkmcnt(1)
	global_store_b32 v[1:2], v4, off
	v_add_co_u32 v1, vcc_lo, v1, s4
	v_add_co_ci_u32_e32 v2, vcc_lo, s5, v2, vcc_lo
	global_store_b32 v[8:9], v5, off
	s_waitcnt lgkmcnt(0)
	s_clause 0x1
	global_store_b32 v[10:11], v6, off
	global_store_b32 v[12:13], v7, off
	s_cbranch_scc1 .LBB40_102
.LBB40_103:
	s_and_b32 s4, s12, 3
	s_delay_alu instid0(SALU_CYCLE_1)
	s_cmp_eq_u32 s4, 0
	s_cbranch_scc1 .LBB40_106
; %bb.104:
	s_mul_hi_i32 s11, s0, s13
	s_mul_i32 s10, s0, s13
	v_lshl_or_b32 v2, s13, 7, v3
	s_lshl_b64 s[10:11], s[10:11], 2
	s_delay_alu instid0(SALU_CYCLE_1)
	s_add_u32 s5, s10, s6
	s_addc_u32 s6, s11, s7
	s_add_u32 s5, s5, s8
	s_addc_u32 s6, s6, s9
	;; [unrolled: 2-line block ×3, first 2 shown]
	v_add_co_u32 v0, s2, s2, v3
	s_delay_alu instid0(VALU_DEP_1)
	v_add_co_ci_u32_e64 v1, null, s3, 0, s2
	v_add_nc_u32_e32 v2, 0x1000, v2
	s_lshl_b64 s[0:1], s[0:1], 2
.LBB40_105:                             ; =>This Inner Loop Header: Depth=1
	ds_load_b32 v3, v2
	v_add_nc_u32_e32 v2, 0x80, v2
	s_add_i32 s4, s4, -1
	s_delay_alu instid0(SALU_CYCLE_1)
	s_cmp_lg_u32 s4, 0
	s_waitcnt lgkmcnt(0)
	global_store_b32 v[0:1], v3, off
	v_add_co_u32 v0, vcc_lo, v0, s0
	v_add_co_ci_u32_e32 v1, vcc_lo, s1, v1, vcc_lo
	s_cbranch_scc1 .LBB40_105
.LBB40_106:
	s_nop 0
	s_sendmsg sendmsg(MSG_DEALLOC_VGPRS)
	s_endpgm
	.section	.rodata,"a",@progbits
	.p2align	6, 0x0
	.amdhsa_kernel _ZL31rocblas_trsm_small_right_deviceIffPKPKfPKPfLi32EEv13rocblas_fill_18rocblas_operation_17rocblas_diagonal_iiT0_T1_lilT2_lili
		.amdhsa_group_segment_fixed_size 8192
		.amdhsa_private_segment_fixed_size 0
		.amdhsa_kernarg_size 352
		.amdhsa_user_sgpr_count 14
		.amdhsa_user_sgpr_dispatch_ptr 0
		.amdhsa_user_sgpr_queue_ptr 0
		.amdhsa_user_sgpr_kernarg_segment_ptr 1
		.amdhsa_user_sgpr_dispatch_id 0
		.amdhsa_user_sgpr_private_segment_size 0
		.amdhsa_wavefront_size32 1
		.amdhsa_uses_dynamic_stack 0
		.amdhsa_enable_private_segment 0
		.amdhsa_system_sgpr_workgroup_id_x 1
		.amdhsa_system_sgpr_workgroup_id_y 0
		.amdhsa_system_sgpr_workgroup_id_z 1
		.amdhsa_system_sgpr_workgroup_info 0
		.amdhsa_system_vgpr_workitem_id 0
		.amdhsa_next_free_vgpr 32
		.amdhsa_next_free_sgpr 32
		.amdhsa_reserve_vcc 1
		.amdhsa_float_round_mode_32 0
		.amdhsa_float_round_mode_16_64 0
		.amdhsa_float_denorm_mode_32 3
		.amdhsa_float_denorm_mode_16_64 3
		.amdhsa_dx10_clamp 1
		.amdhsa_ieee_mode 1
		.amdhsa_fp16_overflow 0
		.amdhsa_workgroup_processor_mode 1
		.amdhsa_memory_ordered 1
		.amdhsa_forward_progress 0
		.amdhsa_shared_vgpr_count 0
		.amdhsa_exception_fp_ieee_invalid_op 0
		.amdhsa_exception_fp_denorm_src 0
		.amdhsa_exception_fp_ieee_div_zero 0
		.amdhsa_exception_fp_ieee_overflow 0
		.amdhsa_exception_fp_ieee_underflow 0
		.amdhsa_exception_fp_ieee_inexact 0
		.amdhsa_exception_int_div_zero 0
	.end_amdhsa_kernel
	.section	.text._ZL31rocblas_trsm_small_right_deviceIffPKPKfPKPfLi32EEv13rocblas_fill_18rocblas_operation_17rocblas_diagonal_iiT0_T1_lilT2_lili,"axG",@progbits,_ZL31rocblas_trsm_small_right_deviceIffPKPKfPKPfLi32EEv13rocblas_fill_18rocblas_operation_17rocblas_diagonal_iiT0_T1_lilT2_lili,comdat
.Lfunc_end40:
	.size	_ZL31rocblas_trsm_small_right_deviceIffPKPKfPKPfLi32EEv13rocblas_fill_18rocblas_operation_17rocblas_diagonal_iiT0_T1_lilT2_lili, .Lfunc_end40-_ZL31rocblas_trsm_small_right_deviceIffPKPKfPKPfLi32EEv13rocblas_fill_18rocblas_operation_17rocblas_diagonal_iiT0_T1_lilT2_lili
                                        ; -- End function
	.section	.AMDGPU.csdata,"",@progbits
; Kernel info:
; codeLenInByte = 8552
; NumSgprs: 34
; NumVgprs: 32
; ScratchSize: 0
; MemoryBound: 0
; FloatMode: 240
; IeeeMode: 1
; LDSByteSize: 8192 bytes/workgroup (compile time only)
; SGPRBlocks: 4
; VGPRBlocks: 3
; NumSGPRsForWavesPerEU: 34
; NumVGPRsForWavesPerEU: 32
; Occupancy: 4
; WaveLimiterHint : 0
; COMPUTE_PGM_RSRC2:SCRATCH_EN: 0
; COMPUTE_PGM_RSRC2:USER_SGPR: 14
; COMPUTE_PGM_RSRC2:TRAP_HANDLER: 0
; COMPUTE_PGM_RSRC2:TGID_X_EN: 1
; COMPUTE_PGM_RSRC2:TGID_Y_EN: 0
; COMPUTE_PGM_RSRC2:TGID_Z_EN: 1
; COMPUTE_PGM_RSRC2:TIDIG_COMP_CNT: 0
	.section	.text._ZL38rocblas_trsm_small_left_device_sharedBILi64ELi32ELb0EffPKPKfPKPfEv13rocblas_fill_18rocblas_operation_17rocblas_diagonal_iiT3_T4_lilT5_lili,"axG",@progbits,_ZL38rocblas_trsm_small_left_device_sharedBILi64ELi32ELb0EffPKPKfPKPfEv13rocblas_fill_18rocblas_operation_17rocblas_diagonal_iiT3_T4_lilT5_lili,comdat
	.globl	_ZL38rocblas_trsm_small_left_device_sharedBILi64ELi32ELb0EffPKPKfPKPfEv13rocblas_fill_18rocblas_operation_17rocblas_diagonal_iiT3_T4_lilT5_lili ; -- Begin function _ZL38rocblas_trsm_small_left_device_sharedBILi64ELi32ELb0EffPKPKfPKPfEv13rocblas_fill_18rocblas_operation_17rocblas_diagonal_iiT3_T4_lilT5_lili
	.p2align	8
	.type	_ZL38rocblas_trsm_small_left_device_sharedBILi64ELi32ELb0EffPKPKfPKPfEv13rocblas_fill_18rocblas_operation_17rocblas_diagonal_iiT3_T4_lilT5_lili,@function
_ZL38rocblas_trsm_small_left_device_sharedBILi64ELi32ELb0EffPKPKfPKPfEv13rocblas_fill_18rocblas_operation_17rocblas_diagonal_iiT3_T4_lilT5_lili: ; @_ZL38rocblas_trsm_small_left_device_sharedBILi64ELi32ELb0EffPKPKfPKPfEv13rocblas_fill_18rocblas_operation_17rocblas_diagonal_iiT3_T4_lilT5_lili
; %bb.0:
	s_clause 0x1
	s_load_b128 s[8:11], s[0:1], 0x38
	s_load_b128 s[4:7], s[0:1], 0x4
	s_mov_b32 s12, s15
	s_mov_b32 s13, 0
	s_delay_alu instid0(SALU_CYCLE_1)
	s_lshl_b64 s[20:21], s[12:13], 3
	s_mov_b32 s12, exec_lo
	s_waitcnt lgkmcnt(0)
	s_add_u32 s2, s8, s20
	s_addc_u32 s3, s9, s21
	s_load_b32 s27, s[0:1], 0x14
	s_load_b64 s[2:3], s[2:3], 0x0
	s_min_i32 s15, s6, 64
	s_delay_alu instid0(SALU_CYCLE_1)
	s_add_i32 s26, s15, -1
	v_cmpx_gt_i32_e64 s15, v0
	s_cbranch_execz .LBB41_10
; %bb.1:
	s_clause 0x1
	s_load_b32 s8, s[0:1], 0x28
	s_load_b128 s[16:19], s[0:1], 0x18
	s_waitcnt lgkmcnt(0)
	s_ashr_i32 s9, s8, 31
	s_add_u32 s16, s16, s20
	s_addc_u32 s17, s17, s21
	s_cmp_lt_u32 s26, 3
	s_load_b64 s[16:17], s[16:17], 0x0
	s_cbranch_scc1 .LBB41_4
; %bb.2:
	v_lshlrev_b32_e32 v3, 2, v0
	s_lshl_b64 s[20:21], s[18:19], 2
	s_mul_hi_i32 s28, s8, 12
	s_waitcnt lgkmcnt(0)
	s_add_u32 s13, s16, s20
	s_addc_u32 s20, s17, s21
	v_add_co_u32 v1, s13, s13, v3
	s_delay_alu instid0(VALU_DEP_1)
	v_add_co_ci_u32_e64 v2, null, s20, 0, s13
	s_and_b32 s13, s15, -4
	s_mul_i32 s29, s8, 12
	s_lshl_b64 s[20:21], s[8:9], 4
	s_lshl_b64 s[22:23], s[8:9], 3
	;; [unrolled: 1-line block ×3, first 2 shown]
	s_mov_b32 s30, 0
	.p2align	6
.LBB41_3:                               ; =>This Inner Loop Header: Depth=1
	v_add_co_u32 v4, vcc_lo, v1, s24
	v_add_co_ci_u32_e32 v5, vcc_lo, s25, v2, vcc_lo
	v_add_co_u32 v6, vcc_lo, v1, s22
	v_add_co_ci_u32_e32 v7, vcc_lo, s23, v2, vcc_lo
	;; [unrolled: 2-line block ×3, first 2 shown]
	s_clause 0x3
	global_load_b32 v10, v[1:2], off
	global_load_b32 v4, v[4:5], off
	;; [unrolled: 1-line block ×4, first 2 shown]
	v_add_co_u32 v1, vcc_lo, v1, s20
	v_add_co_ci_u32_e32 v2, vcc_lo, s21, v2, vcc_lo
	s_add_i32 s30, s30, 4
	s_waitcnt vmcnt(2)
	ds_store_2addr_stride64_b32 v3, v10, v4 offset1:1
	s_waitcnt vmcnt(0)
	ds_store_2addr_stride64_b32 v3, v5, v6 offset0:2 offset1:3
	v_add_nc_u32_e32 v3, 0x400, v3
	s_cmp_eq_u32 s13, s30
	s_cbranch_scc0 .LBB41_3
.LBB41_4:
	s_and_b32 s20, s15, 3
	s_delay_alu instid0(SALU_CYCLE_1)
	s_cmp_eq_u32 s20, 0
	s_cbranch_scc1 .LBB41_7
; %bb.5:
	s_mul_i32 s21, s9, s13
	s_mul_hi_u32 s22, s8, s13
	v_lshlrev_b32_e32 v1, 2, v0
	s_add_i32 s23, s22, s21
	s_mul_i32 s22, s8, s13
	s_lshl_b64 s[18:19], s[18:19], 2
	s_lshl_b64 s[22:23], s[22:23], 2
	v_lshl_or_b32 v3, s13, 8, v1
	s_add_u32 s13, s22, s18
	s_addc_u32 s18, s23, s19
	s_waitcnt lgkmcnt(0)
	s_add_u32 s13, s16, s13
	s_addc_u32 s16, s17, s18
	v_add_co_u32 v1, s13, s13, v1
	s_delay_alu instid0(VALU_DEP_1)
	v_add_co_ci_u32_e64 v2, null, s16, 0, s13
	s_lshl_b64 s[8:9], s[8:9], 2
.LBB41_6:                               ; =>This Inner Loop Header: Depth=1
	global_load_b32 v4, v[1:2], off
	v_add_co_u32 v1, vcc_lo, v1, s8
	v_add_co_ci_u32_e32 v2, vcc_lo, s9, v2, vcc_lo
	s_add_i32 s20, s20, -1
	s_delay_alu instid0(SALU_CYCLE_1)
	s_cmp_lg_u32 s20, 0
	s_waitcnt vmcnt(0)
	ds_store_b32 v3, v4
	v_add_nc_u32_e32 v3, 0x100, v3
	s_cbranch_scc1 .LBB41_6
.LBB41_7:
	v_mul_u32_u24_e32 v1, 0x41, v0
	s_cmpk_lg_i32 s5, 0x84
	s_delay_alu instid0(VALU_DEP_1)
	v_dual_mov_b32 v2, 1.0 :: v_dual_lshlrev_b32 v1, 2, v1
	s_cbranch_scc0 .LBB41_9
; %bb.8:
	ds_load_b32 v2, v1
	s_waitcnt lgkmcnt(0)
	v_div_scale_f32 v3, null, v2, v2, 1.0
	s_delay_alu instid0(VALU_DEP_1) | instskip(SKIP_2) | instid1(VALU_DEP_1)
	v_rcp_f32_e32 v4, v3
	s_waitcnt_depctr 0xfff
	v_fma_f32 v5, -v3, v4, 1.0
	v_fmac_f32_e32 v4, v5, v4
	v_div_scale_f32 v5, vcc_lo, 1.0, v2, 1.0
	s_delay_alu instid0(VALU_DEP_1) | instskip(NEXT) | instid1(VALU_DEP_1)
	v_mul_f32_e32 v6, v5, v4
	v_fma_f32 v7, -v3, v6, v5
	s_delay_alu instid0(VALU_DEP_1) | instskip(NEXT) | instid1(VALU_DEP_1)
	v_fmac_f32_e32 v6, v7, v4
	v_fma_f32 v3, -v3, v6, v5
	s_delay_alu instid0(VALU_DEP_1) | instskip(NEXT) | instid1(VALU_DEP_1)
	v_div_fmas_f32 v3, v3, v4, v6
	v_div_fixup_f32 v2, v3, v2, 1.0
.LBB41_9:
	ds_store_b32 v1, v2
.LBB41_10:
	s_or_b32 exec_lo, exec_lo, s12
	s_load_b32 s5, s[0:1], 0x60
	s_waitcnt lgkmcnt(0)
	s_load_b32 s16, s[0:1], 0x48
	s_lshl_b64 s[0:1], s[10:11], 2
	s_waitcnt lgkmcnt(0)
	s_ashr_i32 s17, s16, 31
	s_add_u32 s12, s2, s0
	s_addc_u32 s13, s3, s1
	s_lshl_b32 s8, s14, 6
	s_add_i32 s5, s5, -1
	s_sub_i32 s7, s7, s8
	s_mul_hi_i32 s11, s16, s8
	s_cmp_ge_u32 s14, s5
	s_mul_i32 s10, s16, s8
	s_cselect_b32 s14, s7, 64
	s_lshl_b64 s[10:11], s[10:11], 2
	s_ashr_i32 s9, s8, 31
	s_add_u32 s5, s12, s10
	s_addc_u32 s7, s13, s11
	v_cmp_gt_i32_e32 vcc_lo, s14, v0
	s_cmp_gt_i32 s6, 0
	s_mov_b32 s10, 0
	s_cselect_b32 s11, -1, 0
	s_delay_alu instid0(SALU_CYCLE_1) | instskip(NEXT) | instid1(SALU_CYCLE_1)
	s_and_b32 s14, vcc_lo, s11
	s_and_saveexec_b32 s18, s14
	s_cbranch_execz .LBB41_17
; %bb.11:
	s_cmp_lt_i32 s6, 8
	s_cbranch_scc1 .LBB41_14
; %bb.12:
	v_mad_i64_i32 v[1:2], null, s16, v0, 0
	v_lshl_or_b32 v3, v0, 2, 0x4000
	s_lshl_b32 s10, s15, 2
	s_mov_b64 s[12:13], 0
	s_and_b32 s11, s10, 0x1e0
	s_mov_b32 s10, 0
	s_delay_alu instid0(VALU_DEP_2) | instskip(NEXT) | instid1(VALU_DEP_1)
	v_lshlrev_b64 v[1:2], 2, v[1:2]
	v_add_co_u32 v1, vcc_lo, s5, v1
	s_delay_alu instid0(VALU_DEP_2)
	v_add_co_ci_u32_e32 v2, vcc_lo, s7, v2, vcc_lo
	.p2align	6
.LBB41_13:                              ; =>This Inner Loop Header: Depth=1
	s_delay_alu instid0(VALU_DEP_2) | instskip(NEXT) | instid1(VALU_DEP_2)
	v_add_co_u32 v8, vcc_lo, v1, s12
	v_add_co_ci_u32_e32 v9, vcc_lo, s13, v2, vcc_lo
	s_add_i32 s10, s10, 8
	s_add_u32 s12, s12, 32
	s_addc_u32 s13, s13, 0
	s_clause 0x1
	global_load_b128 v[4:7], v[8:9], off
	global_load_b128 v[8:11], v[8:9], off offset:16
	s_cmp_lg_u32 s11, s12
	s_waitcnt vmcnt(1)
	v_dual_mul_f32 v4, s27, v4 :: v_dual_mul_f32 v5, s27, v5
	v_dual_mul_f32 v6, s27, v6 :: v_dual_mul_f32 v7, s27, v7
	s_waitcnt vmcnt(0)
	v_dual_mul_f32 v8, s27, v8 :: v_dual_mul_f32 v9, s27, v9
	v_dual_mul_f32 v10, s27, v10 :: v_dual_mul_f32 v11, s27, v11
	ds_store_2addr_stride64_b32 v3, v4, v5 offset1:1
	ds_store_2addr_stride64_b32 v3, v6, v7 offset0:2 offset1:3
	ds_store_2addr_stride64_b32 v3, v8, v9 offset0:4 offset1:5
	;; [unrolled: 1-line block ×3, first 2 shown]
	v_add_nc_u32_e32 v3, 0x800, v3
	s_cbranch_scc1 .LBB41_13
.LBB41_14:
	s_and_b32 s12, s15, 7
	s_mov_b32 s11, 0
	s_cmp_eq_u32 s12, 0
	s_cbranch_scc1 .LBB41_17
; %bb.15:
	v_lshlrev_b32_e32 v3, 2, v0
	s_lshl_b64 s[20:21], s[8:9], 2
	s_lshl_b64 s[22:23], s[10:11], 2
	s_delay_alu instid0(VALU_DEP_1) | instskip(NEXT) | instid1(VALU_DEP_1)
	v_add_co_u32 v4, s11, s20, v3
	v_add_co_ci_u32_e64 v5, null, s21, 0, s11
	s_add_u32 s11, s2, s22
	s_addc_u32 s13, s3, s23
	s_add_u32 s20, s11, s0
	s_addc_u32 s21, s13, s1
	v_mul_lo_u32 v5, v5, s16
	v_mad_u64_u32 v[1:2], null, v4, s16, s[20:21]
	v_mul_lo_u32 v4, v4, s17
	v_lshl_or_b32 v3, s10, 8, v3
	s_delay_alu instid0(VALU_DEP_1) | instskip(NEXT) | instid1(VALU_DEP_3)
	v_add_nc_u32_e32 v3, 0x4000, v3
	v_add3_u32 v2, v5, v2, v4
.LBB41_16:                              ; =>This Inner Loop Header: Depth=1
	global_load_b32 v4, v[1:2], off
	v_add_co_u32 v1, vcc_lo, v1, 4
	v_add_co_ci_u32_e32 v2, vcc_lo, 0, v2, vcc_lo
	s_add_i32 s12, s12, -1
	s_delay_alu instid0(SALU_CYCLE_1)
	s_cmp_lg_u32 s12, 0
	s_waitcnt vmcnt(0)
	v_mul_f32_e32 v4, s27, v4
	ds_store_b32 v3, v4
	v_add_nc_u32_e32 v3, 0x100, v3
	s_cbranch_scc1 .LBB41_16
.LBB41_17:
	s_or_b32 exec_lo, exec_lo, s18
	s_cmpk_eq_i32 s4, 0x6f
	s_mov_b32 s4, -1
	s_waitcnt lgkmcnt(0)
	s_barrier
	buffer_gl0_inv
	s_cbranch_scc1 .LBB41_51
; %bb.18:
	s_cmp_lt_i32 s6, 32
	s_mov_b32 s11, 0
	s_cbranch_scc1 .LBB41_25
; %bb.19:
	v_lshl_or_b32 v33, v0, 2, 0x4000
	v_lshlrev_b32_e32 v34, 2, v0
	s_mov_b32 s4, 0
	s_mov_b32 s10, 0
.LBB41_20:                              ; =>This Loop Header: Depth=1
                                        ;     Child Loop BB41_22 Depth 2
	s_delay_alu instid0(VALU_DEP_1) | instid1(SALU_CYCLE_1)
	v_lshl_or_b32 v35, s10, 8, v34
	s_cmp_eq_u32 s10, 0
	ds_load_2addr_stride64_b32 v[31:32], v35 offset0:64 offset1:65
	ds_load_2addr_stride64_b32 v[29:30], v35 offset0:66 offset1:67
	;; [unrolled: 1-line block ×16, first 2 shown]
	s_cbranch_scc1 .LBB41_23
; %bb.21:                               ;   in Loop: Header=BB41_20 Depth=1
	v_mov_b32_e32 v36, v33
	s_mov_b32 s11, 0
	s_mov_b32 s12, s4
.LBB41_22:                              ;   Parent Loop BB41_20 Depth=1
                                        ; =>  This Inner Loop Header: Depth=2
	s_delay_alu instid0(SALU_CYCLE_1)
	v_mov_b32_e32 v67, s12
	ds_load_b32 v69, v36
	v_add_nc_u32_e32 v36, 0x100, v36
	s_add_i32 s11, s11, 1
	s_add_i32 s12, s12, 4
	ds_load_2addr_stride64_b32 v[37:38], v67 offset1:1
	ds_load_2addr_stride64_b32 v[39:40], v67 offset0:2 offset1:3
	ds_load_2addr_stride64_b32 v[41:42], v67 offset0:4 offset1:5
	;; [unrolled: 1-line block ×15, first 2 shown]
	s_cmp_lt_u32 s11, s10
	s_waitcnt lgkmcnt(15)
	v_fma_f32 v31, -v69, v37, v31
	v_fma_f32 v32, -v69, v38, v32
	s_waitcnt lgkmcnt(14)
	v_fma_f32 v29, -v69, v39, v29
	v_fma_f32 v30, -v69, v40, v30
	;; [unrolled: 3-line block ×16, first 2 shown]
	s_cbranch_scc1 .LBB41_22
.LBB41_23:                              ;   in Loop: Header=BB41_20 Depth=1
	s_mul_i32 s12, s10, 0x104
	s_lshl_b32 s11, s10, 6
	v_dual_mov_b32 v40, s12 :: v_dual_add_nc_u32 v35, 0x4000, v35
	s_or_b32 s19, s11, 64
	s_or_b32 s20, s11, 0x80
	s_add_i32 s13, s19, s10
	s_add_i32 s18, s20, s10
	s_lshl_b32 s13, s13, 2
	ds_load_b32 v44, v40
	s_lshl_b32 s18, s18, 2
	s_delay_alu instid0(SALU_CYCLE_1)
	v_dual_mov_b32 v36, s13 :: v_dual_mov_b32 v37, s18
	s_or_b32 s13, s11, 0xc0
	ds_load_b64 v[47:48], v36
	ds_load_b96 v[51:53], v37
	s_add_i32 s21, s13, s10
	s_or_b32 s18, s11, 0x100
	s_lshl_b32 s21, s21, 2
	s_add_i32 s22, s18, s10
	v_mov_b32_e32 v36, s21
	s_lshl_b32 s21, s22, 2
	s_or_b32 s23, s11, 0x180
	v_mov_b32_e32 v41, s21
	s_or_b32 s21, s11, 0x140
	ds_load_b128 v[36:39], v36
	s_add_i32 s22, s21, s10
	ds_load_b32 v66, v40 offset:3380
	ds_load_b128 v[40:43], v41
	s_lshl_b32 s22, s22, 2
	s_waitcnt lgkmcnt(5)
	v_dual_mul_f32 v31, v44, v31 :: v_dual_mov_b32 v56, s22
	s_add_i32 s22, s23, s10
	v_add_nc_u32_e64 v54, 0x400, s12
	s_lshl_b32 s22, s22, 2
	s_waitcnt lgkmcnt(4)
	v_fma_f32 v32, -v31, v47, v32
	ds_load_b128 v[44:47], v56
	s_waitcnt lgkmcnt(4)
	v_fma_f32 v55, -v31, v51, v29
	s_or_b32 s24, s11, 0x200
	ds_store_b32 v35, v31
	v_mul_f32_e32 v29, v48, v32
	s_addk_i32 s4, 0x2000
	s_delay_alu instid0(VALU_DEP_1)
	v_fma_f32 v32, -v29, v52, v55
	s_waitcnt lgkmcnt(4)
	v_fma_f32 v30, -v31, v36, v30
	ds_load_2addr_b32 v[54:55], v54 offset0:4 offset1:134
	s_waitcnt lgkmcnt(3)
	v_fma_f32 v40, -v31, v40, v27
	v_or_b32_e32 v36, s19, v0
	v_mul_f32_e32 v27, v53, v32
	v_fma_f32 v30, -v29, v37, v30
	ds_load_b64 v[52:53], v56 offset:16
	v_or_b32_e32 v32, s20, v0
	s_or_b32 s20, s11, 0x280
	v_fma_f32 v30, -v27, v38, v30
	v_mov_b32_e32 v57, s22
	s_waitcnt lgkmcnt(3)
	v_fma_f32 v38, -v31, v44, v28
	s_or_b32 s22, s11, 0x1c0
	v_mul_f32_e32 v28, v39, v30
	ds_load_b128 v[48:51], v57
	ds_load_b64 v[58:59], v57 offset:16
	s_add_i32 s19, s22, s10
	s_delay_alu instid0(SALU_CYCLE_1) | instskip(NEXT) | instid1(SALU_CYCLE_1)
	s_lshl_b32 s19, s19, 2
	v_mov_b32_e32 v44, s19
	v_fma_f32 v37, -v29, v41, v40
	s_add_i32 s19, s24, s10
	v_fma_f32 v30, -v29, v45, v38
	s_lshl_b32 s19, s19, 2
	s_waitcnt lgkmcnt(1)
	v_fma_f32 v25, -v31, v48, v25
	v_mov_b32_e32 v48, s19
	v_fma_f32 v37, -v27, v42, v37
	v_fma_f32 v30, -v27, v46, v30
	s_or_b32 s19, s11, 0x240
	v_fma_f32 v41, -v29, v49, v25
	v_or_b32_e32 v49, s13, v0
	v_fma_f32 v40, -v28, v43, v37
	s_add_i32 s13, s19, s10
	v_fma_f32 v30, -v28, v47, v30
	s_lshl_b32 s13, s13, 2
	v_fma_f32 v35, -v27, v50, v41
	v_mul_f32_e32 v25, v54, v40
	ds_load_b128 v[40:43], v48
	v_lshlrev_b32_e32 v64, 2, v49
	v_or_b32_e32 v50, s21, v0
	v_fma_f32 v35, -v28, v51, v35
	v_fma_f32 v30, -v25, v52, v30
	v_lshlrev_b32_e32 v63, 2, v36
	ds_load_b128 v[36:39], v44
	v_mov_b32_e32 v52, s13
	s_waitcnt lgkmcnt(2)
	v_fma_f32 v35, -v25, v58, v35
	ds_load_b96 v[56:58], v44 offset:16
	v_mul_f32_e32 v30, v53, v30
	s_add_i32 s13, s20, s10
	ds_load_b128 v[44:47], v52
	s_lshl_b32 s13, s13, 2
	s_or_b32 s21, s11, 0x2c0
	v_fma_f32 v35, -v30, v59, v35
	v_dual_mov_b32 v60, s13 :: v_dual_lshlrev_b32 v67, 2, v50
	s_add_i32 s13, s21, s10
	s_delay_alu instid0(SALU_CYCLE_1) | instskip(NEXT) | instid1(SALU_CYCLE_1)
	s_lshl_b32 s13, s13, 2
	v_dual_mov_b32 v61, s13 :: v_dual_lshlrev_b32 v32, 2, v32
	s_or_b32 s13, s11, 0x300
	s_waitcnt lgkmcnt(2)
	v_fma_f32 v26, -v31, v36, v26
	v_or_b32_e32 v36, s18, v0
	s_add_i32 s18, s13, s10
	s_delay_alu instid0(SALU_CYCLE_1) | instskip(NEXT) | instid1(VALU_DEP_2)
	s_lshl_b32 s18, s18, 2
	v_fma_f32 v37, -v29, v37, v26
	s_delay_alu instid0(VALU_DEP_2) | instskip(SKIP_2) | instid1(VALU_DEP_3)
	v_dual_mul_f32 v26, v55, v35 :: v_dual_lshlrev_b32 v65, 2, v36
	s_waitcnt lgkmcnt(0)
	v_fma_f32 v44, -v31, v44, v24
	v_fma_f32 v49, -v27, v38, v37
	ds_load_b128 v[35:38], v48 offset:16
	v_fma_f32 v23, -v31, v40, v23
	v_add_nc_u32_e64 v40, 0x600, s12
	v_fma_f32 v39, -v28, v39, v49
	ds_load_b128 v[48:51], v52 offset:16
	ds_load_b32 v68, v52 offset:32
	ds_load_b128 v[52:55], v60
	v_fma_f32 v41, -v29, v41, v23
	ds_load_2addr_b32 v[23:24], v40 offset0:71 offset1:136
	v_fma_f32 v39, -v25, v56, v39
	v_or_b32_e32 v56, s22, v0
	v_fma_f32 v40, -v27, v42, v41
	v_fma_f32 v41, -v29, v45, v44
	v_or_b32_e32 v44, s23, v0
	s_or_b32 s23, s10, 16
	v_lshlrev_b32_e32 v70, 2, v56
	v_fma_f32 v43, -v28, v43, v40
	v_fma_f32 v45, -v27, v46, v41
	;; [unrolled: 1-line block ×3, first 2 shown]
	ds_load_b128 v[39:42], v61
	s_waitcnt lgkmcnt(5)
	v_fma_f32 v35, -v25, v35, v43
	v_fma_f32 v43, -v28, v47, v45
	;; [unrolled: 1-line block ×3, first 2 shown]
	ds_load_b128 v[56:59], v61 offset:16
	s_waitcnt lgkmcnt(3)
	v_fma_f32 v52, -v31, v52, v21
	v_fma_f32 v35, -v30, v36, v35
	;; [unrolled: 1-line block ×3, first 2 shown]
	s_waitcnt lgkmcnt(2)
	v_mul_f32_e32 v21, v23, v47
	v_fma_f32 v23, -v29, v53, v52
	v_fma_f32 v35, -v26, v37, v35
	v_add_nc_u32_e64 v37, 0x800, s12
	v_fma_f32 v36, -v30, v49, v36
	v_mov_b32_e32 v49, s18
	v_fma_f32 v23, -v27, v54, v23
	v_fma_f32 v35, -v21, v38, v35
	v_lshlrev_b32_e32 v69, 2, v44
	ds_load_b128 v[43:46], v60 offset:16
	s_waitcnt lgkmcnt(2)
	v_fma_f32 v22, -v31, v39, v22
	ds_load_2addr_b32 v[47:48], v37 offset0:73 offset1:138
	v_fma_f32 v23, -v28, v55, v23
	v_fma_f32 v36, -v26, v50, v36
	s_or_b32 s18, s11, 0x340
	v_fma_f32 v22, -v29, v40, v22
	ds_load_b64 v[39:40], v60 offset:32
	ds_load_b96 v[60:62], v61 offset:32
	ds_load_b128 v[52:55], v49
	v_or_b32_e32 v37, s24, v0
	s_add_i32 s22, s18, s10
	v_fma_f32 v22, -v27, v41, v22
	s_lshl_b32 s22, s22, 2
	s_delay_alu instid0(VALU_DEP_1)
	v_fma_f32 v38, -v28, v42, v22
	v_mul_f32_e32 v22, v24, v35
	v_fma_f32 v24, -v21, v51, v36
	s_waitcnt lgkmcnt(4)
	v_fma_f32 v23, -v25, v43, v23
	v_fma_f32 v35, -v25, v56, v38
	v_lshlrev_b32_e32 v43, 2, v37
	v_fma_f32 v24, -v22, v68, v24
	v_mov_b32_e32 v68, s22
	v_fma_f32 v23, -v30, v44, v23
	v_fma_f32 v35, -v30, v57, v35
	s_waitcnt lgkmcnt(0)
	v_fma_f32 v41, -v31, v52, v19
	s_or_b32 s22, s11, 0x380
	v_fma_f32 v23, -v26, v45, v23
	v_or_b32_e32 v45, s19, v0
	v_mul_f32_e32 v19, v47, v24
	v_fma_f32 v24, -v26, v58, v35
	ds_load_b128 v[35:38], v68
	v_fma_f32 v23, -v21, v46, v23
	v_fma_f32 v44, -v29, v53, v41
	s_add_i32 s19, s22, s10
	v_fma_f32 v24, -v21, v59, v24
	s_lshl_b32 s19, s19, 2
	v_fma_f32 v23, -v22, v39, v23
	v_fma_f32 v44, -v27, v54, v44
	s_delay_alu instid0(VALU_DEP_3) | instskip(NEXT) | instid1(VALU_DEP_3)
	v_fma_f32 v24, -v22, v60, v24
	v_fma_f32 v23, -v19, v40, v23
	ds_load_b128 v[39:42], v49 offset:16
	ds_store_b32 v63, v29 offset:16384
	ds_store_b32 v32, v27 offset:16384
	;; [unrolled: 1-line block ×8, first 2 shown]
	v_fma_f32 v51, -v28, v55, v44
	v_lshlrev_b32_e32 v32, 2, v45
	ds_load_b128 v[43:46], v68 offset:16
	v_fma_f32 v24, -v19, v61, v24
	s_waitcnt lgkmcnt(10)
	v_fma_f32 v20, -v31, v35, v20
	s_delay_alu instid0(VALU_DEP_1) | instskip(SKIP_3) | instid1(VALU_DEP_2)
	v_fma_f32 v20, -v29, v36, v20
	v_or_b32_e32 v36, s20, v0
	s_lshl_b32 s20, s23, 6
	s_mulk_i32 s23, 0x104
	v_fma_f32 v20, -v27, v37, v20
	v_add_nc_u32_e64 v37, 0xa00, s12
	s_waitcnt lgkmcnt(9)
	v_fma_f32 v35, -v25, v39, v51
	v_lshlrev_b32_e32 v69, 2, v36
	v_fma_f32 v20, -v28, v38, v20
	ds_load_2addr_b32 v[63:64], v37 offset0:75 offset1:140
	v_mov_b32_e32 v65, s19
	s_or_b32 s19, s11, 0x3c0
	v_fma_f32 v35, -v30, v40, v35
	s_add_i32 s12, s19, s10
	s_delay_alu instid0(SALU_CYCLE_1)
	s_lshl_b32 s12, s12, 2
	ds_load_b128 v[51:54], v65
	v_mov_b32_e32 v67, s12
	s_add_i32 s12, s20, s10
	v_fma_f32 v35, -v26, v41, v35
	s_lshl_b32 s12, s12, 2
	s_delay_alu instid0(SALU_CYCLE_1)
	v_dual_mul_f32 v23, v48, v23 :: v_dual_mov_b32 v70, s12
	ds_load_b128 v[47:50], v49 offset:32
	v_fma_f32 v39, -v21, v42, v35
	ds_load_b128 v[35:38], v67
	s_waitcnt lgkmcnt(4)
	v_fma_f32 v20, -v25, v43, v20
	v_fma_f32 v24, -v23, v62, v24
	s_or_b32 s12, s11, 0x440
	s_delay_alu instid0(VALU_DEP_2) | instskip(SKIP_2) | instid1(VALU_DEP_2)
	v_fma_f32 v20, -v30, v44, v20
	s_waitcnt lgkmcnt(2)
	v_fma_f32 v17, -v31, v51, v17
	v_fma_f32 v20, -v26, v45, v20
	s_delay_alu instid0(VALU_DEP_1)
	v_fma_f32 v20, -v21, v46, v20
	s_waitcnt lgkmcnt(1)
	v_fma_f32 v43, -v22, v47, v39
	ds_load_b128 v[39:42], v68 offset:32
	v_fma_f32 v47, -v29, v52, v17
	v_mul_f32_e32 v17, v63, v24
	s_waitcnt lgkmcnt(1)
	v_fma_f32 v18, -v31, v35, v18
	v_fma_f32 v43, -v19, v48, v43
	v_or_b32_e32 v35, s21, v0
	v_fma_f32 v47, -v27, v53, v47
	s_add_i32 s21, s12, s10
	v_fma_f32 v18, -v29, v36, v18
	v_fma_f32 v24, -v23, v49, v43
	ds_load_b128 v[43:46], v70
	ds_load_b32 v68, v68 offset:48
	s_lshl_b32 s21, s21, 2
	v_fma_f32 v36, -v27, v37, v18
	v_fma_f32 v24, -v17, v50, v24
	s_delay_alu instid0(VALU_DEP_1)
	v_mul_f32_e32 v18, v64, v24
	ds_load_b128 v[55:58], v65 offset:16
	s_waitcnt lgkmcnt(3)
	v_fma_f32 v20, -v22, v39, v20
	v_fma_f32 v39, -v28, v54, v47
	ds_load_b128 v[47:50], v65 offset:32
	ds_load_b96 v[63:65], v65 offset:48
	v_lshlrev_b32_e32 v71, 2, v35
	v_fma_f32 v20, -v19, v40, v20
	s_waitcnt lgkmcnt(4)
	v_fma_f32 v15, -v31, v43, v15
	s_delay_alu instid0(VALU_DEP_2) | instskip(NEXT) | instid1(VALU_DEP_2)
	v_fma_f32 v20, -v23, v41, v20
	v_fma_f32 v15, -v29, v44, v15
	v_mov_b32_e32 v44, s23
	ds_load_b128 v[59:62], v67 offset:16
	v_fma_f32 v20, -v17, v42, v20
	s_or_b32 s23, s10, 28
	s_waitcnt lgkmcnt(3)
	v_fma_f32 v35, -v25, v55, v39
	v_fma_f32 v39, -v28, v38, v36
	;; [unrolled: 1-line block ×3, first 2 shown]
	s_delay_alu instid0(VALU_DEP_3) | instskip(SKIP_3) | instid1(VALU_DEP_1)
	v_fma_f32 v24, -v30, v56, v35
	ds_load_b128 v[35:38], v70 offset:16
	v_fma_f32 v15, -v28, v46, v15
	v_fma_f32 v24, -v26, v57, v24
	;; [unrolled: 1-line block ×3, first 2 shown]
	s_waitcnt lgkmcnt(1)
	v_fma_f32 v43, -v25, v59, v39
	ds_load_b128 v[39:42], v67 offset:32
	v_mov_b32_e32 v59, s21
	v_fma_f32 v24, -v22, v47, v24
	v_fma_f32 v20, -v18, v68, v20
	;; [unrolled: 1-line block ×3, first 2 shown]
	s_delay_alu instid0(VALU_DEP_3) | instskip(SKIP_2) | instid1(VALU_DEP_3)
	v_fma_f32 v24, -v19, v48, v24
	s_waitcnt lgkmcnt(1)
	v_fma_f32 v15, -v25, v35, v15
	v_fma_f32 v51, -v26, v61, v43
	ds_load_b32 v60, v44
	ds_load_b128 v[43:46], v59
	v_fma_f32 v24, -v23, v49, v24
	v_fma_f32 v15, -v30, v36, v15
	;; [unrolled: 1-line block ×3, first 2 shown]
	ds_load_b128 v[51:54], v70 offset:32
	ds_load_b128 v[55:58], v67 offset:48
	v_fma_f32 v36, -v26, v37, v15
	v_mul_f32_e32 v15, v66, v20
	s_waitcnt lgkmcnt(4)
	v_fma_f32 v35, -v22, v39, v47
	v_or_b32_e32 v39, s13, v0
	s_or_b32 s13, s11, 0x480
	s_delay_alu instid0(SALU_CYCLE_1) | instskip(NEXT) | instid1(VALU_DEP_2)
	s_add_i32 s21, s13, s10
	v_fma_f32 v35, -v19, v40, v35
	s_delay_alu instid0(VALU_DEP_2) | instskip(SKIP_2) | instid1(SALU_CYCLE_1)
	v_lshlrev_b32_e32 v61, 2, v39
	v_fma_f32 v39, -v21, v38, v36
	s_lshl_b32 s21, s21, 2
	v_mov_b32_e32 v62, s21
	s_waitcnt lgkmcnt(2)
	v_fma_f32 v16, -v31, v43, v16
	s_waitcnt lgkmcnt(1)
	v_fma_f32 v39, -v22, v51, v39
	v_or_b32_e32 v51, s18, v0
	s_or_b32 s18, s11, 0x4c0
	v_fma_f32 v16, -v29, v44, v16
	s_add_i32 s21, s18, s10
	v_fma_f32 v43, -v19, v52, v39
	s_lshl_b32 s21, s21, 2
	v_or_b32_e32 v52, s22, v0
	v_mov_b32_e32 v68, s21
	v_fma_f32 v20, -v17, v50, v24
	v_fma_f32 v24, -v23, v41, v35
	ds_load_b128 v[47:50], v70 offset:48
	v_fma_f32 v44, -v27, v45, v16
	v_fma_f32 v43, -v23, v53, v43
	;; [unrolled: 1-line block ×4, first 2 shown]
	ds_load_b128 v[39:42], v62
	s_or_b32 s22, s10, 20
	v_fma_f32 v53, -v17, v54, v43
	v_fma_f32 v20, -v15, v64, v20
	s_waitcnt lgkmcnt(2)
	v_fma_f32 v24, -v18, v55, v24
	s_delay_alu instid0(VALU_DEP_2) | instskip(NEXT) | instid1(VALU_DEP_2)
	v_dual_mul_f32 v16, v65, v20 :: v_dual_lshlrev_b32 v55, 2, v51
	v_fma_f32 v24, -v15, v56, v24
	v_lshlrev_b32_e32 v56, 2, v52
	ds_load_b128 v[35:38], v59 offset:16
	v_fma_f32 v20, -v28, v46, v44
	ds_load_b128 v[43:46], v59 offset:32
	v_fma_f32 v24, -v16, v57, v24
	s_waitcnt lgkmcnt(1)
	v_fma_f32 v20, -v25, v35, v20
	v_fma_f32 v35, -v18, v47, v53
	ds_load_b128 v[51:54], v62 offset:16
	v_fma_f32 v13, -v31, v39, v13
	v_or_b32_e32 v39, s19, v0
	v_fma_f32 v20, -v30, v36, v20
	s_lshl_b32 s19, s22, 6
	s_delay_alu instid0(VALU_DEP_3) | instskip(SKIP_1) | instid1(VALU_DEP_2)
	v_fma_f32 v13, -v29, v40, v13
	s_add_i32 s21, s19, s10
	v_fma_f32 v20, -v26, v37, v20
	s_lshl_b32 s21, s21, 2
	s_delay_alu instid0(VALU_DEP_2) | instskip(SKIP_1) | instid1(VALU_DEP_3)
	v_fma_f32 v41, -v27, v41, v13
	v_mul_f32_e32 v13, v58, v24
	v_fma_f32 v20, -v21, v38, v20
	v_lshlrev_b32_e32 v24, 2, v39
	v_fma_f32 v40, -v15, v48, v35
	ds_load_b96 v[63:65], v62 offset:64
	ds_load_b128 v[35:38], v68
	ds_store_b32 v32, v19 offset:16384
	ds_store_b32 v69, v23 offset:16384
	;; [unrolled: 1-line block ×7, first 2 shown]
	s_waitcnt lgkmcnt(10)
	v_fma_f32 v20, -v22, v43, v20
	v_mov_b32_e32 v69, s21
	v_fma_f32 v39, -v16, v49, v40
	v_fma_f32 v40, -v28, v42, v41
	s_or_b32 s21, s11, 0x540
	v_fma_f32 v20, -v19, v44, v20
	v_or_b32_e32 v80, s21, v0
	v_fma_f32 v24, -v13, v50, v39
	s_waitcnt lgkmcnt(9)
	v_fma_f32 v32, -v25, v51, v40
	ds_load_b128 v[39:42], v59 offset:48
	ds_load_b128 v[47:50], v62 offset:32
	;; [unrolled: 1-line block ×3, first 2 shown]
	v_fma_f32 v20, -v23, v45, v20
	v_fma_f32 v32, -v30, v52, v32
	s_delay_alu instid0(VALU_DEP_2)
	v_fma_f32 v20, -v17, v46, v20
	ds_load_b128 v[43:46], v69
	ds_load_b64 v[66:67], v59 offset:64
	s_waitcnt lgkmcnt(12)
	v_fma_f32 v14, -v31, v35, v14
	v_fma_f32 v32, -v26, v53, v32
	s_delay_alu instid0(VALU_DEP_2) | instskip(SKIP_1) | instid1(VALU_DEP_3)
	v_fma_f32 v35, -v29, v36, v14
	v_mul_f32_e32 v14, v60, v24
	v_fma_f32 v32, -v21, v54, v32
	ds_load_b128 v[51:54], v68 offset:32
	s_waitcnt lgkmcnt(5)
	v_fma_f32 v20, -v18, v39, v20
	v_fma_f32 v24, -v27, v37, v35
	v_or_b32_e32 v39, s20, v0
	s_waitcnt lgkmcnt(4)
	v_fma_f32 v32, -v22, v47, v32
	s_add_i32 s20, s21, s10
	v_fma_f32 v20, -v15, v40, v20
	v_fma_f32 v24, -v28, v38, v24
	ds_load_b128 v[35:38], v62 offset:48
	v_fma_f32 v32, -v19, v48, v32
	s_waitcnt lgkmcnt(3)
	v_fma_f32 v11, -v31, v43, v11
	v_fma_f32 v20, -v16, v41, v20
	;; [unrolled: 1-line block ×3, first 2 shown]
	v_lshlrev_b32_e32 v43, 2, v39
	v_fma_f32 v32, -v23, v49, v32
	v_fma_f32 v11, -v29, v44, v11
	;; [unrolled: 1-line block ×4, first 2 shown]
	ds_load_b128 v[39:42], v68 offset:48
	v_fma_f32 v32, -v17, v50, v32
	v_fma_f32 v11, -v27, v45, v11
	s_waitcnt lgkmcnt(3)
	v_fma_f32 v20, -v14, v66, v20
	v_fma_f32 v24, -v26, v57, v24
	s_lshl_b32 s20, s20, 2
	ds_store_b32 v43, v14 offset:16384
	v_mov_b32_e32 v70, s20
	s_or_b32 s21, s11, 0x6c0
	v_fma_f32 v24, -v21, v58, v24
	s_waitcnt lgkmcnt(2)
	v_fma_f32 v32, -v18, v35, v32
	v_fma_f32 v35, -v28, v46, v11
	v_mul_f32_e32 v11, v67, v20
	ds_load_b128 v[47:50], v70
	v_fma_f32 v24, -v22, v51, v24
	v_fma_f32 v32, -v15, v36, v32
	ds_load_b128 v[55:58], v70 offset:16
	v_or_b32_e32 v67, s13, v0
	s_or_b32 s13, s11, 0x5c0
	v_fma_f32 v24, -v19, v52, v24
	v_fma_f32 v20, -v16, v37, v32
	s_delay_alu instid0(VALU_DEP_2) | instskip(NEXT) | instid1(VALU_DEP_2)
	v_fma_f32 v24, -v23, v53, v24
	v_fma_f32 v20, -v13, v38, v20
	s_delay_alu instid0(VALU_DEP_2) | instskip(NEXT) | instid1(VALU_DEP_2)
	v_fma_f32 v24, -v17, v54, v24
	v_fma_f32 v20, -v14, v63, v20
	s_delay_alu instid0(VALU_DEP_1) | instskip(NEXT) | instid1(VALU_DEP_1)
	v_fma_f32 v20, -v11, v64, v20
	v_mul_f32_e32 v20, v65, v20
	ds_load_b128 v[59:62], v69 offset:16
	ds_load_b128 v[43:46], v69 offset:32
	s_waitcnt lgkmcnt(1)
	v_fma_f32 v32, -v25, v59, v35
	ds_load_b128 v[35:38], v68 offset:64
	v_fma_f32 v24, -v18, v39, v24
	v_or_b32_e32 v59, s12, v0
	s_or_b32 s12, s11, 0x580
	v_fma_f32 v32, -v30, v60, v32
	s_add_i32 s20, s12, s10
	v_fma_f32 v24, -v15, v40, v24
	s_lshl_b32 s20, s20, 2
	s_delay_alu instid0(VALU_DEP_2) | instskip(SKIP_1) | instid1(VALU_DEP_3)
	v_fma_f32 v32, -v26, v61, v32
	v_mov_b32_e32 v71, s20
	v_fma_f32 v24, -v16, v41, v24
	s_add_i32 s20, s13, s10
	s_delay_alu instid0(VALU_DEP_3)
	v_fma_f32 v32, -v21, v62, v32
	ds_load_b128 v[51:54], v71
	v_fma_f32 v24, -v13, v42, v24
	ds_load_b128 v[39:42], v70 offset:32
	v_fma_f32 v12, -v31, v47, v12
	s_waitcnt lgkmcnt(3)
	v_fma_f32 v32, -v22, v43, v32
	s_lshl_b32 s20, s20, 2
	s_waitcnt lgkmcnt(2)
	v_fma_f32 v24, -v14, v35, v24
	v_mov_b32_e32 v73, s20
	v_fma_f32 v12, -v29, v48, v12
	v_fma_f32 v32, -v19, v44, v32
	s_or_b32 s20, s10, 24
	v_fma_f32 v24, -v11, v36, v24
	s_delay_alu instid0(VALU_DEP_3) | instskip(NEXT) | instid1(VALU_DEP_3)
	v_fma_f32 v12, -v27, v49, v12
	v_fma_f32 v32, -v23, v45, v32
	s_delay_alu instid0(VALU_DEP_3) | instskip(NEXT) | instid1(VALU_DEP_3)
	v_fma_f32 v24, -v20, v37, v24
	v_fma_f32 v12, -v28, v50, v12
	ds_load_b128 v[47:50], v69 offset:48
	v_fma_f32 v32, -v17, v46, v32
	v_mul_f32_e32 v24, v38, v24
	v_fma_f32 v12, -v25, v55, v12
	s_delay_alu instid0(VALU_DEP_1) | instskip(SKIP_1) | instid1(VALU_DEP_2)
	v_fma_f32 v43, -v30, v56, v12
	v_lshlrev_b32_e32 v12, 2, v59
	v_fma_f32 v35, -v26, v57, v43
	ds_load_b128 v[43:46], v71 offset:16
	v_fma_f32 v35, -v21, v58, v35
	ds_load_b128 v[55:58], v70 offset:48
	s_waitcnt lgkmcnt(4)
	v_fma_f32 v9, -v31, v51, v9
	s_waitcnt lgkmcnt(2)
	v_fma_f32 v32, -v18, v47, v32
	ds_load_b128 v[59:62], v73
	ds_load_b128 v[63:66], v69 offset:64
	v_fma_f32 v35, -v22, v39, v35
	v_fma_f32 v9, -v29, v52, v9
	;; [unrolled: 1-line block ×3, first 2 shown]
	s_delay_alu instid0(VALU_DEP_3) | instskip(NEXT) | instid1(VALU_DEP_3)
	v_fma_f32 v35, -v19, v40, v35
	v_fma_f32 v36, -v27, v53, v9
	s_delay_alu instid0(VALU_DEP_3) | instskip(SKIP_1) | instid1(VALU_DEP_4)
	v_fma_f32 v32, -v16, v49, v32
	v_lshlrev_b32_e32 v9, 2, v67
	v_fma_f32 v35, -v23, v41, v35
	v_or_b32_e32 v67, s18, v0
	v_fma_f32 v36, -v28, v54, v36
	s_mul_i32 s18, s22, 0x104
	v_fma_f32 v32, -v13, v50, v32
	v_fma_f32 v39, -v17, v42, v35
	s_waitcnt lgkmcnt(3)
	v_fma_f32 v40, -v25, v43, v36
	v_mov_b32_e32 v43, s18
	s_lshl_b32 s18, s20, 6
	s_waitcnt lgkmcnt(2)
	v_fma_f32 v47, -v18, v55, v39
	s_waitcnt lgkmcnt(0)
	v_fma_f32 v32, -v14, v63, v32
	s_add_i32 s22, s18, s10
	ds_load_b32 v55, v43
	s_lshl_b32 s22, s22, 2
	ds_load_b128 v[35:38], v71 offset:32
	v_mov_b32_e32 v76, s22
	v_fma_f32 v32, -v11, v64, v32
	v_fma_f32 v44, -v30, v44, v40
	;; [unrolled: 1-line block ×4, first 2 shown]
	ds_load_b128 v[47:50], v70 offset:64
	v_fma_f32 v32, -v20, v65, v32
	v_fma_f32 v43, -v26, v45, v44
	;; [unrolled: 1-line block ×4, first 2 shown]
	s_mulk_i32 s20, 0x104
	v_fma_f32 v32, -v24, v66, v32
	v_fma_f32 v52, -v21, v46, v43
	;; [unrolled: 1-line block ×3, first 2 shown]
	s_waitcnt lgkmcnt(2)
	s_delay_alu instid0(VALU_DEP_3)
	v_mul_f32_e32 v32, v55, v32
	ds_load_b128 v[39:42], v73 offset:16
	s_waitcnt lgkmcnt(2)
	v_fma_f32 v35, -v22, v35, v52
	v_fma_f32 v10, -v28, v62, v10
	ds_load_b128 v[51:54], v76
	ds_load_b128 v[59:62], v73 offset:32
	v_fma_f32 v35, -v19, v36, v35
	s_delay_alu instid0(VALU_DEP_1) | instskip(NEXT) | instid1(VALU_DEP_1)
	v_fma_f32 v35, -v23, v37, v35
	v_fma_f32 v35, -v17, v38, v35
	s_waitcnt lgkmcnt(2)
	v_fma_f32 v36, -v25, v39, v10
	v_lshlrev_b32_e32 v10, 2, v67
	ds_load_b128 v[43:46], v71 offset:48
	ds_load_b64 v[67:68], v70 offset:80
	v_fma_f32 v39, -v13, v58, v56
	v_fma_f32 v36, -v30, v40, v36
	s_waitcnt lgkmcnt(3)
	v_fma_f32 v7, -v31, v51, v7
	s_delay_alu instid0(VALU_DEP_3) | instskip(NEXT) | instid1(VALU_DEP_3)
	v_fma_f32 v37, -v14, v47, v39
	v_fma_f32 v36, -v26, v41, v36
	v_or_b32_e32 v47, s19, v0
	s_or_b32 s19, s11, 0x640
	v_fma_f32 v7, -v29, v52, v7
	s_add_i32 s22, s19, s10
	v_fma_f32 v48, -v11, v48, v37
	v_fma_f32 v63, -v21, v42, v36
	s_lshl_b32 s22, s22, 2
	v_mov_b32_e32 v52, s20
	s_or_b32 s20, s11, 0x680
	v_mov_b32_e32 v77, s22
	s_add_i32 s22, s20, s10
	s_waitcnt lgkmcnt(1)
	v_fma_f32 v43, -v18, v43, v35
	ds_load_b128 v[35:38], v76 offset:16
	s_lshl_b32 s22, s22, 2
	ds_load_b128 v[39:42], v71 offset:64
	ds_load_b128 v[55:58], v73 offset:48
	v_mov_b32_e32 v79, s22
	s_add_i32 s22, s21, s10
	v_fma_f32 v51, -v22, v59, v63
	s_lshl_b32 s22, s22, 2
	v_fma_f32 v7, -v27, v53, v7
	v_fma_f32 v43, -v15, v44, v43
	v_mov_b32_e32 v82, s22
	ds_load_b32 v78, v52
	ds_load_b128 v[63:66], v77
	v_fma_f32 v44, -v19, v60, v51
	v_fma_f32 v51, -v28, v54, v7
	;; [unrolled: 1-line block ×3, first 2 shown]
	s_lshl_b32 s22, s23, 6
	v_fma_f32 v48, -v20, v49, v48
	s_add_i32 s24, s22, s10
	ds_load_b96 v[70:72], v71 offset:80
	v_fma_f32 v49, -v13, v46, v43
	s_lshl_b32 s24, s24, 2
	v_lshlrev_b32_e32 v7, 2, v47
	v_fma_f32 v47, -v23, v61, v44
	s_waitcnt lgkmcnt(5)
	v_fma_f32 v35, -v25, v35, v51
	ds_load_b128 v[43:46], v76 offset:32
	v_fma_f32 v48, -v24, v50, v48
	s_waitcnt lgkmcnt(5)
	v_fma_f32 v39, -v14, v39, v49
	v_fma_f32 v47, -v17, v62, v47
	;; [unrolled: 1-line block ×3, first 2 shown]
	s_mulk_i32 s23, 0x104
	v_fma_f32 v67, -v32, v67, v48
	s_waitcnt lgkmcnt(2)
	v_fma_f32 v8, -v31, v63, v8
	v_fma_f32 v36, -v18, v55, v47
	ds_load_b128 v[47:50], v77 offset:16
	v_fma_f32 v35, -v26, v37, v35
	v_fma_f32 v39, -v11, v40, v39
	;; [unrolled: 1-line block ×4, first 2 shown]
	v_mul_f32_e32 v8, v68, v67
	v_fma_f32 v56, -v21, v38, v35
	ds_load_b128 v[35:38], v73 offset:64
	ds_load_b128 v[51:54], v76 offset:48
	ds_load_b128 v[59:62], v79
	v_fma_f32 v40, -v16, v57, v55
	v_fma_f32 v39, -v20, v41, v39
	s_waitcnt lgkmcnt(4)
	v_fma_f32 v43, -v22, v43, v56
	v_fma_f32 v56, -v27, v65, v63
	;; [unrolled: 1-line block ×3, first 2 shown]
	s_delay_alu instid0(VALU_DEP_3) | instskip(NEXT) | instid1(VALU_DEP_3)
	v_fma_f32 v43, -v19, v44, v43
	v_fma_f32 v44, -v28, v66, v56
	ds_load_b128 v[55:58], v77 offset:32
	v_fma_f32 v43, -v23, v45, v43
	s_waitcnt lgkmcnt(4)
	v_fma_f32 v44, -v25, v47, v44
	v_fma_f32 v47, -v24, v42, v39
	ds_load_b128 v[39:42], v73 offset:80
	v_fma_f32 v64, -v17, v46, v43
	v_fma_f32 v48, -v30, v48, v44
	ds_load_b128 v[43:46], v79 offset:16
	s_waitcnt lgkmcnt(3)
	v_fma_f32 v5, -v31, v59, v5
	v_fma_f32 v35, -v14, v35, v63
	;; [unrolled: 1-line block ×8, first 2 shown]
	ds_load_b128 v[63:66], v77 offset:48
	v_fma_f32 v51, -v21, v50, v47
	ds_load_b128 v[47:50], v76 offset:64
	v_fma_f32 v5, -v27, v61, v5
	v_fma_f32 v35, -v20, v37, v35
	;; [unrolled: 1-line block ×3, first 2 shown]
	s_waitcnt lgkmcnt(4)
	v_fma_f32 v51, -v22, v55, v51
	v_fma_f32 v5, -v28, v62, v5
	ds_load_b96 v[73:75], v79 offset:96
	ds_load_b128 v[59:62], v82
	ds_load_b128 v[67:70], v79 offset:32
	s_waitcnt lgkmcnt(5)
	v_fma_f32 v5, -v25, v43, v5
	v_fma_f32 v43, -v19, v56, v51
	;; [unrolled: 1-line block ×3, first 2 shown]
	s_delay_alu instid0(VALU_DEP_3) | instskip(NEXT) | instid1(VALU_DEP_3)
	v_fma_f32 v5, -v30, v44, v5
	v_fma_f32 v37, -v23, v57, v43
	s_delay_alu instid0(VALU_DEP_3)
	v_mul_f32_e32 v71, v72, v51
	v_fma_f32 v72, -v24, v38, v35
	v_fma_f32 v43, -v13, v54, v36
	;; [unrolled: 1-line block ×4, first 2 shown]
	ds_load_b128 v[35:38], v76 offset:80
	v_fma_f32 v39, -v32, v39, v72
	v_mov_b32_e32 v72, s24
	v_fma_f32 v5, -v21, v46, v5
	s_or_b32 s24, s11, 0x740
	s_waitcnt lgkmcnt(4)
	v_fma_f32 v47, -v14, v47, v43
	v_fma_f32 v39, -v8, v40, v39
	s_add_i32 s25, s24, s10
	s_waitcnt lgkmcnt(1)
	v_fma_f32 v5, -v22, v67, v5
	s_lshl_b32 s25, s25, 2
	ds_load_b128 v[51:54], v77 offset:64
	v_fma_f32 v63, -v18, v63, v44
	v_fma_f32 v6, -v31, v59, v6
	v_fma_f32 v5, -v19, v68, v5
	ds_load_b128 v[55:58], v82 offset:16
	v_fma_f32 v47, -v11, v48, v47
	v_fma_f32 v48, -v15, v64, v63
	;; [unrolled: 1-line block ×4, first 2 shown]
	s_delay_alu instid0(VALU_DEP_4) | instskip(NEXT) | instid1(VALU_DEP_4)
	v_fma_f32 v47, -v20, v49, v47
	v_fma_f32 v48, -v16, v65, v48
	s_delay_alu instid0(VALU_DEP_4) | instskip(NEXT) | instid1(VALU_DEP_4)
	v_fma_f32 v6, -v27, v61, v6
	v_fma_f32 v5, -v17, v70, v5
	ds_load_b128 v[67:70], v72
	v_fma_f32 v40, -v24, v50, v47
	v_fma_f32 v47, -v13, v66, v48
	;; [unrolled: 1-line block ×3, first 2 shown]
	ds_load_b128 v[63:66], v77 offset:80
	s_waitcnt lgkmcnt(4)
	v_fma_f32 v35, -v32, v35, v40
	s_waitcnt lgkmcnt(3)
	v_fma_f32 v40, -v14, v51, v47
	ds_load_b128 v[47:50], v82 offset:32
	s_waitcnt lgkmcnt(3)
	v_fma_f32 v6, -v25, v55, v6
	v_fma_f32 v35, -v8, v36, v35
	v_fma_f32 v40, -v11, v52, v40
	s_delay_alu instid0(VALU_DEP_3) | instskip(NEXT) | instid1(VALU_DEP_2)
	v_fma_f32 v6, -v30, v56, v6
	v_fma_f32 v36, -v20, v53, v40
	s_waitcnt lgkmcnt(2)
	v_fma_f32 v3, -v31, v67, v3
	s_delay_alu instid0(VALU_DEP_3) | instskip(NEXT) | instid1(VALU_DEP_3)
	v_fma_f32 v6, -v26, v57, v6
	v_fma_f32 v36, -v24, v54, v36
	s_delay_alu instid0(VALU_DEP_3)
	v_fma_f32 v3, -v29, v68, v3
	v_mov_b32_e32 v68, s25
	v_fma_f32 v39, -v71, v41, v39
	v_fma_f32 v6, -v21, v58, v6
	;; [unrolled: 1-line block ×3, first 2 shown]
	s_waitcnt lgkmcnt(1)
	v_fma_f32 v36, -v32, v63, v36
	s_or_b32 s25, s11, 0x780
	v_mul_f32_e32 v76, v42, v39
	ds_load_b128 v[43:46], v79 offset:48
	ds_load_b128 v[59:62], v79 offset:64
	;; [unrolled: 1-line block ×3, first 2 shown]
	s_waitcnt lgkmcnt(3)
	v_fma_f32 v47, -v22, v47, v6
	v_fma_f32 v52, -v8, v64, v36
	s_add_i32 s27, s25, s10
	v_fma_f32 v3, -v27, v69, v3
	s_lshl_b32 s27, s27, 2
	v_fma_f32 v47, -v19, v48, v47
	v_fma_f32 v48, -v76, v38, v35
	;; [unrolled: 1-line block ×3, first 2 shown]
	s_or_b32 s11, s11, 0x7c0
	v_mov_b32_e32 v69, s27
	v_fma_f32 v47, -v23, v49, v47
	s_add_i32 s27, s11, s10
	v_fma_f32 v3, -v28, v70, v3
	s_lshl_b32 s27, s27, 2
	s_delay_alu instid0(SALU_CYCLE_1) | instskip(SKIP_2) | instid1(VALU_DEP_1)
	v_dual_mul_f32 v67, v78, v48 :: v_dual_mov_b32 v78, s27
	s_waitcnt lgkmcnt(2)
	v_fma_f32 v5, -v18, v43, v5
	v_fma_f32 v5, -v15, v44, v5
	s_delay_alu instid0(VALU_DEP_1) | instskip(NEXT) | instid1(VALU_DEP_1)
	v_fma_f32 v5, -v16, v45, v5
	v_fma_f32 v37, -v13, v46, v5
	ds_load_b64 v[5:6], v77 offset:96
	ds_load_b128 v[43:46], v79 offset:80
	s_waitcnt lgkmcnt(3)
	v_fma_f32 v37, -v14, v59, v37
	s_delay_alu instid0(VALU_DEP_1) | instskip(SKIP_3) | instid1(VALU_DEP_2)
	v_fma_f32 v51, -v11, v60, v37
	ds_load_b128 v[35:38], v72 offset:16
	v_fma_f32 v49, -v20, v61, v51
	v_fma_f32 v51, -v17, v50, v47
	;; [unrolled: 1-line block ×3, first 2 shown]
	ds_load_b128 v[47:50], v82 offset:64
	s_waitcnt lgkmcnt(4)
	v_fma_f32 v39, -v18, v39, v51
	v_fma_f32 v51, -v76, v66, v52
	s_waitcnt lgkmcnt(2)
	v_fma_f32 v43, -v32, v43, v53
	s_delay_alu instid0(VALU_DEP_3) | instskip(NEXT) | instid1(VALU_DEP_3)
	v_fma_f32 v39, -v15, v40, v39
	v_fma_f32 v5, -v67, v5, v51
	ds_load_b128 v[51:54], v68
	ds_load_b128 v[55:58], v72 offset:32
	v_fma_f32 v40, -v8, v44, v43
	s_waitcnt lgkmcnt(3)
	v_fma_f32 v3, -v25, v35, v3
	v_fma_f32 v39, -v16, v41, v39
	v_dual_mul_f32 v70, v6, v5 :: v_dual_lshlrev_b32 v77, 2, v80
	v_fma_f32 v35, -v71, v45, v40
	s_delay_alu instid0(VALU_DEP_4) | instskip(NEXT) | instid1(VALU_DEP_4)
	v_fma_f32 v3, -v30, v36, v3
	v_fma_f32 v36, -v13, v42, v39
	ds_load_b128 v[39:42], v69
	v_fma_f32 v5, -v76, v46, v35
	v_fma_f32 v3, -v26, v37, v3
	s_waitcnt lgkmcnt(3)
	v_fma_f32 v6, -v14, v47, v36
	s_delay_alu instid0(VALU_DEP_3) | instskip(NEXT) | instid1(VALU_DEP_3)
	v_fma_f32 v63, -v67, v73, v5
	v_fma_f32 v47, -v21, v38, v3
	ds_load_b128 v[35:38], v68 offset:16
	ds_load_b128 v[43:46], v78
	s_waitcnt lgkmcnt(4)
	v_fma_f32 v51, -v31, v51, v4
	v_fma_f32 v48, -v11, v48, v6
	ds_load_b128 v[3:6], v72 offset:48
	s_waitcnt lgkmcnt(4)
	v_fma_f32 v47, -v22, v55, v47
	ds_load_b128 v[59:62], v82 offset:80
	v_fma_f32 v51, -v29, v52, v51
	v_fma_f32 v48, -v20, v49, v48
	;; [unrolled: 1-line block ×4, first 2 shown]
	ds_load_b128 v[63:66], v69 offset:16
	v_fma_f32 v49, -v27, v53, v51
	s_waitcnt lgkmcnt(5)
	v_fma_f32 v1, -v31, v39, v1
	v_fma_f32 v39, -v24, v50, v48
	;; [unrolled: 1-line block ×3, first 2 shown]
	v_mul_f32_e32 v73, v75, v52
	v_fma_f32 v56, -v28, v54, v49
	ds_load_b128 v[47:50], v78 offset:16
	v_fma_f32 v1, -v29, v40, v1
	ds_load_b128 v[51:54], v82 offset:96
	s_waitcnt lgkmcnt(5)
	v_fma_f32 v2, -v31, v43, v2
	v_fma_f32 v31, -v17, v58, v55
	;; [unrolled: 1-line block ×4, first 2 shown]
	ds_load_b128 v[55:58], v68 offset:32
	v_fma_f32 v2, -v29, v44, v2
	s_waitcnt lgkmcnt(5)
	v_fma_f32 v3, -v18, v3, v31
	s_waitcnt lgkmcnt(4)
	v_fma_f32 v29, -v32, v59, v39
	v_fma_f32 v1, -v28, v42, v1
	ds_load_b128 v[39:42], v69 offset:32
	v_fma_f32 v2, -v27, v45, v2
	v_fma_f32 v27, -v30, v36, v35
	v_fma_f32 v35, -v15, v4, v3
	s_waitcnt lgkmcnt(4)
	v_fma_f32 v31, -v25, v63, v1
	v_fma_f32 v29, -v8, v60, v29
	;; [unrolled: 1-line block ×4, first 2 shown]
	ds_load_b128 v[1:4], v72 offset:64
	ds_load_b128 v[43:46], v78 offset:32
	v_fma_f32 v31, -v30, v64, v31
	s_waitcnt lgkmcnt(5)
	v_fma_f32 v25, -v25, v47, v28
	v_fma_f32 v27, -v21, v38, v27
	;; [unrolled: 1-line block ×3, first 2 shown]
	ds_load_b128 v[35:38], v68 offset:48
	v_fma_f32 v28, -v26, v65, v31
	v_fma_f32 v25, -v30, v48, v25
	s_waitcnt lgkmcnt(4)
	v_fma_f32 v27, -v22, v55, v27
	v_fma_f32 v5, -v13, v6, v5
	;; [unrolled: 1-line block ×4, first 2 shown]
	s_delay_alu instid0(VALU_DEP_4)
	v_fma_f32 v31, -v19, v56, v27
	ds_load_b128 v[25:28], v69 offset:48
	ds_load_b128 v[63:66], v72 offset:80
	s_waitcnt lgkmcnt(5)
	v_fma_f32 v30, -v22, v39, v30
	v_fma_f32 v6, -v21, v50, v6
	v_fma_f32 v21, -v23, v57, v31
	s_waitcnt lgkmcnt(4)
	v_fma_f32 v1, -v14, v1, v5
	ds_load_b128 v[47:50], v78 offset:48
	v_fma_f32 v5, -v19, v40, v30
	s_waitcnt lgkmcnt(4)
	v_fma_f32 v6, -v22, v43, v6
	v_fma_f32 v21, -v17, v58, v21
	;; [unrolled: 1-line block ×6, first 2 shown]
	s_waitcnt lgkmcnt(3)
	v_fma_f32 v6, -v18, v35, v21
	ds_load_b128 v[55:58], v68 offset:64
	v_fma_f32 v19, -v76, v62, v22
	v_fma_f32 v5, -v17, v42, v5
	;; [unrolled: 1-line block ×5, first 2 shown]
	ds_load_b128 v[39:42], v69 offset:64
	s_waitcnt lgkmcnt(4)
	v_fma_f32 v5, -v18, v25, v5
	v_fma_f32 v2, -v17, v46, v2
	;; [unrolled: 1-line block ×5, first 2 shown]
	ds_load_b128 v[43:46], v78 offset:80
	s_waitcnt lgkmcnt(3)
	v_fma_f32 v18, -v18, v47, v2
	ds_load_b128 v[1:4], v78 offset:64
	v_fma_f32 v5, -v15, v26, v5
	v_fma_f32 v17, -v13, v38, v17
	;; [unrolled: 1-line block ×4, first 2 shown]
	ds_load_b128 v[35:38], v68 offset:80
	v_fma_f32 v5, -v16, v27, v5
	v_or_b32_e32 v23, s12, v0
	v_fma_f32 v21, -v16, v49, v15
	s_delay_alu instid0(VALU_DEP_3)
	v_fma_f32 v5, -v13, v28, v5
	ds_load_b128 v[25:28], v72 offset:96
	v_fma_f32 v13, -v13, v50, v21
	ds_load_b128 v[47:50], v68 offset:96
	s_waitcnt lgkmcnt(6)
	v_fma_f32 v17, -v14, v55, v17
	s_waitcnt lgkmcnt(5)
	v_fma_f32 v5, -v14, v39, v5
	;; [unrolled: 2-line block ×3, first 2 shown]
	v_fma_f32 v22, -v11, v56, v17
	v_fma_f32 v14, -v73, v53, v6
	;; [unrolled: 1-line block ×3, first 2 shown]
	s_delay_alu instid0(VALU_DEP_4) | instskip(NEXT) | instid1(VALU_DEP_4)
	v_fma_f32 v1, -v11, v2, v1
	v_fma_f32 v21, -v20, v57, v22
	s_delay_alu instid0(VALU_DEP_4)
	v_mul_f32_e32 v22, v54, v14
	ds_load_b128 v[15:18], v69 offset:80
	v_fma_f32 v5, -v20, v41, v5
	v_fma_f32 v19, -v32, v63, v19
	;; [unrolled: 1-line block ×4, first 2 shown]
	v_mov_b32_e32 v3, s23
	v_fma_f32 v5, -v24, v42, v5
	v_fma_f32 v19, -v8, v64, v19
	ds_load_b128 v[39:42], v69 offset:96
	v_fma_f32 v1, -v24, v4, v1
	ds_load_b32 v21, v3
	s_waitcnt lgkmcnt(5)
	v_fma_f32 v2, -v32, v35, v13
	v_fma_f32 v19, -v71, v65, v19
	s_delay_alu instid0(VALU_DEP_2) | instskip(NEXT) | instid1(VALU_DEP_2)
	v_fma_f32 v2, -v8, v36, v2
	v_fma_f32 v6, -v76, v66, v19
	s_waitcnt lgkmcnt(2)
	v_fma_f32 v5, -v32, v15, v5
	s_delay_alu instid0(VALU_DEP_3)
	v_fma_f32 v13, -v71, v37, v2
	v_fma_f32 v15, -v32, v43, v1
	ds_load_b128 v[1:4], v78 offset:96
	v_fma_f32 v5, -v8, v16, v5
	v_fma_f32 v13, -v76, v38, v13
	;; [unrolled: 1-line block ×3, first 2 shown]
	s_delay_alu instid0(VALU_DEP_3) | instskip(NEXT) | instid1(VALU_DEP_3)
	v_fma_f32 v17, -v71, v17, v5
	v_fma_f32 v13, -v67, v47, v13
	s_delay_alu instid0(VALU_DEP_3) | instskip(NEXT) | instid1(VALU_DEP_3)
	v_fma_f32 v15, -v71, v45, v15
	v_fma_f32 v14, -v76, v18, v17
	ds_load_b96 v[17:19], v69 offset:112
	v_fma_f32 v6, -v67, v25, v6
	v_fma_f32 v13, -v70, v48, v13
	;; [unrolled: 1-line block ×3, first 2 shown]
	s_delay_alu instid0(VALU_DEP_3)
	v_fma_f32 v16, -v70, v26, v6
	ds_load_b64 v[5:6], v68 offset:112
	s_waitcnt lgkmcnt(4)
	v_fma_f32 v14, -v67, v39, v14
	v_fma_f32 v16, -v73, v27, v16
	;; [unrolled: 1-line block ×3, first 2 shown]
	s_delay_alu instid0(VALU_DEP_2) | instskip(NEXT) | instid1(VALU_DEP_4)
	v_fma_f32 v26, -v22, v28, v16
	v_fma_f32 v28, -v70, v40, v14
	ds_load_b128 v[13:16], v78 offset:112
	s_waitcnt lgkmcnt(3)
	v_fma_f32 v1, -v67, v1, v25
	v_fma_f32 v25, -v22, v50, v27
	v_mul_f32_e32 v21, v21, v26
	v_or_b32_e32 v27, s18, v0
	s_delay_alu instid0(VALU_DEP_4) | instskip(SKIP_3) | instid1(VALU_DEP_2)
	v_fma_f32 v1, -v70, v2, v1
	v_or_b32_e32 v2, s13, v0
	s_waitcnt lgkmcnt(1)
	v_fma_f32 v5, -v21, v5, v25
	v_lshlrev_b32_e32 v2, 2, v2
	v_fma_f32 v26, -v73, v41, v28
	v_fma_f32 v1, -v73, v3, v1
	s_delay_alu instid0(VALU_DEP_4) | instskip(SKIP_1) | instid1(VALU_DEP_4)
	v_mul_f32_e32 v5, v6, v5
	v_lshlrev_b32_e32 v3, 2, v27
	v_fma_f32 v25, -v22, v42, v26
	s_delay_alu instid0(VALU_DEP_4) | instskip(NEXT) | instid1(VALU_DEP_2)
	v_fma_f32 v1, -v22, v4, v1
	v_fma_f32 v6, -v21, v17, v25
	s_delay_alu instid0(VALU_DEP_1) | instskip(SKIP_2) | instid1(VALU_DEP_3)
	v_fma_f32 v4, -v5, v18, v6
	v_lshlrev_b32_e32 v23, 2, v23
	v_or_b32_e32 v6, s21, v0
	v_mul_f32_e32 v4, v19, v4
	ds_store_b32 v12, v11 offset:16384
	ds_store_b32 v9, v20 offset:16384
	;; [unrolled: 1-line block ×8, first 2 shown]
	v_or_b32_e32 v8, s24, v0
	v_or_b32_e32 v2, s19, v0
	v_lshlrev_b32_e32 v6, 2, v6
	v_or_b32_e32 v3, s20, v0
	v_or_b32_e32 v7, s22, v0
	v_lshlrev_b32_e32 v8, 2, v8
	s_waitcnt lgkmcnt(8)
	v_fma_f32 v1, -v21, v13, v1
	v_lshlrev_b32_e32 v2, 2, v2
	v_or_b32_e32 v9, s25, v0
	v_or_b32_e32 v10, s11, v0
	v_lshlrev_b32_e32 v3, 2, v3
	v_fma_f32 v1, -v5, v14, v1
	s_add_i32 s11, s10, 32
	s_add_i32 s10, s10, 63
	v_lshlrev_b32_e32 v7, 2, v7
	s_cmp_lt_i32 s10, s15
	v_fma_f32 v1, -v4, v15, v1
	v_lshlrev_b32_e32 v9, 2, v9
	s_delay_alu instid0(VALU_DEP_2)
	v_dual_mul_f32 v1, v16, v1 :: v_dual_lshlrev_b32 v10, 2, v10
	ds_store_b32 v2, v70 offset:16384
	ds_store_b32 v3, v73 offset:16384
	;; [unrolled: 1-line block ×7, first 2 shown]
	s_cbranch_scc0 .LBB41_25
; %bb.24:                               ;   in Loop: Header=BB41_20 Depth=1
	s_mov_b32 s10, s11
	s_branch .LBB41_20
.LBB41_25:
	s_cmp_lt_i32 s11, s15
	s_cbranch_scc0 .LBB41_50
; %bb.26:
	s_add_i32 s4, s11, 3
	s_delay_alu instid0(SALU_CYCLE_1)
	s_cmp_ge_i32 s4, s15
	s_cbranch_scc1 .LBB41_38
; %bb.27:
	v_lshl_or_b32 v5, v0, 2, 0x4000
	v_lshlrev_b32_e32 v6, 2, v0
	s_add_i32 s4, s11, -1
	s_lshl_b32 s10, s11, 8
	s_and_b32 s12, s11, -4
	s_and_b32 s13, s11, 3
	s_mov_b32 s18, 0
.LBB41_28:                              ; =>This Loop Header: Depth=1
                                        ;     Child Loop BB41_31 Depth 2
                                        ;     Child Loop BB41_35 Depth 2
	v_lshl_or_b32 v7, s11, 8, v6
	s_cmp_eq_u32 s11, 0
	ds_load_2addr_stride64_b32 v[1:2], v7 offset0:64 offset1:65
	ds_load_2addr_stride64_b32 v[3:4], v7 offset0:66 offset1:67
	s_cbranch_scc1 .LBB41_36
; %bb.29:                               ;   in Loop: Header=BB41_28 Depth=1
	s_lshl_b32 s19, s18, 2
	s_delay_alu instid0(SALU_CYCLE_1) | instskip(NEXT) | instid1(SALU_CYCLE_1)
	s_add_i32 s19, s4, s19
	s_cmp_lt_u32 s19, 3
	s_cbranch_scc1 .LBB41_33
; %bb.30:                               ;   in Loop: Header=BB41_28 Depth=1
	v_mov_b32_e32 v8, v5
	s_mov_b32 s19, 0
	s_mov_b32 s20, s10
.LBB41_31:                              ;   Parent Loop BB41_28 Depth=1
                                        ; =>  This Inner Loop Header: Depth=2
	s_delay_alu instid0(SALU_CYCLE_1)
	v_mov_b32_e32 v21, s20
	s_add_i32 s19, s19, 4
	s_add_i32 s20, s20, 16
	s_cmp_lg_u32 s12, s19
	ds_load_2addr_stride64_b32 v[25:26], v8 offset1:1
	ds_load_b128 v[9:12], v21
	ds_load_b128 v[13:16], v21 offset:256
	ds_load_b128 v[17:20], v21 offset:512
	;; [unrolled: 1-line block ×3, first 2 shown]
	ds_load_2addr_stride64_b32 v[27:28], v8 offset0:2 offset1:3
	v_add_nc_u32_e32 v8, 0x400, v8
	s_waitcnt lgkmcnt(4)
	v_fma_f32 v1, -v25, v9, v1
	s_waitcnt lgkmcnt(3)
	v_fma_f32 v2, -v25, v13, v2
	s_waitcnt lgkmcnt(2)
	v_fma_f32 v3, -v25, v17, v3
	s_waitcnt lgkmcnt(1)
	v_fma_f32 v4, -v25, v21, v4
	v_fma_f32 v1, -v26, v10, v1
	v_fma_f32 v2, -v26, v14, v2
	;; [unrolled: 1-line block ×3, first 2 shown]
	s_delay_alu instid0(VALU_DEP_4)
	v_fma_f32 v4, -v26, v22, v4
	s_waitcnt lgkmcnt(0)
	v_fma_f32 v1, -v27, v11, v1
	v_fma_f32 v2, -v27, v15, v2
	;; [unrolled: 1-line block ×4, first 2 shown]
	s_delay_alu instid0(VALU_DEP_4) | instskip(NEXT) | instid1(VALU_DEP_4)
	v_fma_f32 v1, -v28, v12, v1
	v_fma_f32 v2, -v28, v16, v2
	s_delay_alu instid0(VALU_DEP_4) | instskip(NEXT) | instid1(VALU_DEP_4)
	v_fma_f32 v3, -v28, v20, v3
	v_fma_f32 v4, -v28, v24, v4
	s_cbranch_scc1 .LBB41_31
; %bb.32:                               ;   in Loop: Header=BB41_28 Depth=1
	s_mov_b32 s19, s12
	s_and_b32 s20, s11, 3
	s_delay_alu instid0(SALU_CYCLE_1)
	s_cmp_eq_u32 s20, 0
	s_cbranch_scc0 .LBB41_34
	s_branch .LBB41_36
.LBB41_33:                              ;   in Loop: Header=BB41_28 Depth=1
	s_mov_b32 s19, 0
	s_and_b32 s20, s11, 3
	s_delay_alu instid0(SALU_CYCLE_1)
	s_cmp_eq_u32 s20, 0
	s_cbranch_scc1 .LBB41_36
.LBB41_34:                              ;   in Loop: Header=BB41_28 Depth=1
	v_lshl_add_u32 v8, s19, 8, v5
	s_lshl_b32 s19, s19, 2
	s_mov_b32 s20, s13
	.p2align	6
.LBB41_35:                              ;   Parent Loop BB41_28 Depth=1
                                        ; =>  This Inner Loop Header: Depth=2
	s_add_i32 s21, s10, s19
	s_add_i32 s20, s20, -1
	v_mov_b32_e32 v11, s21
	s_add_i32 s19, s19, 4
	s_cmp_lg_u32 s20, 0
	ds_load_b32 v13, v8
	ds_load_2addr_stride64_b32 v[9:10], v11 offset1:1
	ds_load_2addr_stride64_b32 v[11:12], v11 offset0:2 offset1:3
	v_add_nc_u32_e32 v8, 0x100, v8
	s_waitcnt lgkmcnt(1)
	v_fma_f32 v1, -v13, v9, v1
	v_fma_f32 v2, -v13, v10, v2
	s_waitcnt lgkmcnt(0)
	v_fma_f32 v3, -v13, v11, v3
	v_fma_f32 v4, -v13, v12, v4
	s_cbranch_scc1 .LBB41_35
.LBB41_36:                              ;   in Loop: Header=BB41_28 Depth=1
	s_mul_i32 s19, s11, 0x104
	s_delay_alu instid0(SALU_CYCLE_1)
	v_dual_mov_b32 v8, s19 :: v_dual_add_nc_u32 v7, 0x4000, v7
	s_lshl_b32 s20, s11, 6
	s_add_i32 s18, s18, 1
	s_add_i32 s21, s20, 64
	;; [unrolled: 1-line block ×3, first 2 shown]
	ds_load_2addr_b32 v[8:9], v8 offset1:130
	s_add_i32 s19, s21, s11
	s_add_i32 s23, s22, s11
	s_lshl_b32 s19, s19, 2
	s_addk_i32 s20, 0xc0
	v_mov_b32_e32 v10, s19
	s_lshl_b32 s19, s23, 2
	s_addk_i32 s10, 0x400
	v_mov_b32_e32 v12, s19
	s_add_i32 s19, s20, s11
	s_add_i32 s12, s12, 4
	s_lshl_b32 s19, s19, 2
	s_delay_alu instid0(SALU_CYCLE_1) | instskip(SKIP_2) | instid1(SALU_CYCLE_1)
	v_mov_b32_e32 v16, s19
	s_add_i32 s19, s11, 4
	s_add_i32 s11, s11, 7
	s_cmp_lt_i32 s11, s15
	s_waitcnt lgkmcnt(0)
	v_mul_f32_e32 v1, v8, v1
	ds_load_2addr_b32 v[10:11], v10 offset1:1
	ds_load_2addr_b32 v[12:13], v12 offset1:1
	ds_load_2addr_b32 v[14:15], v16 offset1:1
	v_or_b32_e32 v8, s21, v0
	ds_store_b32 v7, v1
	v_lshlrev_b32_e32 v8, 2, v8
	s_waitcnt lgkmcnt(2)
	v_fma_f32 v3, -v1, v12, v3
	v_fma_f32 v2, -v1, v10, v2
	s_waitcnt lgkmcnt(1)
	v_fma_f32 v4, -v1, v14, v4
	v_or_b32_e32 v10, s20, v0
	s_delay_alu instid0(VALU_DEP_3) | instskip(NEXT) | instid1(VALU_DEP_2)
	v_mul_f32_e32 v2, v11, v2
	v_lshlrev_b32_e32 v10, 2, v10
	s_delay_alu instid0(VALU_DEP_2) | instskip(SKIP_1) | instid1(VALU_DEP_2)
	v_fma_f32 v3, -v2, v13, v3
	v_fma_f32 v4, -v2, v15, v4
	v_mul_f32_e32 v3, v9, v3
	v_or_b32_e32 v9, s22, v0
	s_delay_alu instid0(VALU_DEP_1) | instskip(SKIP_3) | instid1(VALU_DEP_1)
	v_lshlrev_b32_e32 v9, 2, v9
	ds_load_2addr_b32 v[16:17], v16 offset0:2 offset1:3
	s_waitcnt lgkmcnt(0)
	v_fma_f32 v4, -v3, v16, v4
	v_mul_f32_e32 v1, v17, v4
	ds_store_b32 v8, v2 offset:16384
	ds_store_b32 v9, v3 offset:16384
	;; [unrolled: 1-line block ×3, first 2 shown]
	s_cbranch_scc0 .LBB41_39
; %bb.37:                               ;   in Loop: Header=BB41_28 Depth=1
	s_mov_b32 s11, s19
	s_branch .LBB41_28
.LBB41_38:
	s_mov_b32 s19, s11
.LBB41_39:
	s_delay_alu instid0(SALU_CYCLE_1)
	s_cmp_ge_i32 s19, s15
	s_cbranch_scc1 .LBB41_50
; %bb.40:
	v_lshl_or_b32 v1, v0, 2, 0x4000
	v_lshlrev_b32_e32 v2, 2, v0
	s_add_i32 s4, s19, -1
	s_lshl_b32 s10, s19, 8
	s_mov_b32 s11, 0
	s_mov_b32 s12, s19
	s_branch .LBB41_42
.LBB41_41:                              ;   in Loop: Header=BB41_42 Depth=1
	s_mul_i32 s13, s19, 0x104
	s_delay_alu instid0(SALU_CYCLE_1)
	v_dual_mov_b32 v5, s13 :: v_dual_add_nc_u32 v4, 0x4000, v4
	v_add_nc_u16 v6, s12, 1
	s_add_i32 s19, s19, 1
	s_add_i32 s11, s11, 1
	s_addk_i32 s10, 0x100
	ds_load_b32 v5, v5
	v_readfirstlane_b32 s12, v6
	s_cmp_ge_i32 s19, s15
	s_waitcnt lgkmcnt(0)
	v_mul_f32_e32 v3, v5, v3
	ds_store_b32 v4, v3
	s_cbranch_scc1 .LBB41_50
.LBB41_42:                              ; =>This Loop Header: Depth=1
                                        ;     Child Loop BB41_45 Depth 2
                                        ;     Child Loop BB41_49 Depth 2
	v_lshl_or_b32 v4, s19, 8, v2
	s_cmp_eq_u32 s19, 0
	ds_load_b32 v3, v4 offset:16384
	s_cbranch_scc1 .LBB41_41
; %bb.43:                               ;   in Loop: Header=BB41_42 Depth=1
	s_add_i32 s13, s4, s11
	s_delay_alu instid0(SALU_CYCLE_1)
	s_cmp_lt_u32 s13, 7
	s_cbranch_scc1 .LBB41_47
; %bb.44:                               ;   in Loop: Header=BB41_42 Depth=1
	v_mov_b32_e32 v5, v1
	s_and_b32 s13, s19, -8
	s_mov_b32 s18, 0
	s_mov_b32 s20, s10
	s_set_inst_prefetch_distance 0x1
	.p2align	6
.LBB41_45:                              ;   Parent Loop BB41_42 Depth=1
                                        ; =>  This Inner Loop Header: Depth=2
	v_mov_b32_e32 v10, s20
	s_add_i32 s18, s18, 8
	s_add_i32 s20, s20, 32
	s_cmp_lg_u32 s13, s18
	ds_load_2addr_stride64_b32 v[14:15], v5 offset1:1
	ds_load_b128 v[6:9], v10
	ds_load_2addr_stride64_b32 v[16:17], v5 offset0:2 offset1:3
	ds_load_2addr_stride64_b32 v[18:19], v5 offset0:4 offset1:5
	;; [unrolled: 1-line block ×3, first 2 shown]
	ds_load_b128 v[10:13], v10 offset:16
	v_add_nc_u32_e32 v5, 0x800, v5
	s_waitcnt lgkmcnt(4)
	v_fma_f32 v3, -v14, v6, v3
	s_delay_alu instid0(VALU_DEP_1) | instskip(SKIP_1) | instid1(VALU_DEP_1)
	v_fma_f32 v3, -v15, v7, v3
	s_waitcnt lgkmcnt(3)
	v_fma_f32 v3, -v16, v8, v3
	s_delay_alu instid0(VALU_DEP_1) | instskip(SKIP_1) | instid1(VALU_DEP_1)
	v_fma_f32 v3, -v17, v9, v3
	s_waitcnt lgkmcnt(0)
	v_fma_f32 v3, -v18, v10, v3
	s_delay_alu instid0(VALU_DEP_1) | instskip(NEXT) | instid1(VALU_DEP_1)
	v_fma_f32 v3, -v19, v11, v3
	v_fma_f32 v3, -v20, v12, v3
	s_delay_alu instid0(VALU_DEP_1)
	v_fma_f32 v3, -v21, v13, v3
	s_cbranch_scc1 .LBB41_45
; %bb.46:                               ;   in Loop: Header=BB41_42 Depth=1
	s_set_inst_prefetch_distance 0x2
	s_and_b32 s18, s19, 7
	s_delay_alu instid0(SALU_CYCLE_1)
	s_cmp_eq_u32 s18, 0
	s_cbranch_scc0 .LBB41_48
	s_branch .LBB41_41
.LBB41_47:                              ;   in Loop: Header=BB41_42 Depth=1
	s_mov_b32 s13, 0
	s_and_b32 s18, s19, 7
	s_delay_alu instid0(SALU_CYCLE_1)
	s_cmp_eq_u32 s18, 0
	s_cbranch_scc1 .LBB41_41
.LBB41_48:                              ;   in Loop: Header=BB41_42 Depth=1
	v_lshl_add_u32 v5, s13, 8, v1
	s_and_b32 s18, s12, 7
	s_lshl_b32 s13, s13, 2
.LBB41_49:                              ;   Parent Loop BB41_42 Depth=1
                                        ; =>  This Inner Loop Header: Depth=2
	s_delay_alu instid0(SALU_CYCLE_1)
	s_add_i32 s20, s10, s13
	s_add_i32 s18, s18, -1
	v_mov_b32_e32 v6, s20
	s_add_i32 s13, s13, 4
	s_cmp_lg_u32 s18, 0
	ds_load_b32 v7, v5
	ds_load_b32 v6, v6
	v_add_nc_u32_e32 v5, 0x100, v5
	s_waitcnt lgkmcnt(0)
	v_fma_f32 v3, -v7, v6, v3
	s_cbranch_scc1 .LBB41_49
	s_branch .LBB41_41
.LBB41_50:
	s_mov_b32 s4, 0
.LBB41_51:
	s_delay_alu instid0(SALU_CYCLE_1)
	s_and_b32 vcc_lo, exec_lo, s4
	s_cbranch_vccz .LBB41_79
; %bb.52:
	s_cmp_lt_i32 s6, 32
	s_mov_b32 s11, s26
	s_cbranch_scc1 .LBB41_58
; %bb.53:
	v_lshlrev_b32_e32 v33, 2, v0
	s_mul_i32 s4, s15, 0x104
	s_mov_b32 s10, s26
	s_addk_i32 s4, 0xfe80
	s_delay_alu instid0(VALU_DEP_1) | instskip(NEXT) | instid1(VALU_DEP_1)
	v_lshl_or_b32 v1, s15, 8, v33
	v_add_nc_u32_e32 v34, 0x3f00, v1
.LBB41_54:                              ; =>This Loop Header: Depth=1
                                        ;     Child Loop BB41_55 Depth 2
	s_lshl_b32 s11, s10, 6
	s_cmp_le_i32 s26, s10
	v_or_b32_e32 v1, s11, v0
	s_mov_b32 s12, s4
	s_mov_b32 s13, s26
	s_delay_alu instid0(VALU_DEP_1)
	v_dual_mov_b32 v36, v34 :: v_dual_lshlrev_b32 v35, 2, v1
	ds_load_2addr_stride64_b32 v[31:32], v35 offset0:63 offset1:64
	ds_load_2addr_stride64_b32 v[29:30], v35 offset0:61 offset1:62
	;; [unrolled: 1-line block ×16, first 2 shown]
	s_cbranch_scc1 .LBB41_56
.LBB41_55:                              ;   Parent Loop BB41_54 Depth=1
                                        ; =>  This Inner Loop Header: Depth=2
	v_mov_b32_e32 v67, s12
	ds_load_b32 v69, v36
	v_add_nc_u32_e32 v36, 0xffffff00, v36
	s_add_i32 s13, s13, -1
	s_addk_i32 s12, 0xff00
	ds_load_2addr_b32 v[37:38], v67 offset0:30 offset1:31
	ds_load_2addr_b32 v[39:40], v67 offset0:28 offset1:29
	;; [unrolled: 1-line block ×15, first 2 shown]
	ds_load_2addr_b32 v[67:68], v67 offset1:1
	s_cmp_gt_i32 s13, s10
	s_waitcnt lgkmcnt(15)
	v_fma_f32 v32, -v69, v38, v32
	v_fma_f32 v31, -v69, v37, v31
	s_waitcnt lgkmcnt(14)
	v_fma_f32 v30, -v69, v40, v30
	v_fma_f32 v29, -v69, v39, v29
	;; [unrolled: 3-line block ×16, first 2 shown]
	s_cbranch_scc1 .LBB41_55
.LBB41_56:                              ;   in Loop: Header=BB41_54 Depth=1
	s_add_i32 s13, s10, -1
	s_add_i32 s20, s10, -3
	s_add_i32 s18, s13, s11
	s_mul_i32 s12, s10, 0x104
	s_lshl_b32 s18, s18, 2
	s_delay_alu instid0(SALU_CYCLE_1) | instskip(SKIP_3) | instid1(SALU_CYCLE_1)
	v_dual_mov_b32 v36, s18 :: v_dual_add_nc_u32 v35, 0x4000, v35
	s_add_i32 s18, s20, s11
	s_add_i32 s19, s12, 0xfffffefc
	s_lshl_b32 s18, s18, 2
	v_dual_mov_b32 v38, s19 :: v_dual_mov_b32 v39, s18
	ds_load_2addr_b32 v[36:37], v36 offset1:1
	s_add_i32 s18, s11, 0xffffff80
	s_lshl_b32 s13, s13, 6
	s_add_i32 s21, s20, s18
	s_add_i32 s19, s20, s13
	s_lshl_b32 s21, s21, 2
	s_lshl_b32 s19, s19, 2
	v_mov_b32_e32 v42, s21
	s_add_i32 s21, s10, -5
	v_mov_b32_e32 v40, s19
	s_add_i32 s19, s12, 0xfffffcf4
	s_add_i32 s22, s21, s11
	v_mov_b32_e32 v47, s19
	s_lshl_b32 s19, s22, 2
	s_add_i32 s22, s21, s13
	v_mov_b32_e32 v44, s19
	s_lshl_b32 s19, s22, 2
	s_add_i32 s22, s21, s18
	s_lshl_b32 s20, s20, 6
	s_lshl_b32 s22, s22, 2
	s_waitcnt lgkmcnt(0)
	v_dual_mul_f32 v32, v37, v32 :: v_dual_mov_b32 v37, s19
	ds_load_b32 v46, v38
	ds_load_2addr_b32 v[38:39], v39 offset1:1
	ds_load_2addr_b32 v[40:41], v40 offset1:1
	;; [unrolled: 1-line block ×3, first 2 shown]
	s_add_i32 s19, s11, 0xffffff00
	s_add_i32 s27, s21, s20
	v_fma_f32 v31, -v32, v36, v31
	s_add_i32 s24, s21, s19
	s_add_i32 s23, s10, -7
	s_lshl_b32 s24, s24, 2
	s_add_i32 s25, s23, s11
	s_lshl_b32 s21, s21, 6
	v_or_b32_e32 v59, s19, v0
	v_or_b32_e32 v63, s21, v0
	s_add_i32 s36, s12, 0xfffff0c4
	s_sub_i32 s37, s10, 19
	s_sub_i32 s39, s10, 21
	;; [unrolled: 1-line block ×3, first 2 shown]
	s_add_i32 s40, s39, s18
	s_add_i32 s43, s12, 0xffffeaac
	s_sub_i32 s46, s10, 27
	s_waitcnt lgkmcnt(2)
	v_fma_f32 v39, -v32, v39, v30
	v_mul_f32_e32 v30, v46, v31
	v_fma_f32 v29, -v32, v38, v29
	s_add_i32 s50, s12, 0xffffe28c
	s_addk_i32 s4, 0xff80
	s_waitcnt lgkmcnt(1)
	v_fma_f32 v31, -v30, v41, v39
	v_mov_b32_e32 v41, s24
	v_fma_f32 v38, -v30, v40, v29
	s_add_i32 s24, s12, 0xfffffaec
	s_waitcnt lgkmcnt(0)
	v_mul_f32_e32 v29, v43, v31
	ds_load_2addr_b32 v[44:45], v44 offset1:1
	ds_load_b32 v47, v47
	ds_load_2addr_b32 v[36:37], v37 offset1:1
	v_mov_b32_e32 v31, s22
	s_lshl_b32 s22, s27, 2
	v_fma_f32 v39, -v29, v42, v38
	v_mov_b32_e32 v40, s22
	s_lshl_b32 s22, s25, 2
	s_add_i32 s25, s10, -9
	s_delay_alu instid0(SALU_CYCLE_1) | instskip(SKIP_4) | instid1(VALU_DEP_2)
	s_add_i32 s28, s25, s18
	s_waitcnt lgkmcnt(2)
	v_fma_f32 v28, -v32, v45, v28
	v_fma_f32 v27, -v32, v44, v27
	s_waitcnt lgkmcnt(0)
	v_fma_f32 v48, -v30, v37, v28
	ds_load_2addr_b32 v[37:38], v31 offset1:1
	v_mov_b32_e32 v31, s22
	s_add_i32 s22, s23, s13
	v_fma_f32 v27, -v30, v36, v27
	s_lshl_b32 s22, s22, 2
	s_delay_alu instid0(SALU_CYCLE_1)
	v_dual_mul_f32 v28, v47, v39 :: v_dual_mov_b32 v45, s22
	ds_load_2addr_b32 v[39:40], v40 offset1:1
	ds_load_2addr_b32 v[41:42], v41 offset1:1
	s_add_i32 s22, s23, s18
	ds_load_2addr_b32 v[43:44], v31 offset1:1
	s_lshl_b32 s22, s22, 2
	ds_load_2addr_b32 v[45:46], v45 offset1:1
	v_mov_b32_e32 v47, s22
	s_add_i32 s22, s23, s20
	s_delay_alu instid0(SALU_CYCLE_1) | instskip(NEXT) | instid1(SALU_CYCLE_1)
	s_lshl_b32 s22, s22, 2
	v_mov_b32_e32 v49, s22
	s_add_i32 s22, s23, s19
	s_delay_alu instid0(SALU_CYCLE_1)
	s_lshl_b32 s22, s22, 2
	s_waitcnt lgkmcnt(4)
	v_fma_f32 v38, -v29, v38, v48
	v_mov_b32_e32 v36, s22
	ds_load_2addr_b32 v[47:48], v47 offset1:1
	ds_load_2addr_b32 v[49:50], v49 offset1:1
	v_fma_f32 v27, -v29, v37, v27
	s_waitcnt lgkmcnt(5)
	v_fma_f32 v38, -v28, v40, v38
	ds_load_2addr_b32 v[36:37], v36 offset1:1
	v_mov_b32_e32 v31, s24
	s_waitcnt lgkmcnt(4)
	v_fma_f32 v40, -v32, v44, v26
	v_fma_f32 v27, -v28, v39, v27
	v_mul_f32_e32 v26, v42, v38
	s_add_i32 s22, s23, s21
	ds_load_b32 v31, v31
	s_waitcnt lgkmcnt(4)
	v_fma_f32 v38, -v30, v46, v40
	s_lshl_b32 s22, s22, 2
	v_fma_f32 v27, -v26, v41, v27
	v_mov_b32_e32 v39, s22
	s_add_i32 s24, s25, s11
	s_add_i32 s22, s12, 0xfffff9e8
	s_lshl_b32 s24, s24, 2
	v_fma_f32 v25, -v32, v43, v25
	s_waitcnt lgkmcnt(3)
	v_fma_f32 v38, -v29, v48, v38
	s_delay_alu instid0(VALU_DEP_2) | instskip(SKIP_1) | instid1(VALU_DEP_2)
	v_fma_f32 v25, -v30, v45, v25
	s_waitcnt lgkmcnt(2)
	v_fma_f32 v40, -v28, v50, v38
	ds_load_2addr_b32 v[38:39], v39 offset1:1
	v_fma_f32 v25, -v29, v47, v25
	s_waitcnt lgkmcnt(1)
	v_mul_f32_e32 v27, v31, v27
	v_fma_f32 v31, -v26, v37, v40
	v_mov_b32_e32 v40, s24
	s_add_i32 s24, s25, s13
	v_mov_b32_e32 v37, s22
	s_lshl_b32 s24, s24, 2
	s_add_i32 s22, s11, 0xfffffe80
	ds_load_2addr_b32 v[40:41], v40 offset1:1
	v_mov_b32_e32 v42, s24
	s_add_i32 s27, s23, s22
	s_lshl_b32 s24, s28, 2
	s_lshl_b32 s27, s27, 2
	v_mov_b32_e32 v44, s24
	ds_load_2addr_b32 v[42:43], v42 offset1:1
	s_add_i32 s24, s25, s20
	v_mov_b32_e32 v46, s27
	s_lshl_b32 s24, s24, 2
	s_add_i32 s27, s25, s19
	ds_load_b32 v37, v37
	s_lshl_b32 s27, s27, 2
	s_delay_alu instid0(SALU_CYCLE_1)
	v_dual_mov_b32 v47, s24 :: v_dual_mov_b32 v48, s27
	ds_load_2addr_b32 v[44:45], v44 offset1:1
	ds_load_b32 v54, v46
	s_add_i32 s28, s25, s21
	s_add_i32 s24, s12, 0xfffff8e4
	ds_load_2addr_b32 v[46:47], v47 offset1:1
	s_lshl_b32 s27, s28, 2
	s_waitcnt lgkmcnt(5)
	v_fma_f32 v24, -v32, v41, v24
	v_dual_mov_b32 v41, s27 :: v_dual_mov_b32 v52, s24
	v_fma_f32 v25, -v28, v49, v25
	ds_load_2addr_b32 v[48:49], v48 offset1:1
	s_add_i32 s27, s25, s22
	s_waitcnt lgkmcnt(5)
	v_fma_f32 v24, -v30, v43, v24
	ds_load_2addr_b32 v[50:51], v41 offset1:1
	ds_load_b32 v41, v52
	s_lshl_b32 s24, s27, 2
	s_lshl_b32 s23, s23, 6
	v_fma_f32 v31, -v27, v39, v31
	v_fma_f32 v25, -v26, v36, v25
	v_mov_b32_e32 v43, s24
	s_waitcnt lgkmcnt(5)
	v_fma_f32 v24, -v29, v45, v24
	s_add_i32 s24, s25, s23
	s_add_i32 s28, s10, -11
	s_lshl_b32 s24, s24, 2
	v_fma_f32 v25, -v27, v38, v25
	v_mov_b32_e32 v36, s24
	s_waitcnt lgkmcnt(3)
	v_fma_f32 v39, -v28, v47, v24
	s_add_i32 s24, s12, 0xfffff7e0
	v_mul_f32_e32 v24, v37, v31
	ds_load_2addr_b32 v[52:53], v43 offset1:1
	v_fma_f32 v23, -v32, v40, v23
	s_add_i32 s27, s28, s11
	ds_store_b32 v35, v32
	v_fma_f32 v25, -v24, v54, v25
	s_lshl_b32 s27, s27, 2
	v_fma_f32 v35, -v30, v42, v23
	v_mov_b32_e32 v38, s27
	s_add_i32 s27, s28, s13
	s_waitcnt lgkmcnt(2)
	v_mul_f32_e32 v23, v41, v25
	s_lshl_b32 s27, s27, 2
	v_fma_f32 v31, -v26, v49, v39
	ds_load_2addr_b32 v[36:37], v36 offset1:1
	ds_load_2addr_b32 v[38:39], v38 offset1:1
	v_mov_b32_e32 v40, s27
	s_add_i32 s30, s28, s18
	v_fma_f32 v31, -v27, v51, v31
	v_fma_f32 v35, -v29, v44, v35
	s_lshl_b32 s27, s30, 2
	ds_load_2addr_b32 v[40:41], v40 offset1:1
	v_or_b32_e32 v43, s13, v0
	s_waitcnt lgkmcnt(4)
	v_fma_f32 v25, -v24, v53, v31
	v_mov_b32_e32 v31, s24
	s_add_i32 s24, s11, 0xfffffe00
	v_mov_b32_e32 v42, s27
	s_add_i32 s29, s25, s24
	s_add_i32 s27, s28, s20
	s_lshl_b32 s29, s29, 2
	s_add_i32 s30, s28, s21
	v_mov_b32_e32 v44, s29
	s_add_i32 s29, s28, s19
	v_fma_f32 v35, -v28, v46, v35
	s_lshl_b32 s29, s29, 2
	s_lshl_b32 s27, s27, 2
	v_mov_b32_e32 v46, s29
	s_lshl_b32 s29, s30, 2
	s_waitcnt lgkmcnt(1)
	v_fma_f32 v22, -v32, v39, v22
	v_dual_mov_b32 v45, s27 :: v_dual_lshlrev_b32 v60, 2, v43
	s_add_i32 s27, s12, 0xfffff6dc
	v_mov_b32_e32 v39, s29
	s_add_i32 s29, s28, s22
	v_mov_b32_e32 v51, s27
	s_lshl_b32 s27, s29, 2
	ds_load_b32 v31, v31
	s_waitcnt lgkmcnt(1)
	v_fma_f32 v22, -v30, v41, v22
	v_mov_b32_e32 v41, s27
	ds_load_2addr_b32 v[42:43], v42 offset1:1
	ds_load_b32 v53, v44
	ds_load_2addr_b32 v[44:45], v45 offset1:1
	s_add_i32 s27, s28, s23
	v_fma_f32 v35, -v26, v48, v35
	ds_load_2addr_b32 v[48:49], v39 offset1:1
	s_lshl_b32 s27, s27, 2
	v_fma_f32 v25, -v23, v37, v25
	v_mov_b32_e32 v37, s27
	ds_load_2addr_b32 v[46:47], v46 offset1:1
	v_fma_f32 v35, -v27, v50, v35
	ds_load_b32 v39, v51
	ds_load_2addr_b32 v[50:51], v41 offset1:1
	v_or_b32_e32 v54, s18, v0
	s_add_i32 s30, s10, -13
	v_fma_f32 v35, -v24, v52, v35
	s_add_i32 s31, s30, s11
	v_fma_f32 v21, -v32, v38, v21
	s_lshl_b32 s31, s31, 2
	v_lshlrev_b32_e32 v61, 2, v54
	s_waitcnt lgkmcnt(6)
	v_fma_f32 v22, -v29, v43, v22
	v_or_b32_e32 v43, s20, v0
	s_add_i32 s27, s28, s24
	s_lshl_b32 s25, s25, 6
	s_lshl_b32 s27, s27, 2
	s_waitcnt lgkmcnt(4)
	v_fma_f32 v41, -v28, v45, v22
	v_mul_f32_e32 v22, v31, v25
	v_fma_f32 v25, -v23, v36, v35
	ds_load_2addr_b32 v[35:36], v37 offset1:1
	v_mov_b32_e32 v37, s31
	s_add_i32 s31, s30, s13
	s_waitcnt lgkmcnt(3)
	v_fma_f32 v31, -v26, v47, v41
	v_fma_f32 v25, -v22, v53, v25
	s_lshl_b32 s31, s31, 2
	v_lshlrev_b32_e32 v62, 2, v43
	v_fma_f32 v21, -v30, v40, v21
	v_fma_f32 v31, -v27, v49, v31
	s_waitcnt lgkmcnt(2)
	v_mul_f32_e32 v25, v39, v25
	v_mov_b32_e32 v39, s31
	ds_load_2addr_b32 v[37:38], v37 offset1:1
	s_add_i32 s29, s28, s25
	s_waitcnt lgkmcnt(2)
	v_fma_f32 v31, -v24, v51, v31
	s_lshl_b32 s29, s29, 2
	ds_load_2addr_b32 v[39:40], v39 offset1:1
	v_mov_b32_e32 v43, s27
	s_add_i32 s27, s11, 0xfffffd80
	v_fma_f32 v21, -v29, v42, v21
	s_add_i32 s33, s28, s27
	v_mov_b32_e32 v45, s29
	s_lshl_b32 s29, s33, 2
	s_add_i32 s33, s30, s18
	v_fma_f32 v21, -v28, v44, v21
	s_lshl_b32 s31, s33, 2
	s_waitcnt lgkmcnt(2)
	v_fma_f32 v31, -v23, v36, v31
	v_or_b32_e32 v36, s23, v0
	v_mov_b32_e32 v41, s31
	v_mov_b32_e32 v47, s29
	s_add_i32 s29, s30, s20
	v_fma_f32 v21, -v26, v46, v21
	s_lshl_b32 s29, s29, 2
	ds_load_2addr_b32 v[41:42], v41 offset1:1
	v_mov_b32_e32 v49, s29
	s_add_i32 s29, s30, s19
	v_fma_f32 v21, -v27, v48, v21
	s_lshl_b32 s29, s29, 2
	s_waitcnt lgkmcnt(2)
	v_fma_f32 v20, -v32, v38, v20
	v_mov_b32_e32 v38, s29
	ds_load_2addr_b32 v[43:44], v43 offset1:1
	ds_load_2addr_b32 v[45:46], v45 offset1:1
	;; [unrolled: 1-line block ×4, first 2 shown]
	s_add_i32 s31, s30, s21
	s_waitcnt lgkmcnt(5)
	v_fma_f32 v20, -v30, v40, v20
	s_lshl_b32 s29, s31, 2
	ds_load_2addr_b32 v[53:54], v38 offset1:1
	v_mov_b32_e32 v49, s29
	s_add_i32 s29, s30, s22
	s_add_i32 s31, s12, 0xfffff4d4
	s_lshl_b32 s29, s29, 2
	v_fma_f32 v21, -v24, v50, v21
	v_mov_b32_e32 v40, s29
	ds_load_2addr_b32 v[55:56], v49 offset1:1
	s_add_i32 s29, s30, s23
	s_waitcnt lgkmcnt(6)
	v_fma_f32 v20, -v29, v42, v20
	s_lshl_b32 s29, s29, 2
	ds_load_2addr_b32 v[57:58], v40 offset1:1
	v_mov_b32_e32 v38, s31
	v_mov_b32_e32 v40, s29
	s_waitcnt lgkmcnt(6)
	v_fma_f32 v31, -v22, v44, v31
	v_fma_f32 v21, -v23, v35, v21
	s_waitcnt lgkmcnt(3)
	v_fma_f32 v20, -v28, v48, v20
	ds_load_b32 v64, v38
	ds_load_2addr_b32 v[48:49], v40 offset1:1
	v_fma_f32 v31, -v25, v46, v31
	v_or_b32_e32 v35, s22, v0
	s_waitcnt lgkmcnt(4)
	v_fma_f32 v20, -v26, v54, v20
	v_fma_f32 v21, -v22, v43, v21
	s_add_i32 s29, s30, s24
	s_add_i32 s31, s30, s25
	s_lshl_b32 s29, s29, 2
	s_lshl_b32 s28, s28, 6
	s_waitcnt lgkmcnt(3)
	v_fma_f32 v38, -v27, v56, v20
	v_mul_f32_e32 v20, v52, v31
	v_lshlrev_b32_e32 v31, 2, v35
	v_fma_f32 v21, -v25, v45, v21
	v_lshlrev_b32_e32 v56, 2, v36
	s_waitcnt lgkmcnt(2)
	v_fma_f32 v35, -v24, v58, v38
	s_add_i32 s33, s10, -15
	v_fma_f32 v19, -v32, v37, v19
	v_fma_f32 v21, -v20, v51, v21
	s_add_i32 s34, s33, s11
	v_or_b32_e32 v66, s24, v0
	s_waitcnt lgkmcnt(0)
	v_fma_f32 v46, -v23, v49, v35
	v_mov_b32_e32 v35, s29
	s_lshl_b32 s29, s31, 2
	s_add_i32 s31, s30, s27
	v_mov_b32_e32 v38, s29
	s_lshl_b32 s29, s31, 2
	s_add_i32 s31, s30, s28
	;; [unrolled: 3-line block ×3, first 2 shown]
	v_mov_b32_e32 v49, s31
	s_add_i32 s31, s30, s29
	ds_load_2addr_b32 v[35:36], v35 offset1:1
	s_lshl_b32 s31, s31, 2
	v_lshlrev_b32_e32 v65, 2, v59
	ds_load_2addr_b32 v[42:43], v38 offset1:1
	ds_load_2addr_b32 v[44:45], v40 offset1:1
	;; [unrolled: 1-line block ×3, first 2 shown]
	v_mov_b32_e32 v38, s31
	s_add_i32 s31, s12, 0xfffff2cc
	s_delay_alu instid0(SALU_CYCLE_1)
	v_dual_mov_b32 v40, s31 :: v_dual_lshlrev_b32 v63, 2, v63
	s_lshl_b32 s31, s34, 2
	s_add_i32 s34, s33, s13
	v_mov_b32_e32 v51, s31
	s_lshl_b32 s31, s34, 2
	v_fma_f32 v19, -v30, v39, v19
	v_mov_b32_e32 v52, s31
	ds_load_2addr_b32 v[37:38], v38 offset1:1
	ds_load_b32 v67, v40
	ds_load_2addr_b32 v[39:40], v51 offset1:1
	s_add_i32 s31, s33, s18
	s_add_i32 s34, s33, s20
	s_lshl_b32 s31, s31, 2
	v_fma_f32 v19, -v29, v41, v19
	ds_load_2addr_b32 v[51:52], v52 offset1:1
	v_mov_b32_e32 v41, s31
	s_lshl_b32 s31, s34, 2
	s_waitcnt lgkmcnt(7)
	v_fma_f32 v36, -v22, v36, v46
	v_fma_f32 v19, -v28, v47, v19
	v_mov_b32_e32 v54, s31
	ds_load_2addr_b32 v[46:47], v41 offset1:1
	s_add_i32 s31, s33, s19
	s_waitcnt lgkmcnt(7)
	v_fma_f32 v36, -v25, v43, v36
	s_lshl_b32 s31, s31, 2
	ds_load_2addr_b32 v[58:59], v54 offset1:1
	v_mov_b32_e32 v41, s31
	v_fma_f32 v19, -v26, v53, v19
	s_add_i32 s31, s33, s21
	s_waitcnt lgkmcnt(7)
	v_fma_f32 v36, -v20, v45, v36
	s_lshl_b32 s31, s31, 2
	s_waitcnt lgkmcnt(3)
	v_fma_f32 v18, -v32, v40, v18
	v_mov_b32_e32 v43, s31
	ds_load_2addr_b32 v[40:41], v41 offset1:1
	v_fma_f32 v19, -v27, v55, v19
	s_add_i32 s31, s33, s22
	s_waitcnt lgkmcnt(3)
	v_fma_f32 v18, -v30, v52, v18
	ds_load_2addr_b32 v[52:53], v43 offset1:1
	s_lshl_b32 s31, s31, 2
	v_fma_f32 v19, -v24, v57, v19
	v_mov_b32_e32 v43, s31
	s_add_i32 s31, s33, s23
	s_waitcnt lgkmcnt(3)
	v_fma_f32 v47, -v29, v47, v18
	s_lshl_b32 s31, s31, 2
	v_fma_f32 v19, -v23, v48, v19
	v_mov_b32_e32 v57, s31
	ds_load_2addr_b32 v[54:55], v43 offset1:1
	s_add_i32 s31, s33, s24
	v_mul_f32_e32 v18, v64, v21
	s_lshl_b32 s31, s31, 2
	s_waitcnt lgkmcnt(3)
	v_fma_f32 v21, -v28, v59, v47
	ds_load_2addr_b32 v[47:48], v57 offset1:1
	v_fma_f32 v19, -v22, v35, v19
	v_mov_b32_e32 v35, s31
	s_add_i32 s34, s33, s25
	v_fma_f32 v43, -v18, v50, v36
	s_lshl_b32 s31, s34, 2
	v_fma_f32 v19, -v25, v42, v19
	ds_load_2addr_b32 v[35:36], v35 offset1:1
	s_waitcnt lgkmcnt(4)
	v_fma_f32 v21, -v26, v41, v21
	v_mov_b32_e32 v41, s31
	s_add_i32 s31, s33, s27
	v_fma_f32 v44, -v20, v44, v19
	v_mul_f32_e32 v19, v38, v43
	s_waitcnt lgkmcnt(3)
	v_fma_f32 v21, -v27, v53, v21
	ds_load_2addr_b32 v[41:42], v41 offset1:1
	s_lshl_b32 s31, s31, 2
	v_fma_f32 v38, -v18, v49, v44
	v_lshlrev_b32_e32 v45, 2, v66
	s_waitcnt lgkmcnt(3)
	v_fma_f32 v21, -v24, v55, v21
	ds_store_b32 v60, v30 offset:16384
	ds_store_b32 v61, v29 offset:16384
	;; [unrolled: 1-line block ×8, first 2 shown]
	s_add_i32 s34, s33, s28
	v_fma_f32 v31, -v19, v37, v38
	v_mov_b32_e32 v37, s31
	s_waitcnt lgkmcnt(10)
	v_fma_f32 v43, -v23, v48, v21
	s_add_i32 s31, s33, s29
	s_lshl_b32 s34, s34, 2
	s_lshl_b32 s31, s31, 2
	;; [unrolled: 1-line block ×3, first 2 shown]
	v_mov_b32_e32 v48, s31
	s_add_i32 s31, s11, 0xfffffc80
	s_waitcnt lgkmcnt(9)
	v_fma_f32 v36, -v22, v36, v43
	v_mov_b32_e32 v38, s34
	s_add_i32 s35, s33, s31
	v_or_b32_e32 v50, s25, v0
	s_add_i32 s34, s33, s30
	s_lshl_b32 s35, s35, 2
	s_waitcnt lgkmcnt(8)
	v_fma_f32 v53, -v25, v42, v36
	ds_load_2addr_b32 v[36:37], v37 offset1:1
	ds_load_2addr_b32 v[42:43], v38 offset1:1
	s_lshl_b32 s34, s34, 2
	v_mov_b32_e32 v38, s35
	s_sub_i32 s35, s10, 17
	v_dual_mov_b32 v50, s34 :: v_dual_lshlrev_b32 v21, 2, v50
	s_add_i32 s34, s35, s11
	v_fma_f32 v17, -v32, v39, v17
	s_lshl_b32 s34, s34, 2
	s_delay_alu instid0(SALU_CYCLE_1) | instskip(SKIP_1) | instid1(VALU_DEP_2)
	v_dual_mov_b32 v44, s36 :: v_dual_mov_b32 v45, s34
	s_add_i32 s34, s35, s13
	v_fma_f32 v17, -v30, v51, v17
	s_lshl_b32 s34, s34, 2
	ds_load_2addr_b32 v[38:39], v38 offset1:1
	ds_load_b32 v64, v44
	ds_load_2addr_b32 v[44:45], v45 offset1:1
	v_mov_b32_e32 v55, s34
	s_add_i32 s34, s35, s18
	ds_load_2addr_b32 v[48:49], v48 offset1:1
	ds_load_2addr_b32 v[50:51], v50 offset1:1
	s_lshl_b32 s34, s34, 2
	v_fma_f32 v17, -v29, v46, v17
	ds_load_2addr_b32 v[55:56], v55 offset1:1
	v_mov_b32_e32 v46, s34
	s_add_i32 s34, s35, s20
	s_add_i32 s38, s37, s23
	s_lshl_b32 s34, s34, 2
	s_waitcnt lgkmcnt(7)
	v_fma_f32 v37, -v20, v37, v53
	v_fma_f32 v53, -v28, v58, v17
	ds_load_2addr_b32 v[57:58], v46 offset1:1
	s_lshl_b32 s38, s38, 2
	v_mov_b32_e32 v59, s34
	s_add_i32 s34, s35, s19
	s_add_i32 s36, s35, s21
	s_lshl_b32 s34, s34, 2
	v_mul_f32_e32 v17, v67, v31
	ds_load_2addr_b32 v[59:60], v59 offset1:1
	s_waitcnt lgkmcnt(8)
	v_fma_f32 v31, -v18, v43, v37
	v_fma_f32 v37, -v26, v40, v53
	v_mov_b32_e32 v40, s34
	s_lshl_b32 s34, s36, 2
	s_waitcnt lgkmcnt(5)
	v_fma_f32 v16, -v32, v45, v16
	v_mov_b32_e32 v43, s34
	v_fma_f32 v37, -v27, v52, v37
	ds_load_2addr_b32 v[45:46], v40 offset1:1
	s_add_i32 s34, s35, s22
	s_add_i32 s36, s35, s24
	ds_load_2addr_b32 v[52:53], v43 offset1:1
	s_waitcnt lgkmcnt(4)
	v_fma_f32 v16, -v30, v56, v16
	s_lshl_b32 s34, s34, 2
	v_fma_f32 v37, -v24, v54, v37
	v_mov_b32_e32 v40, s34
	s_add_i32 s34, s35, s23
	s_waitcnt lgkmcnt(3)
	v_fma_f32 v16, -v29, v58, v16
	s_lshl_b32 s34, s34, 2
	v_fma_f32 v37, -v23, v47, v37
	v_fma_f32 v15, -v32, v44, v15
	v_or_b32_e32 v68, s28, v0
	s_waitcnt lgkmcnt(2)
	v_fma_f32 v16, -v28, v60, v16
	ds_load_2addr_b32 v[60:61], v40 offset1:1
	v_mov_b32_e32 v40, s34
	s_lshl_b32 s34, s36, 2
	v_fma_f32 v35, -v22, v35, v37
	v_mov_b32_e32 v37, s34
	s_add_i32 s34, s35, s25
	ds_load_2addr_b32 v[62:63], v40 offset1:1
	s_lshl_b32 s34, s34, 2
	s_waitcnt lgkmcnt(3)
	v_fma_f32 v16, -v26, v46, v16
	ds_load_2addr_b32 v[46:47], v37 offset1:1
	v_mov_b32_e32 v40, s34
	s_add_i32 s34, s35, s27
	s_add_i32 s36, s35, s28
	s_lshl_b32 s34, s34, 2
	v_fma_f32 v31, -v19, v49, v31
	v_fma_f32 v35, -v25, v41, v35
	s_waitcnt lgkmcnt(3)
	v_fma_f32 v16, -v27, v53, v16
	ds_load_2addr_b32 v[40:41], v40 offset1:1
	v_mov_b32_e32 v37, s34
	s_lshl_b32 s34, s36, 2
	v_fma_f32 v31, -v17, v51, v31
	v_mov_b32_e32 v43, s34
	s_add_i32 s34, s35, s29
	s_waitcnt lgkmcnt(3)
	v_fma_f32 v16, -v24, v61, v16
	s_lshl_b32 s34, s34, 2
	ds_load_2addr_b32 v[53:54], v37 offset1:1
	v_fma_f32 v37, -v20, v36, v35
	v_mov_b32_e32 v51, s34
	s_add_i32 s34, s35, s30
	s_waitcnt lgkmcnt(3)
	v_fma_f32 v49, -v23, v63, v16
	s_lshl_b32 s34, s34, 2
	ds_load_2addr_b32 v[35:36], v43 offset1:1
	v_fma_f32 v37, -v18, v42, v37
	v_dual_mul_f32 v16, v39, v31 :: v_dual_mov_b32 v39, s34
	s_waitcnt lgkmcnt(3)
	v_fma_f32 v31, -v22, v47, v49
	v_fma_f32 v15, -v30, v55, v15
	;; [unrolled: 1-line block ×3, first 2 shown]
	s_lshl_b32 s34, s33, 6
	ds_load_2addr_b32 v[47:48], v39 offset1:1
	ds_load_2addr_b32 v[42:43], v51 offset1:1
	s_waitcnt lgkmcnt(4)
	v_fma_f32 v41, -v25, v41, v31
	v_fma_f32 v37, -v17, v50, v37
	s_add_i32 s33, s37, s11
	s_add_i32 s36, s35, s31
	s_lshl_b32 s33, s33, 2
	s_waitcnt lgkmcnt(3)
	v_fma_f32 v39, -v20, v54, v41
	v_fma_f32 v37, -v16, v38, v37
	;; [unrolled: 1-line block ×3, first 2 shown]
	s_lshl_b32 s36, s36, 2
	v_or_b32_e32 v65, s27, v0
	s_waitcnt lgkmcnt(2)
	v_fma_f32 v36, -v18, v36, v39
	v_dual_mul_f32 v15, v64, v37 :: v_dual_lshlrev_b32 v74, 2, v68
	v_fma_f32 v37, -v28, v59, v38
	v_lshlrev_b32_e32 v31, 2, v65
	v_or_b32_e32 v71, s30, v0
	s_delay_alu instid0(VALU_DEP_3) | instskip(SKIP_4) | instid1(SALU_CYCLE_1)
	v_fma_f32 v39, -v26, v45, v37
	s_waitcnt lgkmcnt(0)
	v_fma_f32 v38, -v19, v43, v36
	v_mov_b32_e32 v36, s33
	s_add_i32 s33, s37, s13
	s_lshl_b32 s33, s33, 2
	v_fma_f32 v43, -v27, v52, v39
	ds_load_2addr_b32 v[36:37], v36 offset1:1
	v_mov_b32_e32 v41, s33
	s_add_i32 s33, s37, s18
	v_fma_f32 v69, -v17, v48, v38
	s_lshl_b32 s33, s33, 2
	v_mov_b32_e32 v48, s36
	ds_load_2addr_b32 v[38:39], v41 offset1:1
	v_fma_f32 v41, -v24, v60, v43
	v_mov_b32_e32 v43, s33
	s_add_i32 s36, s37, s20
	s_delay_alu instid0(SALU_CYCLE_1) | instskip(NEXT) | instid1(VALU_DEP_2)
	s_lshl_b32 s33, s36, 2
	v_fma_f32 v41, -v23, v62, v41
	ds_load_2addr_b32 v[43:44], v43 offset1:1
	v_mov_b32_e32 v45, s33
	s_add_i32 s36, s37, s19
	s_add_i32 s33, s35, s34
	s_lshl_b32 s36, s36, 2
	s_lshl_b32 s33, s33, 2
	v_fma_f32 v41, -v22, v46, v41
	ds_load_2addr_b32 v[45:46], v45 offset1:1
	s_waitcnt lgkmcnt(3)
	v_fma_f32 v14, -v32, v37, v14
	v_mov_b32_e32 v49, s36
	v_mov_b32_e32 v37, s33
	s_add_i32 s33, s37, s21
	v_fma_f32 v41, -v25, v40, v41
	s_lshl_b32 s33, s33, 2
	s_waitcnt lgkmcnt(2)
	v_fma_f32 v14, -v30, v39, v14
	ds_load_2addr_b32 v[39:40], v49 offset1:1
	v_mov_b32_e32 v52, s33
	s_add_i32 s36, s37, s22
	ds_load_2addr_b32 v[48:49], v48 offset1:1
	ds_load_2addr_b32 v[50:51], v37 offset1:1
	s_lshl_b32 s36, s36, 2
	v_fma_f32 v37, -v20, v53, v41
	ds_load_2addr_b32 v[52:53], v52 offset1:1
	v_mov_b32_e32 v41, s36
	s_waitcnt lgkmcnt(5)
	v_fma_f32 v14, -v29, v44, v14
	v_mov_b32_e32 v44, s38
	ds_load_2addr_b32 v[54:55], v41 offset1:1
	ds_load_2addr_b32 v[56:57], v44 offset1:1
	s_add_i32 s38, s37, s24
	s_add_i32 s33, s11, 0xfffffc00
	s_lshl_b32 s38, s38, 2
	s_waitcnt lgkmcnt(6)
	v_fma_f32 v14, -v28, v46, v14
	v_fma_f32 v35, -v18, v35, v37
	v_mov_b32_e32 v37, s38
	s_add_i32 s36, s35, s33
	s_add_i32 s38, s37, s27
	s_lshl_b32 s36, s36, 2
	s_waitcnt lgkmcnt(5)
	v_fma_f32 v14, -v26, v40, v14
	v_mov_b32_e32 v44, s36
	s_add_i32 s36, s37, s25
	ds_load_2addr_b32 v[40:41], v37 offset1:1
	s_lshl_b32 s36, s36, 2
	s_waitcnt lgkmcnt(3)
	v_fma_f32 v14, -v27, v53, v14
	v_mov_b32_e32 v37, s36
	s_lshl_b32 s36, s38, 2
	v_fma_f32 v35, -v19, v42, v35
	v_mov_b32_e32 v42, s36
	s_add_i32 s36, s37, s28
	ds_load_2addr_b32 v[58:59], v37 offset1:1
	s_lshl_b32 s36, s36, 2
	s_waitcnt lgkmcnt(3)
	v_fma_f32 v14, -v24, v55, v14
	ds_load_2addr_b32 v[60:61], v42 offset1:1
	v_mov_b32_e32 v46, s36
	s_add_i32 s36, s37, s29
	s_add_i32 s38, s12, 0xffffeebc
	s_lshl_b32 s36, s36, 2
	s_waitcnt lgkmcnt(3)
	v_fma_f32 v14, -v23, v57, v14
	ds_load_2addr_b32 v[62:63], v46 offset1:1
	v_mov_b32_e32 v46, s36
	s_add_i32 s36, s37, s30
	v_mov_b32_e32 v37, s38
	s_lshl_b32 s36, s36, 2
	s_waitcnt lgkmcnt(3)
	v_fma_f32 v14, -v22, v41, v14
	ds_load_2addr_b32 v[41:42], v44 offset1:1
	ds_load_2addr_b32 v[64:65], v46 offset1:1
	v_mov_b32_e32 v44, s36
	s_add_i32 s36, s37, s31
	ds_load_b32 v37, v37
	s_lshl_b32 s36, s36, 2
	s_waitcnt lgkmcnt(5)
	v_fma_f32 v14, -v25, v59, v14
	ds_load_2addr_b32 v[66:67], v44 offset1:1
	v_mov_b32_e32 v46, s36
	v_fma_f32 v35, -v17, v47, v35
	v_fma_f32 v36, -v32, v36, v13
	s_waitcnt lgkmcnt(5)
	v_fma_f32 v14, -v20, v61, v14
	s_add_i32 s38, s39, s11
	ds_load_2addr_b32 v[46:47], v46 offset1:1
	v_fma_f32 v44, -v16, v49, v69
	v_fma_f32 v35, -v16, v48, v35
	s_lshl_b32 s38, s38, 2
	s_add_i32 s36, s37, s34
	v_or_b32_e32 v53, s29, v0
	v_fma_f32 v44, -v15, v51, v44
	s_waitcnt lgkmcnt(5)
	v_fma_f32 v51, -v18, v63, v14
	v_fma_f32 v35, -v15, v50, v35
	s_lshl_b32 s36, s36, 2
	s_lshl_b32 s35, s35, 6
	s_waitcnt lgkmcnt(4)
	v_mul_f32_e32 v14, v42, v44
	s_waitcnt lgkmcnt(3)
	v_fma_f32 v42, -v19, v65, v51
	v_mov_b32_e32 v48, s36
	s_add_i32 s36, s37, s33
	v_lshlrev_b32_e32 v75, 2, v53
	v_fma_f32 v35, -v14, v41, v35
	s_waitcnt lgkmcnt(1)
	v_fma_f32 v41, -v17, v67, v42
	s_lshl_b32 s36, s36, 2
	ds_load_2addr_b32 v[48:49], v48 offset1:1
	v_mov_b32_e32 v57, s36
	v_mul_f32_e32 v13, v37, v35
	v_fma_f32 v35, -v30, v38, v36
	v_mov_b32_e32 v36, s38
	s_add_i32 s38, s39, s13
	s_waitcnt lgkmcnt(1)
	v_fma_f32 v47, -v16, v47, v41
	s_lshl_b32 s38, s38, 2
	v_fma_f32 v35, -v29, v43, v35
	v_mov_b32_e32 v37, s38
	s_lshl_b32 s38, s40, 2
	s_add_i32 s36, s39, s20
	v_mov_b32_e32 v42, s38
	v_fma_f32 v41, -v28, v45, v35
	ds_load_2addr_b32 v[35:36], v36 offset1:1
	ds_load_2addr_b32 v[37:38], v37 offset1:1
	s_lshl_b32 s36, s36, 2
	s_add_i32 s38, s37, s35
	v_fma_f32 v39, -v26, v39, v41
	v_mov_b32_e32 v43, s36
	ds_load_2addr_b32 v[41:42], v42 offset1:1
	s_add_i32 s36, s39, s19
	s_add_i32 s40, s39, s24
	s_lshl_b32 s36, s36, 2
	v_fma_f32 v39, -v27, v52, v39
	ds_load_2addr_b32 v[43:44], v43 offset1:1
	v_mov_b32_e32 v45, s36
	s_add_i32 s36, s39, s21
	s_lshl_b32 s40, s40, 2
	s_lshl_b32 s36, s36, 2
	v_fma_f32 v39, -v24, v54, v39
	ds_load_2addr_b32 v[50:51], v45 offset1:1
	s_waitcnt lgkmcnt(4)
	v_fma_f32 v12, -v32, v36, v12
	v_mov_b32_e32 v36, s36
	s_add_i32 s36, s39, s22
	v_fma_f32 v45, -v23, v56, v39
	s_lshl_b32 s36, s36, 2
	s_waitcnt lgkmcnt(3)
	v_fma_f32 v12, -v30, v38, v12
	v_mov_b32_e32 v52, s36
	ds_load_2addr_b32 v[38:39], v36 offset1:1
	s_lshl_b32 s36, s38, 2
	s_add_i32 s38, s39, s23
	s_waitcnt lgkmcnt(3)
	v_fma_f32 v12, -v29, v42, v12
	ds_load_2addr_b32 v[52:53], v52 offset1:1
	s_lshl_b32 s38, s38, 2
	v_fma_f32 v36, -v22, v40, v45
	v_mov_b32_e32 v40, s38
	s_waitcnt lgkmcnt(3)
	v_fma_f32 v12, -v28, v44, v12
	v_mov_b32_e32 v42, s36
	s_add_i32 s36, s11, 0xfffffb80
	v_fma_f32 v36, -v25, v58, v36
	ds_load_2addr_b32 v[44:45], v40 offset1:1
	s_waitcnt lgkmcnt(3)
	v_fma_f32 v12, -v26, v51, v12
	v_mov_b32_e32 v40, s40
	s_add_i32 s38, s37, s36
	s_add_i32 s40, s39, s27
	s_lshl_b32 s38, s38, 2
	s_lshl_b32 s37, s37, 6
	v_mov_b32_e32 v51, s38
	s_waitcnt lgkmcnt(2)
	v_fma_f32 v12, -v27, v39, v12
	ds_load_2addr_b32 v[39:40], v40 offset1:1
	s_add_i32 s38, s39, s25
	s_add_i32 s42, s39, s37
	s_lshl_b32 s38, s38, 2
	s_waitcnt lgkmcnt(2)
	v_fma_f32 v12, -v24, v53, v12
	v_mov_b32_e32 v53, s38
	s_lshl_b32 s38, s40, 2
	v_fma_f32 v36, -v20, v60, v36
	s_lshl_b32 s42, s42, 2
	v_mov_b32_e32 v55, s38
	ds_load_2addr_b32 v[53:54], v53 offset1:1
	s_add_i32 s38, s39, s28
	v_fma_f32 v36, -v18, v62, v36
	s_lshl_b32 s38, s38, 2
	ds_load_2addr_b32 v[55:56], v55 offset1:1
	s_waitcnt lgkmcnt(3)
	v_fma_f32 v12, -v23, v45, v12
	v_mov_b32_e32 v45, s38
	s_add_i32 s38, s39, s29
	v_fma_f32 v36, -v19, v64, v36
	s_lshl_b32 s38, s38, 2
	ds_load_2addr_b32 v[57:58], v57 offset1:1
	ds_load_2addr_b32 v[59:60], v42 offset1:1
	ds_load_2addr_b32 v[61:62], v51 offset1:1
	ds_load_2addr_b32 v[63:64], v45 offset1:1
	s_waitcnt lgkmcnt(6)
	v_fma_f32 v12, -v22, v40, v12
	v_mov_b32_e32 v40, s38
	s_add_i32 s40, s39, s30
	v_fma_f32 v36, -v17, v66, v36
	s_lshl_b32 s38, s40, 2
	s_add_i32 s40, s12, 0xffffecb4
	v_mov_b32_e32 v42, s38
	ds_load_2addr_b32 v[65:66], v40 offset1:1
	s_add_i32 s38, s39, s31
	s_waitcnt lgkmcnt(6)
	v_fma_f32 v12, -v25, v54, v12
	s_lshl_b32 s38, s38, 2
	ds_load_2addr_b32 v[67:68], v42 offset1:1
	v_mov_b32_e32 v45, s38
	s_add_i32 s38, s39, s34
	v_mov_b32_e32 v40, s40
	s_lshl_b32 s38, s38, 2
	s_waitcnt lgkmcnt(6)
	v_fma_f32 v12, -v20, v56, v12
	ds_load_2addr_b32 v[69:70], v45 offset1:1
	v_mov_b32_e32 v42, s38
	v_fma_f32 v47, -v15, v49, v47
	v_fma_f32 v36, -v16, v46, v36
	ds_load_b32 v76, v40
	s_waitcnt lgkmcnt(4)
	v_fma_f32 v12, -v18, v64, v12
	ds_load_2addr_b32 v[45:46], v42 offset1:1
	v_fma_f32 v40, -v14, v58, v47
	s_add_i32 s38, s39, s33
	v_fma_f32 v36, -v15, v48, v36
	s_waitcnt lgkmcnt(4)
	v_fma_f32 v12, -v19, v66, v12
	v_or_b32_e32 v48, s33, v0
	v_fma_f32 v40, -v13, v60, v40
	s_lshl_b32 s38, s38, 2
	s_add_i32 s40, s39, s35
	s_waitcnt lgkmcnt(3)
	v_fma_f32 v49, -v17, v68, v12
	s_lshl_b32 s40, s40, 2
	v_mul_f32_e32 v12, v62, v40
	v_fma_f32 v11, -v32, v35, v11
	v_fma_f32 v36, -v14, v57, v36
	s_waitcnt lgkmcnt(2)
	v_fma_f32 v40, -v16, v70, v49
	v_lshlrev_b32_e32 v80, 2, v48
	v_mov_b32_e32 v48, s40
	v_fma_f32 v11, -v30, v37, v11
	v_fma_f32 v36, -v13, v59, v36
	v_or_b32_e32 v42, s31, v0
	s_waitcnt lgkmcnt(0)
	v_fma_f32 v54, -v15, v46, v40
	v_mov_b32_e32 v46, s38
	s_add_i32 s38, s39, s36
	v_fma_f32 v11, -v29, v41, v11
	s_lshl_b32 s40, s38, 2
	s_add_i32 s38, s11, 0xfffffb00
	v_mov_b32_e32 v51, s40
	s_add_i32 s40, s39, s38
	v_fma_f32 v81, -v12, v61, v36
	s_lshl_b32 s40, s40, 2
	v_mov_b32_e32 v37, s43
	v_mov_b32_e32 v35, s40
	s_add_i32 s40, s41, s11
	v_fma_f32 v11, -v28, v43, v11
	s_lshl_b32 s40, s40, 2
	v_or_b32_e32 v47, s34, v0
	v_mov_b32_e32 v40, s40
	s_add_i32 s40, s41, s13
	ds_load_2addr_b32 v[35:36], v35 offset1:1
	ds_load_b32 v82, v37
	ds_load_2addr_b32 v[40:41], v40 offset1:1
	s_lshl_b32 s40, s40, 2
	s_add_i32 s43, s41, s18
	v_mov_b32_e32 v37, s40
	s_lshl_b32 s40, s43, 2
	v_lshlrev_b32_e32 v78, 2, v42
	v_fma_f32 v11, -v26, v50, v11
	v_lshlrev_b32_e32 v79, 2, v47
	ds_load_2addr_b32 v[42:43], v37 offset1:1
	v_mov_b32_e32 v47, s40
	s_add_i32 s40, s41, s20
	v_fma_f32 v11, -v27, v38, v11
	ds_load_2addr_b32 v[37:38], v46 offset1:1
	ds_load_2addr_b32 v[46:47], v47 offset1:1
	s_lshl_b32 s40, s40, 2
	v_mov_b32_e32 v56, s42
	v_fma_f32 v11, -v24, v52, v11
	v_mov_b32_e32 v52, s40
	s_add_i32 s40, s41, s19
	ds_load_2addr_b32 v[48:49], v48 offset1:1
	ds_load_2addr_b32 v[50:51], v51 offset1:1
	ds_load_2addr_b32 v[56:57], v56 offset1:1
	s_lshl_b32 s40, s40, 2
	s_waitcnt lgkmcnt(6)
	v_fma_f32 v10, -v32, v41, v10
	ds_load_2addr_b32 v[58:59], v52 offset1:1
	v_mov_b32_e32 v41, s40
	s_add_i32 s42, s41, s21
	v_fma_f32 v11, -v23, v44, v11
	s_lshl_b32 s40, s42, 2
	s_add_i32 s42, s41, s23
	s_waitcnt lgkmcnt(6)
	v_fma_f32 v10, -v30, v43, v10
	ds_load_2addr_b32 v[43:44], v41 offset1:1
	v_mov_b32_e32 v52, s40
	s_add_i32 s40, s41, s22
	s_waitcnt lgkmcnt(6)
	v_fma_f32 v41, -v14, v38, v54
	s_lshl_b32 s40, s40, 2
	v_fma_f32 v11, -v22, v39, v11
	ds_load_2addr_b32 v[38:39], v52 offset1:1
	s_waitcnt lgkmcnt(6)
	v_fma_f32 v10, -v29, v47, v10
	v_mov_b32_e32 v47, s40
	s_lshl_b32 s40, s42, 2
	s_delay_alu instid0(SALU_CYCLE_1)
	v_dual_mov_b32 v54, s40 :: v_dual_lshlrev_b32 v77, 2, v71
	v_fma_f32 v11, -v25, v53, v11
	ds_load_2addr_b32 v[52:53], v47 offset1:1
	s_add_i32 s40, s41, s24
	s_waitcnt lgkmcnt(3)
	v_fma_f32 v10, -v28, v59, v10
	s_lshl_b32 s40, s40, 2
	v_fma_f32 v11, -v20, v55, v11
	v_mov_b32_e32 v47, s40
	ds_load_2addr_b32 v[54:55], v54 offset1:1
	s_add_i32 s40, s41, s25
	s_waitcnt lgkmcnt(3)
	v_fma_f32 v10, -v26, v44, v10
	s_lshl_b32 s40, s40, 2
	ds_load_2addr_b32 v[59:60], v47 offset1:1
	v_mov_b32_e32 v44, s40
	s_add_i32 s40, s41, s27
	s_waitcnt lgkmcnt(3)
	v_fma_f32 v10, -v27, v39, v10
	s_lshl_b32 s40, s40, 2
	s_add_i32 s42, s41, s28
	ds_load_2addr_b32 v[61:62], v44 offset1:1
	v_mov_b32_e32 v39, s40
	s_lshl_b32 s40, s42, 2
	v_fma_f32 v11, -v18, v63, v11
	s_waitcnt lgkmcnt(3)
	v_fma_f32 v10, -v24, v53, v10
	s_add_i32 s42, s41, s35
	ds_load_2addr_b32 v[63:64], v39 offset1:1
	v_mov_b32_e32 v44, s40
	s_add_i32 s40, s41, s29
	v_fma_f32 v11, -v19, v65, v11
	s_lshl_b32 s40, s40, 2
	v_fma_f32 v41, -v13, v49, v41
	v_mov_b32_e32 v39, s40
	ds_load_2addr_b32 v[70:71], v44 offset1:1
	s_waitcnt lgkmcnt(4)
	v_fma_f32 v10, -v23, v55, v10
	s_add_i32 s40, s41, s30
	v_fma_f32 v11, -v17, v67, v11
	ds_load_2addr_b32 v[65:66], v39 offset1:1
	s_lshl_b32 s40, s40, 2
	s_waitcnt lgkmcnt(4)
	v_fma_f32 v10, -v22, v60, v10
	v_mov_b32_e32 v44, s40
	s_add_i32 s40, s41, s31
	v_fma_f32 v11, -v16, v69, v11
	s_lshl_b32 s40, s40, 2
	s_waitcnt lgkmcnt(3)
	v_fma_f32 v10, -v25, v62, v10
	v_mov_b32_e32 v39, s40
	ds_load_2addr_b32 v[67:68], v44 offset1:1
	s_add_i32 s40, s41, s34
	v_fma_f32 v11, -v15, v45, v11
	s_lshl_b32 s40, s40, 2
	ds_load_2addr_b32 v[72:73], v39 offset1:1
	s_waitcnt lgkmcnt(4)
	v_fma_f32 v44, -v20, v64, v10
	v_mov_b32_e32 v47, s40
	s_add_i32 s40, s41, s33
	v_fma_f32 v11, -v14, v37, v11
	s_lshl_b32 s40, s40, 2
	s_waitcnt lgkmcnt(3)
	v_fma_f32 v39, -v18, v71, v44
	ds_load_2addr_b32 v[44:45], v47 offset1:1
	v_mul_f32_e32 v10, v76, v81
	v_fma_f32 v11, -v13, v48, v11
	v_fma_f32 v41, -v12, v51, v41
	s_waitcnt lgkmcnt(3)
	v_fma_f32 v37, -v19, v66, v39
	v_mov_b32_e32 v39, s40
	s_lshl_b32 s40, s42, 2
	s_add_i32 s42, s41, s37
	v_mov_b32_e32 v49, s40
	s_waitcnt lgkmcnt(2)
	v_fma_f32 v37, -v17, v68, v37
	ds_load_2addr_b32 v[47:48], v39 offset1:1
	v_fma_f32 v39, -v12, v50, v11
	v_fma_f32 v41, -v10, v57, v41
	ds_load_2addr_b32 v[49:50], v49 offset1:1
	s_waitcnt lgkmcnt(3)
	v_fma_f32 v37, -v16, v73, v37
	s_add_i32 s40, s41, s36
	v_fma_f32 v9, -v32, v40, v9
	v_mul_f32_e32 v11, v36, v41
	v_fma_f32 v36, -v10, v56, v39
	s_lshl_b32 s40, s40, 2
	s_waitcnt lgkmcnt(2)
	v_fma_f32 v37, -v15, v45, v37
	v_mov_b32_e32 v62, s40
	s_add_i32 s40, s11, 0xfffffa80
	v_fma_f32 v35, -v11, v35, v36
	s_add_i32 s43, s41, s40
	s_lshl_b32 s42, s42, 2
	s_lshl_b32 s43, s43, 2
	v_mov_b32_e32 v64, s42
	s_add_i32 s42, s12, 0xffffe8a4
	v_fma_f32 v9, -v30, v42, v9
	s_waitcnt lgkmcnt(1)
	v_fma_f32 v36, -v14, v48, v37
	v_mov_b32_e32 v39, s42
	ds_store_b32 v21, v25 offset:16384
	ds_store_b32 v31, v20 offset:16384
	;; [unrolled: 1-line block ×8, first 2 shown]
	v_or_b32_e32 v51, s35, v0
	v_fma_f32 v9, -v29, v46, v9
	s_waitcnt lgkmcnt(8)
	v_fma_f32 v48, -v13, v50, v36
	v_mov_b32_e32 v36, s43
	s_sub_i32 s43, s10, 25
	v_lshlrev_b32_e32 v21, 2, v51
	s_add_i32 s44, s43, s11
	v_fma_f32 v9, -v28, v58, v9
	s_lshl_b32 s42, s44, 2
	s_add_i32 s44, s43, s13
	v_mov_b32_e32 v40, s42
	s_lshl_b32 s42, s44, 2
	ds_load_2addr_b32 v[36:37], v36 offset1:1
	ds_load_b32 v81, v39
	ds_load_2addr_b32 v[39:40], v40 offset1:1
	v_mov_b32_e32 v41, s42
	s_add_i32 s44, s43, s18
	v_fma_f32 v9, -v26, v43, v9
	s_lshl_b32 s44, s44, 2
	v_or_b32_e32 v53, s36, v0
	ds_load_2addr_b32 v[41:42], v41 offset1:1
	v_mov_b32_e32 v43, s44
	s_add_i32 s44, s43, s20
	v_fma_f32 v9, -v27, v38, v9
	s_lshl_b32 s44, s44, 2
	s_delay_alu instid0(SALU_CYCLE_1)
	v_dual_mov_b32 v38, s44 :: v_dual_lshlrev_b32 v31, 2, v53
	ds_load_2addr_b32 v[45:46], v43 offset1:1
	s_add_i32 s44, s43, s19
	v_fma_f32 v9, -v24, v52, v9
	s_lshl_b32 s44, s44, 2
	ds_load_2addr_b32 v[50:51], v38 offset1:1
	v_mov_b32_e32 v38, s44
	s_add_i32 s44, s43, s21
	s_waitcnt lgkmcnt(3)
	v_fma_f32 v8, -v32, v40, v8
	s_lshl_b32 s44, s44, 2
	v_fma_f32 v9, -v23, v54, v9
	v_mov_b32_e32 v40, s44
	s_add_i32 s44, s43, s22
	s_add_i32 s45, s43, s24
	s_waitcnt lgkmcnt(2)
	v_fma_f32 v8, -v30, v42, v8
	ds_load_2addr_b32 v[42:43], v38 offset1:1
	ds_load_2addr_b32 v[52:53], v40 offset1:1
	s_lshl_b32 s44, s44, 2
	v_fma_f32 v9, -v22, v59, v9
	v_mov_b32_e32 v38, s44
	s_add_i32 s44, s43, s23
	s_waitcnt lgkmcnt(3)
	v_fma_f32 v8, -v29, v46, v8
	s_lshl_b32 s44, s44, 2
	s_add_i32 s42, s41, s38
	ds_load_2addr_b32 v[54:55], v38 offset1:1
	v_mov_b32_e32 v38, s44
	s_waitcnt lgkmcnt(3)
	v_fma_f32 v8, -v28, v51, v8
	s_lshl_b32 s44, s45, 2
	s_lshl_b32 s39, s39, 6
	v_mov_b32_e32 v40, s44
	ds_load_2addr_b32 v[56:57], v38 offset1:1
	s_add_i32 s44, s43, s25
	s_lshl_b32 s42, s42, 2
	s_lshl_b32 s44, s44, 2
	ds_load_2addr_b32 v[58:59], v40 offset1:1
	v_fma_f32 v9, -v25, v61, v9
	s_waitcnt lgkmcnt(4)
	v_fma_f32 v8, -v26, v43, v8
	v_dual_mov_b32 v43, s44 :: v_dual_mov_b32 v66, s42
	s_add_i32 s42, s41, s39
	v_fma_f32 v9, -v20, v63, v9
	s_lshl_b32 s42, s42, 2
	s_waitcnt lgkmcnt(3)
	v_fma_f32 v8, -v27, v53, v8
	ds_load_2addr_b32 v[60:61], v43 offset1:1
	v_mov_b32_e32 v38, s42
	s_add_i32 s42, s43, s27
	v_fma_f32 v40, -v18, v70, v9
	s_lshl_b32 s42, s42, 2
	s_waitcnt lgkmcnt(3)
	v_fma_f32 v43, -v24, v55, v8
	v_mov_b32_e32 v46, s42
	s_add_i32 s42, s43, s28
	ds_load_2addr_b32 v[8:9], v62 offset1:1
	ds_load_2addr_b32 v[62:63], v64 offset1:1
	ds_load_2addr_b32 v[68:69], v66 offset1:1
	ds_load_2addr_b32 v[70:71], v38 offset1:1
	s_lshl_b32 s42, s42, 2
	v_fma_f32 v38, -v19, v65, v40
	ds_load_2addr_b32 v[64:65], v46 offset1:1
	s_waitcnt lgkmcnt(7)
	v_fma_f32 v40, -v23, v57, v43
	v_mov_b32_e32 v43, s42
	s_add_i32 s42, s43, s29
	v_fma_f32 v38, -v17, v67, v38
	s_lshl_b32 s42, s42, 2
	s_add_i32 s44, s43, s30
	ds_load_2addr_b32 v[66:67], v43 offset1:1
	v_mov_b32_e32 v43, s42
	s_lshl_b32 s42, s44, 2
	s_waitcnt lgkmcnt(7)
	v_fma_f32 v40, -v22, v59, v40
	v_fma_f32 v38, -v16, v72, v38
	v_mov_b32_e32 v46, s42
	ds_load_2addr_b32 v[72:73], v43 offset1:1
	s_add_i32 s42, s43, s31
	s_waitcnt lgkmcnt(7)
	v_fma_f32 v40, -v25, v61, v40
	v_fma_f32 v38, -v15, v44, v38
	ds_load_2addr_b32 v[43:44], v46 offset1:1
	s_lshl_b32 s42, s42, 2
	s_delay_alu instid0(SALU_CYCLE_1)
	v_dual_mul_f32 v35, v82, v35 :: v_dual_mov_b32 v46, s42
	s_add_i32 s44, s43, s34
	s_waitcnt lgkmcnt(3)
	v_fma_f32 v40, -v20, v65, v40
	s_lshl_b32 s42, s44, 2
	v_fma_f32 v9, -v12, v9, v48
	v_fma_f32 v38, -v14, v47, v38
	v_mov_b32_e32 v48, s42
	ds_load_2addr_b32 v[46:47], v46 offset1:1
	s_add_i32 s42, s43, s33
	s_waitcnt lgkmcnt(3)
	v_fma_f32 v40, -v18, v67, v40
	s_lshl_b32 s42, s42, 2
	s_add_i32 s45, s46, s20
	v_fma_f32 v38, -v13, v49, v38
	ds_load_2addr_b32 v[48:49], v48 offset1:1
	v_mov_b32_e32 v51, s42
	s_add_i32 s42, s43, s35
	s_lshl_b32 s45, s45, 2
	s_lshl_b32 s42, s42, 2
	v_mov_b32_e32 v55, s45
	s_add_i32 s45, s46, s19
	s_waitcnt lgkmcnt(3)
	v_fma_f32 v40, -v19, v73, v40
	s_lshl_b32 s45, s45, 2
	v_mov_b32_e32 v53, s42
	s_add_i32 s42, s43, s36
	ds_load_2addr_b32 v[73:74], v51 offset1:1
	s_lshl_b32 s42, s42, 2
	s_add_i32 s44, s43, s37
	v_fma_f32 v8, -v12, v8, v38
	s_waitcnt lgkmcnt(3)
	v_fma_f32 v38, -v17, v44, v40
	v_mov_b32_e32 v40, s42
	s_lshl_b32 s42, s44, 2
	ds_load_2addr_b32 v[75:76], v53 offset1:1
	v_mov_b32_e32 v44, s42
	s_add_i32 s42, s43, s38
	ds_load_2addr_b32 v[77:78], v40 offset1:1
	s_lshl_b32 s42, s42, 2
	v_fma_f32 v9, -v10, v63, v9
	ds_load_2addr_b32 v[79:80], v44 offset1:1
	s_waitcnt lgkmcnt(5)
	v_fma_f32 v38, -v16, v47, v38
	v_mov_b32_e32 v40, s42
	v_fma_f32 v7, -v32, v39, v7
	v_fma_f32 v9, -v11, v69, v9
	s_add_i32 s42, s43, s39
	s_waitcnt lgkmcnt(4)
	v_fma_f32 v38, -v15, v49, v38
	s_lshl_b32 s42, s42, 2
	v_fma_f32 v7, -v30, v41, v7
	v_mov_b32_e32 v47, s42
	v_fma_f32 v8, -v10, v62, v8
	s_waitcnt lgkmcnt(3)
	v_fma_f32 v44, -v14, v74, v38
	ds_load_2addr_b32 v[38:39], v40 offset1:1
	v_fma_f32 v9, -v35, v71, v9
	v_fma_f32 v45, -v29, v45, v7
	ds_load_2addr_b32 v[40:41], v47 offset1:1
	s_waitcnt lgkmcnt(4)
	v_fma_f32 v44, -v13, v76, v44
	v_fma_f32 v8, -v11, v68, v8
	v_mul_f32_e32 v7, v37, v9
	v_fma_f32 v9, -v28, v50, v45
	s_add_i32 s44, s46, s11
	s_waitcnt lgkmcnt(3)
	v_fma_f32 v44, -v12, v78, v44
	v_fma_f32 v37, -v35, v70, v8
	s_lshl_b32 s44, s44, 2
	v_fma_f32 v42, -v26, v42, v9
	v_or_b32_e32 v47, s37, v0
	s_waitcnt lgkmcnt(2)
	v_fma_f32 v44, -v10, v80, v44
	v_fma_f32 v36, -v7, v36, v37
	s_add_i32 s42, s43, s40
	v_or_b32_e32 v45, s38, v0
	s_lshl_b32 s41, s41, 6
	s_lshl_b32 s42, s42, 2
	s_waitcnt lgkmcnt(1)
	v_fma_f32 v37, -v11, v39, v44
	v_fma_f32 v39, -v27, v52, v42
	v_dual_mov_b32 v47, s42 :: v_dual_lshlrev_b32 v8, 2, v47
	s_add_i32 s42, s43, s41
	s_waitcnt lgkmcnt(0)
	v_fma_f32 v37, -v35, v41, v37
	v_fma_f32 v39, -v24, v54, v39
	v_mov_b32_e32 v41, s44
	s_add_i32 s44, s46, s13
	s_lshl_b32 s42, s42, 2
	s_lshl_b32 s44, s44, 2
	v_fma_f32 v39, -v23, v56, v39
	v_mov_b32_e32 v44, s44
	ds_load_2addr_b32 v[41:42], v41 offset1:1
	v_lshlrev_b32_e32 v9, 2, v45
	v_mov_b32_e32 v53, s42
	v_fma_f32 v39, -v22, v58, v39
	ds_load_2addr_b32 v[44:45], v44 offset1:1
	s_add_i32 s42, s46, s18
	v_mul_f32_e32 v36, v81, v36
	s_lshl_b32 s44, s42, 2
	v_fma_f32 v39, -v25, v60, v39
	v_mov_b32_e32 v49, s44
	s_add_i32 s42, s11, 0xfffffa00
	s_delay_alu instid0(SALU_CYCLE_1) | instskip(NEXT) | instid1(VALU_DEP_2)
	s_add_i32 s44, s43, s42
	v_fma_f32 v39, -v20, v64, v39
	ds_load_2addr_b32 v[49:50], v49 offset1:1
	s_lshl_b32 s44, s44, 2
	ds_load_2addr_b32 v[51:52], v47 offset1:1
	ds_load_2addr_b32 v[53:54], v53 offset1:1
	;; [unrolled: 1-line block ×3, first 2 shown]
	v_fma_f32 v39, -v18, v66, v39
	v_mov_b32_e32 v71, s44
	s_waitcnt lgkmcnt(5)
	v_fma_f32 v6, -v32, v42, v6
	v_mov_b32_e32 v42, s45
	s_add_i32 s44, s46, s21
	v_fma_f32 v39, -v19, v72, v39
	s_lshl_b32 s44, s44, 2
	s_waitcnt lgkmcnt(4)
	v_fma_f32 v6, -v30, v45, v6
	v_mov_b32_e32 v45, s44
	s_add_i32 s44, s46, s22
	v_fma_f32 v39, -v17, v43, v39
	ds_load_2addr_b32 v[42:43], v42 offset1:1
	s_lshl_b32 s44, s44, 2
	ds_load_2addr_b32 v[57:58], v45 offset1:1
	v_mov_b32_e32 v45, s44
	s_add_i32 s45, s46, s23
	s_waitcnt lgkmcnt(5)
	v_fma_f32 v6, -v29, v50, v6
	s_lshl_b32 s44, s45, 2
	v_fma_f32 v39, -v16, v46, v39
	v_mov_b32_e32 v47, s44
	ds_load_2addr_b32 v[45:46], v45 offset1:1
	s_add_i32 s44, s46, s24
	s_waitcnt lgkmcnt(3)
	v_fma_f32 v6, -v28, v56, v6
	s_lshl_b32 s44, s44, 2
	ds_load_2addr_b32 v[59:60], v47 offset1:1
	v_mov_b32_e32 v47, s44
	s_add_i32 s44, s46, s25
	v_fma_f32 v39, -v15, v48, v39
	s_lshl_b32 s44, s44, 2
	s_add_i32 s45, s46, s29
	ds_load_2addr_b32 v[47:48], v47 offset1:1
	s_waitcnt lgkmcnt(4)
	v_fma_f32 v6, -v26, v43, v6
	v_mov_b32_e32 v43, s44
	s_add_i32 s44, s46, s27
	s_lshl_b32 s45, s45, 2
	s_lshl_b32 s44, s44, 2
	s_waitcnt lgkmcnt(3)
	v_fma_f32 v6, -v27, v58, v6
	v_mov_b32_e32 v50, s44
	s_add_i32 s44, s46, s28
	ds_load_2addr_b32 v[61:62], v43 offset1:1
	s_lshl_b32 s44, s44, 2
	s_waitcnt lgkmcnt(3)
	v_fma_f32 v6, -v24, v46, v6
	v_mov_b32_e32 v43, s44
	ds_load_2addr_b32 v[63:64], v50 offset1:1
	v_fma_f32 v39, -v14, v73, v39
	s_add_i32 s44, s12, 0xffffe69c
	s_waitcnt lgkmcnt(3)
	v_fma_f32 v6, -v23, v60, v6
	ds_load_2addr_b32 v[65:66], v43 offset1:1
	v_mov_b32_e32 v43, s45
	s_add_i32 s45, s46, s30
	v_mov_b32_e32 v46, s44
	s_lshl_b32 s45, s45, 2
	s_waitcnt lgkmcnt(3)
	v_fma_f32 v6, -v22, v48, v6
	v_mov_b32_e32 v48, s45
	s_add_i32 s44, s46, s31
	ds_load_2addr_b32 v[67:68], v43 offset1:1
	s_lshl_b32 s44, s44, 2
	v_fma_f32 v39, -v13, v75, v39
	ds_load_2addr_b32 v[69:70], v48 offset1:1
	v_mov_b32_e32 v43, s44
	s_add_i32 s44, s46, s34
	s_waitcnt lgkmcnt(4)
	v_fma_f32 v6, -v25, v62, v6
	s_lshl_b32 s44, s44, 2
	v_fma_f32 v37, -v7, v52, v37
	v_fma_f32 v39, -v12, v77, v39
	ds_load_2addr_b32 v[71:72], v71 offset1:1
	ds_load_b32 v46, v46
	ds_load_2addr_b32 v[73:74], v43 offset1:1
	v_mov_b32_e32 v43, s44
	s_add_i32 s44, s46, s33
	s_waitcnt lgkmcnt(6)
	v_fma_f32 v6, -v20, v64, v6
	s_lshl_b32 s44, s44, 2
	v_fma_f32 v48, -v36, v54, v37
	v_fma_f32 v37, -v10, v79, v39
	ds_load_2addr_b32 v[75:76], v43 offset1:1
	v_mov_b32_e32 v43, s44
	s_add_i32 s44, s46, s35
	s_waitcnt lgkmcnt(6)
	v_fma_f32 v6, -v18, v66, v6
	s_lshl_b32 s44, s44, 2
	v_fma_f32 v39, -v11, v38, v37
	v_mov_b32_e32 v37, s44
	s_add_i32 s44, s46, s36
	s_waitcnt lgkmcnt(5)
	v_fma_f32 v6, -v19, v68, v6
	s_lshl_b32 s44, s44, 2
	ds_load_2addr_b32 v[77:78], v43 offset1:1
	v_mov_b32_e32 v50, s44
	v_fma_f32 v52, -v35, v40, v39
	s_waitcnt lgkmcnt(5)
	v_fma_f32 v6, -v17, v70, v6
	s_add_i32 s45, s46, s37
	v_fma_f32 v5, -v32, v41, v5
	ds_load_2addr_b32 v[39:40], v50 offset1:1
	ds_load_2addr_b32 v[37:38], v37 offset1:1
	s_lshl_b32 s44, s45, 2
	s_waitcnt lgkmcnt(4)
	v_fma_f32 v43, -v16, v74, v6
	v_mov_b32_e32 v54, s44
	s_add_i32 s44, s46, s38
	v_mul_f32_e32 v6, v72, v48
	s_lshl_b32 s44, s44, 2
	s_waitcnt lgkmcnt(3)
	v_fma_f32 v43, -v15, v76, v43
	v_fma_f32 v48, -v7, v51, v52
	ds_load_2addr_b32 v[50:51], v54 offset1:1
	v_mov_b32_e32 v52, s44
	s_add_i32 s45, s46, s39
	v_fma_f32 v5, -v30, v44, v5
	s_lshl_b32 s44, s45, 2
	s_waitcnt lgkmcnt(3)
	v_fma_f32 v43, -v14, v78, v43
	v_fma_f32 v48, -v36, v53, v48
	v_mov_b32_e32 v54, s44
	ds_load_2addr_b32 v[52:53], v52 offset1:1
	s_add_i32 s44, s46, s40
	s_add_i32 s45, s46, s41
	s_lshl_b32 s44, s44, 2
	s_waitcnt lgkmcnt(2)
	v_fma_f32 v38, -v13, v38, v43
	ds_load_2addr_b32 v[78:79], v54 offset1:1
	v_mov_b32_e32 v41, s44
	s_lshl_b32 s44, s45, 2
	v_fma_f32 v48, -v6, v71, v48
	v_mov_b32_e32 v43, s44
	s_sub_i32 s44, s10, 29
	v_fma_f32 v38, -v12, v40, v38
	ds_load_2addr_b32 v[40:41], v41 offset1:1
	s_add_i32 s45, s44, s11
	ds_load_2addr_b32 v[43:44], v43 offset1:1
	s_lshl_b32 s45, s45, 2
	s_waitcnt lgkmcnt(4)
	v_fma_f32 v38, -v10, v51, v38
	v_fma_f32 v49, -v29, v49, v5
	v_dual_mul_f32 v5, v46, v48 :: v_dual_mov_b32 v48, s45
	s_add_i32 s45, s44, s13
	s_add_i32 s47, s44, s19
	s_delay_alu instid0(VALU_DEP_2)
	v_fma_f32 v46, -v28, v55, v49
	s_lshl_b32 s45, s45, 2
	ds_load_2addr_b32 v[48:49], v48 offset1:1
	s_waitcnt lgkmcnt(4)
	v_fma_f32 v38, -v11, v53, v38
	s_lshl_b32 s47, s47, 2
	v_fma_f32 v42, -v26, v42, v46
	v_mov_b32_e32 v46, s45
	s_add_i32 s45, s44, s18
	s_waitcnt lgkmcnt(3)
	v_fma_f32 v38, -v35, v79, v38
	s_lshl_b32 s45, s45, 2
	v_fma_f32 v51, -v27, v57, v42
	v_mov_b32_e32 v53, s45
	s_add_i32 s45, s44, s20
	s_waitcnt lgkmcnt(2)
	v_fma_f32 v38, -v7, v41, v38
	ds_load_2addr_b32 v[41:42], v46 offset1:1
	s_lshl_b32 s45, s45, 2
	s_add_i32 s49, s44, s42
	s_add_i32 s48, s44, s27
	s_waitcnt lgkmcnt(2)
	v_fma_f32 v86, -v36, v44, v38
	v_fma_f32 v38, -v24, v45, v51
	ds_load_2addr_b32 v[44:45], v53 offset1:1
	v_mov_b32_e32 v46, s45
	s_waitcnt lgkmcnt(2)
	v_fma_f32 v4, -v32, v49, v4
	s_add_i32 s45, s46, s42
	v_fma_f32 v38, -v23, v59, v38
	s_lshl_b32 s45, s45, 2
	ds_load_2addr_b32 v[53:54], v46 offset1:1
	s_lshl_b32 s49, s49, 2
	s_lshl_b32 s43, s43, 6
	v_fma_f32 v38, -v22, v47, v38
	v_fma_f32 v3, -v32, v48, v3
	v_or_b32_e32 v87, s42, v0
	s_waitcnt lgkmcnt(2)
	v_fma_f32 v4, -v30, v42, v4
	v_mov_b32_e32 v42, s45
	s_add_i32 s45, s44, s22
	v_fma_f32 v38, -v25, v61, v38
	s_lshl_b32 s45, s45, 2
	v_fma_f32 v3, -v30, v41, v3
	s_waitcnt lgkmcnt(1)
	v_fma_f32 v4, -v29, v45, v4
	v_mov_b32_e32 v45, s45
	v_fma_f32 v38, -v20, v63, v38
	v_fma_f32 v3, -v29, v44, v3
	ds_load_2addr_b32 v[57:58], v45 offset1:1
	v_mov_b32_e32 v46, s47
	s_add_i32 s47, s44, s21
	s_waitcnt lgkmcnt(1)
	v_fma_f32 v4, -v28, v54, v4
	s_lshl_b32 s47, s47, 2
	v_fma_f32 v38, -v18, v65, v38
	ds_load_2addr_b32 v[46:47], v46 offset1:1
	v_mov_b32_e32 v49, s47
	s_add_i32 s47, s44, s23
	s_delay_alu instid0(SALU_CYCLE_1)
	s_lshl_b32 s45, s47, 2
	s_add_i32 s47, s44, s24
	ds_load_2addr_b32 v[55:56], v49 offset1:1
	s_lshl_b32 s47, s47, 2
	v_fma_f32 v38, -v19, v67, v38
	v_mov_b32_e32 v45, s47
	s_add_i32 s47, s44, s25
	s_delay_alu instid0(SALU_CYCLE_1) | instskip(NEXT) | instid1(VALU_DEP_2)
	s_lshl_b32 s47, s47, 2
	v_fma_f32 v38, -v17, v69, v38
	ds_load_2addr_b32 v[61:62], v45 offset1:1
	v_mov_b32_e32 v45, s47
	s_lshl_b32 s47, s48, 2
	s_add_i32 s48, s44, s33
	v_fma_f32 v38, -v16, v73, v38
	s_lshl_b32 s48, s48, 2
	s_waitcnt lgkmcnt(2)
	v_fma_f32 v4, -v26, v47, v4
	v_mov_b32_e32 v47, s47
	s_add_i32 s47, s44, s28
	ds_load_2addr_b32 v[63:64], v45 offset1:1
	s_lshl_b32 s47, s47, 2
	v_fma_f32 v38, -v15, v75, v38
	ds_load_2addr_b32 v[65:66], v47 offset1:1
	v_mov_b32_e32 v45, s47
	s_add_i32 s47, s44, s29
	s_delay_alu instid0(SALU_CYCLE_1)
	s_lshl_b32 s47, s47, 2
	v_fma_f32 v38, -v14, v77, v38
	ds_load_2addr_b32 v[67:68], v45 offset1:1
	v_mov_b32_e32 v49, s45
	s_waitcnt lgkmcnt(4)
	v_fma_f32 v4, -v27, v56, v4
	v_mov_b32_e32 v45, s47
	s_add_i32 s47, s44, s30
	s_add_i32 s45, s46, s43
	ds_load_2addr_b32 v[59:60], v49 offset1:1
	s_lshl_b32 s47, s47, 2
	v_fma_f32 v4, -v24, v58, v4
	v_mov_b32_e32 v47, s47
	ds_load_2addr_b32 v[69:70], v45 offset1:1
	s_add_i32 s47, s44, s31
	s_lshl_b32 s45, s45, 2
	s_lshl_b32 s47, s47, 2
	ds_load_2addr_b32 v[71:72], v47 offset1:1
	v_mov_b32_e32 v45, s47
	v_fma_f32 v47, -v13, v37, v38
	s_add_i32 s47, s44, s34
	s_delay_alu instid0(SALU_CYCLE_1)
	s_lshl_b32 s47, s47, 2
	ds_load_2addr_b32 v[37:38], v45 offset1:1
	v_mov_b32_e32 v49, s47
	v_fma_f32 v39, -v12, v39, v47
	v_mov_b32_e32 v47, s48
	s_add_i32 s48, s44, s36
	s_waitcnt lgkmcnt(3)
	v_fma_f32 v4, -v23, v60, v4
	ds_load_2addr_b32 v[73:74], v49 offset1:1
	v_fma_f32 v39, -v10, v50, v39
	ds_load_2addr_b32 v[49:50], v47 offset1:1
	v_mov_b32_e32 v45, s45
	v_fma_f32 v4, -v22, v62, v4
	s_add_i32 s45, s11, 0xfffff980
	v_fma_f32 v39, -v11, v52, v39
	s_add_i32 s47, s46, s45
	s_lshl_b32 s46, s46, 6
	v_fma_f32 v4, -v25, v64, v4
	s_lshl_b32 s47, s47, 2
	v_fma_f32 v47, -v35, v78, v39
	v_mov_b32_e32 v54, s47
	s_add_i32 s47, s44, s35
	v_fma_f32 v4, -v20, v66, v4
	s_lshl_b32 s47, s47, 2
	s_delay_alu instid0(VALU_DEP_1) | instskip(SKIP_2) | instid1(VALU_DEP_2)
	v_fma_f32 v4, -v18, v68, v4
	v_mov_b32_e32 v68, s49
	s_waitcnt lgkmcnt(4)
	v_fma_f32 v4, -v19, v70, v4
	s_waitcnt lgkmcnt(3)
	s_delay_alu instid0(VALU_DEP_1) | instskip(SKIP_1) | instid1(VALU_DEP_1)
	v_fma_f32 v4, -v17, v72, v4
	s_waitcnt lgkmcnt(2)
	v_fma_f32 v4, -v16, v38, v4
	v_mov_b32_e32 v38, s47
	s_lshl_b32 s47, s48, 2
	s_add_i32 s48, s44, s39
	v_mov_b32_e32 v51, s47
	s_add_i32 s47, s44, s37
	ds_load_2addr_b32 v[38:39], v38 offset1:1
	s_lshl_b32 s47, s47, 2
	s_waitcnt lgkmcnt(2)
	v_fma_f32 v4, -v15, v74, v4
	ds_load_2addr_b32 v[51:52], v51 offset1:1
	v_mov_b32_e32 v56, s47
	s_add_i32 s47, s44, s38
	ds_load_2addr_b32 v[74:75], v42 offset1:1
	ds_load_2addr_b32 v[76:77], v45 offset1:1
	;; [unrolled: 1-line block ×3, first 2 shown]
	s_lshl_b32 s47, s47, 2
	v_fma_f32 v42, -v7, v40, v47
	ds_load_2addr_b32 v[80:81], v56 offset1:1
	v_mov_b32_e32 v40, s47
	s_lshl_b32 s47, s48, 2
	s_add_i32 s48, s12, 0xffffe494
	s_waitcnt lgkmcnt(6)
	v_fma_f32 v4, -v14, v50, v4
	v_mov_b32_e32 v45, s47
	ds_load_2addr_b32 v[82:83], v40 offset1:1
	v_mov_b32_e32 v47, s48
	s_add_i32 s47, s44, s40
	v_or_b32_e32 v54, s40, v0
	s_lshl_b32 s47, s47, 2
	s_waitcnt lgkmcnt(6)
	v_fma_f32 v4, -v13, v39, v4
	v_mov_b32_e32 v50, s47
	ds_load_b32 v47, v47
	ds_load_2addr_b32 v[39:40], v45 offset1:1
	s_add_i32 s47, s44, s41
	s_waitcnt lgkmcnt(7)
	v_fma_f32 v4, -v12, v52, v4
	ds_load_2addr_b32 v[84:85], v50 offset1:1
	s_lshl_b32 s47, s47, 2
	v_fma_f32 v52, -v36, v43, v42
	v_mov_b32_e32 v45, s47
	s_waitcnt lgkmcnt(7)
	v_fma_f32 v50, -v6, v75, v86
	s_add_i32 s47, s11, 0xfffff900
	s_addk_i32 s12, 0xe084
	v_fma_f32 v52, -v6, v74, v52
	ds_load_2addr_b32 v[42:43], v45 offset1:1
	s_waitcnt lgkmcnt(5)
	v_fma_f32 v4, -v10, v81, v4
	v_fma_f32 v50, -v5, v77, v50
	s_add_i32 s48, s44, s47
	v_fma_f32 v52, -v5, v76, v52
	s_lshl_b32 s48, s48, 2
	s_waitcnt lgkmcnt(4)
	v_fma_f32 v4, -v11, v83, v4
	v_mul_f32_e32 v50, v79, v50
	v_or_b32_e32 v45, s39, v0
	v_lshlrev_b32_e32 v81, 2, v54
	v_or_b32_e32 v56, s41, v0
	s_waitcnt lgkmcnt(2)
	v_fma_f32 v4, -v35, v40, v4
	v_fma_f32 v40, -v50, v78, v52
	v_lshlrev_b32_e32 v72, 2, v45
	v_lshlrev_b32_e32 v83, 2, v56
	s_waitcnt lgkmcnt(1)
	v_fma_f32 v4, -v7, v85, v4
	v_mul_f32_e32 v88, v47, v40
	v_mov_b32_e32 v40, s50
	s_waitcnt lgkmcnt(0)
	s_delay_alu instid0(VALU_DEP_3)
	v_fma_f32 v89, -v36, v43, v4
	v_mov_b32_e32 v4, s48
	s_sub_i32 s48, s10, 31
	v_fma_f32 v43, -v28, v53, v3
	s_add_i32 s51, s48, s11
	s_add_i32 s13, s48, s13
	s_lshl_b32 s50, s51, 2
	s_lshl_b32 s13, s13, 2
	s_delay_alu instid0(SALU_CYCLE_1)
	v_dual_mov_b32 v41, s50 :: v_dual_mov_b32 v44, s13
	ds_load_2addr_b32 v[3:4], v4 offset1:1
	ds_load_b32 v90, v40
	ds_load_2addr_b32 v[40:41], v41 offset1:1
	s_add_i32 s18, s48, s18
	v_fma_f32 v45, -v26, v46, v43
	s_lshl_b32 s18, s18, 2
	ds_load_2addr_b32 v[43:44], v44 offset1:1
	v_mov_b32_e32 v46, s18
	s_add_i32 s20, s48, s20
	v_fma_f32 v47, -v27, v55, v45
	s_lshl_b32 s18, s20, 2
	s_add_i32 s13, s44, s43
	ds_load_2addr_b32 v[45:46], v46 offset1:1
	v_mov_b32_e32 v48, s18
	s_add_i32 s18, s48, s19
	v_fma_f32 v52, -v24, v57, v47
	s_lshl_b32 s18, s18, 2
	s_lshl_b32 s13, s13, 2
	ds_load_2addr_b32 v[47:48], v48 offset1:1
	v_mov_b32_e32 v53, s18
	s_add_i32 s18, s48, s21
	s_add_i32 s19, s48, s46
	s_waitcnt lgkmcnt(3)
	v_fma_f32 v2, -v32, v41, v2
	s_lshl_b32 s18, s18, 2
	v_fma_f32 v41, -v23, v59, v52
	v_mov_b32_e32 v54, s18
	s_add_i32 s18, s48, s22
	s_waitcnt lgkmcnt(2)
	v_fma_f32 v2, -v30, v44, v2
	s_lshl_b32 s18, s18, 2
	ds_load_2addr_b32 v[52:53], v53 offset1:1
	v_mov_b32_e32 v44, s18
	s_add_i32 s18, s48, s23
	s_waitcnt lgkmcnt(2)
	v_fma_f32 v2, -v29, v46, v2
	s_lshl_b32 s18, s18, 2
	ds_load_2addr_b32 v[54:55], v54 offset1:1
	v_mov_b32_e32 v46, s18
	ds_load_2addr_b32 v[56:57], v44 offset1:1
	v_fma_f32 v41, -v22, v61, v41
	s_waitcnt lgkmcnt(3)
	v_fma_f32 v2, -v28, v48, v2
	s_add_i32 s18, s44, s45
	ds_load_2addr_b32 v[58:59], v46 offset1:1
	v_mov_b32_e32 v44, s13
	s_add_i32 s13, s48, s24
	v_fma_f32 v41, -v25, v63, v41
	s_lshl_b32 s13, s13, 2
	v_fma_f32 v1, -v32, v40, v1
	v_mov_b32_e32 v46, s13
	s_add_i32 s13, s48, s25
	v_fma_f32 v41, -v20, v65, v41
	s_lshl_b32 s13, s13, 2
	s_waitcnt lgkmcnt(3)
	v_fma_f32 v2, -v26, v53, v2
	ds_load_2addr_b32 v[60:61], v46 offset1:1
	v_mov_b32_e32 v46, s13
	s_lshl_b32 s13, s18, 2
	s_add_i32 s18, s44, s46
	s_waitcnt lgkmcnt(3)
	v_fma_f32 v2, -v27, v55, v2
	s_lshl_b32 s18, s18, 2
	ds_load_2addr_b32 v[62:63], v46 offset1:1
	v_mov_b32_e32 v46, s13
	s_add_i32 s13, s48, s27
	v_mov_b32_e32 v48, s18
	s_add_i32 s18, s48, s28
	s_lshl_b32 s13, s13, 2
	s_lshl_b32 s18, s18, 2
	v_mov_b32_e32 v53, s13
	v_mov_b32_e32 v55, s18
	s_waitcnt lgkmcnt(3)
	v_fma_f32 v2, -v24, v57, v2
	v_fma_f32 v41, -v18, v67, v41
	ds_load_2addr_b32 v[64:65], v53 offset1:1
	ds_load_2addr_b32 v[66:67], v55 offset1:1
	s_add_i32 s13, s48, s29
	s_waitcnt lgkmcnt(4)
	v_fma_f32 v2, -v23, v59, v2
	v_fma_f32 v41, -v19, v69, v41
	s_lshl_b32 s13, s13, 2
	s_add_i32 s18, s48, s30
	v_mov_b32_e32 v53, s13
	s_waitcnt lgkmcnt(3)
	v_fma_f32 v2, -v22, v61, v2
	s_lshl_b32 s13, s18, 2
	v_fma_f32 v41, -v17, v71, v41
	ds_load_2addr_b32 v[68:69], v68 offset1:1
	ds_load_2addr_b32 v[70:71], v44 offset1:1
	;; [unrolled: 1-line block ×4, first 2 shown]
	v_mov_b32_e32 v44, s13
	s_waitcnt lgkmcnt(6)
	v_fma_f32 v2, -v25, v63, v2
	s_add_i32 s13, s48, s31
	v_fma_f32 v30, -v30, v43, v1
	s_lshl_b32 s13, s13, 2
	ds_load_2addr_b32 v[78:79], v53 offset1:1
	v_mov_b32_e32 v32, s13
	s_add_i32 s18, s48, s34
	s_waitcnt lgkmcnt(6)
	v_fma_f32 v40, -v20, v65, v2
	s_lshl_b32 s13, s18, 2
	v_fma_f32 v37, -v16, v37, v41
	ds_load_2addr_b32 v[1:2], v32 offset1:1
	ds_load_2addr_b32 v[85:86], v44 offset1:1
	s_waitcnt lgkmcnt(7)
	v_fma_f32 v32, -v18, v67, v40
	v_fma_f32 v40, -v29, v45, v30
	v_mov_b32_e32 v41, s13
	s_add_i32 s13, s48, s33
	v_fma_f32 v37, -v15, v73, v37
	s_lshl_b32 s13, s13, 2
	v_fma_f32 v28, -v28, v47, v40
	v_mov_b32_e32 v43, s13
	ds_load_2addr_b32 v[29:30], v41 offset1:1
	v_fma_f32 v37, -v14, v49, v37
	s_add_i32 s13, s48, s35
	v_fma_f32 v26, -v26, v52, v28
	ds_load_2addr_b32 v[40:41], v43 offset1:1
	s_lshl_b32 s13, s13, 2
	s_waitcnt lgkmcnt(4)
	v_fma_f32 v32, -v19, v79, v32
	v_mov_b32_e32 v28, s13
	v_fma_f32 v43, -v27, v54, v26
	v_fma_f32 v37, -v13, v38, v37
	s_add_i32 s13, s48, s36
	v_fma_f32 v38, -v6, v69, v89
	ds_load_2addr_b32 v[26:27], v28 offset1:1
	v_fma_f32 v24, -v24, v56, v43
	s_waitcnt lgkmcnt(3)
	v_fma_f32 v32, -v17, v86, v32
	v_fma_f32 v28, -v12, v51, v37
	s_lshl_b32 s13, s13, 2
	s_add_i32 s18, s48, s38
	v_fma_f32 v37, -v23, v58, v24
	v_fma_f32 v2, -v16, v2, v32
	;; [unrolled: 1-line block ×4, first 2 shown]
	s_addk_i32 s11, 0xf880
	v_fma_f32 v22, -v22, v60, v37
	s_waitcnt lgkmcnt(2)
	v_fma_f32 v2, -v15, v30, v2
	v_mov_b32_e32 v30, s13
	s_add_i32 s13, s48, s37
	v_fma_f32 v22, -v25, v62, v22
	s_lshl_b32 s13, s13, 2
	ds_load_2addr_b32 v[23:24], v30 offset1:1
	v_mov_b32_e32 v30, s13
	s_lshl_b32 s13, s18, 2
	v_fma_f32 v20, -v20, v64, v22
	s_waitcnt lgkmcnt(2)
	v_fma_f32 v2, -v14, v41, v2
	v_mov_b32_e32 v25, s13
	ds_load_2addr_b32 v[37:38], v30 offset1:1
	s_add_i32 s18, s48, s39
	v_fma_f32 v18, -v18, v66, v20
	s_lshl_b32 s13, s18, 2
	v_fma_f32 v22, -v11, v82, v28
	s_waitcnt lgkmcnt(2)
	v_fma_f32 v2, -v13, v27, v2
	ds_load_2addr_b32 v[27:28], v25 offset1:1
	v_mov_b32_e32 v30, s13
	v_fma_f32 v18, -v19, v78, v18
	s_add_i32 s13, s48, s40
	v_fma_f32 v20, -v35, v39, v22
	s_lshl_b32 s13, s13, 2
	ds_load_2addr_b32 v[43:44], v30 offset1:1
	v_mov_b32_e32 v19, s13
	v_fma_f32 v22, -v17, v85, v18
	s_add_i32 s18, s48, s41
	s_waitcnt lgkmcnt(3)
	v_fma_f32 v2, -v12, v24, v2
	s_lshl_b32 s13, s18, 2
	ds_load_2addr_b32 v[17:18], v19 offset1:1
	v_mov_b32_e32 v24, s13
	v_fma_f32 v16, -v16, v1, v22
	s_waitcnt lgkmcnt(3)
	v_fma_f32 v19, -v10, v38, v2
	v_fma_f32 v20, -v7, v84, v20
	s_add_i32 s13, s48, s42
	ds_load_2addr_b32 v[1:2], v24 offset1:1
	v_fma_f32 v15, -v15, v29, v16
	s_waitcnt lgkmcnt(3)
	v_fma_f32 v19, -v11, v28, v19
	s_add_i32 s18, s48, s43
	s_lshl_b32 s13, s13, 2
	s_lshl_b32 s18, s18, 2
	v_fma_f32 v14, -v14, v40, v15
	v_fma_f32 v22, -v50, v75, v32
	;; [unrolled: 1-line block ×3, first 2 shown]
	v_mov_b32_e32 v15, s13
	s_waitcnt lgkmcnt(2)
	v_fma_f32 v24, -v35, v44, v19
	v_fma_f32 v26, -v13, v26, v14
	v_mov_b32_e32 v16, s18
	v_fma_f32 v25, -v6, v68, v20
	ds_load_2addr_b32 v[14:15], v15 offset1:1
	ds_load_2addr_b32 v[19:20], v16 offset1:1
	s_waitcnt lgkmcnt(3)
	v_fma_f32 v16, -v7, v18, v24
	v_fma_f32 v18, -v88, v77, v22
	;; [unrolled: 1-line block ×3, first 2 shown]
	s_add_i32 s18, s48, s45
	s_lshl_b32 s13, s44, 6
	s_waitcnt lgkmcnt(2)
	v_fma_f32 v2, -v36, v2, v16
	s_lshl_b32 s18, s18, 2
	v_fma_f32 v16, -v10, v37, v22
	v_mov_b32_e32 v22, s18
	s_lshl_b32 s18, s19, 2
	v_fma_f32 v26, -v5, v70, v25
	v_mov_b32_e32 v24, s18
	v_fma_f32 v16, -v11, v27, v16
	ds_load_2addr_b32 v[22:23], v22 offset1:1
	s_add_i32 s18, s48, s47
	v_mul_f32_e32 v18, v4, v18
	s_lshl_b32 s18, s18, 2
	v_fma_f32 v16, -v35, v43, v16
	v_mov_b32_e32 v27, s18
	ds_load_2addr_b32 v[24:25], v24 offset1:1
	s_add_i32 s18, s48, s13
	s_waitcnt lgkmcnt(3)
	v_fma_f32 v2, -v6, v15, v2
	v_fma_f32 v17, -v7, v17, v16
	s_lshl_b32 s18, s18, 2
	ds_load_2addr_b32 v[15:16], v27 offset1:1
	v_mov_b32_e32 v28, s18
	s_waitcnt lgkmcnt(3)
	v_fma_f32 v20, -v5, v20, v2
	v_fma_f32 v4, -v36, v1, v17
	;; [unrolled: 1-line block ×3, first 2 shown]
	s_add_i32 s18, s48, s11
	ds_load_2addr_b32 v[1:2], v28 offset1:1
	s_lshl_b32 s18, s18, 2
	v_fma_f32 v4, -v6, v14, v4
	v_fma_f32 v14, -v88, v76, v17
	s_waitcnt lgkmcnt(3)
	v_fma_f32 v17, -v50, v23, v20
	v_or_b32_e32 v23, s45, v0
	v_fma_f32 v4, -v5, v19, v4
	v_fma_f32 v3, -v18, v3, v14
	v_dual_mov_b32 v14, s18 :: v_dual_lshlrev_b32 v19, 2, v87
	s_delay_alu instid0(VALU_DEP_3) | instskip(NEXT) | instid1(VALU_DEP_3)
	v_fma_f32 v20, -v50, v22, v4
	v_mul_f32_e32 v22, v90, v3
	ds_load_2addr_b32 v[3:4], v14 offset1:1
	s_waitcnt lgkmcnt(3)
	v_fma_f32 v17, -v88, v25, v17
	s_waitcnt lgkmcnt(2)
	s_delay_alu instid0(VALU_DEP_1)
	v_fma_f32 v14, -v18, v16, v17
	v_fma_f32 v16, -v88, v24, v20
	v_mov_b32_e32 v17, s12
	v_or_b32_e32 v20, s43, v0
	s_waitcnt lgkmcnt(1)
	v_fma_f32 v2, -v22, v2, v14
	v_fma_f32 v14, -v18, v15, v16
	ds_load_b32 v15, v17
	ds_store_b32 v21, v13 offset:16384
	ds_store_b32 v31, v12 offset:16384
	;; [unrolled: 1-line block ×8, first 2 shown]
	v_or_b32_e32 v8, s47, v0
	v_or_b32_e32 v9, s13, v0
	v_fma_f32 v1, -v22, v1, v14
	v_lshlrev_b32_e32 v6, 2, v20
	v_or_b32_e32 v10, s11, v0
	s_waitcnt lgkmcnt(9)
	v_mul_f32_e32 v2, v4, v2
	v_or_b32_e32 v4, s46, v0
	v_lshlrev_b32_e32 v7, 2, v23
	s_sub_i32 s11, s10, 32
	s_cmp_gt_i32 s10, 62
	v_fma_f32 v1, -v2, v3, v1
	v_lshlrev_b32_e32 v3, 2, v4
	v_lshlrev_b32_e32 v4, 2, v8
	;; [unrolled: 1-line block ×4, first 2 shown]
	v_lshl_or_b32 v10, s48, 8, v33
	s_waitcnt lgkmcnt(8)
	v_mul_f32_e32 v1, v15, v1
	ds_store_b32 v6, v5 offset:16384
	ds_store_b32 v7, v50 offset:16384
	ds_store_b32 v3, v88 offset:16384
	ds_store_b32 v4, v18 offset:16384
	ds_store_b32 v8, v22 offset:16384
	ds_store_b32 v9, v2 offset:16384
	ds_store_b32 v10, v1 offset:16384
	s_cbranch_scc0 .LBB41_58
; %bb.57:                               ;   in Loop: Header=BB41_54 Depth=1
	s_mov_b32 s10, s11
	s_branch .LBB41_54
.LBB41_58:
	s_cmp_gt_i32 s11, -1
	s_cbranch_scc0 .LBB41_79
; %bb.59:
	s_cmp_lt_u32 s11, 3
	s_cbranch_scc1 .LBB41_65
; %bb.60:
	s_lshl_b32 s4, s15, 8
	s_lshl_b32 s10, s11, 2
	v_lshl_or_b32 v1, v0, 2, s4
	v_lshlrev_b32_e32 v6, 2, v0
	s_add_i32 s4, s4, s10
	s_delay_alu instid0(SALU_CYCLE_1) | instskip(NEXT) | instid1(VALU_DEP_2)
	s_addk_i32 s4, 0xfef4
	v_add_nc_u32_e32 v5, 0x3f00, v1
.LBB41_61:                              ; =>This Loop Header: Depth=1
                                        ;     Child Loop BB41_62 Depth 2
	s_lshl_b32 s10, s11, 6
	s_cmp_le_i32 s26, s11
	v_or_b32_e32 v1, s10, v0
	s_mov_b32 s12, s4
	s_mov_b32 s13, s26
	s_delay_alu instid0(VALU_DEP_1)
	v_dual_mov_b32 v8, v5 :: v_dual_lshlrev_b32 v7, 2, v1
	ds_load_2addr_stride64_b32 v[3:4], v7 offset0:63 offset1:64
	ds_load_2addr_stride64_b32 v[1:2], v7 offset0:61 offset1:62
	s_cbranch_scc1 .LBB41_63
	.p2align	6
.LBB41_62:                              ;   Parent Loop BB41_61 Depth=1
                                        ; =>  This Inner Loop Header: Depth=2
	v_mov_b32_e32 v11, s12
	s_add_i32 s13, s13, -1
	s_addk_i32 s12, 0xff00
	s_cmp_gt_i32 s13, s11
	ds_load_b32 v13, v8
	ds_load_2addr_b32 v[9:10], v11 offset0:2 offset1:3
	ds_load_2addr_b32 v[11:12], v11 offset1:1
	v_add_nc_u32_e32 v8, 0xffffff00, v8
	s_waitcnt lgkmcnt(1)
	v_fma_f32 v4, -v13, v10, v4
	v_fma_f32 v3, -v13, v9, v3
	s_waitcnt lgkmcnt(0)
	v_fma_f32 v2, -v13, v12, v2
	v_fma_f32 v1, -v13, v11, v1
	s_cbranch_scc1 .LBB41_62
.LBB41_63:                              ;   in Loop: Header=BB41_61 Depth=1
	s_add_i32 s12, s11, -1
	s_add_i32 s18, s11, -3
	s_add_i32 s13, s12, s10
	s_add_i32 s19, s10, 0xffffff80
	s_lshl_b32 s13, s13, 2
	s_delay_alu instid0(SALU_CYCLE_1)
	v_dual_mov_b32 v8, s13 :: v_dual_add_nc_u32 v7, 0x4000, v7
	s_mul_i32 s13, s11, 0x104
	s_add_i32 s10, s18, s10
	s_add_i32 s20, s13, 0xfffffefc
	s_lshl_b32 s10, s10, 2
	ds_load_2addr_b32 v[8:9], v8 offset1:1
	v_dual_mov_b32 v10, s20 :: v_dual_mov_b32 v11, s10
	s_lshl_b32 s12, s12, 6
	ds_load_b32 v16, v10
	ds_load_2addr_b32 v[10:11], v11 offset1:1
	s_add_i32 s10, s18, s12
	s_add_i32 s20, s18, s19
	s_lshl_b32 s10, s10, 2
	s_add_i32 s4, s4, -16
	v_mov_b32_e32 v12, s10
	s_lshl_b32 s10, s20, 2
	s_waitcnt lgkmcnt(2)
	v_mul_f32_e32 v4, v9, v4
	s_delay_alu instid0(VALU_DEP_1) | instskip(SKIP_2) | instid1(SALU_CYCLE_1)
	v_fma_f32 v3, -v4, v8, v3
	v_mov_b32_e32 v14, s10
	s_add_i32 s10, s13, 0xfffffcf4
	v_mov_b32_e32 v9, s10
	s_waitcnt lgkmcnt(1)
	v_mul_f32_e32 v3, v16, v3
	ds_load_2addr_b32 v[12:13], v12 offset1:1
	ds_load_2addr_b32 v[14:15], v14 offset1:1
	s_add_i32 s10, s11, -4
	ds_load_b32 v8, v9
	v_or_b32_e32 v9, s19, v0
	s_cmp_gt_i32 s11, 6
	s_delay_alu instid0(VALU_DEP_1)
	v_lshlrev_b32_e32 v9, 2, v9
	s_waitcnt lgkmcnt(3)
	v_fma_f32 v2, -v4, v11, v2
	v_fma_f32 v1, -v4, v10, v1
	v_or_b32_e32 v10, s12, v0
	v_lshl_or_b32 v11, s18, 8, v6
	ds_store_b32 v7, v4
	v_lshlrev_b32_e32 v10, 2, v10
	s_waitcnt lgkmcnt(3)
	v_fma_f32 v2, -v3, v13, v2
	v_fma_f32 v1, -v3, v12, v1
	s_waitcnt lgkmcnt(2)
	s_delay_alu instid0(VALU_DEP_2) | instskip(NEXT) | instid1(VALU_DEP_1)
	v_mul_f32_e32 v2, v15, v2
	v_fma_f32 v1, -v2, v14, v1
	s_waitcnt lgkmcnt(1)
	s_delay_alu instid0(VALU_DEP_1)
	v_mul_f32_e32 v1, v8, v1
	ds_store_b32 v10, v3 offset:16384
	ds_store_b32 v9, v2 offset:16384
	;; [unrolled: 1-line block ×3, first 2 shown]
	s_cbranch_scc0 .LBB41_66
; %bb.64:                               ;   in Loop: Header=BB41_61 Depth=1
	s_mov_b32 s11, s10
	s_branch .LBB41_61
.LBB41_65:
	s_mov_b32 s10, s11
.LBB41_66:
	s_delay_alu instid0(SALU_CYCLE_1)
	s_cmp_lt_i32 s10, 0
	s_cbranch_scc1 .LBB41_79
; %bb.67:
	s_bitcmp1_b32 s10, 0
	s_cselect_b32 s4, -1, 0
	s_delay_alu instid0(SALU_CYCLE_1)
	s_and_b32 vcc_lo, exec_lo, s4
	s_mov_b32 s4, s10
	s_cbranch_vccnz .LBB41_72
; %bb.68:
	v_lshlrev_b32_e32 v1, 2, v0
	s_cmp_le_i32 s26, s10
	s_delay_alu instid0(VALU_DEP_1)
	v_lshl_or_b32 v2, s10, 8, v1
	ds_load_b32 v1, v2 offset:16384
	s_cbranch_scc1 .LBB41_71
; %bb.69:
	s_lshl_b32 s4, s15, 8
	s_lshl_b32 s11, s10, 2
	v_lshl_or_b32 v3, v0, 2, s4
	s_add_i32 s4, s4, s11
	s_mov_b32 s11, s26
	s_addk_i32 s4, 0xff00
	s_delay_alu instid0(VALU_DEP_1)
	v_add_nc_u32_e32 v3, 0x3f00, v3
.LBB41_70:                              ; =>This Inner Loop Header: Depth=1
	v_mov_b32_e32 v4, s4
	s_add_i32 s11, s11, -1
	s_addk_i32 s4, 0xff00
	s_cmp_gt_i32 s11, s10
	ds_load_b32 v5, v3
	ds_load_b32 v4, v4
	v_add_nc_u32_e32 v3, 0xffffff00, v3
	s_waitcnt lgkmcnt(0)
	v_fma_f32 v1, -v5, v4, v1
	s_cbranch_scc1 .LBB41_70
.LBB41_71:
	s_mul_i32 s4, s10, 0x104
	s_delay_alu instid0(SALU_CYCLE_1)
	v_dual_mov_b32 v3, s4 :: v_dual_add_nc_u32 v2, 0x4000, v2
	s_add_i32 s4, s10, -1
	ds_load_b32 v3, v3
	s_waitcnt lgkmcnt(0)
	v_mul_f32_e32 v1, v3, v1
	ds_store_b32 v2, v1
.LBB41_72:
	s_cmp_eq_u32 s10, 0
	s_cbranch_scc1 .LBB41_79
; %bb.73:
	s_lshl_b32 s10, s15, 8
	s_lshl_b32 s11, s4, 2
	v_lshl_or_b32 v1, v0, 2, s10
	v_lshlrev_b32_e32 v2, 2, v0
	s_add_i32 s11, s10, s11
	s_delay_alu instid0(SALU_CYCLE_1) | instskip(NEXT) | instid1(VALU_DEP_2)
	s_add_i32 s10, s11, 0xffffff00
	v_add_nc_u32_e32 v1, 0x3f00, v1
	s_addk_i32 s11, 0xfefc
	s_branch .LBB41_75
.LBB41_74:                              ;   in Loop: Header=BB41_75 Depth=1
	s_addk_i32 s12, 0xfefc
	v_add_nc_u32_e32 v3, 0x4000, v5
	v_mov_b32_e32 v5, s12
	s_add_i32 s12, s4, -2
	s_add_i32 s10, s10, -8
	;; [unrolled: 1-line block ×3, first 2 shown]
	s_cmp_lt_i32 s4, 2
	ds_load_b32 v5, v5
	s_mov_b32 s4, s12
	s_waitcnt lgkmcnt(0)
	v_mul_f32_e32 v4, v5, v4
	ds_store_b32 v3, v4
	s_cbranch_scc1 .LBB41_79
.LBB41_75:                              ; =>This Loop Header: Depth=1
                                        ;     Child Loop BB41_76 Depth 2
                                        ;     Child Loop BB41_78 Depth 2
	v_lshl_or_b32 v4, s4, 8, v2
	s_delay_alu instid0(VALU_DEP_2)
	v_mov_b32_e32 v5, v1
	s_cmp_le_i32 s26, s4
	s_mov_b32 s12, s10
	s_mov_b32 s13, s26
	ds_load_b32 v3, v4 offset:16384
	s_cbranch_scc1 .LBB41_77
.LBB41_76:                              ;   Parent Loop BB41_75 Depth=1
                                        ; =>  This Inner Loop Header: Depth=2
	v_mov_b32_e32 v6, s12
	s_add_i32 s13, s13, -1
	s_addk_i32 s12, 0xff00
	s_cmp_gt_i32 s13, s4
	ds_load_b32 v7, v5
	ds_load_b32 v6, v6
	v_add_nc_u32_e32 v5, 0xffffff00, v5
	s_waitcnt lgkmcnt(0)
	v_fma_f32 v3, -v7, v6, v3
	s_cbranch_scc1 .LBB41_76
.LBB41_77:                              ;   in Loop: Header=BB41_75 Depth=1
	s_mul_i32 s12, s4, 0x104
	v_add_nc_u32_e32 v6, 0x4000, v4
	v_mov_b32_e32 v4, s12
	s_lshl_b32 s13, s4, 8
	s_mov_b32 s18, s15
	s_addk_i32 s13, 0xff00
	s_cmp_lt_i32 s26, s4
	ds_load_b32 v7, v4
	v_lshl_or_b32 v5, v0, 2, s13
	s_mov_b32 s13, s11
	ds_load_b32 v4, v5 offset:16384
	s_waitcnt lgkmcnt(1)
	v_mul_f32_e32 v7, v7, v3
	v_mov_b32_e32 v3, v1
	ds_store_b32 v6, v7
	s_cbranch_scc1 .LBB41_74
.LBB41_78:                              ;   Parent Loop BB41_75 Depth=1
                                        ; =>  This Inner Loop Header: Depth=2
	v_mov_b32_e32 v6, s13
	s_add_i32 s18, s18, -1
	s_addk_i32 s13, 0xff00
	s_cmp_gt_i32 s18, s4
	ds_load_b32 v7, v3
	ds_load_b32 v6, v6
	v_add_nc_u32_e32 v3, 0xffffff00, v3
	s_waitcnt lgkmcnt(0)
	v_fma_f32 v4, -v7, v6, v4
	s_cbranch_scc1 .LBB41_78
	s_branch .LBB41_74
.LBB41_79:
	s_waitcnt lgkmcnt(0)
	s_barrier
	buffer_gl0_inv
	s_and_saveexec_b32 s4, s14
	s_cbranch_execz .LBB41_86
; %bb.80:
	s_cmp_lt_i32 s6, 8
	s_mov_b32 s4, 0
	s_cbranch_scc1 .LBB41_83
; %bb.81:
	v_mad_i64_i32 v[1:2], null, s16, v0, 0
	v_lshl_or_b32 v3, v0, 2, 0x4000
	s_lshl_b32 s4, s15, 2
	s_delay_alu instid0(VALU_DEP_2) | instskip(NEXT) | instid1(VALU_DEP_1)
	v_lshlrev_b64 v[1:2], 2, v[1:2]
	v_add_co_u32 v1, vcc_lo, s5, v1
	s_delay_alu instid0(VALU_DEP_2)
	v_add_co_ci_u32_e32 v2, vcc_lo, s7, v2, vcc_lo
	s_and_b32 s5, s4, 0x1e0
	s_mov_b32 s4, 0
	s_mov_b64 s[6:7], 0
	.p2align	6
.LBB41_82:                              ; =>This Inner Loop Header: Depth=1
	ds_load_2addr_stride64_b32 v[4:5], v3 offset1:1
	ds_load_2addr_stride64_b32 v[6:7], v3 offset0:2 offset1:3
	ds_load_2addr_stride64_b32 v[8:9], v3 offset0:4 offset1:5
	;; [unrolled: 1-line block ×3, first 2 shown]
	v_add_co_u32 v12, vcc_lo, v1, s6
	v_add_co_ci_u32_e32 v13, vcc_lo, s7, v2, vcc_lo
	s_add_i32 s4, s4, 8
	v_add_nc_u32_e32 v3, 0x800, v3
	s_add_u32 s6, s6, 32
	s_addc_u32 s7, s7, 0
	s_cmp_lg_u32 s5, s6
	s_waitcnt lgkmcnt(2)
	global_store_b128 v[12:13], v[4:7], off
	s_waitcnt lgkmcnt(0)
	global_store_b128 v[12:13], v[8:11], off offset:16
	s_cbranch_scc1 .LBB41_82
.LBB41_83:
	s_and_b32 s6, s15, 7
	s_mov_b32 s5, 0
	s_cmp_eq_u32 s6, 0
	s_cbranch_scc1 .LBB41_86
; %bb.84:
	v_lshlrev_b32_e32 v2, 2, v0
	s_lshl_b64 s[8:9], s[8:9], 2
	s_lshl_b64 s[10:11], s[4:5], 2
	s_delay_alu instid0(SALU_CYCLE_1) | instskip(NEXT) | instid1(VALU_DEP_1)
	s_add_u32 s2, s2, s10
	v_add_co_u32 v3, s5, s8, v2
	s_delay_alu instid0(VALU_DEP_1) | instskip(SKIP_3) | instid1(VALU_DEP_1)
	v_add_co_ci_u32_e64 v4, null, s9, 0, s5
	s_addc_u32 s3, s3, s11
	s_add_u32 s0, s2, s0
	s_addc_u32 s1, s3, s1
	v_mul_lo_u32 v4, v4, s16
	v_mad_u64_u32 v[0:1], null, v3, s16, s[0:1]
	v_mul_lo_u32 v3, v3, s17
	v_lshl_or_b32 v2, s4, 8, v2
	s_delay_alu instid0(VALU_DEP_1) | instskip(NEXT) | instid1(VALU_DEP_3)
	v_add_nc_u32_e32 v2, 0x4000, v2
	v_add3_u32 v1, v4, v1, v3
.LBB41_85:                              ; =>This Inner Loop Header: Depth=1
	ds_load_b32 v3, v2
	v_add_nc_u32_e32 v2, 0x100, v2
	s_add_i32 s6, s6, -1
	s_delay_alu instid0(SALU_CYCLE_1)
	s_cmp_lg_u32 s6, 0
	s_waitcnt lgkmcnt(0)
	global_store_b32 v[0:1], v3, off
	v_add_co_u32 v0, vcc_lo, v0, 4
	v_add_co_ci_u32_e32 v1, vcc_lo, 0, v1, vcc_lo
	s_cbranch_scc1 .LBB41_85
.LBB41_86:
	s_nop 0
	s_sendmsg sendmsg(MSG_DEALLOC_VGPRS)
	s_endpgm
	.section	.rodata,"a",@progbits
	.p2align	6, 0x0
	.amdhsa_kernel _ZL38rocblas_trsm_small_left_device_sharedBILi64ELi32ELb0EffPKPKfPKPfEv13rocblas_fill_18rocblas_operation_17rocblas_diagonal_iiT3_T4_lilT5_lili
		.amdhsa_group_segment_fixed_size 32768
		.amdhsa_private_segment_fixed_size 0
		.amdhsa_kernarg_size 352
		.amdhsa_user_sgpr_count 14
		.amdhsa_user_sgpr_dispatch_ptr 0
		.amdhsa_user_sgpr_queue_ptr 0
		.amdhsa_user_sgpr_kernarg_segment_ptr 1
		.amdhsa_user_sgpr_dispatch_id 0
		.amdhsa_user_sgpr_private_segment_size 0
		.amdhsa_wavefront_size32 1
		.amdhsa_uses_dynamic_stack 0
		.amdhsa_enable_private_segment 0
		.amdhsa_system_sgpr_workgroup_id_x 1
		.amdhsa_system_sgpr_workgroup_id_y 0
		.amdhsa_system_sgpr_workgroup_id_z 1
		.amdhsa_system_sgpr_workgroup_info 0
		.amdhsa_system_vgpr_workitem_id 0
		.amdhsa_next_free_vgpr 91
		.amdhsa_next_free_sgpr 52
		.amdhsa_reserve_vcc 1
		.amdhsa_float_round_mode_32 0
		.amdhsa_float_round_mode_16_64 0
		.amdhsa_float_denorm_mode_32 3
		.amdhsa_float_denorm_mode_16_64 3
		.amdhsa_dx10_clamp 1
		.amdhsa_ieee_mode 1
		.amdhsa_fp16_overflow 0
		.amdhsa_workgroup_processor_mode 1
		.amdhsa_memory_ordered 1
		.amdhsa_forward_progress 0
		.amdhsa_shared_vgpr_count 0
		.amdhsa_exception_fp_ieee_invalid_op 0
		.amdhsa_exception_fp_denorm_src 0
		.amdhsa_exception_fp_ieee_div_zero 0
		.amdhsa_exception_fp_ieee_overflow 0
		.amdhsa_exception_fp_ieee_underflow 0
		.amdhsa_exception_fp_ieee_inexact 0
		.amdhsa_exception_int_div_zero 0
	.end_amdhsa_kernel
	.section	.text._ZL38rocblas_trsm_small_left_device_sharedBILi64ELi32ELb0EffPKPKfPKPfEv13rocblas_fill_18rocblas_operation_17rocblas_diagonal_iiT3_T4_lilT5_lili,"axG",@progbits,_ZL38rocblas_trsm_small_left_device_sharedBILi64ELi32ELb0EffPKPKfPKPfEv13rocblas_fill_18rocblas_operation_17rocblas_diagonal_iiT3_T4_lilT5_lili,comdat
.Lfunc_end41:
	.size	_ZL38rocblas_trsm_small_left_device_sharedBILi64ELi32ELb0EffPKPKfPKPfEv13rocblas_fill_18rocblas_operation_17rocblas_diagonal_iiT3_T4_lilT5_lili, .Lfunc_end41-_ZL38rocblas_trsm_small_left_device_sharedBILi64ELi32ELb0EffPKPKfPKPfEv13rocblas_fill_18rocblas_operation_17rocblas_diagonal_iiT3_T4_lilT5_lili
                                        ; -- End function
	.section	.AMDGPU.csdata,"",@progbits
; Kernel info:
; codeLenInByte = 23892
; NumSgprs: 54
; NumVgprs: 91
; ScratchSize: 0
; MemoryBound: 0
; FloatMode: 240
; IeeeMode: 1
; LDSByteSize: 32768 bytes/workgroup (compile time only)
; SGPRBlocks: 6
; VGPRBlocks: 11
; NumSGPRsForWavesPerEU: 54
; NumVGPRsForWavesPerEU: 91
; Occupancy: 2
; WaveLimiterHint : 1
; COMPUTE_PGM_RSRC2:SCRATCH_EN: 0
; COMPUTE_PGM_RSRC2:USER_SGPR: 14
; COMPUTE_PGM_RSRC2:TRAP_HANDLER: 0
; COMPUTE_PGM_RSRC2:TGID_X_EN: 1
; COMPUTE_PGM_RSRC2:TGID_Y_EN: 0
; COMPUTE_PGM_RSRC2:TGID_Z_EN: 1
; COMPUTE_PGM_RSRC2:TIDIG_COMP_CNT: 0
	.section	.text._ZL30rocblas_trsm_small_left_deviceILi64ELi32ELb0EffPKPKfPKPfEv13rocblas_fill_18rocblas_operation_17rocblas_diagonal_iiT3_T4_lilT5_lili,"axG",@progbits,_ZL30rocblas_trsm_small_left_deviceILi64ELi32ELb0EffPKPKfPKPfEv13rocblas_fill_18rocblas_operation_17rocblas_diagonal_iiT3_T4_lilT5_lili,comdat
	.globl	_ZL30rocblas_trsm_small_left_deviceILi64ELi32ELb0EffPKPKfPKPfEv13rocblas_fill_18rocblas_operation_17rocblas_diagonal_iiT3_T4_lilT5_lili ; -- Begin function _ZL30rocblas_trsm_small_left_deviceILi64ELi32ELb0EffPKPKfPKPfEv13rocblas_fill_18rocblas_operation_17rocblas_diagonal_iiT3_T4_lilT5_lili
	.p2align	8
	.type	_ZL30rocblas_trsm_small_left_deviceILi64ELi32ELb0EffPKPKfPKPfEv13rocblas_fill_18rocblas_operation_17rocblas_diagonal_iiT3_T4_lilT5_lili,@function
_ZL30rocblas_trsm_small_left_deviceILi64ELi32ELb0EffPKPKfPKPfEv13rocblas_fill_18rocblas_operation_17rocblas_diagonal_iiT3_T4_lilT5_lili: ; @_ZL30rocblas_trsm_small_left_deviceILi64ELi32ELb0EffPKPKfPKPfEv13rocblas_fill_18rocblas_operation_17rocblas_diagonal_iiT3_T4_lilT5_lili
; %bb.0:
	s_clause 0x1
	s_load_b128 s[8:11], s[0:1], 0x38
	s_load_b128 s[4:7], s[0:1], 0x4
	s_mov_b32 s2, s15
	s_mov_b32 s3, 0
	s_mov_b32 s27, exec_lo
	s_lshl_b64 s[20:21], s[2:3], 3
	s_waitcnt lgkmcnt(0)
	s_add_u32 s8, s8, s20
	s_addc_u32 s9, s9, s21
	s_load_b32 s15, s[0:1], 0x14
	s_load_b64 s[8:9], s[8:9], 0x0
	s_min_i32 s26, s6, 64
	s_delay_alu instid0(SALU_CYCLE_1)
	s_add_i32 s2, s26, -1
	v_cmpx_gt_i32_e64 s26, v0
	s_cbranch_execz .LBB42_10
; %bb.1:
	s_clause 0x1
	s_load_b32 s12, s[0:1], 0x28
	s_load_b128 s[16:19], s[0:1], 0x18
	v_lshlrev_b32_e32 v3, 2, v0
	s_waitcnt lgkmcnt(0)
	s_ashr_i32 s13, s12, 31
	s_add_u32 s16, s16, s20
	s_addc_u32 s17, s17, s21
	s_cmp_lt_u32 s2, 3
	s_load_b64 s[16:17], s[16:17], 0x0
	s_cbranch_scc1 .LBB42_4
; %bb.2:
	s_lshl_b64 s[20:21], s[18:19], 2
	v_mov_b32_e32 v4, v3
	s_waitcnt lgkmcnt(0)
	s_add_u32 s3, s16, s20
	s_addc_u32 s20, s17, s21
	v_add_co_u32 v1, s3, s3, v3
	s_delay_alu instid0(VALU_DEP_1)
	v_add_co_ci_u32_e64 v2, null, s20, 0, s3
	s_and_b32 s3, s26, -4
	s_mul_hi_i32 s28, s12, 12
	s_mul_i32 s29, s12, 12
	s_lshl_b64 s[20:21], s[12:13], 4
	s_lshl_b64 s[22:23], s[12:13], 3
	;; [unrolled: 1-line block ×3, first 2 shown]
	s_mov_b32 s30, 0
	.p2align	6
.LBB42_3:                               ; =>This Inner Loop Header: Depth=1
	v_add_co_u32 v5, vcc_lo, v1, s24
	v_add_co_ci_u32_e32 v6, vcc_lo, s25, v2, vcc_lo
	v_add_co_u32 v7, vcc_lo, v1, s22
	v_add_co_ci_u32_e32 v8, vcc_lo, s23, v2, vcc_lo
	;; [unrolled: 2-line block ×3, first 2 shown]
	s_clause 0x3
	global_load_b32 v11, v[1:2], off
	global_load_b32 v5, v[5:6], off
	;; [unrolled: 1-line block ×4, first 2 shown]
	v_add_co_u32 v1, vcc_lo, v1, s20
	v_add_co_ci_u32_e32 v2, vcc_lo, s21, v2, vcc_lo
	s_add_i32 s30, s30, 4
	s_waitcnt vmcnt(2)
	ds_store_2addr_stride64_b32 v4, v11, v5 offset1:1
	s_waitcnt vmcnt(0)
	ds_store_2addr_stride64_b32 v4, v6, v7 offset0:2 offset1:3
	v_add_nc_u32_e32 v4, 0x400, v4
	s_cmp_eq_u32 s3, s30
	s_cbranch_scc0 .LBB42_3
.LBB42_4:
	s_and_b32 s20, s26, 3
	s_delay_alu instid0(SALU_CYCLE_1)
	s_cmp_eq_u32 s20, 0
	s_cbranch_scc1 .LBB42_7
; %bb.5:
	s_mul_i32 s21, s13, s3
	s_mul_hi_u32 s23, s12, s3
	s_mul_i32 s22, s12, s3
	s_add_i32 s23, s23, s21
	s_lshl_b64 s[18:19], s[18:19], 2
	s_lshl_b64 s[22:23], s[22:23], 2
	v_lshl_or_b32 v4, s3, 8, v3
	s_add_u32 s3, s22, s18
	s_addc_u32 s18, s23, s19
	s_waitcnt lgkmcnt(0)
	s_add_u32 s3, s16, s3
	s_addc_u32 s16, s17, s18
	v_add_co_u32 v1, s3, s3, v3
	s_delay_alu instid0(VALU_DEP_1)
	v_add_co_ci_u32_e64 v2, null, s16, 0, s3
	s_lshl_b64 s[12:13], s[12:13], 2
.LBB42_6:                               ; =>This Inner Loop Header: Depth=1
	global_load_b32 v3, v[1:2], off
	v_add_co_u32 v1, vcc_lo, v1, s12
	v_add_co_ci_u32_e32 v2, vcc_lo, s13, v2, vcc_lo
	s_add_i32 s20, s20, -1
	s_delay_alu instid0(SALU_CYCLE_1)
	s_cmp_lg_u32 s20, 0
	s_waitcnt vmcnt(0)
	ds_store_b32 v4, v3
	v_add_nc_u32_e32 v4, 0x100, v4
	s_cbranch_scc1 .LBB42_6
.LBB42_7:
	v_mul_u32_u24_e32 v1, 0x41, v0
	s_cmpk_lg_i32 s5, 0x84
	s_delay_alu instid0(VALU_DEP_1)
	v_dual_mov_b32 v2, 1.0 :: v_dual_lshlrev_b32 v1, 2, v1
	s_cbranch_scc0 .LBB42_9
; %bb.8:
	ds_load_b32 v2, v1
	s_waitcnt lgkmcnt(0)
	v_div_scale_f32 v3, null, v2, v2, 1.0
	s_delay_alu instid0(VALU_DEP_1) | instskip(SKIP_2) | instid1(VALU_DEP_1)
	v_rcp_f32_e32 v4, v3
	s_waitcnt_depctr 0xfff
	v_fma_f32 v5, -v3, v4, 1.0
	v_fmac_f32_e32 v4, v5, v4
	v_div_scale_f32 v5, vcc_lo, 1.0, v2, 1.0
	s_delay_alu instid0(VALU_DEP_1) | instskip(NEXT) | instid1(VALU_DEP_1)
	v_mul_f32_e32 v6, v5, v4
	v_fma_f32 v7, -v3, v6, v5
	s_delay_alu instid0(VALU_DEP_1) | instskip(NEXT) | instid1(VALU_DEP_1)
	v_fmac_f32_e32 v6, v7, v4
	v_fma_f32 v3, -v3, v6, v5
	s_delay_alu instid0(VALU_DEP_1) | instskip(NEXT) | instid1(VALU_DEP_1)
	v_div_fmas_f32 v3, v3, v4, v6
	v_div_fixup_f32 v2, v3, v2, 1.0
.LBB42_9:
	ds_store_b32 v1, v2
.LBB42_10:
	s_or_b32 exec_lo, exec_lo, s27
	s_load_b32 s3, s[0:1], 0x60
	s_lshl_b32 s5, s14, 6
	s_waitcnt lgkmcnt(0)
	s_sub_i32 s7, s7, s5
	s_barrier
	buffer_gl0_inv
	s_add_i32 s3, s3, -1
	s_delay_alu instid0(SALU_CYCLE_1) | instskip(SKIP_1) | instid1(SALU_CYCLE_1)
	s_cmp_ge_u32 s14, s3
	s_cselect_b32 s3, s7, 64
	v_cmp_gt_i32_e32 vcc_lo, s3, v0
	s_mov_b32 s3, -1
	s_and_saveexec_b32 s7, vcc_lo
	s_cbranch_execz .LBB42_77
; %bb.11:
	s_load_b32 s0, s[0:1], 0x48
	v_add_nc_u32_e32 v2, s5, v0
	s_waitcnt lgkmcnt(0)
	s_delay_alu instid0(VALU_DEP_1) | instskip(SKIP_1) | instid1(SALU_CYCLE_1)
	v_mad_i64_i32 v[0:1], null, s0, v2, 0
	s_lshl_b64 s[0:1], s[10:11], 2
	s_add_u32 s5, s8, s0
	s_addc_u32 s7, s9, s1
	s_cmpk_eq_i32 s4, 0x6f
	s_delay_alu instid0(VALU_DEP_1) | instskip(NEXT) | instid1(VALU_DEP_1)
	v_lshlrev_b64 v[41:42], 2, v[0:1]
	v_add_co_u32 v39, vcc_lo, s5, v41
	s_delay_alu instid0(VALU_DEP_2)
	v_add_co_ci_u32_e32 v40, vcc_lo, s7, v42, vcc_lo
	s_cbranch_scc1 .LBB42_45
; %bb.12:
	s_cmp_lt_i32 s6, 32
	s_mov_b32 s10, 0
	s_cbranch_scc1 .LBB42_19
; %bb.13:
	s_mov_b32 s5, 0
	s_mov_b32 s4, 0
	;; [unrolled: 1-line block ×3, first 2 shown]
.LBB42_14:                              ; =>This Loop Header: Depth=1
                                        ;     Child Loop BB42_16 Depth 2
	s_lshl_b64 s[10:11], s[4:5], 2
	s_cmp_eq_u32 s4, 0
	v_add_co_u32 v43, vcc_lo, v39, s10
	v_add_co_ci_u32_e32 v44, vcc_lo, s11, v40, vcc_lo
	s_clause 0x7
	global_load_b128 v[0:3], v[43:44], off
	global_load_b128 v[4:7], v[43:44], off offset:16
	global_load_b128 v[18:21], v[43:44], off offset:32
	;; [unrolled: 1-line block ×7, first 2 shown]
	s_waitcnt vmcnt(7)
	v_dual_mul_f32 v17, s15, v0 :: v_dual_mul_f32 v16, s15, v1
	v_dual_mul_f32 v14, s15, v2 :: v_dual_mul_f32 v13, s15, v3
	s_waitcnt vmcnt(6)
	v_dual_mul_f32 v2, s15, v4 :: v_dual_mul_f32 v9, s15, v5
	v_dual_mul_f32 v11, s15, v6 :: v_dual_mul_f32 v12, s15, v7
	;; [unrolled: 3-line block ×5, first 2 shown]
	s_waitcnt vmcnt(2)
	v_dual_mul_f32 v59, s15, v30 :: v_dual_mul_f32 v58, s15, v31
	s_waitcnt vmcnt(1)
	v_dual_mul_f32 v57, s15, v32 :: v_dual_mul_f32 v54, s15, v34
	v_dual_mul_f32 v55, s15, v33 :: v_dual_mul_f32 v52, s15, v36
	s_waitcnt vmcnt(0)
	v_dual_mul_f32 v53, s15, v35 :: v_dual_mul_f32 v50, s15, v64
	v_dual_mul_f32 v51, s15, v37 :: v_dual_mul_f32 v48, s15, v66
	v_mul_f32_e32 v49, s15, v65
	v_mul_f32_e32 v47, s15, v67
	s_cbranch_scc1 .LBB42_17
; %bb.15:                               ;   in Loop: Header=BB42_14 Depth=1
	v_dual_mov_b32 v0, v39 :: v_dual_mov_b32 v1, v40
	s_mov_b32 s7, 0
	s_mov_b32 s10, s3
.LBB42_16:                              ;   Parent Loop BB42_14 Depth=1
                                        ; =>  This Inner Loop Header: Depth=2
	global_load_b32 v38, v[0:1], off
	v_mov_b32_e32 v56, s10
	v_add_co_u32 v0, vcc_lo, v0, 4
	v_add_co_ci_u32_e32 v1, vcc_lo, 0, v1, vcc_lo
	ds_load_2addr_stride64_b32 v[18:19], v56 offset1:1
	ds_load_2addr_stride64_b32 v[20:21], v56 offset0:2 offset1:3
	ds_load_2addr_stride64_b32 v[22:23], v56 offset0:4 offset1:5
	;; [unrolled: 1-line block ×15, first 2 shown]
	s_add_i32 s7, s7, 1
	s_add_i32 s10, s10, 4
	s_cmp_lt_u32 s7, s4
	s_waitcnt vmcnt(0) lgkmcnt(15)
	v_fma_f32 v17, -v38, v18, v17
	v_fma_f32 v16, -v38, v19, v16
	s_waitcnt lgkmcnt(14)
	v_fma_f32 v14, -v38, v20, v14
	v_fma_f32 v13, -v38, v21, v13
	s_waitcnt lgkmcnt(13)
	;; [unrolled: 3-line block ×15, first 2 shown]
	v_fma_f32 v48, -v38, v72, v48
	v_fma_f32 v47, -v38, v73, v47
	s_cbranch_scc1 .LBB42_16
.LBB42_17:                              ;   in Loop: Header=BB42_14 Depth=1
	s_lshl_b32 s7, s4, 6
	s_mul_i32 s10, s4, 0x104
	s_add_i32 s7, s4, s7
	v_add_nc_u32_e64 v1, 0x400, s10
	s_lshl_b32 s7, s7, 2
	v_add_nc_u32_e64 v22, 0x600, s10
	v_mov_b32_e32 v56, s7
	v_add_nc_u32_e64 v23, 0x800, s10
	v_add_nc_u32_e64 v38, 0xa00, s10
	s_or_b32 s11, s4, 16
	s_addk_i32 s3, 0x2000
	ds_load_2addr_b64 v[18:21], v56 offset0:32 offset1:162
	v_mov_b32_e32 v0, s10
	s_lshl_b32 s12, s11, 6
	s_delay_alu instid0(SALU_CYCLE_1)
	s_add_i32 s12, s12, s4
	ds_load_b32 v0, v0
	ds_load_2addr_b32 v[45:46], v1 offset0:4 offset1:134
	ds_load_2addr_b32 v[123:124], v22 offset0:71 offset1:136
	ds_load_b96 v[114:116], v56 offset:512
	ds_load_2addr_b32 v[125:126], v23 offset0:73 offset1:138
	ds_load_b128 v[22:25], v56 offset:768
	ds_load_b128 v[26:29], v56 offset:1024
	;; [unrolled: 1-line block ×4, first 2 shown]
	ds_load_b64 v[127:128], v56 offset:1552
	ds_load_b128 v[64:67], v56 offset:1792
	ds_load_b96 v[117:119], v56 offset:1808
	ds_load_b128 v[68:71], v56 offset:2048
	s_lshl_b32 s12, s12, 2
	s_waitcnt lgkmcnt(12)
	v_mul_f32_e32 v0, v0, v17
	s_delay_alu instid0(VALU_DEP_1)
	v_fma_f32 v1, -v0, v18, v16
	s_waitcnt lgkmcnt(9)
	v_fma_f32 v14, -v0, v114, v14
	s_waitcnt lgkmcnt(7)
	;; [unrolled: 2-line block ×4, first 2 shown]
	v_fma_f32 v9, -v0, v30, v9
	v_mul_f32_e32 v1, v19, v1
	s_waitcnt lgkmcnt(4)
	v_fma_f32 v11, -v0, v34, v11
	s_waitcnt lgkmcnt(2)
	v_fma_f32 v12, -v0, v64, v12
	v_mov_b32_e32 v64, s12
	v_fma_f32 v14, -v1, v115, v14
	v_fma_f32 v13, -v1, v23, v13
	;; [unrolled: 1-line block ×5, first 2 shown]
	v_mul_f32_e32 v2, v116, v14
	v_fma_f32 v14, -v1, v27, v22
	s_waitcnt lgkmcnt(0)
	v_fma_f32 v22, -v0, v68, v3
	s_delay_alu instid0(VALU_DEP_3) | instskip(NEXT) | instid1(VALU_DEP_3)
	v_fma_f32 v13, -v2, v24, v13
	v_fma_f32 v14, -v2, v28, v14
	v_fma_f32 v9, -v2, v32, v9
	s_delay_alu instid0(VALU_DEP_3)
	v_mul_f32_e32 v3, v25, v13
	ds_load_b128 v[72:75], v56 offset:2064
	ds_load_b128 v[76:79], v56 offset:2304
	;; [unrolled: 1-line block ×3, first 2 shown]
	ds_load_b32 v131, v56 offset:2336
	ds_load_b128 v[84:87], v56 offset:2560
	ds_load_b128 v[88:91], v56 offset:2576
	ds_load_b64 v[129:130], v56 offset:2592
	ds_load_b128 v[92:95], v56 offset:2816
	ds_load_b128 v[16:19], v56 offset:2832
	ds_load_b96 v[120:122], v56 offset:2848
	ds_load_b128 v[96:99], v56 offset:3072
	ds_load_b128 v[100:103], v56 offset:3088
	;; [unrolled: 1-line block ×5, first 2 shown]
	v_fma_f32 v13, -v3, v29, v14
	v_fma_f32 v9, -v3, v33, v9
	ds_load_b128 v[25:28], v56 offset:3840
	s_waitcnt lgkmcnt(11)
	v_fma_f32 v6, -v0, v84, v6
	s_waitcnt lgkmcnt(5)
	v_fma_f32 v14, -v0, v96, v4
	v_mul_f32_e32 v4, v45, v13
	s_waitcnt lgkmcnt(2)
	v_fma_f32 v13, -v0, v108, v5
	v_fma_f32 v5, -v1, v69, v22
	;; [unrolled: 1-line block ×7, first 2 shown]
	s_delay_alu instid0(VALU_DEP_4) | instskip(NEXT) | instid1(VALU_DEP_4)
	v_fma_f32 v7, -v1, v93, v7
	v_mul_f32_e32 v5, v21, v9
	v_fma_f32 v11, -v2, v36, v11
	v_fma_f32 v12, -v2, v66, v12
	;; [unrolled: 1-line block ×4, first 2 shown]
	ds_load_b128 v[21:24], v56 offset:3344
	v_fma_f32 v11, -v3, v37, v11
	v_fma_f32 v12, -v3, v67, v12
	;; [unrolled: 1-line block ×4, first 2 shown]
	s_delay_alu instid0(VALU_DEP_4) | instskip(NEXT) | instid1(VALU_DEP_4)
	v_fma_f32 v11, -v4, v127, v11
	v_fma_f32 v12, -v4, v117, v12
	s_delay_alu instid0(VALU_DEP_4) | instskip(NEXT) | instid1(VALU_DEP_3)
	v_fma_f32 v9, -v5, v73, v9
	v_fma_f32 v11, -v5, v128, v11
	s_delay_alu instid0(VALU_DEP_3) | instskip(NEXT) | instid1(VALU_DEP_2)
	v_fma_f32 v12, -v5, v118, v12
	v_mul_f32_e32 v6, v46, v11
	v_fma_f32 v11, -v3, v87, v20
	v_fma_f32 v20, -v2, v94, v7
	s_delay_alu instid0(VALU_DEP_3) | instskip(SKIP_1) | instid1(VALU_DEP_4)
	v_fma_f32 v12, -v6, v119, v12
	v_fma_f32 v9, -v6, v74, v9
	;; [unrolled: 1-line block ×3, first 2 shown]
	s_delay_alu instid0(VALU_DEP_3)
	v_mul_f32_e32 v7, v123, v12
	v_fma_f32 v8, -v0, v76, v8
	v_fma_f32 v12, -v1, v97, v14
	v_fma_f32 v14, -v3, v95, v20
	v_fma_f32 v11, -v5, v89, v11
	v_fma_f32 v9, -v7, v75, v9
	v_fma_f32 v8, -v1, v77, v8
	v_fma_f32 v12, -v2, v98, v12
	v_fma_f32 v14, -v4, v16, v14
	s_waitcnt lgkmcnt(1)
	v_fma_f32 v15, -v0, v25, v15
	v_fma_f32 v8, -v2, v78, v8
	s_delay_alu instid0(VALU_DEP_2) | instskip(NEXT) | instid1(VALU_DEP_2)
	v_fma_f32 v25, -v1, v26, v15
	v_fma_f32 v8, -v3, v79, v8
	s_delay_alu instid0(VALU_DEP_2) | instskip(NEXT) | instid1(VALU_DEP_2)
	;; [unrolled: 3-line block ×3, first 2 shown]
	v_fma_f32 v25, -v3, v28, v25
	v_fma_f32 v8, -v5, v81, v8
	s_delay_alu instid0(VALU_DEP_1) | instskip(NEXT) | instid1(VALU_DEP_1)
	v_fma_f32 v8, -v6, v82, v8
	v_fma_f32 v16, -v7, v83, v8
	v_mul_f32_e32 v8, v124, v9
	v_fma_f32 v9, -v3, v99, v12
	v_fma_f32 v12, -v5, v17, v14
	;; [unrolled: 1-line block ×3, first 2 shown]
	s_delay_alu instid0(VALU_DEP_4) | instskip(NEXT) | instid1(VALU_DEP_4)
	v_fma_f32 v14, -v8, v131, v16
	v_fma_f32 v16, -v4, v100, v9
	s_waitcnt lgkmcnt(0)
	s_delay_alu instid0(VALU_DEP_3) | instskip(NEXT) | instid1(VALU_DEP_3)
	v_fma_f32 v17, -v4, v21, v17
	v_mul_f32_e32 v9, v125, v14
	v_fma_f32 v11, -v6, v90, v11
	v_fma_f32 v12, -v6, v18, v12
	;; [unrolled: 1-line block ×17, first 2 shown]
	s_delay_alu instid0(VALU_DEP_4) | instskip(NEXT) | instid1(VALU_DEP_3)
	v_fma_f32 v23, -v3, v115, v16
	v_mul_f32_e32 v10, v126, v11
	ds_load_b128 v[11:14], v56 offset:3360
	ds_load_b128 v[34:37], v56 offset:3600
	ds_load_2addr_b32 v[45:46], v38 offset0:75 offset1:140
	ds_load_b128 v[15:18], v56 offset:3616
	v_fma_f32 v26, -v10, v122, v29
	s_waitcnt lgkmcnt(3)
	v_fma_f32 v24, -v8, v11, v24
	s_waitcnt lgkmcnt(2)
	v_fma_f32 v23, -v4, v34, v23
	ds_load_b128 v[31:34], v64
	s_waitcnt lgkmcnt(2)
	v_mul_f32_e32 v11, v45, v26
	v_fma_f32 v30, -v8, v104, v19
	ds_load_b128 v[19:22], v56 offset:3856
	v_fma_f32 v23, -v5, v35, v23
	v_fma_f32 v24, -v9, v12, v24
	;; [unrolled: 1-line block ×3, first 2 shown]
	s_delay_alu instid0(VALU_DEP_3) | instskip(NEXT) | instid1(VALU_DEP_3)
	v_fma_f32 v23, -v6, v36, v23
	v_fma_f32 v13, -v10, v13, v24
	s_delay_alu instid0(VALU_DEP_3) | instskip(NEXT) | instid1(VALU_DEP_3)
	v_fma_f32 v26, -v10, v106, v27
	v_fma_f32 v45, -v7, v37, v23
	;; [unrolled: 3-line block ×3, first 2 shown]
	s_waitcnt lgkmcnt(2)
	s_delay_alu instid0(VALU_DEP_3)
	v_fma_f32 v15, -v8, v15, v45
	s_waitcnt lgkmcnt(1)
	v_fma_f32 v31, -v0, v31, v63
	v_add_nc_u32_e64 v63, 0xc00, s10
	s_mul_i32 s10, s11, 0x104
	s_waitcnt lgkmcnt(0)
	v_fma_f32 v25, -v4, v19, v25
	ds_load_b128 v[27:30], v56 offset:3872
	ds_load_b32 v19, v56 offset:3376
	v_fma_f32 v31, -v1, v32, v31
	v_fma_f32 v15, -v9, v16, v15
	s_or_b32 s11, s4, 20
	v_fma_f32 v20, -v5, v20, v25
	ds_load_b128 v[23:26], v64 offset:16
	ds_load_b128 v[35:38], v56 offset:8048
	ds_load_2addr_b32 v[77:78], v63 offset0:77 offset1:142
	v_fma_f32 v16, -v2, v33, v31
	ds_load_b128 v[69:72], v56 offset:3888
	ds_load_b128 v[73:76], v56 offset:4352
	v_fma_f32 v20, -v6, v21, v20
	v_add_nc_u32_e64 v21, 0xc00, s7
	v_fma_f32 v16, -v3, v34, v16
	ds_load_b128 v[31:34], v64 offset:32
	s_lshl_b32 s12, s11, 6
	v_fma_f32 v20, -v7, v22, v20
	ds_load_2addr_b64 v[65:68], v21 offset0:70 offset1:168
	v_mul_f32_e32 v12, v46, v12
	s_add_i32 s12, s12, s4
	s_waitcnt lgkmcnt(8)
	v_fma_f32 v20, -v8, v27, v20
	s_lshl_b32 s12, s12, 2
	s_waitcnt lgkmcnt(7)
	v_fma_f32 v13, -v12, v19, v13
	s_waitcnt lgkmcnt(4)
	s_delay_alu instid0(VALU_DEP_1) | instskip(SKIP_2) | instid1(VALU_DEP_2)
	v_dual_mov_b32 v46, s12 :: v_dual_mul_f32 v13, v77, v13
	v_fma_f32 v14, -v10, v17, v15
	v_fma_f32 v15, -v9, v28, v20
	;; [unrolled: 1-line block ×3, first 2 shown]
	s_delay_alu instid0(VALU_DEP_2) | instskip(SKIP_1) | instid1(VALU_DEP_2)
	v_fma_f32 v15, -v10, v29, v15
	s_waitcnt lgkmcnt(0)
	v_fma_f32 v14, -v12, v65, v14
	v_mov_b32_e32 v65, s10
	v_fma_f32 v16, -v4, v23, v16
	v_fma_f32 v23, -v11, v30, v15
	s_mul_i32 s10, s11, 0x104
	v_fma_f32 v14, -v13, v66, v14
	s_or_b32 s11, s4, 24
	v_fma_f32 v16, -v5, v24, v16
	v_fma_f32 v23, -v12, v69, v23
	s_lshl_b32 s12, s11, 6
	v_mul_f32_e32 v14, v78, v14
	s_add_i32 s12, s12, s4
	v_fma_f32 v24, -v6, v25, v16
	ds_load_b128 v[15:18], v56 offset:4368
	ds_load_b128 v[19:22], v56 offset:4608
	v_fma_f32 v25, -v0, v73, v62
	v_fma_f32 v23, -v13, v70, v23
	;; [unrolled: 1-line block ×3, first 2 shown]
	s_delay_alu instid0(VALU_DEP_3) | instskip(NEXT) | instid1(VALU_DEP_3)
	v_fma_f32 v25, -v1, v74, v25
	v_fma_f32 v45, -v14, v71, v23
	s_delay_alu instid0(VALU_DEP_3) | instskip(NEXT) | instid1(VALU_DEP_3)
	v_fma_f32 v24, -v8, v31, v24
	v_fma_f32 v25, -v2, v75, v25
	s_delay_alu instid0(VALU_DEP_2) | instskip(NEXT) | instid1(VALU_DEP_2)
	v_fma_f32 v31, -v9, v32, v24
	v_fma_f32 v32, -v3, v76, v25
	ds_load_b128 v[23:26], v56 offset:4624
	ds_load_b96 v[85:87], v56 offset:4672
	ds_load_b128 v[27:30], v56 offset:4864
	v_fma_f32 v31, -v10, v33, v31
	s_waitcnt lgkmcnt(3)
	v_fma_f32 v19, -v0, v19, v61
	v_fma_f32 v15, -v4, v15, v32
	ds_load_b128 v[61:64], v64 offset:48
	ds_load_b128 v[73:76], v56 offset:4384
	;; [unrolled: 1-line block ×4, first 2 shown]
	v_fma_f32 v19, -v1, v20, v19
	v_fma_f32 v15, -v5, v16, v15
	;; [unrolled: 1-line block ×3, first 2 shown]
	ds_load_b128 v[31:34], v56 offset:4880
	ds_load_b32 v65, v65
	v_fma_f32 v19, -v2, v21, v19
	v_fma_f32 v15, -v6, v17, v15
	s_delay_alu instid0(VALU_DEP_2)
	v_fma_f32 v66, -v3, v22, v19
	ds_load_b128 v[19:22], v46
	s_waitcnt lgkmcnt(7)
	v_fma_f32 v17, -v0, v27, v60
	v_fma_f32 v15, -v7, v18, v15
	;; [unrolled: 1-line block ×3, first 2 shown]
	s_waitcnt lgkmcnt(6)
	v_fma_f32 v16, -v12, v61, v16
	v_fma_f32 v17, -v1, v28, v17
	s_delay_alu instid0(VALU_DEP_3) | instskip(SKIP_2) | instid1(VALU_DEP_3)
	v_fma_f32 v18, -v5, v24, v23
	s_waitcnt lgkmcnt(5)
	v_fma_f32 v23, -v8, v73, v15
	v_fma_f32 v17, -v2, v29, v17
	v_mul_f32_e32 v15, v72, v45
	v_fma_f32 v45, -v13, v62, v16
	v_fma_f32 v18, -v6, v25, v18
	;; [unrolled: 1-line block ×4, first 2 shown]
	s_delay_alu instid0(VALU_DEP_3)
	v_fma_f32 v60, -v7, v26, v18
	ds_load_b128 v[23:26], v46 offset:16
	s_waitcnt lgkmcnt(1)
	v_fma_f32 v59, -v0, v19, v59
	ds_load_b128 v[16:19], v56 offset:4896
	v_fma_f32 v31, -v4, v31, v28
	v_fma_f32 v66, -v10, v75, v27
	ds_load_b128 v[27:30], v56 offset:4656
	v_fma_f32 v20, -v1, v20, v59
	v_fma_f32 v69, -v8, v77, v60
	;; [unrolled: 1-line block ×3, first 2 shown]
	ds_load_b128 v[59:62], v56 offset:5376
	v_fma_f32 v32, -v14, v63, v45
	v_fma_f32 v20, -v2, v21, v20
	;; [unrolled: 1-line block ×9, first 2 shown]
	ds_load_b128 v[31:34], v46 offset:32
	v_fma_f32 v21, -v12, v81, v21
	s_waitcnt lgkmcnt(4)
	v_fma_f32 v23, -v4, v23, v20
	v_mul_f32_e32 v20, v65, v63
	s_waitcnt lgkmcnt(3)
	v_fma_f32 v16, -v8, v16, v45
	v_fma_f32 v70, -v11, v80, v22
	;; [unrolled: 1-line block ×4, first 2 shown]
	ds_load_b128 v[21:24], v56 offset:4912
	ds_load_b128 v[63:66], v56 offset:5392
	v_fma_f32 v16, -v9, v17, v16
	s_waitcnt lgkmcnt(3)
	v_fma_f32 v58, -v0, v59, v58
	v_fma_f32 v59, -v14, v83, v69
	;; [unrolled: 1-line block ×4, first 2 shown]
	s_delay_alu instid0(VALU_DEP_4) | instskip(NEXT) | instid1(VALU_DEP_4)
	v_fma_f32 v17, -v1, v60, v58
	v_fma_f32 v45, -v15, v84, v59
	s_delay_alu instid0(VALU_DEP_4) | instskip(NEXT) | instid1(VALU_DEP_4)
	v_fma_f32 v58, -v7, v26, v25
	v_fma_f32 v69, -v11, v19, v16
	s_delay_alu instid0(VALU_DEP_4) | instskip(SKIP_1) | instid1(VALU_DEP_3)
	v_fma_f32 v17, -v2, v61, v17
	s_waitcnt lgkmcnt(2)
	v_fma_f32 v31, -v8, v31, v58
	s_delay_alu instid0(VALU_DEP_2)
	v_fma_f32 v62, -v3, v62, v17
	ds_load_b128 v[16:19], v56 offset:4928
	v_fma_f32 v31, -v9, v32, v31
	s_waitcnt lgkmcnt(2)
	v_fma_f32 v21, -v12, v21, v69
	s_waitcnt lgkmcnt(1)
	v_fma_f32 v32, -v4, v63, v62
	v_fma_f32 v31, -v10, v33, v31
	;; [unrolled: 1-line block ×4, first 2 shown]
	s_delay_alu instid0(VALU_DEP_3) | instskip(NEXT) | instid1(VALU_DEP_3)
	v_fma_f32 v31, -v11, v34, v31
	v_mul_f32_e32 v21, v68, v33
	v_fma_f32 v27, -v12, v27, v70
	ds_load_b128 v[69:72], v56 offset:5408
	v_fma_f32 v22, -v14, v23, v22
	v_fma_f32 v59, -v13, v28, v27
	ds_load_b128 v[25:28], v46 offset:48
	v_fma_f32 v34, -v15, v24, v22
	v_fma_f32 v29, -v14, v29, v59
	ds_load_b128 v[58:61], v56 offset:5632
	s_waitcnt lgkmcnt(3)
	v_fma_f32 v16, -v20, v16, v34
	v_fma_f32 v29, -v15, v30, v29
	;; [unrolled: 1-line block ×3, first 2 shown]
	s_delay_alu instid0(VALU_DEP_3) | instskip(NEXT) | instid1(VALU_DEP_3)
	v_fma_f32 v16, -v21, v17, v16
	v_fma_f32 v33, -v20, v85, v29
	s_delay_alu instid0(VALU_DEP_3) | instskip(NEXT) | instid1(VALU_DEP_2)
	v_fma_f32 v23, -v6, v65, v30
	v_fma_f32 v33, -v21, v86, v33
	s_waitcnt lgkmcnt(1)
	v_fma_f32 v25, -v12, v25, v31
	s_delay_alu instid0(VALU_DEP_3)
	v_fma_f32 v22, -v7, v66, v23
	ds_load_b128 v[29:32], v56 offset:5440
	s_waitcnt lgkmcnt(1)
	v_fma_f32 v57, -v0, v58, v57
	v_fma_f32 v45, -v13, v26, v25
	ds_load_b128 v[23:26], v56 offset:5648
	ds_load_b128 v[62:65], v56 offset:5424
	v_fma_f32 v58, -v8, v69, v22
	v_mul_f32_e32 v22, v87, v33
	v_fma_f32 v33, -v1, v59, v57
	v_fma_f32 v27, -v14, v27, v45
	ds_load_b96 v[89:91], v56 offset:5712
	ds_load_b128 v[66:69], v56 offset:5888
	v_fma_f32 v34, -v9, v70, v58
	ds_load_b128 v[74:77], v56 offset:5904
	v_fma_f32 v33, -v2, v60, v33
	v_fma_f32 v27, -v15, v28, v27
	ds_load_b128 v[57:60], v46 offset:64
	v_fma_f32 v17, -v10, v71, v34
	v_fma_f32 v16, -v22, v18, v16
	;; [unrolled: 1-line block ×3, first 2 shown]
	s_delay_alu instid0(VALU_DEP_3)
	v_fma_f32 v17, -v11, v72, v17
	ds_load_b128 v[70:73], v56 offset:5664
	s_waitcnt lgkmcnt(6)
	v_fma_f32 v23, -v4, v23, v28
	v_mov_b32_e32 v28, s10
	s_lshl_b32 s10, s12, 2
	s_waitcnt lgkmcnt(5)
	v_fma_f32 v17, -v12, v62, v17
	v_mov_b32_e32 v33, s10
	v_fma_f32 v23, -v5, v24, v23
	s_waitcnt lgkmcnt(3)
	v_fma_f32 v24, -v0, v66, v55
	ds_load_b128 v[78:81], v33
	ds_load_b32 v34, v28
	v_fma_f32 v23, -v6, v25, v23
	v_fma_f32 v17, -v13, v63, v17
	s_waitcnt lgkmcnt(3)
	v_fma_f32 v25, -v20, v57, v27
	v_fma_f32 v24, -v1, v67, v24
	;; [unrolled: 1-line block ×4, first 2 shown]
	s_delay_alu instid0(VALU_DEP_4) | instskip(NEXT) | instid1(VALU_DEP_4)
	v_fma_f32 v18, -v21, v58, v25
	v_fma_f32 v28, -v2, v68, v24
	ds_load_b128 v[24:27], v56 offset:5680
	s_waitcnt lgkmcnt(3)
	v_fma_f32 v45, -v8, v70, v23
	v_fma_f32 v17, -v15, v65, v17
	v_mul_f32_e32 v23, v19, v16
	v_fma_f32 v28, -v3, v69, v28
	v_fma_f32 v46, -v22, v59, v18
	;; [unrolled: 1-line block ×4, first 2 shown]
	ds_load_b128 v[16:19], v56 offset:5920
	v_fma_f32 v28, -v4, v74, v28
	ds_load_b128 v[61:64], v33 offset:16
	s_waitcnt lgkmcnt(4)
	v_fma_f32 v54, -v0, v78, v54
	v_fma_f32 v45, -v10, v72, v45
	ds_load_b128 v[69:72], v33 offset:32
	v_fma_f32 v28, -v5, v75, v28
	v_fma_f32 v29, -v21, v30, v29
	;; [unrolled: 1-line block ×5, first 2 shown]
	v_add_nc_u32_e64 v54, 0x1400, s7
	v_fma_f32 v28, -v6, v76, v28
	ds_load_b128 v[57:60], v56 offset:5696
	v_fma_f32 v30, -v2, v80, v30
	s_waitcnt lgkmcnt(4)
	v_fma_f32 v24, -v12, v24, v45
	ds_load_2addr_b64 v[65:68], v54 offset0:42 offset1:172
	v_fma_f32 v45, -v7, v77, v28
	v_fma_f32 v54, -v22, v31, v29
	;; [unrolled: 1-line block ×4, first 2 shown]
	ds_load_b128 v[28:31], v56 offset:6400
	ds_load_b128 v[77:80], v56 offset:5968
	;; [unrolled: 1-line block ×3, first 2 shown]
	s_waitcnt lgkmcnt(7)
	v_fma_f32 v25, -v8, v16, v45
	s_waitcnt lgkmcnt(6)
	v_fma_f32 v45, -v4, v61, v55
	v_fma_f32 v24, -v14, v26, v24
	v_mul_f32_e32 v16, v34, v46
	v_fma_f32 v32, -v23, v32, v54
	v_fma_f32 v17, -v9, v17, v25
	;; [unrolled: 1-line block ×4, first 2 shown]
	ds_load_b128 v[24:27], v56 offset:6656
	s_mul_i32 s7, s11, 0x104
	v_fma_f32 v17, -v10, v18, v17
	v_fma_f32 v18, -v6, v63, v34
	s_waitcnt lgkmcnt(4)
	v_fma_f32 v32, -v16, v65, v32
	v_mov_b32_e32 v46, s7
	s_or_b32 s7, s4, 28
	v_fma_f32 v17, -v11, v19, v17
	v_fma_f32 v18, -v7, v64, v18
	ds_load_b128 v[61:64], v56 offset:6416
	s_waitcnt lgkmcnt(4)
	v_fma_f32 v19, -v0, v28, v53
	ds_load_b128 v[81:84], v56 offset:5952
	ds_load_b128 v[85:88], v33 offset:48
	s_waitcnt lgkmcnt(4)
	v_fma_f32 v28, -v12, v73, v17
	v_fma_f32 v18, -v8, v69, v18
	v_mul_f32_e32 v17, v66, v32
	v_fma_f32 v19, -v1, v29, v19
	v_fma_f32 v34, -v20, v57, v45
	;; [unrolled: 1-line block ×4, first 2 shown]
	s_lshl_b32 s10, s7, 6
	v_fma_f32 v19, -v2, v30, v19
	s_waitcnt lgkmcnt(3)
	v_fma_f32 v24, -v0, v24, v52
	ds_load_b128 v[52:55], v56 offset:6672
	v_fma_f32 v29, -v21, v58, v34
	v_fma_f32 v18, -v10, v71, v18
	;; [unrolled: 1-line block ×6, first 2 shown]
	ds_load_b128 v[28:31], v56 offset:6432
	s_waitcnt lgkmcnt(4)
	v_fma_f32 v19, -v4, v61, v19
	v_fma_f32 v24, -v2, v26, v24
	;; [unrolled: 1-line block ×4, first 2 shown]
	ds_load_b128 v[69:72], v33 offset:64
	v_fma_f32 v19, -v5, v62, v19
	v_fma_f32 v34, -v3, v27, v24
	s_waitcnt lgkmcnt(3)
	v_fma_f32 v18, -v12, v85, v18
	v_fma_f32 v45, -v20, v81, v25
	ds_load_b128 v[24:27], v56 offset:6688
	v_fma_f32 v19, -v6, v63, v19
	v_fma_f32 v32, -v23, v60, v32
	s_waitcnt lgkmcnt(3)
	v_fma_f32 v34, -v4, v52, v34
	v_fma_f32 v18, -v13, v86, v18
	ds_load_b128 v[57:60], v56 offset:6448
	v_fma_f32 v19, -v7, v64, v19
	ds_load_b128 v[61:64], v33 offset:80
	v_fma_f32 v34, -v5, v53, v34
	v_fma_f32 v18, -v14, v87, v18
	;; [unrolled: 1-line block ×3, first 2 shown]
	s_waitcnt lgkmcnt(4)
	v_fma_f32 v19, -v8, v28, v19
	v_fma_f32 v45, -v21, v82, v45
	;; [unrolled: 1-line block ×4, first 2 shown]
	ds_load_b128 v[73:76], v56 offset:6704
	v_fma_f32 v19, -v9, v29, v19
	v_fma_f32 v29, -v17, v90, v32
	;; [unrolled: 1-line block ×3, first 2 shown]
	ds_load_b128 v[52:55], v56 offset:6912
	s_waitcnt lgkmcnt(5)
	v_fma_f32 v18, -v20, v69, v18
	v_fma_f32 v19, -v10, v30, v19
	v_fma_f32 v45, -v22, v83, v45
	s_waitcnt lgkmcnt(4)
	v_fma_f32 v24, -v8, v24, v28
	s_add_i32 s10, s10, s4
	v_fma_f32 v30, -v21, v70, v18
	v_fma_f32 v19, -v11, v31, v19
	v_mul_f32_e32 v18, v91, v29
	v_fma_f32 v24, -v9, v25, v24
	v_fma_f32 v34, -v23, v84, v45
	;; [unrolled: 1-line block ×3, first 2 shown]
	ds_load_b128 v[28:31], v56 offset:6464
	ds_load_b128 v[81:84], v56 offset:6480
	s_waitcnt lgkmcnt(5)
	v_fma_f32 v19, -v12, v57, v19
	v_fma_f32 v24, -v10, v26, v24
	;; [unrolled: 1-line block ×3, first 2 shown]
	ds_load_b128 v[69:72], v56 offset:6928
	v_fma_f32 v32, -v16, v77, v34
	v_fma_f32 v19, -v13, v58, v19
	s_waitcnt lgkmcnt(3)
	v_fma_f32 v33, -v0, v52, v51
	v_fma_f32 v34, -v11, v27, v24
	;; [unrolled: 1-line block ×3, first 2 shown]
	ds_load_b128 v[24:27], v56 offset:6720
	v_fma_f32 v19, -v14, v59, v19
	v_fma_f32 v33, -v1, v53, v33
	;; [unrolled: 1-line block ×3, first 2 shown]
	s_lshl_b32 s10, s10, 2
	v_fma_f32 v32, -v17, v78, v32
	v_fma_f32 v19, -v15, v60, v19
	;; [unrolled: 1-line block ×4, first 2 shown]
	v_mov_b32_e32 v90, s10
	v_fma_f32 v32, -v18, v79, v32
	s_waitcnt lgkmcnt(3)
	v_fma_f32 v19, -v20, v28, v19
	v_fma_f32 v28, -v3, v55, v33
	;; [unrolled: 1-line block ×3, first 2 shown]
	ds_load_b128 v[51:54], v56 offset:6944
	ds_load_b32 v34, v46
	ds_load_b128 v[57:60], v90
	v_fma_f32 v29, -v21, v29, v19
	s_waitcnt lgkmcnt(4)
	v_fma_f32 v28, -v4, v69, v28
	v_fma_f32 v33, -v15, v76, v33
	v_mul_f32_e32 v19, v80, v32
	ds_load_b128 v[73:76], v56 offset:6736
	v_fma_f32 v29, -v22, v30, v29
	v_fma_f32 v28, -v5, v70, v28
	s_waitcnt lgkmcnt(4)
	v_fma_f32 v24, -v20, v24, v33
	v_fma_f32 v30, -v17, v62, v45
	s_mulk_i32 s7, 0x104
	v_fma_f32 v29, -v23, v31, v29
	v_fma_f32 v28, -v6, v71, v28
	v_fma_f32 v24, -v21, v25, v24
	v_fma_f32 v30, -v18, v63, v30
	s_add_i32 s10, s4, 32
	v_fma_f32 v32, -v16, v81, v29
	v_fma_f32 v25, -v7, v72, v28
	;; [unrolled: 1-line block ×4, first 2 shown]
	ds_load_b128 v[28:31], v56 offset:6960
	ds_load_b128 v[61:64], v90 offset:16
	s_waitcnt lgkmcnt(5)
	v_fma_f32 v25, -v8, v51, v25
	v_fma_f32 v26, -v17, v82, v32
	s_waitcnt lgkmcnt(3)
	v_fma_f32 v32, -v0, v57, v50
	v_fma_f32 v24, -v23, v27, v24
	s_add_i32 s4, s4, 63
	v_fma_f32 v25, -v9, v52, v25
	v_fma_f32 v26, -v18, v83, v26
	;; [unrolled: 1-line block ×3, first 2 shown]
	ds_load_b96 v[81:83], v56 offset:6752
	s_waitcnt lgkmcnt(3)
	v_fma_f32 v32, -v16, v73, v24
	v_fma_f32 v25, -v10, v53, v25
	v_mul_f32_e32 v24, v34, v33
	v_fma_f32 v27, -v2, v59, v27
	v_fma_f32 v26, -v19, v84, v26
	;; [unrolled: 1-line block ×4, first 2 shown]
	s_cmp_lt_i32 s4, s26
	v_fma_f32 v27, -v3, v60, v27
	ds_load_b128 v[50:53], v56 offset:7424
	ds_load_b128 v[57:60], v90 offset:32
	v_fma_f32 v32, -v18, v75, v32
	s_waitcnt lgkmcnt(4)
	v_fma_f32 v25, -v12, v28, v25
	v_fma_f32 v26, -v24, v67, v26
	s_waitcnt lgkmcnt(3)
	v_fma_f32 v27, -v4, v61, v27
	ds_load_b128 v[69:72], v56 offset:6976
	ds_load_b128 v[77:80], v56 offset:7008
	v_fma_f32 v28, -v19, v76, v32
	ds_load_b128 v[73:76], v56 offset:7680
	v_fma_f32 v29, -v13, v29, v25
	v_fma_f32 v27, -v5, v62, v27
	v_mul_f32_e32 v25, v68, v26
	s_waitcnt lgkmcnt(5)
	v_fma_f32 v26, -v24, v81, v28
	v_fma_f32 v32, -v14, v30, v29
	v_fma_f32 v33, -v6, v63, v27
	ds_load_b128 v[27:30], v56 offset:7936
	ds_load_b64 v[88:89], v56 offset:7536
	ds_load_b96 v[85:87], v56 offset:7792
	v_fma_f32 v26, -v25, v82, v26
	ds_load_b128 v[65:68], v90 offset:48
	v_fma_f32 v45, -v15, v31, v32
	v_fma_f32 v46, -v7, v64, v33
	ds_load_b128 v[31:34], v56 offset:7440
	ds_load_b128 v[61:64], v56 offset:6992
	s_waitcnt lgkmcnt(10)
	v_fma_f32 v49, -v0, v50, v49
	v_mul_f32_e32 v26, v83, v26
	s_waitcnt lgkmcnt(8)
	v_fma_f32 v45, -v20, v69, v45
	v_fma_f32 v46, -v8, v57, v46
	ds_load_b128 v[81:84], v56 offset:7952
	v_fma_f32 v54, -v1, v51, v49
	s_waitcnt lgkmcnt(7)
	v_fma_f32 v55, -v0, v73, v48
	ds_load_b128 v[48:51], v56 offset:7696
	v_fma_f32 v45, -v21, v70, v45
	v_fma_f32 v46, -v9, v58, v46
	v_fma_f32 v52, -v2, v52, v54
	v_fma_f32 v54, -v1, v74, v55
	s_waitcnt lgkmcnt(7)
	v_fma_f32 v27, -v0, v27, v47
	v_fma_f32 v46, -v10, v59, v46
	;; [unrolled: 1-line block ×4, first 2 shown]
	s_delay_alu instid0(VALU_DEP_4)
	v_fma_f32 v27, -v1, v28, v27
	ds_load_b128 v[52:55], v56 offset:7456
	v_fma_f32 v69, -v11, v60, v46
	s_waitcnt lgkmcnt(4)
	v_fma_f32 v28, -v4, v31, v47
	v_fma_f32 v31, -v22, v71, v45
	;; [unrolled: 1-line block ×4, first 2 shown]
	ds_load_b128 v[57:60], v56 offset:7712
	v_fma_f32 v28, -v5, v32, v28
	ds_load_b128 v[73:76], v56 offset:7744
	s_waitcnt lgkmcnt(3)
	v_fma_f32 v29, -v4, v48, v45
	v_fma_f32 v32, -v3, v30, v27
	ds_load_b128 v[45:48], v90 offset:64
	v_fma_f32 v33, -v6, v33, v28
	v_fma_f32 v65, -v12, v65, v69
	;; [unrolled: 1-line block ×3, first 2 shown]
	ds_load_b128 v[27:30], v56 offset:7968
	v_fma_f32 v32, -v4, v81, v32
	v_fma_f32 v33, -v7, v34, v33
	;; [unrolled: 1-line block ×6, first 2 shown]
	s_delay_alu instid0(VALU_DEP_4) | instskip(NEXT) | instid1(VALU_DEP_4)
	v_fma_f32 v61, -v16, v61, v69
	v_fma_f32 v49, -v7, v51, v49
	ds_load_b128 v[69:72], v56 offset:7488
	s_waitcnt lgkmcnt(5)
	v_fma_f32 v52, -v8, v52, v33
	ds_load_b128 v[31:34], v56 offset:7472
	v_fma_f32 v65, -v6, v83, v65
	v_fma_f32 v66, -v14, v67, v50
	s_waitcnt lgkmcnt(5)
	v_fma_f32 v57, -v8, v57, v49
	v_fma_f32 v53, -v9, v53, v52
	ds_load_b128 v[49:52], v56 offset:7728
	v_fma_f32 v65, -v7, v84, v65
	v_fma_f32 v61, -v17, v62, v61
	;; [unrolled: 1-line block ×5, first 2 shown]
	s_waitcnt lgkmcnt(3)
	v_fma_f32 v27, -v8, v27, v65
	ds_load_b128 v[65:68], v56 offset:7984
	v_fma_f32 v53, -v11, v55, v53
	v_fma_f32 v45, -v20, v45, v54
	;; [unrolled: 1-line block ×4, first 2 shown]
	s_waitcnt lgkmcnt(2)
	v_fma_f32 v28, -v12, v31, v53
	v_fma_f32 v31, -v21, v46, v45
	;; [unrolled: 1-line block ×4, first 2 shown]
	ds_load_b128 v[57:60], v90 offset:80
	v_fma_f32 v28, -v13, v32, v28
	v_fma_f32 v32, -v18, v63, v61
	s_waitcnt lgkmcnt(2)
	v_fma_f32 v29, -v12, v49, v45
	v_fma_f32 v45, -v11, v30, v27
	;; [unrolled: 1-line block ×6, first 2 shown]
	ds_load_b128 v[27:30], v56 offset:8000
	s_waitcnt lgkmcnt(2)
	v_fma_f32 v45, -v12, v65, v45
	v_fma_f32 v33, -v15, v34, v33
	v_fma_f32 v49, -v23, v48, v31
	v_fma_f32 v46, -v14, v51, v46
	v_fma_f32 v53, -v24, v77, v53
	v_fma_f32 v50, -v13, v66, v45
	v_fma_f32 v51, -v20, v69, v33
	ds_load_b128 v[31:34], v56 offset:7504
	v_fma_f32 v52, -v15, v52, v46
	ds_load_b128 v[45:48], v90 offset:96
	v_fma_f32 v54, -v14, v67, v50
	s_waitcnt lgkmcnt(3)
	v_fma_f32 v55, -v16, v57, v49
	v_fma_f32 v57, -v21, v70, v51
	;; [unrolled: 1-line block ×3, first 2 shown]
	ds_load_b128 v[49:52], v56 offset:7760
	v_fma_f32 v54, -v15, v68, v54
	v_fma_f32 v55, -v17, v58, v55
	;; [unrolled: 1-line block ×4, first 2 shown]
	ds_load_b128 v[61:64], v56 offset:8016
	s_waitcnt lgkmcnt(4)
	v_fma_f32 v27, -v20, v27, v54
	v_fma_f32 v55, -v18, v59, v55
	;; [unrolled: 1-line block ×4, first 2 shown]
	ds_load_b128 v[65:68], v56 offset:7520
	v_fma_f32 v27, -v21, v28, v27
	v_fma_f32 v53, -v25, v78, v53
	s_waitcnt lgkmcnt(4)
	v_fma_f32 v28, -v16, v31, v54
	v_fma_f32 v31, -v23, v76, v57
	;; [unrolled: 1-line block ×4, first 2 shown]
	ds_load_b128 v[57:60], v56 offset:7776
	v_fma_f32 v28, -v17, v32, v28
	v_mov_b32_e32 v32, s7
	s_waitcnt lgkmcnt(3)
	v_fma_f32 v29, -v16, v49, v31
	v_fma_f32 v27, -v23, v30, v27
	;; [unrolled: 1-line block ×4, first 2 shown]
	ds_load_b32 v32, v32
	v_fma_f32 v49, -v17, v50, v29
	ds_load_b128 v[28:31], v56 offset:8032
	s_waitcnt lgkmcnt(4)
	v_fma_f32 v27, -v16, v61, v27
	v_fma_f32 v33, -v19, v34, v33
	v_fma_f32 v45, -v25, v46, v45
	v_fma_f32 v34, -v18, v51, v49
	v_fma_f32 v49, -v26, v79, v53
	v_fma_f32 v27, -v17, v62, v27
	s_waitcnt lgkmcnt(3)
	v_fma_f32 v33, -v24, v65, v33
	v_fma_f32 v45, -v26, v47, v45
	;; [unrolled: 1-line block ×3, first 2 shown]
	s_clause 0x1
	global_store_b128 v[43:44], v[0:3], off
	global_store_b128 v[43:44], v[4:7], off offset:16
	v_fma_f32 v46, -v18, v63, v27
	v_mul_f32_e32 v27, v80, v49
	v_fma_f32 v33, -v25, v66, v33
	s_waitcnt lgkmcnt(2)
	v_fma_f32 v34, -v24, v57, v34
	v_fma_f32 v46, -v19, v64, v46
	;; [unrolled: 1-line block ×4, first 2 shown]
	s_delay_alu instid0(VALU_DEP_4)
	v_fma_f32 v34, -v25, v58, v34
	s_waitcnt lgkmcnt(0)
	v_fma_f32 v46, -v24, v28, v46
	v_mul_f32_e32 v28, v32, v45
	v_fma_f32 v32, -v27, v68, v33
	v_fma_f32 v33, -v26, v59, v34
	s_delay_alu instid0(VALU_DEP_4) | instskip(NEXT) | instid1(VALU_DEP_3)
	v_fma_f32 v29, -v25, v29, v46
	v_fma_f32 v32, -v28, v88, v32
	s_delay_alu instid0(VALU_DEP_3) | instskip(NEXT) | instid1(VALU_DEP_3)
	v_fma_f32 v33, -v27, v60, v33
	v_fma_f32 v30, -v26, v30, v29
	s_delay_alu instid0(VALU_DEP_3) | instskip(NEXT) | instid1(VALU_DEP_3)
	v_mul_f32_e32 v29, v89, v32
	v_fma_f32 v32, -v28, v85, v33
	s_clause 0x3
	global_store_b128 v[43:44], v[8:11], off offset:32
	global_store_b128 v[43:44], v[12:15], off offset:48
	;; [unrolled: 1-line block ×4, first 2 shown]
	v_fma_f32 v30, -v27, v31, v30
	v_fma_f32 v31, -v29, v86, v32
	s_delay_alu instid0(VALU_DEP_2) | instskip(NEXT) | instid1(VALU_DEP_2)
	v_fma_f32 v32, -v28, v35, v30
	v_mul_f32_e32 v30, v87, v31
	s_delay_alu instid0(VALU_DEP_2) | instskip(NEXT) | instid1(VALU_DEP_1)
	v_fma_f32 v31, -v29, v36, v32
	v_fma_f32 v0, -v30, v37, v31
	s_delay_alu instid0(VALU_DEP_1)
	v_mul_f32_e32 v31, v38, v0
	s_clause 0x1
	global_store_b128 v[43:44], v[24:27], off offset:96
	global_store_b128 v[43:44], v[28:31], off offset:112
	s_cbranch_scc0 .LBB42_19
; %bb.18:                               ;   in Loop: Header=BB42_14 Depth=1
	s_mov_b32 s4, s10
	s_branch .LBB42_14
.LBB42_19:
	s_cmp_lt_i32 s10, s26
	s_cbranch_scc0 .LBB42_44
; %bb.20:
	s_add_i32 s3, s10, 3
	s_delay_alu instid0(SALU_CYCLE_1)
	s_cmp_ge_i32 s3, s26
	s_cbranch_scc1 .LBB42_32
; %bb.21:
	s_add_i32 s3, s10, -1
	s_lshl_b32 s7, s10, 8
	s_and_b32 s12, s10, -4
	s_add_u32 s4, s8, s0
	s_addc_u32 s5, s9, s1
	v_add_co_u32 v6, vcc_lo, s4, v41
	v_add_co_ci_u32_e32 v7, vcc_lo, s5, v42, vcc_lo
	s_and_b32 s13, s10, 3
	s_delay_alu instid0(VALU_DEP_2) | instskip(NEXT) | instid1(VALU_DEP_2)
	v_add_co_u32 v0, vcc_lo, v6, 8
	v_add_co_ci_u32_e32 v1, vcc_lo, 0, v7, vcc_lo
	s_mov_b32 s5, 0
	s_mov_b32 s14, 0
.LBB42_22:                              ; =>This Loop Header: Depth=1
                                        ;     Child Loop BB42_25 Depth 2
                                        ;     Child Loop BB42_29 Depth 2
	s_ashr_i32 s11, s10, 31
	s_delay_alu instid0(SALU_CYCLE_1)
	s_lshl_b64 s[16:17], s[10:11], 2
	s_cmp_eq_u32 s10, 0
	v_add_co_u32 v2, vcc_lo, v39, s16
	v_add_co_ci_u32_e32 v3, vcc_lo, s17, v40, vcc_lo
	global_load_b128 v[11:14], v[2:3], off
	s_waitcnt vmcnt(0)
	v_dual_mul_f32 v11, s15, v11 :: v_dual_mul_f32 v10, s15, v12
	v_dual_mul_f32 v9, s15, v13 :: v_dual_mul_f32 v8, s15, v14
	s_cbranch_scc1 .LBB42_30
; %bb.23:                               ;   in Loop: Header=BB42_22 Depth=1
	s_lshl_b32 s4, s14, 2
	s_delay_alu instid0(SALU_CYCLE_1) | instskip(NEXT) | instid1(SALU_CYCLE_1)
	s_add_i32 s4, s3, s4
	s_cmp_lt_u32 s4, 3
	s_cbranch_scc1 .LBB42_27
; %bb.24:                               ;   in Loop: Header=BB42_22 Depth=1
	v_dual_mov_b32 v5, v1 :: v_dual_mov_b32 v4, v0
	s_mov_b32 s4, 0
	s_mov_b32 s11, s7
.LBB42_25:                              ;   Parent Loop BB42_22 Depth=1
                                        ; =>  This Inner Loop Header: Depth=2
	global_load_b128 v[12:15], v[4:5], off offset:-8
	v_mov_b32_e32 v28, s11
	v_add_co_u32 v4, vcc_lo, v4, 16
	v_add_co_ci_u32_e32 v5, vcc_lo, 0, v5, vcc_lo
	ds_load_b128 v[16:19], v28
	ds_load_b128 v[20:23], v28 offset:256
	ds_load_b128 v[24:27], v28 offset:512
	;; [unrolled: 1-line block ×3, first 2 shown]
	s_add_i32 s4, s4, 4
	s_add_i32 s11, s11, 16
	s_cmp_lg_u32 s12, s4
	s_waitcnt vmcnt(0) lgkmcnt(3)
	v_fma_f32 v11, -v12, v16, v11
	s_waitcnt lgkmcnt(2)
	v_fma_f32 v10, -v12, v20, v10
	s_waitcnt lgkmcnt(1)
	;; [unrolled: 2-line block ×3, first 2 shown]
	v_fma_f32 v8, -v12, v28, v8
	v_fma_f32 v11, -v13, v17, v11
	;; [unrolled: 1-line block ×4, first 2 shown]
	s_delay_alu instid0(VALU_DEP_4) | instskip(NEXT) | instid1(VALU_DEP_4)
	v_fma_f32 v8, -v13, v29, v8
	v_fma_f32 v11, -v14, v18, v11
	s_delay_alu instid0(VALU_DEP_4) | instskip(NEXT) | instid1(VALU_DEP_4)
	v_fma_f32 v10, -v14, v22, v10
	v_fma_f32 v9, -v14, v26, v9
	;; [unrolled: 3-line block ×4, first 2 shown]
	s_delay_alu instid0(VALU_DEP_4)
	v_fma_f32 v8, -v15, v31, v8
	s_cbranch_scc1 .LBB42_25
; %bb.26:                               ;   in Loop: Header=BB42_22 Depth=1
	s_mov_b32 s4, s12
	s_and_b32 s11, s10, 3
	s_delay_alu instid0(SALU_CYCLE_1)
	s_cmp_eq_u32 s11, 0
	s_cbranch_scc0 .LBB42_28
	s_branch .LBB42_30
.LBB42_27:                              ;   in Loop: Header=BB42_22 Depth=1
	s_mov_b32 s4, 0
	s_and_b32 s11, s10, 3
	s_delay_alu instid0(SALU_CYCLE_1)
	s_cmp_eq_u32 s11, 0
	s_cbranch_scc1 .LBB42_30
.LBB42_28:                              ;   in Loop: Header=BB42_22 Depth=1
	s_lshl_b64 s[16:17], s[4:5], 2
	s_lshl_b32 s4, s4, 2
	v_add_co_u32 v4, vcc_lo, v6, s16
	v_add_co_ci_u32_e32 v5, vcc_lo, s17, v7, vcc_lo
	s_mov_b32 s11, s13
	.p2align	6
.LBB42_29:                              ;   Parent Loop BB42_22 Depth=1
                                        ; =>  This Inner Loop Header: Depth=2
	global_load_b32 v16, v[4:5], off
	s_add_i32 s16, s7, s4
	v_add_co_u32 v4, vcc_lo, v4, 4
	v_mov_b32_e32 v14, s16
	v_add_co_ci_u32_e32 v5, vcc_lo, 0, v5, vcc_lo
	ds_load_2addr_stride64_b32 v[12:13], v14 offset1:1
	ds_load_2addr_stride64_b32 v[14:15], v14 offset0:2 offset1:3
	s_add_i32 s11, s11, -1
	s_add_i32 s4, s4, 4
	s_cmp_lg_u32 s11, 0
	s_waitcnt vmcnt(0) lgkmcnt(1)
	v_fma_f32 v11, -v16, v12, v11
	v_fma_f32 v10, -v16, v13, v10
	s_waitcnt lgkmcnt(0)
	v_fma_f32 v9, -v16, v14, v9
	v_fma_f32 v8, -v16, v15, v8
	s_cbranch_scc1 .LBB42_29
.LBB42_30:                              ;   in Loop: Header=BB42_22 Depth=1
	s_lshl_b32 s11, s10, 6
	s_mul_i32 s4, s10, 0x104
	s_add_i32 s11, s11, s10
	v_mov_b32_e32 v4, s4
	s_lshl_b32 s4, s11, 2
	s_add_i32 s14, s14, 1
	v_mov_b32_e32 v18, s4
	s_add_i32 s4, s10, 4
	s_add_i32 s10, s10, 7
	s_addk_i32 s7, 0x400
	ds_load_2addr_b32 v[4:5], v4 offset1:130
	ds_load_2addr_b32 v[12:13], v18 offset0:64 offset1:65
	ds_load_2addr_b32 v[14:15], v18 offset0:128 offset1:129
	;; [unrolled: 1-line block ×3, first 2 shown]
	s_add_i32 s12, s12, 4
	s_cmp_lt_i32 s10, s26
	s_waitcnt lgkmcnt(3)
	v_mul_f32_e32 v11, v4, v11
	ds_load_2addr_b32 v[18:19], v18 offset0:194 offset1:195
	s_waitcnt lgkmcnt(3)
	v_fma_f32 v4, -v11, v12, v10
	s_waitcnt lgkmcnt(2)
	v_fma_f32 v9, -v11, v14, v9
	s_delay_alu instid0(VALU_DEP_2) | instskip(SKIP_2) | instid1(VALU_DEP_2)
	v_mul_f32_e32 v12, v13, v4
	s_waitcnt lgkmcnt(1)
	v_fma_f32 v4, -v11, v16, v8
	v_fma_f32 v8, -v12, v15, v9
	s_delay_alu instid0(VALU_DEP_2) | instskip(NEXT) | instid1(VALU_DEP_2)
	v_fma_f32 v4, -v12, v17, v4
	v_mul_f32_e32 v13, v5, v8
	s_waitcnt lgkmcnt(0)
	s_delay_alu instid0(VALU_DEP_1) | instskip(NEXT) | instid1(VALU_DEP_1)
	v_fma_f32 v4, -v13, v18, v4
	v_mul_f32_e32 v14, v19, v4
	global_store_b128 v[2:3], v[11:14], off
	s_cbranch_scc0 .LBB42_33
; %bb.31:                               ;   in Loop: Header=BB42_22 Depth=1
	s_mov_b32 s10, s4
	s_branch .LBB42_22
.LBB42_32:
	s_mov_b32 s4, s10
.LBB42_33:
	s_delay_alu instid0(SALU_CYCLE_1)
	s_cmp_ge_i32 s4, s26
	s_cbranch_scc1 .LBB42_44
; %bb.34:
	s_add_i32 s3, s4, -1
	s_lshl_b32 s7, s4, 8
	s_add_u32 s5, s8, s0
	s_addc_u32 s10, s9, s1
	v_add_co_u32 v6, vcc_lo, s5, v41
	v_add_co_ci_u32_e32 v7, vcc_lo, s10, v42, vcc_lo
	s_mov_b32 s11, 0
	s_delay_alu instid0(VALU_DEP_2) | instskip(NEXT) | instid1(VALU_DEP_2)
	v_add_co_u32 v0, vcc_lo, v6, 28
	v_add_co_ci_u32_e32 v1, vcc_lo, 0, v7, vcc_lo
	s_mov_b32 s13, s4
	s_mov_b32 s12, 0
	s_branch .LBB42_36
.LBB42_35:                              ;   in Loop: Header=BB42_36 Depth=1
	s_mul_i32 s5, s4, 0x104
	v_add_nc_u16 v5, s13, 1
	v_mov_b32_e32 v4, s5
	s_add_i32 s4, s4, 1
	s_add_i32 s12, s12, 1
	s_addk_i32 s7, 0x100
	v_readfirstlane_b32 s13, v5
	ds_load_b32 v4, v4
	s_cmp_ge_i32 s4, s26
	s_waitcnt lgkmcnt(0)
	v_mul_f32_e32 v4, v4, v8
	global_store_b32 v[2:3], v4, off
	s_cbranch_scc1 .LBB42_44
.LBB42_36:                              ; =>This Loop Header: Depth=1
                                        ;     Child Loop BB42_39 Depth 2
                                        ;     Child Loop BB42_43 Depth 2
	s_ashr_i32 s5, s4, 31
	s_delay_alu instid0(SALU_CYCLE_1)
	s_lshl_b64 s[16:17], s[4:5], 2
	s_cmp_eq_u32 s4, 0
	v_add_co_u32 v2, vcc_lo, v39, s16
	v_add_co_ci_u32_e32 v3, vcc_lo, s17, v40, vcc_lo
	global_load_b32 v4, v[2:3], off
	s_waitcnt vmcnt(0)
	v_mul_f32_e32 v8, s15, v4
	s_cbranch_scc1 .LBB42_35
; %bb.37:                               ;   in Loop: Header=BB42_36 Depth=1
	s_add_i32 s5, s3, s12
	s_delay_alu instid0(SALU_CYCLE_1)
	s_cmp_lt_u32 s5, 7
	s_cbranch_scc1 .LBB42_41
; %bb.38:                               ;   in Loop: Header=BB42_36 Depth=1
	v_dual_mov_b32 v5, v1 :: v_dual_mov_b32 v4, v0
	s_and_b32 s10, s4, -8
	s_mov_b32 s5, 0
	s_mov_b32 s14, s7
	.p2align	6
.LBB42_39:                              ;   Parent Loop BB42_36 Depth=1
                                        ; =>  This Inner Loop Header: Depth=2
	s_clause 0x1
	global_load_b128 v[9:12], v[4:5], off offset:-28
	global_load_b128 v[13:16], v[4:5], off offset:-12
	v_mov_b32_e32 v21, s14
	v_add_co_u32 v4, vcc_lo, v4, 32
	v_add_co_ci_u32_e32 v5, vcc_lo, 0, v5, vcc_lo
	ds_load_b128 v[17:20], v21
	ds_load_b128 v[21:24], v21 offset:16
	s_add_i32 s5, s5, 8
	s_add_i32 s14, s14, 32
	s_cmp_lg_u32 s10, s5
	s_waitcnt vmcnt(1) lgkmcnt(1)
	v_fma_f32 v8, -v9, v17, v8
	s_delay_alu instid0(VALU_DEP_1) | instskip(NEXT) | instid1(VALU_DEP_1)
	v_fma_f32 v8, -v10, v18, v8
	v_fma_f32 v8, -v11, v19, v8
	s_delay_alu instid0(VALU_DEP_1) | instskip(SKIP_1) | instid1(VALU_DEP_1)
	v_fma_f32 v8, -v12, v20, v8
	s_waitcnt vmcnt(0) lgkmcnt(0)
	v_fma_f32 v8, -v13, v21, v8
	s_delay_alu instid0(VALU_DEP_1) | instskip(NEXT) | instid1(VALU_DEP_1)
	v_fma_f32 v8, -v14, v22, v8
	v_fma_f32 v8, -v15, v23, v8
	s_delay_alu instid0(VALU_DEP_1)
	v_fma_f32 v8, -v16, v24, v8
	s_cbranch_scc1 .LBB42_39
; %bb.40:                               ;   in Loop: Header=BB42_36 Depth=1
	s_and_b32 s5, s4, 7
	s_delay_alu instid0(SALU_CYCLE_1)
	s_cmp_eq_u32 s5, 0
	s_cbranch_scc0 .LBB42_42
	s_branch .LBB42_35
.LBB42_41:                              ;   in Loop: Header=BB42_36 Depth=1
	s_mov_b32 s10, 0
	s_and_b32 s5, s4, 7
	s_delay_alu instid0(SALU_CYCLE_1)
	s_cmp_eq_u32 s5, 0
	s_cbranch_scc1 .LBB42_35
.LBB42_42:                              ;   in Loop: Header=BB42_36 Depth=1
	s_lshl_b64 s[16:17], s[10:11], 2
	s_and_b32 s5, s13, 7
	v_add_co_u32 v4, vcc_lo, v6, s16
	v_add_co_ci_u32_e32 v5, vcc_lo, s17, v7, vcc_lo
	s_lshl_b32 s10, s10, 2
.LBB42_43:                              ;   Parent Loop BB42_36 Depth=1
                                        ; =>  This Inner Loop Header: Depth=2
	global_load_b32 v9, v[4:5], off
	s_add_i32 s14, s7, s10
	v_add_co_u32 v4, vcc_lo, v4, 4
	v_mov_b32_e32 v10, s14
	v_add_co_ci_u32_e32 v5, vcc_lo, 0, v5, vcc_lo
	s_add_i32 s5, s5, -1
	s_add_i32 s10, s10, 4
	ds_load_b32 v10, v10
	s_cmp_lg_u32 s5, 0
	s_waitcnt vmcnt(0) lgkmcnt(0)
	v_fma_f32 v8, -v9, v10, v8
	s_cbranch_scc1 .LBB42_43
	s_branch .LBB42_35
.LBB42_44:
	s_mov_b32 s3, 0
.LBB42_45:
	s_delay_alu instid0(SALU_CYCLE_1)
	s_and_b32 vcc_lo, exec_lo, s3
	s_cbranch_vccz .LBB42_77
; %bb.46:
	s_cmp_gt_i32 s6, 31
	s_mov_b32 s6, s2
	s_cbranch_scc0 .LBB42_52
; %bb.47:
	s_ashr_i32 s3, s2, 31
	s_mul_i32 s6, s26, 0x104
	s_lshl_b64 s[4:5], s[2:3], 2
	s_add_i32 s3, s6, 0xfffffe80
	s_add_u32 s4, s8, s4
	s_addc_u32 s5, s9, s5
	s_add_u32 s4, s4, s0
	s_addc_u32 s5, s5, s1
	v_add_co_u32 v28, vcc_lo, s4, v41
	v_add_co_ci_u32_e32 v29, vcc_lo, s5, v42, vcc_lo
	s_mov_b32 s4, s2
.LBB42_48:                              ; =>This Loop Header: Depth=1
                                        ;     Child Loop BB42_49 Depth 2
	s_delay_alu instid0(SALU_CYCLE_1) | instskip(NEXT) | instid1(SALU_CYCLE_1)
	s_ashr_i32 s5, s4, 31
	s_lshl_b64 s[6:7], s[4:5], 2
	s_cmp_le_i32 s2, s4
	v_add_co_u32 v30, vcc_lo, v39, s6
	v_add_co_ci_u32_e32 v31, vcc_lo, s7, v40, vcc_lo
	s_mov_b32 s5, s3
	s_mov_b32 s6, s2
	s_clause 0x7
	global_load_b128 v[0:3], v[30:31], off offset:-12
	global_load_b128 v[4:7], v[30:31], off offset:-28
	global_load_b128 v[12:15], v[30:31], off offset:-44
	global_load_b128 v[16:19], v[30:31], off offset:-60
	global_load_b128 v[20:23], v[30:31], off offset:-76
	global_load_b128 v[24:27], v[30:31], off offset:-92
	global_load_b128 v[43:46], v[30:31], off offset:-108
	global_load_b128 v[47:50], v[30:31], off offset:-124
	s_waitcnt vmcnt(7)
	v_mul_f32_e32 v3, s15, v3
	v_dual_mul_f32 v37, s15, v2 :: v_dual_mul_f32 v36, s15, v0
	s_waitcnt vmcnt(6)
	v_dual_mul_f32 v2, s15, v1 :: v_dual_mul_f32 v35, s15, v7
	s_waitcnt vmcnt(5)
	v_dual_mul_f32 v7, s15, v6 :: v_dual_mul_f32 v10, s15, v13
	v_dual_mul_f32 v6, s15, v5 :: v_dual_mul_f32 v11, s15, v4
	;; [unrolled: 1-line block ×3, first 2 shown]
	s_waitcnt vmcnt(4)
	v_mul_f32_e32 v14, s15, v16
	v_dual_mul_f32 v9, s15, v12 :: v_dual_mul_f32 v8, s15, v19
	s_waitcnt vmcnt(3)
	v_dual_mul_f32 v19, s15, v18 :: v_dual_mul_f32 v12, s15, v21
	v_dual_mul_f32 v15, s15, v17 :: v_dual_mul_f32 v18, s15, v22
	s_waitcnt vmcnt(2)
	v_dual_mul_f32 v13, s15, v23 :: v_dual_mul_f32 v22, s15, v25
	;; [unrolled: 3-line block ×3, first 2 shown]
	v_dual_mul_f32 v21, s15, v24 :: v_dual_mul_f32 v20, s15, v46
	v_dual_mul_f32 v27, s15, v44 :: v_dual_mul_f32 v26, s15, v43
	s_waitcnt vmcnt(0)
	v_dual_mul_f32 v25, s15, v50 :: v_dual_mul_f32 v24, s15, v49
	v_dual_mul_f32 v33, s15, v48 :: v_dual_mul_f32 v32, s15, v47
	v_dual_mov_b32 v0, v28 :: v_dual_mov_b32 v1, v29
	s_cbranch_scc1 .LBB42_50
.LBB42_49:                              ;   Parent Loop BB42_48 Depth=1
                                        ; =>  This Inner Loop Header: Depth=2
	global_load_b32 v38, v[0:1], off
	v_mov_b32_e32 v73, s5
	v_add_co_u32 v0, vcc_lo, v0, -4
	v_add_co_ci_u32_e32 v1, vcc_lo, -1, v1, vcc_lo
	ds_load_2addr_b32 v[43:44], v73 offset0:30 offset1:31
	ds_load_2addr_b32 v[45:46], v73 offset0:28 offset1:29
	;; [unrolled: 1-line block ×15, first 2 shown]
	ds_load_2addr_b32 v[73:74], v73 offset1:1
	s_add_i32 s6, s6, -1
	s_addk_i32 s5, 0xff00
	s_cmp_gt_i32 s6, s4
	s_waitcnt vmcnt(0) lgkmcnt(15)
	v_fma_f32 v3, -v38, v44, v3
	v_fma_f32 v37, -v38, v43, v37
	s_waitcnt lgkmcnt(14)
	v_fma_f32 v2, -v38, v46, v2
	v_fma_f32 v36, -v38, v45, v36
	s_waitcnt lgkmcnt(13)
	;; [unrolled: 3-line block ×15, first 2 shown]
	v_fma_f32 v33, -v38, v74, v33
	v_fma_f32 v32, -v38, v73, v32
	s_cbranch_scc1 .LBB42_49
.LBB42_50:                              ;   in Loop: Header=BB42_48 Depth=1
	s_add_i32 s7, s4, -1
	s_lshl_b32 s6, s4, 6
	s_add_i32 s11, s4, -3
	s_add_i32 s10, s7, s6
	s_add_i32 s14, s11, s6
	s_lshl_b32 s10, s10, 2
	s_lshl_b32 s14, s14, 2
	s_delay_alu instid0(SALU_CYCLE_1)
	v_dual_mov_b32 v0, s10 :: v_dual_mov_b32 v43, s14
	s_mul_i32 s5, s4, 0x104
	s_lshl_b32 s10, s7, 6
	s_add_i32 s12, s5, 0xfffffefc
	ds_load_2addr_b32 v[0:1], v0 offset1:1
	v_mov_b32_e32 v38, s12
	s_add_i32 s12, s11, s10
	s_add_i32 s7, s6, 0xffffff80
	s_lshl_b32 s12, s12, 2
	ds_load_b32 v51, v38
	ds_load_2addr_b32 v[43:44], v43 offset1:1
	v_mov_b32_e32 v38, s12
	s_add_i32 s14, s11, s7
	s_add_i32 s16, s5, 0xfffffcf4
	s_lshl_b32 s12, s14, 2
	s_add_i32 s13, s4, -5
	v_mov_b32_e32 v47, s12
	s_add_i32 s14, s13, s6
	s_add_i32 s17, s13, s7
	s_lshl_b32 s12, s14, 2
	s_add_i32 s14, s13, s10
	s_lshl_b32 s17, s17, 2
	s_add_i32 s20, s4, -11
	ds_load_2addr_b32 v[47:48], v47 offset1:1
	s_waitcnt lgkmcnt(3)
	v_mul_f32_e32 v3, v1, v3
	ds_load_2addr_b32 v[45:46], v38 offset1:1
	v_mov_b32_e32 v1, s16
	s_add_i32 s16, s4, -7
	s_sub_i32 s28, s4, 17
	v_fma_f32 v0, -v3, v0, v37
	s_add_i32 s33, s5, 0xffffecb4
	ds_load_b32 v53, v1
	s_waitcnt lgkmcnt(3)
	v_fma_f32 v1, -v3, v44, v2
	s_add_i32 s42, s5, 0xffffe494
	v_mul_f32_e32 v2, v51, v0
	v_fma_f32 v0, -v3, v43, v36
	s_sub_i32 s39, s4, 25
	s_addk_i32 s3, 0xff80
	s_waitcnt lgkmcnt(1)
	v_fma_f32 v1, -v2, v46, v1
	v_mov_b32_e32 v38, s12
	s_lshl_b32 s12, s14, 2
	s_add_i32 s14, s16, s6
	s_delay_alu instid0(VALU_DEP_2)
	v_dual_mov_b32 v52, s12 :: v_dual_mul_f32 v1, v48, v1
	ds_load_2addr_b32 v[49:50], v38 offset1:1
	v_fma_f32 v0, -v2, v45, v0
	s_lshl_b32 s12, s11, 6
	ds_load_2addr_b32 v[37:38], v52 offset1:1
	s_lshl_b32 s14, s14, 2
	s_delay_alu instid0(SALU_CYCLE_1)
	v_dual_mov_b32 v36, s17 :: v_dual_mov_b32 v43, s14
	s_add_i32 s18, s13, s12
	s_add_i32 s11, s6, 0xffffff00
	s_lshl_b32 s18, s18, 2
	v_fma_f32 v0, -v1, v47, v0
	s_add_i32 s19, s13, s11
	v_mov_b32_e32 v45, s18
	s_lshl_b32 s17, s19, 2
	s_add_i32 s14, s5, 0xfffffaec
	s_waitcnt lgkmcnt(2)
	v_dual_mul_f32 v0, v53, v0 :: v_dual_mov_b32 v47, s17
	s_add_i32 s17, s16, s7
	s_lshl_b32 s13, s13, 6
	s_add_i32 s18, s4, -9
	s_waitcnt lgkmcnt(1)
	v_fma_f32 v35, -v3, v50, v35
	v_mov_b32_e32 v50, s14
	s_add_i32 s14, s16, s10
	ds_load_2addr_b32 v[43:44], v43 offset1:1
	s_lshl_b32 s14, s14, 2
	s_waitcnt lgkmcnt(1)
	v_fma_f32 v38, -v2, v38, v35
	v_mov_b32_e32 v51, s14
	ds_load_2addr_b32 v[35:36], v36 offset1:1
	ds_load_2addr_b32 v[45:46], v45 offset1:1
	;; [unrolled: 1-line block ×3, first 2 shown]
	ds_load_b32 v58, v50
	v_fma_f32 v7, -v3, v49, v7
	s_lshl_b32 s14, s17, 2
	ds_load_2addr_b32 v[50:51], v51 offset1:1
	s_add_i32 s17, s18, s10
	s_add_i32 s22, s20, s13
	v_fma_f32 v7, -v2, v37, v7
	s_add_i32 s29, s28, s13
	s_waitcnt lgkmcnt(5)
	v_fma_f32 v6, -v3, v44, v6
	v_fma_f32 v11, -v3, v43, v11
	s_waitcnt lgkmcnt(4)
	v_fma_f32 v38, -v1, v36, v38
	v_fma_f32 v35, -v1, v35, v7
	s_waitcnt lgkmcnt(3)
	s_delay_alu instid0(VALU_DEP_2)
	v_fma_f32 v38, -v0, v46, v38
	v_mov_b32_e32 v52, s14
	s_add_i32 s14, s16, s12
	v_fma_f32 v35, -v0, v45, v35
	s_lshl_b32 s14, s14, 2
	s_waitcnt lgkmcnt(2)
	v_dual_mul_f32 v7, v48, v38 :: v_dual_mov_b32 v36, s14
	ds_load_2addr_b32 v[52:53], v52 offset1:1
	s_add_i32 s14, s16, s11
	s_delay_alu instid0(SALU_CYCLE_1)
	s_lshl_b32 s14, s14, 2
	ds_load_2addr_b32 v[54:55], v36 offset1:1
	v_mov_b32_e32 v36, s14
	s_add_i32 s14, s16, s13
	s_waitcnt lgkmcnt(2)
	v_fma_f32 v6, -v2, v51, v6
	s_lshl_b32 s14, s14, 2
	v_fma_f32 v35, -v7, v47, v35
	ds_load_2addr_b32 v[36:37], v36 offset1:1
	v_mov_b32_e32 v44, s14
	s_add_i32 s14, s5, 0xfffff9e8
	v_fma_f32 v11, -v2, v50, v11
	ds_load_2addr_b32 v[56:57], v44 offset1:1
	s_waitcnt lgkmcnt(3)
	v_fma_f32 v6, -v1, v53, v6
	v_fma_f32 v11, -v1, v52, v11
	s_waitcnt lgkmcnt(2)
	s_delay_alu instid0(VALU_DEP_2) | instskip(SKIP_1) | instid1(VALU_DEP_3)
	v_fma_f32 v38, -v0, v55, v6
	v_mul_f32_e32 v6, v58, v35
	v_fma_f32 v11, -v0, v54, v11
	s_waitcnt lgkmcnt(1)
	s_delay_alu instid0(VALU_DEP_3)
	v_fma_f32 v35, -v7, v37, v38
	v_mov_b32_e32 v37, s14
	s_add_i32 s14, s18, s6
	v_fma_f32 v11, -v7, v36, v11
	s_lshl_b32 s14, s14, 2
	s_waitcnt lgkmcnt(0)
	v_fma_f32 v49, -v6, v57, v35
	v_mov_b32_e32 v35, s14
	ds_load_b32 v51, v37
	s_lshl_b32 s14, s17, 2
	s_add_i32 s17, s18, s7
	v_mov_b32_e32 v43, s14
	ds_load_2addr_b32 v[37:38], v35 offset1:1
	s_lshl_b32 s17, s17, 2
	s_add_i32 s14, s6, 0xfffffe80
	ds_load_2addr_b32 v[43:44], v43 offset1:1
	v_mov_b32_e32 v35, s17
	s_add_i32 s19, s16, s14
	v_fma_f32 v11, -v6, v56, v11
	s_lshl_b32 s17, s19, 2
	s_add_i32 s19, s5, 0xfffff8e4
	ds_load_2addr_b32 v[45:46], v35 offset1:1
	v_mov_b32_e32 v47, s17
	s_add_i32 s17, s18, s12
	s_lshl_b32 s16, s16, 6
	s_lshl_b32 s17, s17, 2
	s_delay_alu instid0(SALU_CYCLE_1) | instskip(SKIP_1) | instid1(SALU_CYCLE_1)
	v_mov_b32_e32 v35, s17
	s_add_i32 s17, s18, s11
	s_lshl_b32 s17, s17, 2
	s_waitcnt lgkmcnt(2)
	v_fma_f32 v5, -v3, v38, v5
	v_mov_b32_e32 v38, s19
	ds_load_b32 v52, v47
	v_mov_b32_e32 v47, s17
	s_add_i32 s17, s18, s13
	s_waitcnt lgkmcnt(2)
	v_fma_f32 v44, -v2, v44, v5
	s_lshl_b32 s17, s17, 2
	ds_load_b32 v38, v38
	v_mov_b32_e32 v50, s17
	ds_load_2addr_b32 v[35:36], v35 offset1:1
	s_add_i32 s17, s18, s14
	s_waitcnt lgkmcnt(3)
	v_fma_f32 v44, -v1, v46, v44
	s_lshl_b32 s17, s17, 2
	v_fma_f32 v4, -v3, v37, v4
	v_mov_b32_e32 v46, s17
	ds_load_2addr_b32 v[47:48], v47 offset1:1
	s_add_i32 s17, s5, 0xfffff7e0
	v_mul_f32_e32 v5, v51, v49
	ds_load_2addr_b32 v[49:50], v50 offset1:1
	s_add_i32 s19, s18, s16
	v_fma_f32 v43, -v2, v43, v4
	s_lshl_b32 s19, s19, 2
	s_waitcnt lgkmcnt(4)
	v_fma_f32 v11, -v5, v52, v11
	v_mov_b32_e32 v51, s19
	s_add_i32 s19, s20, s10
	s_delay_alu instid0(SALU_CYCLE_1)
	s_lshl_b32 s19, s19, 2
	s_waitcnt lgkmcnt(3)
	v_mul_f32_e32 v4, v38, v11
	v_fma_f32 v11, -v1, v45, v43
	s_waitcnt lgkmcnt(2)
	v_fma_f32 v44, -v0, v36, v44
	ds_load_2addr_b32 v[36:37], v46 offset1:1
	ds_load_2addr_b32 v[51:52], v51 offset1:1
	v_mov_b32_e32 v46, s17
	s_add_i32 s17, s20, s6
	v_fma_f32 v11, -v0, v35, v11
	s_lshl_b32 s17, s17, 2
	s_waitcnt lgkmcnt(3)
	v_fma_f32 v44, -v7, v48, v44
	v_mov_b32_e32 v35, s17
	s_add_i32 s17, s6, 0xfffffe00
	v_fma_f32 v11, -v7, v47, v11
	s_add_i32 s21, s18, s17
	s_waitcnt lgkmcnt(2)
	v_fma_f32 v38, -v6, v50, v44
	s_lshl_b32 s21, s21, 2
	ds_load_2addr_b32 v[43:44], v35 offset1:1
	v_mov_b32_e32 v53, s21
	s_add_i32 s21, s20, s11
	ds_load_b32 v50, v46
	s_lshl_b32 s21, s21, 2
	v_fma_f32 v11, -v6, v49, v11
	v_mov_b32_e32 v55, s21
	s_lshl_b32 s21, s22, 2
	v_mov_b32_e32 v45, s19
	s_add_i32 s19, s20, s7
	s_waitcnt lgkmcnt(3)
	v_fma_f32 v36, -v5, v36, v11
	s_lshl_b32 s19, s19, 2
	s_lshl_b32 s18, s18, 6
	ds_load_2addr_b32 v[45:46], v45 offset1:1
	s_add_i32 s22, s4, -13
	s_waitcnt lgkmcnt(3)
	v_fma_f32 v36, -v4, v51, v36
	s_add_i32 s24, s22, s11
	s_waitcnt lgkmcnt(2)
	v_fma_f32 v10, -v3, v44, v10
	v_mov_b32_e32 v44, s21
	s_add_i32 s21, s20, s14
	v_fma_f32 v9, -v3, v43, v9
	s_lshl_b32 s21, s21, 2
	v_mov_b32_e32 v35, s19
	s_add_i32 s19, s20, s12
	s_delay_alu instid0(SALU_CYCLE_1) | instskip(NEXT) | instid1(SALU_CYCLE_1)
	s_lshl_b32 s19, s19, 2
	v_mov_b32_e32 v54, s19
	s_add_i32 s19, s5, 0xfffff6dc
	s_waitcnt lgkmcnt(0)
	v_fma_f32 v10, -v2, v46, v10
	v_mov_b32_e32 v46, s21
	ds_load_2addr_b32 v[47:48], v35 offset1:1
	ds_load_b32 v35, v53
	ds_load_2addr_b32 v[53:54], v54 offset1:1
	s_add_i32 s21, s20, s16
	ds_load_2addr_b32 v[57:58], v44 offset1:1
	ds_load_2addr_b32 v[59:60], v46 offset1:1
	v_mov_b32_e32 v44, s19
	s_lshl_b32 s19, s21, 2
	v_fma_f32 v46, -v5, v37, v38
	v_fma_f32 v9, -v2, v45, v9
	s_add_i32 s21, s20, s18
	ds_load_b32 v44, v44
	s_lshl_b32 s21, s21, 2
	v_fma_f32 v46, -v4, v52, v46
	v_mov_b32_e32 v43, s21
	s_add_i32 s21, s22, s10
	s_delay_alu instid0(VALU_DEP_2)
	v_mul_f32_e32 v11, v50, v46
	s_waitcnt lgkmcnt(5)
	v_fma_f32 v10, -v1, v48, v10
	v_mov_b32_e32 v48, s19
	ds_load_2addr_b32 v[55:56], v55 offset1:1
	s_waitcnt lgkmcnt(5)
	v_fma_f32 v35, -v11, v35, v36
	s_add_i32 s19, s20, s17
	s_waitcnt lgkmcnt(4)
	v_fma_f32 v10, -v0, v54, v10
	ds_load_2addr_b32 v[37:38], v48 offset1:1
	s_lshl_b32 s19, s19, 2
	v_fma_f32 v9, -v1, v47, v9
	s_delay_alu instid0(VALU_DEP_1) | instskip(SKIP_2) | instid1(VALU_DEP_2)
	v_fma_f32 v9, -v0, v53, v9
	s_waitcnt lgkmcnt(1)
	v_fma_f32 v10, -v7, v56, v10
	v_fma_f32 v9, -v7, v55, v9
	s_delay_alu instid0(VALU_DEP_2) | instskip(NEXT) | instid1(VALU_DEP_2)
	v_fma_f32 v10, -v6, v58, v10
	v_fma_f32 v9, -v6, v57, v9
	s_delay_alu instid0(VALU_DEP_2) | instskip(SKIP_2) | instid1(VALU_DEP_3)
	v_fma_f32 v36, -v5, v60, v10
	v_dual_mul_f32 v10, v44, v35 :: v_dual_mov_b32 v35, s19
	s_add_i32 s19, s5, 0xfffff5d8
	v_fma_f32 v9, -v5, v59, v9
	v_mov_b32_e32 v47, s19
	s_add_i32 s19, s22, s6
	s_waitcnt lgkmcnt(0)
	v_fma_f32 v38, -v4, v38, v36
	s_lshl_b32 s19, s19, 2
	v_fma_f32 v9, -v4, v37, v9
	v_mov_b32_e32 v45, s19
	s_lshl_b32 s19, s21, 2
	s_add_i32 s21, s22, s7
	v_mov_b32_e32 v48, s19
	ds_load_2addr_b32 v[35:36], v35 offset1:1
	ds_load_2addr_b32 v[43:44], v43 offset1:1
	;; [unrolled: 1-line block ×3, first 2 shown]
	ds_load_b32 v63, v47
	s_lshl_b32 s21, s21, 2
	s_add_i32 s19, s6, 0xfffffd80
	ds_load_2addr_b32 v[47:48], v48 offset1:1
	v_mov_b32_e32 v49, s21
	s_add_i32 s21, s22, s12
	s_add_i32 s23, s20, s19
	s_lshl_b32 s21, s21, 2
	s_lshl_b32 s23, s23, 2
	ds_load_2addr_b32 v[49:50], v49 offset1:1
	v_mov_b32_e32 v51, s21
	s_lshl_b32 s21, s24, 2
	v_mov_b32_e32 v55, s23
	v_mov_b32_e32 v53, s21
	s_add_i32 s21, s22, s13
	ds_load_2addr_b32 v[51:52], v51 offset1:1
	s_lshl_b32 s21, s21, 2
	ds_load_2addr_b32 v[53:54], v53 offset1:1
	ds_load_b32 v64, v55
	s_waitcnt lgkmcnt(6)
	v_fma_f32 v8, -v3, v46, v8
	v_mov_b32_e32 v46, s21
	s_add_i32 s21, s22, s14
	s_add_i32 s23, s22, s16
	s_lshl_b32 s21, s21, 2
	s_waitcnt lgkmcnt(4)
	v_fma_f32 v8, -v2, v48, v8
	ds_load_2addr_b32 v[55:56], v46 offset1:1
	v_mov_b32_e32 v46, s21
	s_lshl_b32 s21, s23, 2
	s_add_i32 s23, s5, 0xfffff4d4
	s_waitcnt lgkmcnt(4)
	v_fma_f32 v8, -v1, v50, v8
	v_mov_b32_e32 v48, s21
	ds_load_2addr_b32 v[57:58], v46 offset1:1
	s_add_i32 s21, s22, s17
	v_fma_f32 v38, -v11, v36, v38
	s_lshl_b32 s21, s21, 2
	ds_load_2addr_b32 v[59:60], v48 offset1:1
	s_waitcnt lgkmcnt(5)
	v_fma_f32 v8, -v0, v52, v8
	v_mov_b32_e32 v46, s21
	v_mov_b32_e32 v48, s23
	s_add_i32 s21, s22, s18
	v_fma_f32 v35, -v11, v35, v9
	s_lshl_b32 s21, s21, 2
	s_waitcnt lgkmcnt(4)
	v_fma_f32 v8, -v7, v54, v8
	ds_load_2addr_b32 v[61:62], v46 offset1:1
	ds_load_b32 v48, v48
	v_mov_b32_e32 v46, s21
	s_add_i32 s21, s22, s19
	s_waitcnt lgkmcnt(4)
	v_fma_f32 v8, -v6, v56, v8
	v_fma_f32 v38, -v10, v44, v38
	s_lshl_b32 s21, s21, 2
	ds_load_2addr_b32 v[36:37], v46 offset1:1
	s_lshl_b32 s20, s20, 6
	v_fma_f32 v35, -v10, v43, v35
	v_mov_b32_e32 v43, s21
	s_add_i32 s21, s22, s20
	s_waitcnt lgkmcnt(4)
	v_fma_f32 v8, -v5, v58, v8
	s_lshl_b32 s23, s21, 2
	v_mul_f32_e32 v9, v63, v38
	s_add_i32 s21, s6, 0xfffffd00
	v_fma_f32 v19, -v3, v45, v19
	s_waitcnt lgkmcnt(3)
	v_fma_f32 v8, -v4, v60, v8
	s_add_i32 s24, s4, -15
	v_fma_f32 v35, -v9, v64, v35
	s_add_i32 s25, s24, s10
	v_fma_f32 v19, -v2, v47, v19
	s_waitcnt lgkmcnt(2)
	v_fma_f32 v38, -v11, v62, v8
	s_waitcnt lgkmcnt(1)
	v_mul_f32_e32 v8, v48, v35
	v_mov_b32_e32 v48, s23
	s_add_i32 s23, s22, s21
	s_waitcnt lgkmcnt(0)
	v_fma_f32 v35, -v10, v37, v38
	s_lshl_b32 s23, s23, 2
	v_fma_f32 v19, -v1, v49, v19
	v_mov_b32_e32 v50, s23
	ds_load_2addr_b32 v[37:38], v43 offset1:1
	s_add_i32 s23, s24, s6
	s_lshl_b32 s22, s22, 6
	s_lshl_b32 s23, s23, 2
	v_fma_f32 v19, -v0, v51, v19
	v_mov_b32_e32 v43, s23
	s_lshl_b32 s23, s25, 2
	s_add_i32 s25, s5, 0xfffff2cc
	v_mov_b32_e32 v45, s23
	s_add_i32 s23, s24, s7
	v_mov_b32_e32 v51, s25
	s_lshl_b32 s23, s23, 2
	s_add_i32 s25, s24, s12
	v_mov_b32_e32 v52, s23
	ds_load_2addr_b32 v[43:44], v43 offset1:1
	s_lshl_b32 s23, s25, 2
	v_fma_f32 v19, -v7, v53, v19
	v_mov_b32_e32 v54, s23
	ds_load_2addr_b32 v[45:46], v45 offset1:1
	s_add_i32 s23, s24, s11
	s_waitcnt lgkmcnt(2)
	v_fma_f32 v35, -v9, v38, v35
	s_lshl_b32 s23, s23, 2
	s_add_i32 s25, s24, s13
	v_mov_b32_e32 v38, s23
	ds_load_2addr_b32 v[47:48], v48 offset1:1
	ds_load_2addr_b32 v[49:50], v50 offset1:1
	ds_load_b32 v74, v51
	ds_load_2addr_b32 v[51:52], v52 offset1:1
	ds_load_2addr_b32 v[53:54], v54 offset1:1
	s_lshl_b32 s23, s25, 2
	ds_load_2addr_b32 v[62:63], v38 offset1:1
	v_fma_f32 v19, -v6, v55, v19
	s_add_i32 s25, s24, s21
	s_delay_alu instid0(SALU_CYCLE_1)
	s_lshl_b32 s25, s25, 2
	s_waitcnt lgkmcnt(7)
	v_fma_f32 v15, -v3, v44, v15
	v_mov_b32_e32 v44, s23
	s_add_i32 s23, s24, s14
	v_fma_f32 v19, -v5, v57, v19
	s_lshl_b32 s23, s23, 2
	s_waitcnt lgkmcnt(6)
	v_fma_f32 v15, -v2, v46, v15
	ds_load_2addr_b32 v[64:65], v44 offset1:1
	v_mov_b32_e32 v38, s23
	s_add_i32 s23, s24, s16
	v_fma_f32 v19, -v4, v59, v19
	s_lshl_b32 s23, s23, 2
	s_waitcnt lgkmcnt(3)
	v_fma_f32 v15, -v1, v52, v15
	v_mov_b32_e32 v44, s23
	ds_load_2addr_b32 v[55:56], v38 offset1:1
	s_add_i32 s23, s24, s17
	v_fma_f32 v19, -v11, v61, v19
	s_lshl_b32 s23, s23, 2
	ds_load_2addr_b32 v[57:58], v44 offset1:1
	s_waitcnt lgkmcnt(4)
	v_fma_f32 v15, -v0, v54, v15
	v_mov_b32_e32 v38, s23
	s_add_i32 s23, s24, s18
	v_fma_f32 v19, -v10, v36, v19
	s_lshl_b32 s23, s23, 2
	s_waitcnt lgkmcnt(3)
	v_fma_f32 v15, -v7, v63, v15
	v_mov_b32_e32 v44, s23
	ds_load_2addr_b32 v[59:60], v38 offset1:1
	s_add_i32 s23, s24, s19
	v_fma_f32 v19, -v9, v37, v19
	s_waitcnt lgkmcnt(3)
	v_fma_f32 v15, -v6, v65, v15
	ds_load_2addr_b32 v[65:66], v44 offset1:1
	s_lshl_b32 s23, s23, 2
	v_fma_f32 v38, -v8, v48, v35
	v_mov_b32_e32 v35, s23
	s_waitcnt lgkmcnt(3)
	v_fma_f32 v15, -v5, v56, v15
	s_add_i32 s23, s24, s20
	v_fma_f32 v19, -v8, v47, v19
	s_lshl_b32 s23, s23, 2
	ds_load_2addr_b32 v[35:36], v35 offset1:1
	s_waitcnt lgkmcnt(3)
	v_fma_f32 v44, -v4, v58, v15
	v_mov_b32_e32 v37, s23
	s_add_i32 s23, s28, s6
	v_mul_f32_e32 v15, v50, v38
	s_lshl_b32 s23, s23, 2
	v_fma_f32 v14, -v3, v43, v14
	ds_load_2addr_b32 v[37:38], v37 offset1:1
	s_waitcnt lgkmcnt(3)
	v_fma_f32 v44, -v11, v60, v44
	v_fma_f32 v19, -v15, v49, v19
	v_mov_b32_e32 v56, s25
	v_fma_f32 v14, -v2, v45, v14
	s_add_i32 s25, s24, s22
	s_waitcnt lgkmcnt(2)
	v_fma_f32 v46, -v10, v66, v44
	v_mov_b32_e32 v44, s23
	s_add_i32 s23, s28, s10
	s_lshl_b32 s25, s25, 2
	s_lshl_b32 s23, s23, 2
	v_fma_f32 v14, -v1, v51, v14
	v_mov_b32_e32 v47, s23
	ds_load_2addr_b32 v[43:44], v44 offset1:1
	s_waitcnt lgkmcnt(2)
	v_fma_f32 v36, -v9, v36, v46
	s_add_i32 s23, s28, s7
	v_fma_f32 v14, -v0, v53, v14
	ds_load_2addr_b32 v[45:46], v47 offset1:1
	s_lshl_b32 s23, s23, 2
	s_delay_alu instid0(SALU_CYCLE_1)
	v_mov_b32_e32 v47, s23
	s_add_i32 s23, s28, s12
	v_fma_f32 v14, -v7, v62, v14
	s_lshl_b32 s23, s23, 2
	s_waitcnt lgkmcnt(2)
	v_fma_f32 v36, -v8, v38, v36
	v_mov_b32_e32 v49, s23
	s_add_i32 s23, s6, 0xfffffc80
	ds_load_2addr_b32 v[47:48], v47 offset1:1
	s_add_i32 s27, s24, s23
	v_fma_f32 v14, -v6, v64, v14
	ds_load_2addr_b32 v[49:50], v49 offset1:1
	s_waitcnt lgkmcnt(3)
	v_fma_f32 v13, -v3, v44, v13
	v_mov_b32_e32 v44, s25
	s_lshl_b32 s25, s27, 2
	s_add_i32 s27, s28, s11
	v_mov_b32_e32 v58, s25
	s_lshl_b32 s27, s27, 2
	s_waitcnt lgkmcnt(2)
	v_fma_f32 v13, -v2, v46, v13
	v_mov_b32_e32 v46, s27
	s_lshl_b32 s27, s29, 2
	s_add_i32 s25, s28, s14
	v_mov_b32_e32 v53, s27
	s_sub_i32 s29, s4, 19
	s_lshl_b32 s25, s25, 2
	s_add_i32 s30, s29, s6
	s_add_i32 s27, s28, s16
	ds_load_2addr_b32 v[53:54], v53 offset1:1
	ds_load_2addr_b32 v[51:52], v46 offset1:1
	s_lshl_b32 s30, s30, 2
	v_mov_b32_e32 v46, s25
	s_lshl_b32 s25, s27, 2
	s_waitcnt lgkmcnt(3)
	v_fma_f32 v13, -v1, v48, v13
	ds_load_2addr_b32 v[60:61], v56 offset1:1
	ds_load_2addr_b32 v[62:63], v44 offset1:1
	ds_load_2addr_b32 v[66:67], v58 offset1:1
	v_mov_b32_e32 v44, s25
	ds_load_2addr_b32 v[68:69], v46 offset1:1
	s_add_i32 s25, s28, s17
	v_fma_f32 v14, -v5, v55, v14
	s_lshl_b32 s25, s25, 2
	ds_load_2addr_b32 v[55:56], v44 offset1:1
	s_waitcnt lgkmcnt(7)
	v_fma_f32 v13, -v0, v50, v13
	v_mov_b32_e32 v44, s25
	s_add_i32 s27, s28, s18
	v_fma_f32 v14, -v4, v57, v14
	s_lshl_b32 s25, s27, 2
	v_fma_f32 v18, -v3, v43, v18
	v_mov_b32_e32 v46, s25
	ds_load_2addr_b32 v[70:71], v44 offset1:1
	s_waitcnt lgkmcnt(6)
	v_fma_f32 v13, -v7, v52, v13
	s_add_i32 s25, s28, s19
	v_fma_f32 v14, -v11, v59, v14
	ds_load_2addr_b32 v[57:58], v46 offset1:1
	s_lshl_b32 s25, s25, 2
	v_fma_f32 v13, -v6, v54, v13
	v_mov_b32_e32 v44, s25
	s_add_i32 s25, s28, s20
	v_fma_f32 v14, -v10, v65, v14
	s_lshl_b32 s25, s25, 2
	s_waitcnt lgkmcnt(3)
	v_fma_f32 v13, -v5, v69, v13
	ds_load_2addr_b32 v[72:73], v44 offset1:1
	v_mov_b32_e32 v44, s25
	v_fma_f32 v35, -v9, v35, v14
	v_mul_f32_e32 v14, v74, v19
	s_waitcnt lgkmcnt(3)
	v_fma_f32 v13, -v4, v56, v13
	v_fma_f32 v19, -v15, v61, v36
	ds_load_2addr_b32 v[64:65], v44 offset1:1
	s_add_i32 s25, s5, 0xfffff0c4
	v_fma_f32 v35, -v8, v37, v35
	s_waitcnt lgkmcnt(3)
	v_fma_f32 v13, -v11, v71, v13
	v_fma_f32 v19, -v14, v63, v19
	v_mov_b32_e32 v46, s25
	s_add_i32 s25, s28, s21
	v_fma_f32 v35, -v15, v60, v35
	s_waitcnt lgkmcnt(2)
	v_fma_f32 v13, -v10, v58, v13
	s_lshl_b32 s25, s25, 2
	v_fma_f32 v18, -v2, v45, v18
	v_mov_b32_e32 v37, s25
	s_add_i32 s25, s28, s22
	ds_load_b32 v74, v46
	s_waitcnt lgkmcnt(2)
	v_fma_f32 v36, -v9, v73, v13
	v_mul_f32_e32 v13, v67, v19
	v_mov_b32_e32 v19, s30
	s_lshl_b32 s25, s25, 2
	v_fma_f32 v73, -v14, v62, v35
	v_fma_f32 v47, -v1, v47, v18
	s_waitcnt lgkmcnt(1)
	v_fma_f32 v50, -v8, v65, v36
	ds_load_2addr_b32 v[35:36], v37 offset1:1
	ds_load_2addr_b32 v[18:19], v19 offset1:1
	v_mov_b32_e32 v37, s25
	s_lshl_b32 s25, s24, 6
	s_add_i32 s27, s28, s23
	s_add_i32 s24, s28, s25
	s_lshl_b32 s27, s27, 2
	s_lshl_b32 s24, s24, 2
	v_mov_b32_e32 v43, s27
	v_mov_b32_e32 v45, s24
	s_add_i32 s24, s29, s10
	s_add_i32 s27, s29, s7
	s_lshl_b32 s24, s24, 2
	s_lshl_b32 s27, s27, 2
	v_mov_b32_e32 v48, s24
	ds_load_2addr_b32 v[37:38], v37 offset1:1
	ds_load_2addr_b32 v[43:44], v43 offset1:1
	;; [unrolled: 1-line block ×3, first 2 shown]
	v_fma_f32 v49, -v0, v49, v47
	v_mov_b32_e32 v52, s27
	s_add_i32 s30, s29, s12
	ds_load_2addr_b32 v[47:48], v48 offset1:1
	s_waitcnt lgkmcnt(5)
	v_fma_f32 v36, -v15, v36, v50
	v_fma_f32 v51, -v7, v51, v49
	ds_load_2addr_b32 v[49:50], v52 offset1:1
	s_lshl_b32 s30, s30, 2
	s_add_i32 s24, s6, 0xfffffc00
	s_waitcnt lgkmcnt(5)
	v_fma_f32 v12, -v3, v19, v12
	v_fma_f32 v53, -v6, v53, v51
	v_mov_b32_e32 v51, s30
	s_add_i32 s30, s29, s11
	s_add_i32 s31, s29, s13
	s_lshl_b32 s30, s30, 2
	s_add_i32 s27, s28, s24
	ds_load_2addr_b32 v[51:52], v51 offset1:1
	v_mov_b32_e32 v19, s30
	s_lshl_b32 s30, s31, 2
	s_lshl_b32 s27, s27, 2
	v_fma_f32 v56, -v5, v68, v53
	v_mov_b32_e32 v58, s30
	ds_load_2addr_b32 v[53:54], v19 offset1:1
	s_waitcnt lgkmcnt(3)
	v_fma_f32 v12, -v2, v48, v12
	v_mov_b32_e32 v19, s27
	s_add_i32 s27, s29, s14
	v_fma_f32 v48, -v4, v55, v56
	s_lshl_b32 s27, s27, 2
	ds_load_2addr_b32 v[55:56], v58 offset1:1
	s_waitcnt lgkmcnt(3)
	v_fma_f32 v12, -v1, v50, v12
	v_mov_b32_e32 v50, s27
	s_add_i32 s30, s29, s16
	v_fma_f32 v48, -v11, v70, v48
	s_lshl_b32 s27, s30, 2
	s_add_i32 s30, s29, s20
	ds_load_2addr_b32 v[58:59], v50 offset1:1
	v_mov_b32_e32 v60, s27
	s_add_i32 s27, s29, s17
	s_waitcnt lgkmcnt(3)
	v_fma_f32 v12, -v0, v52, v12
	s_lshl_b32 s27, s27, 2
	v_fma_f32 v48, -v10, v57, v48
	ds_load_2addr_b32 v[60:61], v60 offset1:1
	ds_load_2addr_b32 v[62:63], v19 offset1:1
	v_mov_b32_e32 v50, s27
	s_add_i32 s27, s29, s18
	s_waitcnt lgkmcnt(4)
	v_fma_f32 v12, -v7, v54, v12
	s_lshl_b32 s27, s27, 2
	v_fma_f32 v48, -v9, v72, v48
	v_mov_b32_e32 v19, s27
	s_add_i32 s27, s29, s19
	ds_load_2addr_b32 v[67:68], v50 offset1:1
	s_lshl_b32 s27, s27, 2
	s_waitcnt lgkmcnt(4)
	v_fma_f32 v12, -v6, v56, v12
	ds_load_2addr_b32 v[56:57], v19 offset1:1
	v_mov_b32_e32 v19, s27
	s_lshl_b32 s27, s30, 2
	s_add_i32 s30, s29, s25
	s_waitcnt lgkmcnt(4)
	v_fma_f32 v12, -v5, v59, v12
	s_lshl_b32 s30, s30, 2
	ds_load_2addr_b32 v[69:70], v19 offset1:1
	v_mov_b32_e32 v59, s30
	s_add_i32 s30, s29, s24
	s_waitcnt lgkmcnt(4)
	v_fma_f32 v12, -v4, v61, v12
	s_lshl_b32 s30, s30, 2
	s_delay_alu instid0(SALU_CYCLE_1)
	v_dual_mov_b32 v50, s27 :: v_dual_mov_b32 v61, s30
	s_add_i32 s27, s29, s21
	v_fma_f32 v48, -v8, v64, v48
	s_lshl_b32 s27, s27, 2
	ds_load_2addr_b32 v[71:72], v50 offset1:1
	v_mov_b32_e32 v19, s27
	s_add_i32 s27, s29, s22
	s_waitcnt lgkmcnt(3)
	v_fma_f32 v12, -v11, v68, v12
	s_lshl_b32 s27, s27, 2
	v_fma_f32 v38, -v14, v38, v36
	v_mov_b32_e32 v50, s27
	ds_load_2addr_b32 v[64:65], v19 offset1:1
	v_fma_f32 v48, -v15, v35, v48
	s_add_i32 s27, s5, 0xffffeebc
	s_waitcnt lgkmcnt(3)
	v_fma_f32 v52, -v10, v57, v12
	ds_load_2addr_b32 v[35:36], v50 offset1:1
	v_fma_f32 v19, -v13, v66, v73
	v_fma_f32 v37, -v14, v37, v48
	;; [unrolled: 1-line block ×3, first 2 shown]
	s_lshl_b32 s28, s28, 6
	s_delay_alu instid0(VALU_DEP_3)
	v_mul_f32_e32 v12, v74, v19
	v_fma_f32 v19, -v13, v44, v38
	v_mov_b32_e32 v44, s27
	s_add_i32 s27, s29, s23
	s_waitcnt lgkmcnt(3)
	v_fma_f32 v38, -v9, v70, v52
	s_lshl_b32 s27, s27, 2
	v_fma_f32 v19, -v12, v46, v19
	v_mov_b32_e32 v57, s27
	s_add_i32 s27, s6, 0xfffffb80
	v_fma_f32 v37, -v13, v43, v37
	s_add_i32 s31, s29, s27
	s_waitcnt lgkmcnt(2)
	v_fma_f32 v38, -v8, v72, v38
	s_lshl_b32 s31, s31, 2
	s_delay_alu instid0(SALU_CYCLE_1)
	v_dual_mul_f32 v19, v63, v19 :: v_dual_mov_b32 v18, s31
	s_sub_i32 s31, s4, 21
	v_fma_f32 v37, -v12, v45, v37
	s_add_i32 s34, s31, s6
	s_waitcnt lgkmcnt(1)
	v_fma_f32 v38, -v15, v65, v38
	v_mov_b32_e32 v43, s33
	s_lshl_b32 s33, s34, 2
	s_add_i32 s34, s31, s10
	ds_load_b32 v81, v44
	v_mov_b32_e32 v44, s33
	s_lshl_b32 s33, s34, 2
	v_fma_f32 v82, -v19, v62, v37
	s_waitcnt lgkmcnt(1)
	v_fma_f32 v38, -v14, v36, v38
	v_mov_b32_e32 v45, s33
	ds_load_2addr_b32 v[36:37], v18 offset1:1
	ds_load_b32 v83, v43
	ds_load_2addr_b32 v[43:44], v44 offset1:1
	s_add_i32 s33, s31, s7
	v_fma_f32 v17, -v2, v47, v17
	s_lshl_b32 s33, s33, 2
	ds_load_2addr_b32 v[45:46], v45 offset1:1
	v_mov_b32_e32 v18, s33
	s_add_i32 s34, s29, s28
	v_fma_f32 v17, -v1, v49, v17
	s_add_i32 s33, s31, s12
	s_lshl_b32 s30, s34, 2
	ds_load_2addr_b32 v[47:48], v18 offset1:1
	s_lshl_b32 s33, s33, 2
	s_add_i32 s34, s31, s11
	v_fma_f32 v17, -v0, v51, v17
	v_mov_b32_e32 v18, s33
	s_lshl_b32 s33, s34, 2
	s_sub_i32 s34, s4, 23
	v_mov_b32_e32 v51, s33
	s_add_i32 s33, s31, s13
	v_fma_f32 v17, -v7, v53, v17
	s_lshl_b32 s33, s33, 2
	ds_load_2addr_b32 v[49:50], v18 offset1:1
	s_waitcnt lgkmcnt(3)
	v_fma_f32 v16, -v3, v44, v16
	v_mov_b32_e32 v44, s33
	v_fma_f32 v17, -v6, v55, v17
	ds_load_2addr_b32 v[51:52], v51 offset1:1
	s_add_i32 s33, s31, s18
	s_waitcnt lgkmcnt(3)
	v_fma_f32 v16, -v2, v46, v16
	ds_load_2addr_b32 v[53:54], v44 offset1:1
	v_mov_b32_e32 v18, s30
	s_add_i32 s30, s31, s14
	v_fma_f32 v46, -v5, v58, v17
	s_lshl_b32 s30, s30, 2
	s_waitcnt lgkmcnt(3)
	v_fma_f32 v44, -v1, v48, v16
	v_mov_b32_e32 v48, s30
	ds_load_2addr_b32 v[16:17], v57 offset1:1
	ds_load_2addr_b32 v[57:58], v59 offset1:1
	;; [unrolled: 1-line block ×4, first 2 shown]
	v_fma_f32 v18, -v4, v60, v46
	s_add_i32 s30, s31, s16
	v_fma_f32 v23, -v3, v43, v23
	ds_load_2addr_b32 v[59:60], v48 offset1:1
	s_lshl_b32 s30, s30, 2
	s_waitcnt lgkmcnt(7)
	v_fma_f32 v44, -v0, v50, v44
	v_mov_b32_e32 v46, s30
	s_add_i32 s30, s31, s17
	v_fma_f32 v18, -v11, v67, v18
	s_lshl_b32 s30, s30, 2
	s_waitcnt lgkmcnt(6)
	v_fma_f32 v44, -v7, v52, v44
	ds_load_2addr_b32 v[67:68], v46 offset1:1
	v_mov_b32_e32 v46, s30
	s_lshl_b32 s30, s33, 2
	v_fma_f32 v18, -v10, v56, v18
	v_mov_b32_e32 v48, s30
	s_waitcnt lgkmcnt(6)
	v_fma_f32 v44, -v6, v54, v44
	ds_load_2addr_b32 v[54:55], v46 offset1:1
	s_add_i32 s30, s31, s19
	s_waitcnt lgkmcnt(6)
	v_fma_f32 v17, -v13, v17, v38
	s_lshl_b32 s30, s30, 2
	v_fma_f32 v18, -v9, v69, v18
	ds_load_2addr_b32 v[69:70], v48 offset1:1
	s_waitcnt lgkmcnt(3)
	v_fma_f32 v38, -v5, v60, v44
	v_mov_b32_e32 v44, s30
	s_add_i32 s33, s31, s20
	v_fma_f32 v18, -v8, v71, v18
	s_lshl_b32 s30, s33, 2
	v_fma_f32 v17, -v12, v58, v17
	ds_load_2addr_b32 v[71:72], v44 offset1:1
	v_mov_b32_e32 v46, s30
	s_add_i32 s30, s31, s21
	s_waitcnt lgkmcnt(3)
	v_fma_f32 v38, -v4, v68, v38
	s_lshl_b32 s30, s30, 2
	v_fma_f32 v18, -v15, v64, v18
	v_mov_b32_e32 v44, s30
	ds_load_2addr_b32 v[63:64], v46 offset1:1
	s_add_i32 s30, s31, s22
	s_waitcnt lgkmcnt(3)
	v_fma_f32 v38, -v11, v55, v38
	s_lshl_b32 s30, s30, 2
	ds_load_2addr_b32 v[55:56], v44 offset1:1
	v_mov_b32_e32 v46, s30
	s_add_i32 s30, s31, s23
	v_fma_f32 v18, -v14, v35, v18
	s_lshl_b32 s30, s30, 2
	s_waitcnt lgkmcnt(3)
	v_fma_f32 v35, -v10, v70, v38
	ds_load_2addr_b32 v[73:74], v46 offset1:1
	v_mov_b32_e32 v38, s30
	s_add_i32 s33, s31, s25
	v_fma_f32 v16, -v13, v16, v18
	s_lshl_b32 s30, s33, 2
	s_waitcnt lgkmcnt(3)
	v_fma_f32 v35, -v9, v72, v35
	ds_load_2addr_b32 v[75:76], v38 offset1:1
	v_mov_b32_e32 v44, s30
	s_add_i32 s30, s31, s24
	v_mul_f32_e32 v18, v81, v82
	v_fma_f32 v17, -v19, v62, v17
	s_lshl_b32 s30, s30, 2
	s_waitcnt lgkmcnt(3)
	v_fma_f32 v35, -v8, v64, v35
	v_mov_b32_e32 v38, s30
	ds_load_2addr_b32 v[77:78], v44 offset1:1
	s_add_i32 s30, s31, s28
	v_fma_f32 v17, -v18, v66, v17
	s_lshl_b32 s30, s30, 2
	ds_load_2addr_b32 v[79:80], v38 offset1:1
	s_waitcnt lgkmcnt(4)
	v_fma_f32 v35, -v15, v56, v35
	v_dual_mov_b32 v44, s30 :: v_dual_mul_f32 v17, v37, v17
	v_fma_f32 v16, -v12, v57, v16
	s_add_i32 s30, s31, s27
	s_waitcnt lgkmcnt(3)
	v_fma_f32 v35, -v14, v74, v35
	ds_load_2addr_b32 v[56:57], v44 offset1:1
	s_lshl_b32 s30, s30, 2
	v_fma_f32 v16, -v19, v61, v16
	v_fma_f32 v23, -v2, v45, v23
	s_waitcnt lgkmcnt(3)
	v_fma_f32 v35, -v13, v76, v35
	s_add_i32 s36, s34, s10
	s_add_i32 s37, s34, s7
	v_fma_f32 v16, -v18, v65, v16
	v_fma_f32 v23, -v1, v47, v23
	s_waitcnt lgkmcnt(2)
	v_fma_f32 v35, -v12, v78, v35
	s_lshl_b32 s36, s36, 2
	s_lshl_b32 s29, s29, 6
	v_fma_f32 v16, -v17, v36, v16
	v_mov_b32_e32 v36, s30
	s_add_i32 s30, s34, s6
	s_waitcnt lgkmcnt(1)
	v_fma_f32 v35, -v19, v80, v35
	s_lshl_b32 s35, s30, 2
	v_fma_f32 v23, -v0, v49, v23
	v_mov_b32_e32 v37, s35
	v_mov_b32_e32 v43, s36
	s_waitcnt lgkmcnt(0)
	v_fma_f32 v64, -v18, v57, v35
	ds_load_2addr_b32 v[35:36], v36 offset1:1
	s_lshl_b32 s36, s37, 2
	ds_load_2addr_b32 v[37:38], v37 offset1:1
	ds_load_2addr_b32 v[43:44], v43 offset1:1
	v_fma_f32 v23, -v7, v51, v23
	v_mov_b32_e32 v45, s36
	s_add_i32 s36, s34, s12
	s_add_i32 s33, s31, s29
	s_lshl_b32 s36, s36, 2
	s_lshl_b32 s33, s33, 2
	s_add_i32 s30, s6, 0xfffffb00
	v_fma_f32 v23, -v6, v53, v23
	v_mov_b32_e32 v47, s36
	ds_load_2addr_b32 v[45:46], v45 offset1:1
	v_mov_b32_e32 v53, s33
	s_add_i32 s33, s34, s11
	s_add_i32 s35, s31, s30
	s_lshl_b32 s33, s33, 2
	s_lshl_b32 s35, s35, 2
	v_fma_f32 v23, -v5, v59, v23
	ds_load_2addr_b32 v[47:48], v47 offset1:1
	v_mov_b32_e32 v60, s35
	s_waitcnt lgkmcnt(3)
	v_fma_f32 v22, -v3, v38, v22
	v_mov_b32_e32 v38, s33
	s_add_i32 s35, s34, s13
	v_fma_f32 v65, -v4, v67, v23
	s_lshl_b32 s33, s35, 2
	s_waitcnt lgkmcnt(2)
	v_fma_f32 v22, -v2, v44, v22
	v_mov_b32_e32 v23, s33
	ds_load_2addr_b32 v[49:50], v38 offset1:1
	s_add_i32 s33, s34, s14
	s_add_i32 s35, s5, 0xffffeaac
	s_lshl_b32 s33, s33, 2
	ds_load_2addr_b32 v[51:52], v23 offset1:1
	v_mov_b32_e32 v38, s33
	s_add_i32 s33, s34, s16
	s_waitcnt lgkmcnt(3)
	v_fma_f32 v22, -v1, v46, v22
	s_lshl_b32 s33, s33, 2
	v_mov_b32_e32 v44, s35
	ds_load_2addr_b32 v[57:58], v38 offset1:1
	v_mov_b32_e32 v46, s33
	s_add_i32 s33, s34, s17
	s_waitcnt lgkmcnt(3)
	v_fma_f32 v38, -v0, v48, v22
	s_lshl_b32 s33, s33, 2
	ds_load_2addr_b32 v[22:23], v53 offset1:1
	ds_load_2addr_b32 v[59:60], v60 offset1:1
	ds_load_b32 v44, v44
	ds_load_2addr_b32 v[61:62], v46 offset1:1
	v_mov_b32_e32 v46, s33
	v_fma_f32 v48, -v11, v54, v65
	s_add_i32 s33, s34, s18
	s_waitcnt lgkmcnt(6)
	v_fma_f32 v38, -v7, v50, v38
	s_lshl_b32 s33, s33, 2
	ds_load_2addr_b32 v[53:54], v46 offset1:1
	v_fma_f32 v46, -v10, v69, v48
	v_mov_b32_e32 v48, s33
	s_add_i32 s33, s34, s19
	v_fma_f32 v36, -v17, v36, v64
	s_lshl_b32 s33, s33, 2
	s_waitcnt lgkmcnt(6)
	v_fma_f32 v38, -v6, v52, v38
	ds_load_2addr_b32 v[64:65], v48 offset1:1
	v_mov_b32_e32 v48, s33
	s_add_i32 s35, s34, s20
	v_mul_f32_e32 v16, v83, v16
	s_lshl_b32 s33, s35, 2
	s_waitcnt lgkmcnt(6)
	v_fma_f32 v38, -v5, v58, v38
	v_fma_f32 v46, -v9, v71, v46
	v_mov_b32_e32 v50, s33
	ds_load_2addr_b32 v[66:67], v48 offset1:1
	s_add_i32 s33, s34, s21
	s_waitcnt lgkmcnt(3)
	v_fma_f32 v38, -v4, v62, v38
	s_lshl_b32 s33, s33, 2
	v_fma_f32 v23, -v16, v23, v36
	v_fma_f32 v36, -v8, v63, v46
	ds_load_2addr_b32 v[62:63], v50 offset1:1
	v_mov_b32_e32 v46, s33
	s_add_i32 s35, s34, s22
	s_waitcnt lgkmcnt(3)
	v_fma_f32 v38, -v11, v54, v38
	s_lshl_b32 s33, s35, 2
	v_fma_f32 v36, -v15, v55, v36
	ds_load_2addr_b32 v[54:55], v46 offset1:1
	v_mov_b32_e32 v48, s33
	s_add_i32 s33, s34, s23
	s_waitcnt lgkmcnt(3)
	v_fma_f32 v38, -v10, v65, v38
	s_lshl_b32 s33, s33, 2
	v_fma_f32 v36, -v14, v73, v36
	v_mov_b32_e32 v46, s33
	ds_load_2addr_b32 v[68:69], v48 offset1:1
	s_add_i32 s33, s34, s25
	s_waitcnt lgkmcnt(3)
	v_fma_f32 v38, -v9, v67, v38
	s_lshl_b32 s33, s33, 2
	ds_load_2addr_b32 v[70:71], v46 offset1:1
	v_mov_b32_e32 v48, s33
	s_add_i32 s33, s34, s24
	v_fma_f32 v36, -v13, v75, v36
	s_lshl_b32 s33, s33, 2
	s_waitcnt lgkmcnt(3)
	v_fma_f32 v38, -v8, v63, v38
	ds_load_2addr_b32 v[72:73], v48 offset1:1
	v_mov_b32_e32 v46, s33
	s_add_i32 s33, s34, s28
	v_fma_f32 v36, -v12, v77, v36
	s_lshl_b32 s33, s33, 2
	s_waitcnt lgkmcnt(3)
	v_fma_f32 v38, -v15, v55, v38
	;; [unrolled: 7-line block ×3, first 2 shown]
	ds_load_2addr_b32 v[76:77], v48 offset1:1
	v_mov_b32_e32 v46, s33
	v_fma_f32 v36, -v18, v56, v36
	s_add_i32 s33, s34, s29
	s_waitcnt lgkmcnt(3)
	v_fma_f32 v38, -v13, v71, v38
	s_lshl_b32 s33, s33, 2
	ds_load_2addr_b32 v[55:56], v46 offset1:1
	v_fma_f32 v35, -v17, v35, v36
	v_mov_b32_e32 v36, s33
	s_waitcnt lgkmcnt(3)
	v_fma_f32 v38, -v12, v73, v38
	v_fma_f32 v21, -v3, v37, v21
	v_mul_f32_e32 v23, v60, v23
	v_fma_f32 v22, -v16, v22, v35
	ds_load_2addr_b32 v[35:36], v36 offset1:1
	s_waitcnt lgkmcnt(3)
	v_fma_f32 v37, -v19, v75, v38
	s_add_i32 s33, s39, s6
	v_fma_f32 v21, -v2, v43, v21
	s_lshl_b32 s33, s33, 2
	v_fma_f32 v22, -v23, v59, v22
	s_add_i32 s35, s34, s30
	s_waitcnt lgkmcnt(2)
	v_fma_f32 v37, -v18, v77, v37
	v_fma_f32 v21, -v1, v45, v21
	s_add_i32 s36, s39, s14
	v_mul_f32_e32 v22, v44, v22
	s_lshl_b32 s31, s31, 6
	s_sub_i32 s37, s4, 27
	s_waitcnt lgkmcnt(1)
	v_fma_f32 v43, -v17, v56, v37
	v_mov_b32_e32 v37, s33
	s_add_i32 s33, s39, s10
	v_fma_f32 v21, -v0, v47, v21
	s_lshl_b32 s33, s33, 2
	s_add_i32 s40, s37, s22
	ds_load_2addr_b32 v[37:38], v37 offset1:1
	v_mov_b32_e32 v44, s33
	s_lshl_b32 s33, s35, 2
	v_fma_f32 v21, -v7, v49, v21
	v_mov_b32_e32 v71, s33
	s_add_i32 s33, s39, s7
	s_add_i32 s35, s39, s12
	s_lshl_b32 s33, s33, 2
	v_fma_f32 v21, -v6, v51, v21
	v_mov_b32_e32 v45, s33
	s_lshl_b32 s33, s35, 2
	s_add_i32 s35, s39, s11
	v_mov_b32_e32 v47, s33
	s_lshl_b32 s35, s35, 2
	ds_load_2addr_b32 v[45:46], v45 offset1:1
	s_waitcnt lgkmcnt(2)
	v_fma_f32 v36, -v16, v36, v43
	ds_load_2addr_b32 v[43:44], v44 offset1:1
	v_fma_f32 v21, -v5, v57, v21
	ds_load_2addr_b32 v[47:48], v47 offset1:1
	s_add_i32 s33, s34, s31
	s_waitcnt lgkmcnt(3)
	v_fma_f32 v20, -v3, v38, v20
	v_mov_b32_e32 v38, s35
	s_add_i32 s35, s39, s13
	v_fma_f32 v21, -v4, v61, v21
	s_lshl_b32 s35, s35, 2
	s_lshl_b32 s33, s33, 2
	ds_load_2addr_b32 v[49:50], v38 offset1:1
	v_mov_b32_e32 v38, s35
	s_lshl_b32 s35, s36, 2
	v_fma_f32 v21, -v11, v53, v21
	s_add_i32 s36, s39, s21
	v_fma_f32 v34, -v3, v37, v34
	ds_load_2addr_b32 v[51:52], v38 offset1:1
	s_lshl_b32 s36, s36, 2
	v_fma_f32 v21, -v10, v64, v21
	s_waitcnt lgkmcnt(3)
	v_fma_f32 v20, -v2, v44, v20
	v_mov_b32_e32 v44, s35
	s_add_i32 s35, s39, s16
	v_fma_f32 v21, -v9, v66, v21
	s_lshl_b32 s35, s35, 2
	v_fma_f32 v20, -v1, v46, v20
	ds_load_2addr_b32 v[56:57], v44 offset1:1
	v_mov_b32_e32 v38, s35
	s_add_i32 s35, s39, s17
	v_fma_f32 v21, -v8, v62, v21
	s_lshl_b32 s35, s35, 2
	v_fma_f32 v34, -v2, v43, v34
	ds_load_2addr_b32 v[58:59], v38 offset1:1
	s_waitcnt lgkmcnt(4)
	v_fma_f32 v20, -v0, v48, v20
	v_mov_b32_e32 v38, s35
	s_add_i32 s35, s39, s18
	v_fma_f32 v21, -v15, v54, v21
	s_lshl_b32 s35, s35, 2
	s_waitcnt lgkmcnt(3)
	v_fma_f32 v20, -v7, v50, v20
	v_mov_b32_e32 v44, s35
	ds_load_2addr_b32 v[60:61], v38 offset1:1
	s_add_i32 s35, s39, s19
	v_fma_f32 v21, -v14, v68, v21
	s_lshl_b32 s35, s35, 2
	s_waitcnt lgkmcnt(3)
	v_fma_f32 v20, -v6, v52, v20
	ds_load_2addr_b32 v[52:53], v44 offset1:1
	v_mov_b32_e32 v38, s35
	s_add_i32 s35, s39, s20
	v_fma_f32 v21, -v13, v70, v21
	s_lshl_b32 s35, s35, 2
	s_waitcnt lgkmcnt(3)
	v_fma_f32 v20, -v5, v57, v20
	v_mov_b32_e32 v44, s35
	ds_load_2addr_b32 v[62:63], v38 offset1:1
	v_fma_f32 v21, -v12, v72, v21
	v_fma_f32 v34, -v1, v45, v34
	s_waitcnt lgkmcnt(3)
	v_fma_f32 v20, -v4, v59, v20
	ds_load_2addr_b32 v[64:65], v44 offset1:1
	v_mov_b32_e32 v38, s33
	s_add_i32 s33, s6, 0xfffffa80
	v_mov_b32_e32 v44, s36
	s_add_i32 s35, s34, s33
	s_waitcnt lgkmcnt(3)
	v_fma_f32 v20, -v11, v61, v20
	s_lshl_b32 s35, s35, 2
	v_fma_f32 v21, -v19, v74, v21
	v_mov_b32_e32 v46, s35
	s_add_i32 s35, s39, s22
	s_waitcnt lgkmcnt(2)
	v_fma_f32 v20, -v10, v53, v20
	s_lshl_b32 s35, s35, 2
	ds_load_2addr_b32 v[53:54], v44 offset1:1
	v_mov_b32_e32 v44, s35
	s_add_i32 s36, s39, s23
	v_fma_f32 v48, -v18, v76, v21
	s_lshl_b32 s35, s36, 2
	s_waitcnt lgkmcnt(2)
	v_fma_f32 v20, -v9, v63, v20
	v_mov_b32_e32 v21, s35
	ds_load_2addr_b32 v[66:67], v44 offset1:1
	s_add_i32 s35, s39, s25
	s_add_i32 s36, s39, s28
	s_lshl_b32 s35, s35, 2
	ds_load_2addr_b32 v[68:69], v21 offset1:1
	v_mov_b32_e32 v50, s35
	s_add_i32 s35, s39, s24
	s_waitcnt lgkmcnt(3)
	v_fma_f32 v44, -v8, v65, v20
	s_lshl_b32 s35, s35, 2
	ds_load_2addr_b32 v[20:21], v71 offset1:1
	ds_load_2addr_b32 v[70:71], v38 offset1:1
	;; [unrolled: 1-line block ×4, first 2 shown]
	v_mov_b32_e32 v46, s35
	s_lshl_b32 s35, s36, 2
	v_fma_f32 v38, -v17, v55, v48
	s_waitcnt lgkmcnt(6)
	v_fma_f32 v44, -v15, v54, v44
	v_mov_b32_e32 v48, s35
	ds_load_2addr_b32 v[54:55], v46 offset1:1
	s_add_i32 s35, s39, s27
	s_add_i32 s36, s5, 0xffffe8a4
	s_lshl_b32 s35, s35, 2
	ds_load_2addr_b32 v[76:77], v48 offset1:1
	s_waitcnt lgkmcnt(7)
	v_fma_f32 v44, -v14, v67, v44
	v_mov_b32_e32 v50, s35
	s_add_i32 s35, s39, s29
	v_mov_b32_e32 v46, s36
	s_lshl_b32 s35, s35, 2
	s_waitcnt lgkmcnt(6)
	v_fma_f32 v44, -v13, v69, v44
	ds_load_2addr_b32 v[78:79], v50 offset1:1
	v_mov_b32_e32 v48, s35
	ds_load_b32 v46, v46
	s_waitcnt lgkmcnt(7)
	v_fma_f32 v21, -v23, v21, v36
	v_fma_f32 v38, -v16, v35, v38
	s_waitcnt lgkmcnt(4)
	v_fma_f32 v44, -v12, v75, v44
	ds_load_2addr_b32 v[35:36], v48 offset1:1
	s_add_i32 s35, s39, s30
	v_fma_f32 v21, -v22, v71, v21
	v_fma_f32 v20, -v23, v20, v38
	s_waitcnt lgkmcnt(4)
	v_fma_f32 v38, -v19, v55, v44
	s_lshl_b32 s35, s35, 2
	s_add_i32 s36, s39, s33
	v_mov_b32_e32 v44, s35
	s_lshl_b32 s36, s36, 2
	s_waitcnt lgkmcnt(3)
	v_fma_f32 v38, -v18, v77, v38
	v_mul_f32_e32 v21, v73, v21
	v_fma_f32 v20, -v22, v70, v20
	v_mov_b32_e32 v48, s36
	s_add_i32 s36, s37, s6
	s_waitcnt lgkmcnt(2)
	v_fma_f32 v38, -v17, v79, v38
	s_lshl_b32 s36, s36, 2
	v_fma_f32 v20, -v21, v72, v20
	v_mov_b32_e32 v43, s36
	s_add_i32 s35, s39, s31
	s_lshl_b32 s34, s34, 6
	s_waitcnt lgkmcnt(0)
	v_fma_f32 v38, -v16, v36, v38
	ds_load_2addr_b32 v[36:37], v44 offset1:1
	s_lshl_b32 s35, s35, 2
	ds_load_2addr_b32 v[43:44], v43 offset1:1
	v_mul_f32_e32 v20, v46, v20
	v_mov_b32_e32 v46, s35
	s_add_i32 s35, s39, s34
	v_fma_f32 v34, -v0, v47, v34
	s_lshl_b32 s35, s35, 2
	s_add_i32 s36, s37, s11
	v_mov_b32_e32 v50, s35
	s_add_i32 s35, s37, s10
	v_fma_f32 v34, -v7, v49, v34
	s_lshl_b32 s35, s35, 2
	ds_load_2addr_b32 v[45:46], v46 offset1:1
	ds_load_2addr_b32 v[47:48], v48 offset1:1
	;; [unrolled: 1-line block ×3, first 2 shown]
	v_mov_b32_e32 v55, s35
	s_add_i32 s35, s37, s7
	v_fma_f32 v34, -v6, v51, v34
	s_lshl_b32 s35, s35, 2
	ds_load_2addr_b32 v[69:70], v55 offset1:1
	s_waitcnt lgkmcnt(5)
	v_fma_f32 v51, -v23, v37, v38
	v_mov_b32_e32 v37, s35
	s_add_i32 s35, s37, s12
	v_fma_f32 v34, -v5, v56, v34
	s_lshl_b32 s35, s35, 2
	s_waitcnt lgkmcnt(4)
	v_fma_f32 v27, -v3, v44, v27
	ds_load_2addr_b32 v[37:38], v37 offset1:1
	v_mov_b32_e32 v55, s35
	s_lshl_b32 s35, s36, 2
	v_fma_f32 v34, -v4, v58, v34
	v_mov_b32_e32 v57, s35
	s_add_i32 s35, s37, s13
	ds_load_2addr_b32 v[55:56], v55 offset1:1
	s_lshl_b32 s35, s35, 2
	s_waitcnt lgkmcnt(5)
	v_fma_f32 v44, -v22, v46, v51
	v_mov_b32_e32 v46, s35
	ds_load_2addr_b32 v[57:58], v57 offset1:1
	s_add_i32 s35, s37, s14
	v_fma_f32 v34, -v11, v60, v34
	s_lshl_b32 s35, s35, 2
	s_waitcnt lgkmcnt(3)
	v_fma_f32 v27, -v2, v70, v27
	ds_load_2addr_b32 v[59:60], v46 offset1:1
	v_mov_b32_e32 v46, s35
	s_add_i32 s36, s37, s16
	v_fma_f32 v34, -v10, v52, v34
	s_lshl_b32 s35, s36, 2
	s_waitcnt lgkmcnt(3)
	v_fma_f32 v27, -v1, v38, v27
	ds_load_2addr_b32 v[70:71], v46 offset1:1
	v_mov_b32_e32 v38, s35
	s_add_i32 s35, s37, s17
	s_add_i32 s36, s37, s18
	s_lshl_b32 s35, s35, 2
	s_waitcnt lgkmcnt(3)
	v_fma_f32 v27, -v0, v56, v27
	ds_load_2addr_b32 v[51:52], v38 offset1:1
	v_mov_b32_e32 v46, s35
	s_lshl_b32 s36, s36, 2
	v_fma_f32 v34, -v9, v62, v34
	s_waitcnt lgkmcnt(3)
	v_fma_f32 v27, -v7, v58, v27
	v_mov_b32_e32 v38, s36
	ds_load_2addr_b32 v[61:62], v46 offset1:1
	s_add_i32 s36, s37, s19
	v_fma_f32 v34, -v8, v64, v34
	s_waitcnt lgkmcnt(3)
	v_fma_f32 v27, -v6, v60, v27
	ds_load_2addr_b32 v[63:64], v38 offset1:1
	s_add_i32 s35, s6, 0xfffffa00
	s_lshl_b32 s36, s36, 2
	s_add_i32 s38, s39, s35
	v_mov_b32_e32 v38, s36
	s_waitcnt lgkmcnt(3)
	v_fma_f32 v27, -v5, v71, v27
	s_lshl_b32 s36, s38, 2
	s_add_i32 s38, s37, s20
	v_fma_f32 v34, -v15, v53, v34
	s_lshl_b32 s38, s38, 2
	ds_load_2addr_b32 v[71:72], v38 offset1:1
	s_waitcnt lgkmcnt(3)
	v_fma_f32 v27, -v4, v52, v27
	v_mov_b32_e32 v38, s38
	s_add_i32 s38, s37, s21
	v_fma_f32 v34, -v14, v66, v34
	s_lshl_b32 s38, s38, 2
	s_waitcnt lgkmcnt(2)
	v_fma_f32 v27, -v11, v62, v27
	ds_load_2addr_b32 v[52:53], v38 offset1:1
	v_mov_b32_e32 v38, s38
	s_lshl_b32 s38, s40, 2
	v_fma_f32 v34, -v13, v68, v34
	v_mov_b32_e32 v46, s38
	s_waitcnt lgkmcnt(2)
	v_fma_f32 v27, -v10, v64, v27
	ds_load_2addr_b32 v[64:65], v38 offset1:1
	s_add_i32 s38, s37, s25
	v_fma_f32 v34, -v12, v74, v34
	ds_load_2addr_b32 v[66:67], v46 offset1:1
	v_mov_b32_e32 v38, s36
	s_add_i32 s36, s37, s23
	v_fma_f32 v26, -v3, v43, v26
	s_lshl_b32 s36, s36, 2
	s_waitcnt lgkmcnt(3)
	v_fma_f32 v27, -v9, v72, v27
	v_mov_b32_e32 v46, s36
	s_lshl_b32 s36, s38, 2
	v_fma_f32 v34, -v19, v54, v34
	v_mov_b32_e32 v54, s36
	s_add_i32 s36, s37, s24
	ds_load_2addr_b32 v[72:73], v46 offset1:1
	ds_load_2addr_b32 v[74:75], v38 offset1:1
	s_lshl_b32 s36, s36, 2
	s_waitcnt lgkmcnt(4)
	v_fma_f32 v27, -v8, v53, v27
	v_mov_b32_e32 v46, s36
	s_add_i32 s36, s37, s28
	ds_load_2addr_b32 v[53:54], v54 offset1:1
	s_lshl_b32 s36, s36, 2
	s_waitcnt lgkmcnt(4)
	v_fma_f32 v27, -v15, v65, v27
	v_mov_b32_e32 v38, s36
	s_add_i32 s36, s37, s27
	v_fma_f32 v34, -v18, v76, v34
	ds_load_2addr_b32 v[76:77], v46 offset1:1
	s_lshl_b32 s36, s36, 2
	s_add_i32 s38, s37, s29
	s_waitcnt lgkmcnt(4)
	v_fma_f32 v27, -v14, v67, v27
	ds_load_2addr_b32 v[67:68], v38 offset1:1
	v_mov_b32_e32 v38, s36
	s_lshl_b32 s36, s38, 2
	v_fma_f32 v34, -v17, v78, v34
	v_mov_b32_e32 v46, s36
	s_add_i32 s36, s37, s30
	s_waitcnt lgkmcnt(4)
	v_fma_f32 v27, -v13, v73, v27
	s_lshl_b32 s36, s36, 2
	ds_load_2addr_b32 v[78:79], v38 offset1:1
	ds_load_2addr_b32 v[80:81], v46 offset1:1
	v_mov_b32_e32 v38, s36
	v_fma_f32 v26, -v2, v69, v26
	s_add_i32 s36, s37, s31
	s_add_i32 s40, s37, s35
	s_lshl_b32 s36, s36, 2
	s_lshl_b32 s40, s40, 2
	v_fma_f32 v26, -v1, v37, v26
	v_mov_b32_e32 v37, s42
	v_fma_f32 v46, -v16, v35, v34
	ds_load_2addr_b32 v[34:35], v38 offset1:1
	s_waitcnt lgkmcnt(5)
	v_fma_f32 v27, -v12, v54, v27
	v_mov_b32_e32 v54, s36
	s_add_i32 s36, s5, 0xffffe69c
	v_fma_f32 v38, -v21, v48, v44
	v_mov_b32_e32 v44, s36
	s_add_i32 s36, s37, s33
	s_waitcnt lgkmcnt(4)
	v_fma_f32 v27, -v19, v77, v27
	s_lshl_b32 s36, s36, 2
	v_fma_f32 v26, -v0, v55, v26
	v_mov_b32_e32 v56, s36
	s_add_i32 s36, s37, s34
	ds_load_2addr_b32 v[82:83], v54 offset1:1
	ds_load_b32 v84, v44
	s_lshl_b32 s38, s36, 2
	v_fma_f32 v26, -v7, v57, v26
	v_mov_b32_e32 v57, s38
	s_waitcnt lgkmcnt(5)
	v_fma_f32 v27, -v18, v68, v27
	v_fma_f32 v38, -v20, v50, v38
	;; [unrolled: 1-line block ×3, first 2 shown]
	s_add_i32 s36, s6, 0xfffff980
	v_fma_f32 v26, -v6, v59, v26
	s_waitcnt lgkmcnt(4)
	v_fma_f32 v43, -v17, v79, v27
	v_mul_f32_e32 v27, v75, v38
	v_fma_f32 v36, -v22, v45, v36
	s_add_i32 s38, s37, s36
	v_fma_f32 v26, -v5, v70, v26
	s_waitcnt lgkmcnt(3)
	v_fma_f32 v38, -v16, v81, v43
	s_lshl_b32 s38, s38, 2
	v_fma_f32 v36, -v21, v47, v36
	v_mov_b32_e32 v58, s40
	v_fma_f32 v26, -v4, v51, v26
	s_waitcnt lgkmcnt(2)
	v_fma_f32 v35, -v23, v35, v38
	s_lshl_b32 s39, s39, 6
	v_fma_f32 v36, -v20, v49, v36
	v_fma_f32 v26, -v11, v61, v26
	s_waitcnt lgkmcnt(1)
	v_fma_f32 v81, -v22, v83, v35
	v_mov_b32_e32 v35, s38
	s_sub_i32 s38, s4, 29
	v_fma_f32 v85, -v27, v74, v36
	s_add_i32 s41, s38, s6
	s_add_i32 s40, s38, s12
	s_lshl_b32 s41, s41, 2
	s_lshl_b32 s40, s40, 2
	v_mov_b32_e32 v38, s41
	s_add_i32 s41, s38, s10
	ds_load_2addr_b32 v[35:36], v35 offset1:1
	ds_load_b32 v86, v37
	ds_load_2addr_b32 v[37:38], v38 offset1:1
	s_lshl_b32 s41, s41, 2
	v_fma_f32 v26, -v10, v63, v26
	v_mov_b32_e32 v43, s41
	s_add_i32 s41, s38, s7
	v_mov_b32_e32 v47, s40
	s_lshl_b32 s41, s41, 2
	v_fma_f32 v26, -v9, v71, v26
	ds_load_2addr_b32 v[43:44], v43 offset1:1
	v_mov_b32_e32 v45, s41
	s_add_i32 s41, s38, s11
	ds_load_2addr_b32 v[47:48], v47 offset1:1
	s_lshl_b32 s40, s41, 2
	v_fma_f32 v26, -v8, v52, v26
	ds_load_2addr_b32 v[45:46], v45 offset1:1
	v_mov_b32_e32 v49, s40
	s_add_i32 s40, s38, s13
	s_add_i32 s41, s38, s18
	s_lshl_b32 s40, s40, 2
	s_add_i32 s42, s38, s21
	ds_load_2addr_b32 v[49:50], v49 offset1:1
	s_waitcnt lgkmcnt(4)
	v_fma_f32 v25, -v3, v38, v25
	v_mov_b32_e32 v38, s40
	s_add_i32 s40, s38, s14
	v_fma_f32 v24, -v3, v37, v24
	s_lshl_b32 s40, s40, 2
	ds_load_2addr_b32 v[51:52], v38 offset1:1
	s_waitcnt lgkmcnt(4)
	v_fma_f32 v25, -v2, v44, v25
	v_fma_f32 v44, -v15, v64, v26
	v_mov_b32_e32 v26, s40
	s_add_i32 s40, s38, s16
	v_fma_f32 v24, -v2, v43, v24
	s_lshl_b32 s40, s40, 2
	v_fma_f32 v44, -v14, v66, v44
	ds_load_2addr_b32 v[54:55], v26 offset1:1
	s_waitcnt lgkmcnt(3)
	v_fma_f32 v38, -v1, v46, v25
	v_mov_b32_e32 v46, s40
	s_add_i32 s40, s38, s17
	ds_load_2addr_b32 v[25:26], v56 offset1:1
	ds_load_2addr_b32 v[56:57], v57 offset1:1
	ds_load_2addr_b32 v[58:59], v58 offset1:1
	s_lshl_b32 s40, s40, 2
	v_fma_f32 v38, -v0, v48, v38
	ds_load_2addr_b32 v[60:61], v46 offset1:1
	v_mov_b32_e32 v46, s40
	s_lshl_b32 s40, s41, 2
	v_fma_f32 v44, -v13, v72, v44
	s_waitcnt lgkmcnt(6)
	v_fma_f32 v38, -v7, v50, v38
	v_mov_b32_e32 v48, s40
	s_add_i32 s41, s38, s19
	ds_load_2addr_b32 v[62:63], v46 offset1:1
	s_lshl_b32 s41, s41, 2
	s_waitcnt lgkmcnt(6)
	v_fma_f32 v38, -v6, v52, v38
	v_fma_f32 v44, -v12, v53, v44
	ds_load_2addr_b32 v[52:53], v48 offset1:1
	v_mov_b32_e32 v46, s41
	s_add_i32 s41, s38, s20
	s_waitcnt lgkmcnt(6)
	v_fma_f32 v38, -v5, v55, v38
	s_lshl_b32 s41, s41, 2
	v_fma_f32 v44, -v19, v76, v44
	ds_load_2addr_b32 v[64:65], v46 offset1:1
	v_mov_b32_e32 v46, s41
	s_lshl_b32 s41, s42, 2
	s_waitcnt lgkmcnt(3)
	v_fma_f32 v38, -v4, v61, v38
	v_mov_b32_e32 v48, s41
	s_add_i32 s41, s38, s22
	v_fma_f32 v44, -v18, v67, v44
	s_lshl_b32 s41, s41, 2
	ds_load_2addr_b32 v[66:67], v46 offset1:1
	ds_load_2addr_b32 v[68:69], v48 offset1:1
	v_mov_b32_e32 v46, s41
	s_add_i32 s41, s38, s23
	s_add_i32 s42, s38, s25
	s_lshl_b32 s41, s41, 2
	s_waitcnt lgkmcnt(4)
	v_fma_f32 v38, -v11, v63, v38
	ds_load_2addr_b32 v[70:71], v46 offset1:1
	v_mov_b32_e32 v46, s41
	s_lshl_b32 s41, s42, 2
	v_fma_f32 v44, -v17, v78, v44
	v_mov_b32_e32 v48, s41
	s_add_i32 s40, s37, s39
	s_waitcnt lgkmcnt(4)
	v_fma_f32 v38, -v10, v53, v38
	s_lshl_b32 s40, s40, 2
	v_fma_f32 v44, -v16, v80, v44
	ds_load_2addr_b32 v[72:73], v46 offset1:1
	ds_load_2addr_b32 v[74:75], v48 offset1:1
	v_mov_b32_e32 v48, s40
	s_add_i32 s40, s38, s28
	s_waitcnt lgkmcnt(5)
	v_fma_f32 v38, -v9, v65, v38
	s_lshl_b32 s40, s40, 2
	v_fma_f32 v34, -v23, v34, v44
	v_mov_b32_e32 v44, s40
	s_add_i32 s41, s38, s24
	s_waitcnt lgkmcnt(4)
	v_fma_f32 v38, -v8, v67, v38
	s_lshl_b32 s41, s41, 2
	v_fma_f32 v26, -v21, v26, v81
	ds_load_2addr_b32 v[80:81], v44 offset1:1
	v_mov_b32_e32 v46, s41
	s_waitcnt lgkmcnt(4)
	v_fma_f32 v38, -v15, v69, v38
	s_add_i32 s40, s38, s27
	v_fma_f32 v34, -v22, v82, v34
	s_lshl_b32 s40, s40, 2
	ds_load_2addr_b32 v[76:77], v46 offset1:1
	s_waitcnt lgkmcnt(4)
	v_fma_f32 v38, -v14, v71, v38
	v_mov_b32_e32 v44, s40
	s_add_i32 s40, s38, s29
	ds_load_2addr_b32 v[78:79], v48 offset1:1
	s_lshl_b32 s40, s40, 2
	s_waitcnt lgkmcnt(4)
	v_fma_f32 v38, -v13, v73, v38
	ds_load_2addr_b32 v[82:83], v44 offset1:1
	v_fma_f32 v25, -v21, v25, v34
	v_mov_b32_e32 v44, s40
	v_fma_f32 v46, -v20, v57, v26
	s_waitcnt lgkmcnt(4)
	v_fma_f32 v34, -v12, v75, v38
	s_add_i32 s40, s38, s30
	s_add_i32 s41, s38, s31
	s_lshl_b32 s40, s40, 2
	v_fma_f32 v25, -v20, v56, v25
	ds_load_2addr_b32 v[55:56], v44 offset1:1
	s_lshl_b32 s41, s41, 2
	v_mov_b32_e32 v44, s40
	v_fma_f32 v38, -v27, v59, v46
	s_waitcnt lgkmcnt(3)
	v_fma_f32 v34, -v19, v77, v34
	v_mov_b32_e32 v46, s41
	v_mul_f32_e32 v26, v84, v85
	v_fma_f32 v50, -v27, v58, v25
	ds_load_2addr_b32 v[57:58], v44 offset1:1
	ds_load_2addr_b32 v[84:85], v46 offset1:1
	v_fma_f32 v34, -v18, v81, v34
	s_add_i32 s40, s38, s33
	s_add_i32 s41, s38, s34
	s_lshl_b32 s40, s40, 2
	s_waitcnt lgkmcnt(4)
	v_fma_f32 v48, -v26, v79, v38
	s_waitcnt lgkmcnt(3)
	v_fma_f32 v25, -v17, v83, v34
	v_mov_b32_e32 v34, s40
	s_lshl_b32 s40, s41, 2
	s_add_i32 s41, s38, s35
	v_mov_b32_e32 v44, s40
	s_lshl_b32 s40, s41, 2
	ds_load_2addr_b32 v[37:38], v34 offset1:1
	s_waitcnt lgkmcnt(3)
	v_fma_f32 v25, -v16, v56, v25
	v_fma_f32 v24, -v1, v45, v24
	ds_load_2addr_b32 v[43:44], v44 offset1:1
	v_mov_b32_e32 v34, s40
	s_add_i32 s40, s38, s39
	s_sub_i32 s41, s4, 31
	s_lshl_b32 s40, s40, 2
	s_waitcnt lgkmcnt(3)
	v_fma_f32 v53, -v23, v58, v25
	v_mov_b32_e32 v56, s40
	ds_load_2addr_b32 v[45:46], v34 offset1:1
	v_fma_f32 v24, -v0, v47, v24
	v_mul_f32_e32 v25, v36, v48
	s_waitcnt lgkmcnt(3)
	v_fma_f32 v36, -v22, v85, v53
	ds_load_2addr_b32 v[47:48], v56 offset1:1
	v_fma_f32 v34, -v26, v78, v50
	v_fma_f32 v24, -v7, v49, v24
	s_add_i32 s40, s41, s6
	s_add_i32 s10, s41, s10
	s_lshl_b32 s40, s40, 2
	v_fma_f32 v34, -v25, v35, v34
	s_waitcnt lgkmcnt(3)
	v_fma_f32 v35, -v21, v38, v36
	v_fma_f32 v36, -v6, v51, v24
	s_add_i32 s7, s41, s7
	s_lshl_b32 s10, s10, 2
	v_mul_f32_e32 v24, v86, v34
	s_waitcnt lgkmcnt(2)
	v_fma_f32 v34, -v20, v44, v35
	v_fma_f32 v35, -v5, v54, v36
	v_mov_b32_e32 v36, s40
	s_lshl_b32 s7, s7, 2
	s_addk_i32 s6, 0xf900
	s_waitcnt lgkmcnt(1)
	v_fma_f32 v38, -v27, v46, v34
	v_fma_f32 v44, -v4, v60, v35
	v_mov_b32_e32 v46, s10
	ds_load_2addr_b32 v[34:35], v36 offset1:1
	s_add_i32 s10, s41, s12
	s_waitcnt lgkmcnt(1)
	v_fma_f32 v77, -v26, v48, v38
	v_mov_b32_e32 v38, s7
	ds_load_2addr_b32 v[48:49], v46 offset1:1
	s_lshl_b32 s10, s10, 2
	s_add_i32 s12, s41, s19
	s_add_i32 s7, s38, s36
	ds_load_2addr_b32 v[50:51], v38 offset1:1
	v_fma_f32 v36, -v11, v62, v44
	v_mov_b32_e32 v38, s10
	s_add_i32 s10, s41, s11
	s_add_i32 s11, s41, s16
	s_lshl_b32 s10, s10, 2
	v_fma_f32 v36, -v10, v52, v36
	ds_load_2addr_b32 v[52:53], v38 offset1:1
	v_mov_b32_e32 v38, s10
	s_add_i32 s10, s41, s13
	s_lshl_b32 s7, s7, 2
	v_fma_f32 v36, -v9, v64, v36
	s_waitcnt lgkmcnt(3)
	v_fma_f32 v33, -v3, v35, v33
	s_lshl_b32 s10, s10, 2
	v_fma_f32 v34, -v3, v34, v32
	v_mov_b32_e32 v46, s10
	v_fma_f32 v44, -v8, v66, v36
	ds_load_2addr_b32 v[35:36], v38 offset1:1
	s_waitcnt lgkmcnt(3)
	v_fma_f32 v33, -v2, v49, v33
	s_add_i32 s10, s41, s14
	ds_load_2addr_b32 v[58:59], v46 offset1:1
	v_fma_f32 v44, -v15, v68, v44
	s_lshl_b32 s10, s10, 2
	s_waitcnt lgkmcnt(3)
	v_fma_f32 v33, -v1, v51, v33
	v_mov_b32_e32 v46, s10
	s_lshl_b32 s10, s11, 2
	v_fma_f32 v44, -v14, v70, v44
	v_mov_b32_e32 v49, s10
	s_waitcnt lgkmcnt(2)
	v_fma_f32 v33, -v0, v53, v33
	ds_load_2addr_b32 v[53:54], v46 offset1:1
	s_add_i32 s11, s41, s17
	v_fma_f32 v44, -v13, v72, v44
	s_lshl_b32 s11, s11, 2
	ds_load_2addr_b32 v[60:61], v49 offset1:1
	v_fma_f32 v34, -v2, v48, v34
	v_mov_b32_e32 v38, s7
	s_lshl_b32 s7, s37, 6
	s_waitcnt lgkmcnt(3)
	v_fma_f32 v33, -v7, v36, v33
	v_fma_f32 v36, -v12, v74, v44
	v_mov_b32_e32 v44, s11
	s_add_i32 s11, s41, s18
	s_add_i32 s10, s38, s7
	s_lshl_b32 s11, s11, 2
	s_waitcnt lgkmcnt(2)
	v_fma_f32 v33, -v6, v59, v33
	ds_load_2addr_b32 v[62:63], v44 offset1:1
	v_mov_b32_e32 v44, s11
	s_lshl_b32 s11, s12, 2
	v_fma_f32 v36, -v19, v76, v36
	v_mov_b32_e32 v46, s11
	s_add_i32 s11, s41, s20
	ds_load_2addr_b32 v[64:65], v44 offset1:1
	s_lshl_b32 s11, s11, 2
	s_waitcnt lgkmcnt(3)
	v_fma_f32 v33, -v5, v54, v33
	ds_load_2addr_b32 v[66:67], v46 offset1:1
	v_mov_b32_e32 v44, s11
	s_add_i32 s11, s41, s21
	v_fma_f32 v36, -v18, v80, v36
	s_lshl_b32 s11, s11, 2
	s_add_i32 s12, s41, s22
	ds_load_2addr_b32 v[68:69], v44 offset1:1
	s_waitcnt lgkmcnt(4)
	v_fma_f32 v33, -v4, v61, v33
	v_mov_b32_e32 v44, s11
	s_lshl_b32 s11, s12, 2
	v_fma_f32 v36, -v17, v82, v36
	v_mov_b32_e32 v46, s11
	s_waitcnt lgkmcnt(3)
	v_fma_f32 v33, -v11, v63, v33
	ds_load_2addr_b32 v[70:71], v44 offset1:1
	s_lshl_b32 s10, s10, 2
	v_fma_f32 v36, -v16, v55, v36
	ds_load_2addr_b32 v[72:73], v46 offset1:1
	s_waitcnt lgkmcnt(4)
	v_fma_f32 v33, -v10, v65, v33
	v_fma_f32 v34, -v1, v50, v34
	s_add_i32 s11, s41, s23
	v_mov_b32_e32 v46, s10
	s_add_i32 s10, s41, s25
	s_lshl_b32 s11, s11, 2
	s_lshl_b32 s10, s10, 2
	v_mov_b32_e32 v44, s11
	s_waitcnt lgkmcnt(3)
	v_fma_f32 v33, -v9, v67, v33
	v_fma_f32 v36, -v23, v57, v36
	v_fma_f32 v34, -v0, v52, v34
	v_mov_b32_e32 v49, s10
	s_add_i32 s10, s38, s6
	ds_load_2addr_b32 v[54:55], v44 offset1:1
	s_lshl_b32 s10, s10, 2
	s_waitcnt lgkmcnt(3)
	v_fma_f32 v44, -v8, v69, v33
	ds_load_2addr_b32 v[32:33], v38 offset1:1
	ds_load_2addr_b32 v[74:75], v46 offset1:1
	v_fma_f32 v36, -v22, v84, v36
	v_mov_b32_e32 v46, s10
	s_add_i32 s10, s41, s24
	v_fma_f32 v34, -v7, v35, v34
	s_lshl_b32 s10, s10, 2
	s_add_i32 s11, s41, s28
	v_mov_b32_e32 v35, s10
	s_lshl_b32 s10, s11, 2
	ds_load_2addr_b32 v[48:49], v49 offset1:1
	s_waitcnt lgkmcnt(5)
	v_fma_f32 v38, -v15, v71, v44
	v_fma_f32 v44, -v21, v37, v36
	;; [unrolled: 1-line block ×3, first 2 shown]
	v_mov_b32_e32 v37, s10
	s_add_i32 s10, s41, s27
	ds_load_2addr_b32 v[34:35], v35 offset1:1
	s_lshl_b32 s10, s10, 2
	v_fma_f32 v50, -v5, v53, v36
	v_mov_b32_e32 v51, s10
	s_waitcnt lgkmcnt(5)
	v_fma_f32 v38, -v14, v73, v38
	v_fma_f32 v59, -v20, v43, v44
	s_add_i32 s10, s41, s29
	v_fma_f32 v50, -v4, v60, v50
	ds_load_2addr_b32 v[43:44], v51 offset1:1
	ds_load_2addr_b32 v[36:37], v37 offset1:1
	s_waitcnt lgkmcnt(6)
	v_fma_f32 v38, -v13, v55, v38
	s_lshl_b32 s10, s10, 2
	v_fma_f32 v51, -v11, v62, v50
	v_mov_b32_e32 v52, s10
	s_add_i32 s10, s41, s30
	s_waitcnt lgkmcnt(3)
	v_fma_f32 v38, -v12, v49, v38
	s_lshl_b32 s10, s10, 2
	v_fma_f32 v51, -v10, v64, v51
	s_add_i32 s11, s41, s31
	ds_load_2addr_b32 v[49:50], v52 offset1:1
	v_mov_b32_e32 v52, s10
	s_lshl_b32 s10, s11, 2
	s_waitcnt lgkmcnt(3)
	v_fma_f32 v35, -v19, v35, v38
	v_fma_f32 v53, -v9, v66, v51
	v_mov_b32_e32 v38, s10
	s_add_i32 s10, s41, s33
	ds_load_2addr_b32 v[51:52], v52 offset1:1
	s_lshl_b32 s10, s10, 2
	v_fma_f32 v53, -v8, v68, v53
	s_waitcnt lgkmcnt(2)
	v_fma_f32 v35, -v18, v37, v35
	v_mov_b32_e32 v55, s10
	v_fma_f32 v33, -v25, v33, v77
	s_add_i32 s10, s5, 0xffffe28c
	s_add_i32 s11, s41, s34
	v_fma_f32 v35, -v17, v44, v35
	ds_load_2addr_b32 v[55:56], v55 offset1:1
	ds_load_2addr_b32 v[37:38], v38 offset1:1
	v_fma_f32 v44, -v15, v70, v53
	v_mov_b32_e32 v53, s10
	s_waitcnt lgkmcnt(3)
	v_fma_f32 v35, -v16, v50, v35
	s_lshl_b32 s10, s11, 2
	ds_load_2addr_b32 v[57:58], v46 offset1:1
	ds_load_b32 v61, v53
	v_fma_f32 v44, -v14, v72, v44
	v_mov_b32_e32 v60, s10
	s_add_i32 s10, s41, s35
	s_waitcnt lgkmcnt(4)
	v_fma_f32 v35, -v23, v52, v35
	s_lshl_b32 s10, s10, 2
	v_fma_f32 v44, -v13, v54, v44
	ds_load_2addr_b32 v[53:54], v60 offset1:1
	v_fma_f32 v45, -v27, v45, v59
	s_add_i32 s11, s41, s39
	s_add_i32 s7, s41, s7
	v_fma_f32 v44, -v12, v48, v44
	s_lshl_b32 s11, s11, 2
	v_fma_f32 v45, -v26, v47, v45
	s_waitcnt lgkmcnt(3)
	v_fma_f32 v35, -v22, v38, v35
	v_fma_f32 v38, -v24, v75, v33
	;; [unrolled: 1-line block ×3, first 2 shown]
	v_mov_b32_e32 v34, s10
	s_add_i32 s10, s41, s36
	s_lshl_b32 s7, s7, 2
	s_lshl_b32 s10, s10, 2
	v_fma_f32 v33, -v18, v36, v33
	v_mov_b32_e32 v36, s11
	v_mov_b32_e32 v46, s10
	v_fma_f32 v35, -v21, v56, v35
	v_fma_f32 v32, -v25, v32, v45
	;; [unrolled: 1-line block ×3, first 2 shown]
	ds_load_2addr_b32 v[33:34], v34 offset1:1
	s_add_i32 s6, s41, s6
	s_addk_i32 s5, 0xe084
	s_lshl_b32 s6, s6, 2
	v_fma_f32 v47, -v16, v49, v43
	ds_load_2addr_b32 v[43:44], v36 offset1:1
	v_mov_b32_e32 v36, s7
	s_lshl_b32 s7, s38, 6
	s_waitcnt lgkmcnt(2)
	v_fma_f32 v35, -v20, v54, v35
	v_fma_f32 v49, -v23, v51, v47
	ds_load_2addr_b32 v[45:46], v46 offset1:1
	ds_load_2addr_b32 v[47:48], v36 offset1:1
	s_add_i32 s41, s41, s7
	v_fma_f32 v36, -v22, v37, v49
	v_mov_b32_e32 v37, s6
	s_lshl_b32 s6, s41, 2
	s_delay_alu instid0(VALU_DEP_2)
	v_fma_f32 v49, -v21, v55, v36
	s_waitcnt lgkmcnt(3)
	v_fma_f32 v34, -v27, v34, v35
	v_mov_b32_e32 v35, s6
	ds_load_2addr_b32 v[36:37], v37 offset1:1
	s_add_i32 s6, s40, 0xffffe200
	v_fma_f32 v51, -v20, v53, v49
	s_waitcnt lgkmcnt(3)
	v_fma_f32 v34, -v26, v44, v34
	ds_load_2addr_b32 v[49:50], v35 offset1:1
	v_dual_mov_b32 v44, s6 :: v_dual_mul_f32 v35, v58, v38
	v_fma_f32 v51, -v27, v33, v51
	v_fma_f32 v38, -v24, v74, v32
	s_waitcnt lgkmcnt(3)
	v_fma_f32 v34, -v25, v46, v34
	ds_load_2addr_b32 v[32:33], v44 offset1:1
	v_mov_b32_e32 v44, s5
	v_fma_f32 v43, -v26, v43, v51
	v_fma_f32 v38, -v35, v57, v38
	s_waitcnt lgkmcnt(3)
	v_fma_f32 v46, -v24, v48, v34
	s_sub_i32 s6, s4, 32
	s_cmp_gt_i32 s4, 62
	v_fma_f32 v43, -v25, v45, v43
	v_mul_f32_e32 v34, v61, v38
	ds_load_b32 v38, v44
	s_waitcnt lgkmcnt(3)
	v_fma_f32 v37, -v35, v37, v46
	s_clause 0x1
	global_store_b128 v[30:31], v[0:3], off offset:-12
	global_store_b128 v[30:31], v[4:7], off offset:-28
	v_fma_f32 v43, -v24, v47, v43
	s_clause 0x3
	global_store_b128 v[30:31], v[8:11], off offset:-44
	global_store_b128 v[30:31], v[12:15], off offset:-60
	;; [unrolled: 1-line block ×4, first 2 shown]
	s_waitcnt lgkmcnt(2)
	v_fma_f32 v37, -v34, v50, v37
	v_fma_f32 v36, -v35, v36, v43
	s_waitcnt lgkmcnt(1)
	s_delay_alu instid0(VALU_DEP_2) | instskip(NEXT) | instid1(VALU_DEP_2)
	v_mul_f32_e32 v33, v33, v37
	v_fma_f32 v36, -v34, v49, v36
	s_delay_alu instid0(VALU_DEP_1) | instskip(SKIP_1) | instid1(VALU_DEP_1)
	v_fma_f32 v0, -v33, v32, v36
	s_waitcnt lgkmcnt(0)
	v_mul_f32_e32 v32, v38, v0
	s_clause 0x1
	global_store_b128 v[30:31], v[24:27], off offset:-108
	global_store_b128 v[30:31], v[32:35], off offset:-124
	s_cbranch_scc0 .LBB42_52
; %bb.51:                               ;   in Loop: Header=BB42_48 Depth=1
	s_mov_b32 s4, s6
	s_branch .LBB42_48
.LBB42_52:
	s_cmp_gt_i32 s6, -1
	s_cbranch_scc0 .LBB42_77
; %bb.53:
	s_cmp_lt_u32 s6, 3
	s_cbranch_scc1 .LBB42_59
; %bb.54:
	s_lshl_b32 s4, s26, 8
	s_lshl_b32 s5, s6, 2
	s_ashr_i32 s3, s2, 31
	s_add_i32 s7, s4, s5
	s_lshl_b64 s[4:5], s[2:3], 2
	s_add_i32 s3, s7, 0xfffffef4
	s_add_u32 s4, s8, s4
	s_addc_u32 s5, s9, s5
	s_add_u32 s4, s4, s0
	s_addc_u32 s5, s5, s1
	v_add_co_u32 v0, vcc_lo, s4, v41
	v_add_co_ci_u32_e32 v1, vcc_lo, s5, v42, vcc_lo
	s_mov_b32 s7, 0
.LBB42_55:                              ; =>This Loop Header: Depth=1
                                        ;     Child Loop BB42_56 Depth 2
	s_delay_alu instid0(SALU_CYCLE_1)
	s_lshl_b64 s[4:5], s[6:7], 2
	s_cmp_le_i32 s2, s6
	v_add_co_u32 v2, vcc_lo, v39, s4
	v_add_co_ci_u32_e32 v3, vcc_lo, s5, v40, vcc_lo
	s_mov_b32 s4, s3
	s_mov_b32 s5, s2
	global_load_b128 v[2:5], v[2:3], off offset:-12
	s_waitcnt vmcnt(0)
	v_dual_mul_f32 v7, s15, v5 :: v_dual_mul_f32 v6, s15, v4
	v_dual_mul_f32 v5, s15, v3 :: v_dual_mul_f32 v4, s15, v2
	v_dual_mov_b32 v3, v1 :: v_dual_mov_b32 v2, v0
	s_cbranch_scc1 .LBB42_57
	.p2align	6
.LBB42_56:                              ;   Parent Loop BB42_55 Depth=1
                                        ; =>  This Inner Loop Header: Depth=2
	global_load_b32 v12, v[2:3], off
	v_mov_b32_e32 v10, s4
	v_add_co_u32 v2, vcc_lo, v2, -4
	v_add_co_ci_u32_e32 v3, vcc_lo, -1, v3, vcc_lo
	ds_load_2addr_b32 v[8:9], v10 offset0:2 offset1:3
	ds_load_2addr_b32 v[10:11], v10 offset1:1
	s_add_i32 s5, s5, -1
	s_addk_i32 s4, 0xff00
	s_cmp_gt_i32 s5, s6
	s_waitcnt vmcnt(0) lgkmcnt(1)
	v_fma_f32 v7, -v12, v9, v7
	v_fma_f32 v6, -v12, v8, v6
	s_waitcnt lgkmcnt(0)
	v_fma_f32 v5, -v12, v11, v5
	v_fma_f32 v4, -v12, v10, v4
	s_cbranch_scc1 .LBB42_56
.LBB42_57:                              ;   in Loop: Header=BB42_55 Depth=1
	s_add_i32 s4, s6, -1
	s_lshl_b32 s5, s6, 6
	s_add_i32 s11, s6, -3
	s_add_i32 s10, s4, s5
	s_add_i32 s5, s11, s5
	s_lshl_b32 s10, s10, 2
	s_lshl_b32 s5, s5, 2
	s_delay_alu instid0(SALU_CYCLE_1)
	v_dual_mov_b32 v2, s10 :: v_dual_mov_b32 v9, s5
	s_mul_i32 s10, s6, 0x104
	s_lshl_b32 s4, s4, 6
	s_add_i32 s12, s10, 0xfffffefc
	ds_load_2addr_b32 v[2:3], v2 offset1:1
	v_mov_b32_e32 v8, s12
	s_add_i32 s11, s11, s4
	s_add_i32 s3, s3, -16
	s_lshl_b32 s4, s11, 2
	s_delay_alu instid0(SALU_CYCLE_1)
	v_mov_b32_e32 v10, s4
	s_add_i32 s4, s5, 0xfffffe00
	s_ashr_i32 s5, s6, 31
	v_mov_b32_e32 v12, s4
	s_add_i32 s4, s10, 0xfffffcf4
	s_add_i32 s10, s6, -4
	s_waitcnt lgkmcnt(0)
	v_mul_f32_e32 v7, v3, v7
	ds_load_b32 v14, v8
	ds_load_2addr_b32 v[8:9], v9 offset1:1
	v_mov_b32_e32 v3, s4
	ds_load_2addr_b32 v[10:11], v10 offset1:1
	ds_load_2addr_b32 v[12:13], v12 offset1:1
	v_fma_f32 v2, -v7, v2, v6
	s_mov_b32 s4, s6
	s_delay_alu instid0(SALU_CYCLE_1)
	s_lshl_b64 s[4:5], s[4:5], 2
	s_cmp_gt_i32 s6, 6
	s_waitcnt lgkmcnt(3)
	v_mul_f32_e32 v6, v14, v2
	s_waitcnt lgkmcnt(2)
	v_fma_f32 v5, -v7, v9, v5
	ds_load_b32 v9, v3
	v_fma_f32 v3, -v7, v8, v4
	s_waitcnt lgkmcnt(2)
	v_fma_f32 v2, -v6, v11, v5
	s_waitcnt lgkmcnt(1)
	s_delay_alu instid0(VALU_DEP_1) | instskip(SKIP_1) | instid1(VALU_DEP_1)
	v_mul_f32_e32 v5, v13, v2
	v_fma_f32 v2, -v6, v10, v3
	v_fma_f32 v4, -v5, v12, v2
	v_add_co_u32 v2, vcc_lo, v39, s4
	v_add_co_ci_u32_e32 v3, vcc_lo, s5, v40, vcc_lo
	s_waitcnt lgkmcnt(0)
	s_delay_alu instid0(VALU_DEP_3)
	v_mul_f32_e32 v4, v9, v4
	global_store_b128 v[2:3], v[4:7], off offset:-12
	s_cbranch_scc0 .LBB42_60
; %bb.58:                               ;   in Loop: Header=BB42_55 Depth=1
	s_mov_b32 s6, s10
	s_branch .LBB42_55
.LBB42_59:
	s_mov_b32 s10, s6
.LBB42_60:
	s_delay_alu instid0(SALU_CYCLE_1)
	s_cmp_lt_i32 s10, 0
	s_cbranch_scc1 .LBB42_77
; %bb.61:
	s_add_i32 s3, s10, 1
	s_mov_b32 s4, s10
	s_and_b32 s6, s3, 3
	s_delay_alu instid0(SALU_CYCLE_1)
	s_cmp_eq_u32 s6, 0
	s_cbranch_scc1 .LBB42_66
; %bb.62:
	s_lshl_b32 s4, s26, 8
	s_lshl_b32 s5, s10, 2
	s_ashr_i32 s3, s2, 31
	s_add_i32 s7, s4, s5
	s_lshl_b64 s[4:5], s[2:3], 2
	s_add_i32 s3, s7, 0xffffff00
	s_add_u32 s4, s8, s4
	s_addc_u32 s5, s9, s5
	s_add_u32 s4, s4, s0
	s_addc_u32 s5, s5, s1
	v_add_co_u32 v0, vcc_lo, s4, v41
	v_add_co_ci_u32_e32 v1, vcc_lo, s5, v42, vcc_lo
	s_mov_b32 s5, 0
	s_mov_b32 s4, s10
	;; [unrolled: 1-line block ×3, first 2 shown]
	s_set_inst_prefetch_distance 0x1
	s_branch .LBB42_64
	.p2align	6
.LBB42_63:                              ;   in Loop: Header=BB42_64 Depth=1
	s_mul_i32 s11, s4, 0x104
	s_ashr_i32 s13, s4, 31
	v_mov_b32_e32 v2, s11
	s_mov_b32 s12, s4
	s_add_i32 s7, s7, 1
	s_lshl_b64 s[12:13], s[12:13], 2
	s_add_i32 s4, s4, -1
	ds_load_b32 v5, v2
	v_add_co_u32 v2, vcc_lo, v39, s12
	v_add_co_ci_u32_e32 v3, vcc_lo, s13, v40, vcc_lo
	s_add_i32 s3, s3, -4
	s_cmp_lg_u32 s7, s6
	s_waitcnt lgkmcnt(0)
	v_mul_f32_e32 v4, v5, v4
	global_store_b32 v[2:3], v4, off
	s_cbranch_scc0 .LBB42_66
.LBB42_64:                              ; =>This Loop Header: Depth=1
                                        ;     Child Loop BB42_65 Depth 2
	s_lshl_b64 s[12:13], s[4:5], 2
	s_cmp_le_i32 s2, s4
	v_add_co_u32 v2, vcc_lo, v39, s12
	v_add_co_ci_u32_e32 v3, vcc_lo, s13, v40, vcc_lo
	s_mov_b32 s11, s3
	s_mov_b32 s12, s2
	global_load_b32 v2, v[2:3], off
	s_waitcnt vmcnt(0)
	v_dual_mul_f32 v4, s15, v2 :: v_dual_mov_b32 v3, v1
	v_mov_b32_e32 v2, v0
	s_cbranch_scc1 .LBB42_63
.LBB42_65:                              ;   Parent Loop BB42_64 Depth=1
                                        ; =>  This Inner Loop Header: Depth=2
	global_load_b32 v5, v[2:3], off
	v_mov_b32_e32 v6, s11
	v_add_co_u32 v2, vcc_lo, v2, -4
	v_add_co_ci_u32_e32 v3, vcc_lo, -1, v3, vcc_lo
	ds_load_b32 v6, v6
	s_add_i32 s12, s12, -1
	s_addk_i32 s11, 0xff00
	s_cmp_gt_i32 s12, s4
	s_waitcnt vmcnt(0) lgkmcnt(0)
	v_fma_f32 v4, -v5, v6, v4
	s_cbranch_scc1 .LBB42_65
	s_branch .LBB42_63
.LBB42_66:
	s_set_inst_prefetch_distance 0x2
	s_cmp_lt_u32 s10, 3
	s_cbranch_scc1 .LBB42_77
; %bb.67:
	s_lshl_b32 s5, s26, 8
	s_lshl_b32 s6, s4, 2
	s_ashr_i32 s3, s2, 31
	s_add_i32 s5, s5, s6
	s_lshl_b64 s[6:7], s[2:3], 2
	s_add_i32 s3, s5, 0xffffff00
	s_add_u32 s6, s8, s6
	s_addc_u32 s7, s9, s7
	s_add_u32 s0, s6, s0
	s_addc_u32 s1, s7, s1
	v_add_co_u32 v0, vcc_lo, s0, v41
	v_add_co_ci_u32_e32 v1, vcc_lo, s1, v42, vcc_lo
	s_add_i32 s6, s5, 0xfffffefc
	s_add_i32 s7, s5, 0xfffffef8
	;; [unrolled: 1-line block ×3, first 2 shown]
	s_mov_b32 s5, 0
	s_branch .LBB42_69
.LBB42_68:                              ;   in Loop: Header=BB42_69 Depth=1
	s_add_i32 s0, s1, 0xfffffefc
	s_add_i32 s3, s3, -16
	v_mov_b32_e32 v4, s0
	s_add_i32 s0, s4, -4
	s_add_i32 s6, s6, -16
	;; [unrolled: 1-line block ×4, first 2 shown]
	ds_load_b32 v4, v4
	s_cmp_lt_i32 s4, 4
	s_mov_b32 s4, s0
	s_waitcnt lgkmcnt(0)
	v_mul_f32_e32 v4, v4, v6
	global_store_b32 v[2:3], v4, off offset:-12
	s_cbranch_scc1 .LBB42_77
.LBB42_69:                              ; =>This Loop Header: Depth=1
                                        ;     Child Loop BB42_70 Depth 2
                                        ;     Child Loop BB42_72 Depth 2
	;; [unrolled: 1-line block ×4, first 2 shown]
	s_lshl_b64 s[0:1], s[4:5], 2
	s_cmp_le_i32 s2, s4
	v_add_co_u32 v2, vcc_lo, v39, s0
	v_add_co_ci_u32_e32 v3, vcc_lo, s1, v40, vcc_lo
	s_mov_b32 s0, s3
	s_mov_b32 s1, s2
	global_load_b32 v2, v[2:3], off
	s_waitcnt vmcnt(0)
	v_dual_mul_f32 v4, s15, v2 :: v_dual_mov_b32 v3, v1
	v_mov_b32_e32 v2, v0
	s_cbranch_scc1 .LBB42_71
.LBB42_70:                              ;   Parent Loop BB42_69 Depth=1
                                        ; =>  This Inner Loop Header: Depth=2
	global_load_b32 v5, v[2:3], off
	v_mov_b32_e32 v6, s0
	v_add_co_u32 v2, vcc_lo, v2, -4
	v_add_co_ci_u32_e32 v3, vcc_lo, -1, v3, vcc_lo
	ds_load_b32 v6, v6
	s_add_i32 s1, s1, -1
	s_addk_i32 s0, 0xff00
	s_cmp_gt_i32 s1, s4
	s_waitcnt vmcnt(0) lgkmcnt(0)
	v_fma_f32 v4, -v5, v6, v4
	s_cbranch_scc1 .LBB42_70
.LBB42_71:                              ;   in Loop: Header=BB42_69 Depth=1
	s_add_i32 s0, s4, -1
	s_mov_b32 s1, s5
	s_mul_i32 s9, s4, 0x104
	s_lshl_b64 s[0:1], s[0:1], 2
	s_delay_alu instid0(SALU_CYCLE_1)
	v_add_co_u32 v2, vcc_lo, v39, s0
	v_add_co_ci_u32_e32 v3, vcc_lo, s1, v40, vcc_lo
	s_ashr_i32 s1, s4, 31
	s_mov_b32 s0, s4
	global_load_b32 v5, v[2:3], off
	v_mov_b32_e32 v2, s9
	s_lshl_b64 s[0:1], s[0:1], 2
	s_cmp_lt_i32 s2, s4
	ds_load_b32 v6, v2
	v_add_co_u32 v2, vcc_lo, v39, s0
	v_add_co_ci_u32_e32 v3, vcc_lo, s1, v40, vcc_lo
	s_mov_b32 s0, s6
	s_mov_b32 s1, s26
	s_waitcnt lgkmcnt(0)
	v_mul_f32_e32 v7, v6, v4
	global_store_b32 v[2:3], v7, off
	s_waitcnt vmcnt(0)
	v_dual_mul_f32 v6, s15, v5 :: v_dual_mov_b32 v5, v1
	v_mov_b32_e32 v4, v0
	s_cbranch_scc1 .LBB42_73
.LBB42_72:                              ;   Parent Loop BB42_69 Depth=1
                                        ; =>  This Inner Loop Header: Depth=2
	global_load_b32 v7, v[4:5], off
	v_mov_b32_e32 v8, s0
	v_add_co_u32 v4, vcc_lo, v4, -4
	v_add_co_ci_u32_e32 v5, vcc_lo, -1, v5, vcc_lo
	ds_load_b32 v8, v8
	s_add_i32 s1, s1, -1
	s_addk_i32 s0, 0xff00
	s_cmp_gt_i32 s1, s4
	s_waitcnt vmcnt(0) lgkmcnt(0)
	v_fma_f32 v6, -v7, v8, v6
	s_cbranch_scc1 .LBB42_72
.LBB42_73:                              ;   in Loop: Header=BB42_69 Depth=1
	s_add_i32 s0, s4, -2
	s_mov_b32 s1, s5
	s_addk_i32 s9, 0xfefc
	s_lshl_b64 s[10:11], s[0:1], 2
	s_cmp_le_i32 s2, s0
	v_add_co_u32 v4, vcc_lo, v39, s10
	v_add_co_ci_u32_e32 v5, vcc_lo, s11, v40, vcc_lo
	s_mov_b32 s1, s7
	s_mov_b32 s10, s2
	global_load_b32 v4, v[4:5], off
	v_mov_b32_e32 v5, s9
	ds_load_b32 v5, v5
	s_waitcnt vmcnt(0) lgkmcnt(0)
	v_dual_mul_f32 v7, v5, v6 :: v_dual_mul_f32 v6, s15, v4
	v_dual_mov_b32 v5, v1 :: v_dual_mov_b32 v4, v0
	global_store_b32 v[2:3], v7, off offset:-4
	s_cbranch_scc1 .LBB42_75
.LBB42_74:                              ;   Parent Loop BB42_69 Depth=1
                                        ; =>  This Inner Loop Header: Depth=2
	global_load_b32 v7, v[4:5], off
	v_mov_b32_e32 v8, s1
	v_add_co_u32 v4, vcc_lo, v4, -4
	v_add_co_ci_u32_e32 v5, vcc_lo, -1, v5, vcc_lo
	ds_load_b32 v8, v8
	s_add_i32 s10, s10, -1
	s_addk_i32 s1, 0xff00
	s_cmp_gt_i32 s10, s0
	s_waitcnt vmcnt(0) lgkmcnt(0)
	v_fma_f32 v6, -v7, v8, v6
	s_cbranch_scc1 .LBB42_74
.LBB42_75:                              ;   in Loop: Header=BB42_69 Depth=1
	s_add_i32 s0, s4, -3
	s_mov_b32 s1, s5
	s_delay_alu instid0(SALU_CYCLE_1)
	s_lshl_b64 s[10:11], s[0:1], 2
	s_add_i32 s1, s9, 0xfffffefc
	v_add_co_u32 v4, vcc_lo, v39, s10
	v_add_co_ci_u32_e32 v5, vcc_lo, s11, v40, vcc_lo
	s_cmp_le_i32 s2, s0
	s_mov_b32 s9, s8
	s_mov_b32 s10, s2
	global_load_b32 v4, v[4:5], off
	v_mov_b32_e32 v5, s1
	ds_load_b32 v5, v5
	s_waitcnt vmcnt(0) lgkmcnt(0)
	v_dual_mul_f32 v7, v5, v6 :: v_dual_mul_f32 v6, s15, v4
	v_dual_mov_b32 v5, v1 :: v_dual_mov_b32 v4, v0
	global_store_b32 v[2:3], v7, off offset:-8
	s_cbranch_scc1 .LBB42_68
.LBB42_76:                              ;   Parent Loop BB42_69 Depth=1
                                        ; =>  This Inner Loop Header: Depth=2
	global_load_b32 v7, v[4:5], off
	v_mov_b32_e32 v8, s9
	v_add_co_u32 v4, vcc_lo, v4, -4
	v_add_co_ci_u32_e32 v5, vcc_lo, -1, v5, vcc_lo
	ds_load_b32 v8, v8
	s_add_i32 s10, s10, -1
	s_addk_i32 s9, 0xff00
	s_cmp_gt_i32 s10, s0
	s_waitcnt vmcnt(0) lgkmcnt(0)
	v_fma_f32 v6, -v7, v8, v6
	s_cbranch_scc1 .LBB42_76
	s_branch .LBB42_68
.LBB42_77:
	s_nop 0
	s_sendmsg sendmsg(MSG_DEALLOC_VGPRS)
	s_endpgm
	.section	.rodata,"a",@progbits
	.p2align	6, 0x0
	.amdhsa_kernel _ZL30rocblas_trsm_small_left_deviceILi64ELi32ELb0EffPKPKfPKPfEv13rocblas_fill_18rocblas_operation_17rocblas_diagonal_iiT3_T4_lilT5_lili
		.amdhsa_group_segment_fixed_size 16384
		.amdhsa_private_segment_fixed_size 0
		.amdhsa_kernarg_size 352
		.amdhsa_user_sgpr_count 14
		.amdhsa_user_sgpr_dispatch_ptr 0
		.amdhsa_user_sgpr_queue_ptr 0
		.amdhsa_user_sgpr_kernarg_segment_ptr 1
		.amdhsa_user_sgpr_dispatch_id 0
		.amdhsa_user_sgpr_private_segment_size 0
		.amdhsa_wavefront_size32 1
		.amdhsa_uses_dynamic_stack 0
		.amdhsa_enable_private_segment 0
		.amdhsa_system_sgpr_workgroup_id_x 1
		.amdhsa_system_sgpr_workgroup_id_y 0
		.amdhsa_system_sgpr_workgroup_id_z 1
		.amdhsa_system_sgpr_workgroup_info 0
		.amdhsa_system_vgpr_workitem_id 0
		.amdhsa_next_free_vgpr 132
		.amdhsa_next_free_sgpr 43
		.amdhsa_reserve_vcc 1
		.amdhsa_float_round_mode_32 0
		.amdhsa_float_round_mode_16_64 0
		.amdhsa_float_denorm_mode_32 3
		.amdhsa_float_denorm_mode_16_64 3
		.amdhsa_dx10_clamp 1
		.amdhsa_ieee_mode 1
		.amdhsa_fp16_overflow 0
		.amdhsa_workgroup_processor_mode 1
		.amdhsa_memory_ordered 1
		.amdhsa_forward_progress 0
		.amdhsa_shared_vgpr_count 0
		.amdhsa_exception_fp_ieee_invalid_op 0
		.amdhsa_exception_fp_denorm_src 0
		.amdhsa_exception_fp_ieee_div_zero 0
		.amdhsa_exception_fp_ieee_overflow 0
		.amdhsa_exception_fp_ieee_underflow 0
		.amdhsa_exception_fp_ieee_inexact 0
		.amdhsa_exception_int_div_zero 0
	.end_amdhsa_kernel
	.section	.text._ZL30rocblas_trsm_small_left_deviceILi64ELi32ELb0EffPKPKfPKPfEv13rocblas_fill_18rocblas_operation_17rocblas_diagonal_iiT3_T4_lilT5_lili,"axG",@progbits,_ZL30rocblas_trsm_small_left_deviceILi64ELi32ELb0EffPKPKfPKPfEv13rocblas_fill_18rocblas_operation_17rocblas_diagonal_iiT3_T4_lilT5_lili,comdat
.Lfunc_end42:
	.size	_ZL30rocblas_trsm_small_left_deviceILi64ELi32ELb0EffPKPKfPKPfEv13rocblas_fill_18rocblas_operation_17rocblas_diagonal_iiT3_T4_lilT5_lili, .Lfunc_end42-_ZL30rocblas_trsm_small_left_deviceILi64ELi32ELb0EffPKPKfPKPfEv13rocblas_fill_18rocblas_operation_17rocblas_diagonal_iiT3_T4_lilT5_lili
                                        ; -- End function
	.section	.AMDGPU.csdata,"",@progbits
; Kernel info:
; codeLenInByte = 22400
; NumSgprs: 45
; NumVgprs: 132
; ScratchSize: 0
; MemoryBound: 0
; FloatMode: 240
; IeeeMode: 1
; LDSByteSize: 16384 bytes/workgroup (compile time only)
; SGPRBlocks: 5
; VGPRBlocks: 16
; NumSGPRsForWavesPerEU: 45
; NumVGPRsForWavesPerEU: 132
; Occupancy: 4
; WaveLimiterHint : 1
; COMPUTE_PGM_RSRC2:SCRATCH_EN: 0
; COMPUTE_PGM_RSRC2:USER_SGPR: 14
; COMPUTE_PGM_RSRC2:TRAP_HANDLER: 0
; COMPUTE_PGM_RSRC2:TGID_X_EN: 1
; COMPUTE_PGM_RSRC2:TGID_Y_EN: 0
; COMPUTE_PGM_RSRC2:TGID_Z_EN: 1
; COMPUTE_PGM_RSRC2:TIDIG_COMP_CNT: 0
	.section	.text._ZL38rocblas_trsm_small_left_device_sharedBILi64ELi32ELb1EffPKPKfPKPfEv13rocblas_fill_18rocblas_operation_17rocblas_diagonal_iiT3_T4_lilT5_lili,"axG",@progbits,_ZL38rocblas_trsm_small_left_device_sharedBILi64ELi32ELb1EffPKPKfPKPfEv13rocblas_fill_18rocblas_operation_17rocblas_diagonal_iiT3_T4_lilT5_lili,comdat
	.globl	_ZL38rocblas_trsm_small_left_device_sharedBILi64ELi32ELb1EffPKPKfPKPfEv13rocblas_fill_18rocblas_operation_17rocblas_diagonal_iiT3_T4_lilT5_lili ; -- Begin function _ZL38rocblas_trsm_small_left_device_sharedBILi64ELi32ELb1EffPKPKfPKPfEv13rocblas_fill_18rocblas_operation_17rocblas_diagonal_iiT3_T4_lilT5_lili
	.p2align	8
	.type	_ZL38rocblas_trsm_small_left_device_sharedBILi64ELi32ELb1EffPKPKfPKPfEv13rocblas_fill_18rocblas_operation_17rocblas_diagonal_iiT3_T4_lilT5_lili,@function
_ZL38rocblas_trsm_small_left_device_sharedBILi64ELi32ELb1EffPKPKfPKPfEv13rocblas_fill_18rocblas_operation_17rocblas_diagonal_iiT3_T4_lilT5_lili: ; @_ZL38rocblas_trsm_small_left_device_sharedBILi64ELi32ELb1EffPKPKfPKPfEv13rocblas_fill_18rocblas_operation_17rocblas_diagonal_iiT3_T4_lilT5_lili
; %bb.0:
	s_clause 0x1
	s_load_b128 s[8:11], s[0:1], 0x38
	s_load_b128 s[4:7], s[0:1], 0x4
	s_mov_b32 s12, s15
	s_mov_b32 s13, 0
	s_delay_alu instid0(SALU_CYCLE_1)
	s_lshl_b64 s[20:21], s[12:13], 3
	s_mov_b32 s12, exec_lo
	s_waitcnt lgkmcnt(0)
	s_add_u32 s2, s8, s20
	s_addc_u32 s3, s9, s21
	s_load_b32 s27, s[0:1], 0x14
	s_load_b64 s[2:3], s[2:3], 0x0
	s_min_i32 s15, s6, 64
	s_delay_alu instid0(SALU_CYCLE_1)
	s_add_i32 s26, s15, -1
	v_cmpx_gt_i32_e64 s15, v0
	s_cbranch_execz .LBB43_10
; %bb.1:
	s_clause 0x1
	s_load_b32 s8, s[0:1], 0x28
	s_load_b128 s[16:19], s[0:1], 0x18
	s_waitcnt lgkmcnt(0)
	s_ashr_i32 s9, s8, 31
	s_add_u32 s16, s16, s20
	s_addc_u32 s17, s17, s21
	s_cmp_lt_u32 s26, 3
	s_load_b64 s[16:17], s[16:17], 0x0
	s_cbranch_scc1 .LBB43_4
; %bb.2:
	v_lshlrev_b32_e32 v3, 2, v0
	s_lshl_b64 s[20:21], s[18:19], 2
	s_mul_hi_i32 s28, s8, 12
	s_waitcnt lgkmcnt(0)
	s_add_u32 s13, s16, s20
	s_addc_u32 s20, s17, s21
	v_add_co_u32 v1, s13, s13, v3
	s_delay_alu instid0(VALU_DEP_1)
	v_add_co_ci_u32_e64 v2, null, s20, 0, s13
	s_and_b32 s13, s15, -4
	s_mul_i32 s29, s8, 12
	s_lshl_b64 s[20:21], s[8:9], 4
	s_lshl_b64 s[22:23], s[8:9], 3
	;; [unrolled: 1-line block ×3, first 2 shown]
	s_mov_b32 s30, 0
	.p2align	6
.LBB43_3:                               ; =>This Inner Loop Header: Depth=1
	v_add_co_u32 v4, vcc_lo, v1, s24
	v_add_co_ci_u32_e32 v5, vcc_lo, s25, v2, vcc_lo
	v_add_co_u32 v6, vcc_lo, v1, s22
	v_add_co_ci_u32_e32 v7, vcc_lo, s23, v2, vcc_lo
	;; [unrolled: 2-line block ×3, first 2 shown]
	s_clause 0x3
	global_load_b32 v10, v[1:2], off
	global_load_b32 v4, v[4:5], off
	global_load_b32 v5, v[6:7], off
	global_load_b32 v6, v[8:9], off
	v_add_co_u32 v1, vcc_lo, v1, s20
	v_add_co_ci_u32_e32 v2, vcc_lo, s21, v2, vcc_lo
	s_add_i32 s30, s30, 4
	s_waitcnt vmcnt(2)
	ds_store_2addr_stride64_b32 v3, v10, v4 offset1:1
	s_waitcnt vmcnt(0)
	ds_store_2addr_stride64_b32 v3, v5, v6 offset0:2 offset1:3
	v_add_nc_u32_e32 v3, 0x400, v3
	s_cmp_eq_u32 s13, s30
	s_cbranch_scc0 .LBB43_3
.LBB43_4:
	s_and_b32 s20, s15, 3
	s_delay_alu instid0(SALU_CYCLE_1)
	s_cmp_eq_u32 s20, 0
	s_cbranch_scc1 .LBB43_7
; %bb.5:
	s_mul_i32 s21, s9, s13
	s_mul_hi_u32 s22, s8, s13
	v_lshlrev_b32_e32 v1, 2, v0
	s_add_i32 s23, s22, s21
	s_mul_i32 s22, s8, s13
	s_lshl_b64 s[18:19], s[18:19], 2
	s_lshl_b64 s[22:23], s[22:23], 2
	v_lshl_or_b32 v3, s13, 8, v1
	s_add_u32 s13, s22, s18
	s_addc_u32 s18, s23, s19
	s_waitcnt lgkmcnt(0)
	s_add_u32 s13, s16, s13
	s_addc_u32 s16, s17, s18
	v_add_co_u32 v1, s13, s13, v1
	s_delay_alu instid0(VALU_DEP_1)
	v_add_co_ci_u32_e64 v2, null, s16, 0, s13
	s_lshl_b64 s[8:9], s[8:9], 2
.LBB43_6:                               ; =>This Inner Loop Header: Depth=1
	global_load_b32 v4, v[1:2], off
	v_add_co_u32 v1, vcc_lo, v1, s8
	v_add_co_ci_u32_e32 v2, vcc_lo, s9, v2, vcc_lo
	s_add_i32 s20, s20, -1
	s_delay_alu instid0(SALU_CYCLE_1)
	s_cmp_lg_u32 s20, 0
	s_waitcnt vmcnt(0)
	ds_store_b32 v3, v4
	v_add_nc_u32_e32 v3, 0x100, v3
	s_cbranch_scc1 .LBB43_6
.LBB43_7:
	v_mul_u32_u24_e32 v1, 0x41, v0
	s_cmpk_lg_i32 s5, 0x84
	s_delay_alu instid0(VALU_DEP_1)
	v_dual_mov_b32 v2, 1.0 :: v_dual_lshlrev_b32 v1, 2, v1
	s_cbranch_scc0 .LBB43_9
; %bb.8:
	ds_load_b32 v2, v1
	s_waitcnt lgkmcnt(0)
	v_div_scale_f32 v3, null, v2, v2, 1.0
	s_delay_alu instid0(VALU_DEP_1) | instskip(SKIP_2) | instid1(VALU_DEP_1)
	v_rcp_f32_e32 v4, v3
	s_waitcnt_depctr 0xfff
	v_fma_f32 v5, -v3, v4, 1.0
	v_fmac_f32_e32 v4, v5, v4
	v_div_scale_f32 v5, vcc_lo, 1.0, v2, 1.0
	s_delay_alu instid0(VALU_DEP_1) | instskip(NEXT) | instid1(VALU_DEP_1)
	v_mul_f32_e32 v6, v5, v4
	v_fma_f32 v7, -v3, v6, v5
	s_delay_alu instid0(VALU_DEP_1) | instskip(NEXT) | instid1(VALU_DEP_1)
	v_fmac_f32_e32 v6, v7, v4
	v_fma_f32 v3, -v3, v6, v5
	s_delay_alu instid0(VALU_DEP_1) | instskip(NEXT) | instid1(VALU_DEP_1)
	v_div_fmas_f32 v3, v3, v4, v6
	v_div_fixup_f32 v2, v3, v2, 1.0
.LBB43_9:
	ds_store_b32 v1, v2
.LBB43_10:
	s_or_b32 exec_lo, exec_lo, s12
	s_load_b32 s5, s[0:1], 0x60
	s_waitcnt lgkmcnt(0)
	s_load_b32 s16, s[0:1], 0x48
	s_lshl_b64 s[0:1], s[10:11], 2
	s_waitcnt lgkmcnt(0)
	s_ashr_i32 s17, s16, 31
	s_add_u32 s12, s2, s0
	s_addc_u32 s13, s3, s1
	s_lshl_b32 s8, s14, 6
	s_add_i32 s5, s5, -1
	s_sub_i32 s7, s7, s8
	s_mul_hi_i32 s11, s16, s8
	s_cmp_ge_u32 s14, s5
	s_mul_i32 s10, s16, s8
	s_cselect_b32 s14, s7, 64
	s_lshl_b64 s[10:11], s[10:11], 2
	s_ashr_i32 s9, s8, 31
	s_add_u32 s5, s12, s10
	s_addc_u32 s7, s13, s11
	v_cmp_gt_i32_e32 vcc_lo, s14, v0
	s_cmp_gt_i32 s6, 0
	s_mov_b32 s10, 0
	s_cselect_b32 s11, -1, 0
	s_delay_alu instid0(SALU_CYCLE_1) | instskip(NEXT) | instid1(SALU_CYCLE_1)
	s_and_b32 s14, vcc_lo, s11
	s_and_saveexec_b32 s18, s14
	s_cbranch_execz .LBB43_17
; %bb.11:
	s_cmp_lt_i32 s6, 8
	s_cbranch_scc1 .LBB43_14
; %bb.12:
	v_mad_i64_i32 v[1:2], null, s16, v0, 0
	v_lshl_or_b32 v3, v0, 2, 0x4000
	s_lshl_b32 s10, s15, 2
	s_mov_b64 s[12:13], 0
	s_and_b32 s11, s10, 0x1e0
	s_mov_b32 s10, 0
	s_delay_alu instid0(VALU_DEP_2) | instskip(NEXT) | instid1(VALU_DEP_1)
	v_lshlrev_b64 v[1:2], 2, v[1:2]
	v_add_co_u32 v1, vcc_lo, s5, v1
	s_delay_alu instid0(VALU_DEP_2)
	v_add_co_ci_u32_e32 v2, vcc_lo, s7, v2, vcc_lo
	.p2align	6
.LBB43_13:                              ; =>This Inner Loop Header: Depth=1
	s_delay_alu instid0(VALU_DEP_2) | instskip(NEXT) | instid1(VALU_DEP_2)
	v_add_co_u32 v8, vcc_lo, v1, s12
	v_add_co_ci_u32_e32 v9, vcc_lo, s13, v2, vcc_lo
	s_add_i32 s10, s10, 8
	s_add_u32 s12, s12, 32
	s_addc_u32 s13, s13, 0
	s_clause 0x1
	global_load_b128 v[4:7], v[8:9], off
	global_load_b128 v[8:11], v[8:9], off offset:16
	s_cmp_lg_u32 s11, s12
	s_waitcnt vmcnt(1)
	v_dual_mul_f32 v4, s27, v4 :: v_dual_mul_f32 v5, s27, v5
	v_dual_mul_f32 v6, s27, v6 :: v_dual_mul_f32 v7, s27, v7
	s_waitcnt vmcnt(0)
	v_dual_mul_f32 v8, s27, v8 :: v_dual_mul_f32 v9, s27, v9
	v_dual_mul_f32 v10, s27, v10 :: v_dual_mul_f32 v11, s27, v11
	ds_store_2addr_stride64_b32 v3, v4, v5 offset1:1
	ds_store_2addr_stride64_b32 v3, v6, v7 offset0:2 offset1:3
	ds_store_2addr_stride64_b32 v3, v8, v9 offset0:4 offset1:5
	;; [unrolled: 1-line block ×3, first 2 shown]
	v_add_nc_u32_e32 v3, 0x800, v3
	s_cbranch_scc1 .LBB43_13
.LBB43_14:
	s_and_b32 s12, s15, 7
	s_mov_b32 s11, 0
	s_cmp_eq_u32 s12, 0
	s_cbranch_scc1 .LBB43_17
; %bb.15:
	v_lshlrev_b32_e32 v3, 2, v0
	s_lshl_b64 s[20:21], s[8:9], 2
	s_lshl_b64 s[22:23], s[10:11], 2
	s_delay_alu instid0(VALU_DEP_1) | instskip(NEXT) | instid1(VALU_DEP_1)
	v_add_co_u32 v4, s11, s20, v3
	v_add_co_ci_u32_e64 v5, null, s21, 0, s11
	s_add_u32 s11, s2, s22
	s_addc_u32 s13, s3, s23
	s_add_u32 s20, s11, s0
	s_addc_u32 s21, s13, s1
	v_mul_lo_u32 v5, v5, s16
	v_mad_u64_u32 v[1:2], null, v4, s16, s[20:21]
	v_mul_lo_u32 v4, v4, s17
	v_lshl_or_b32 v3, s10, 8, v3
	s_delay_alu instid0(VALU_DEP_1) | instskip(NEXT) | instid1(VALU_DEP_3)
	v_add_nc_u32_e32 v3, 0x4000, v3
	v_add3_u32 v2, v5, v2, v4
.LBB43_16:                              ; =>This Inner Loop Header: Depth=1
	global_load_b32 v4, v[1:2], off
	v_add_co_u32 v1, vcc_lo, v1, 4
	v_add_co_ci_u32_e32 v2, vcc_lo, 0, v2, vcc_lo
	s_add_i32 s12, s12, -1
	s_delay_alu instid0(SALU_CYCLE_1)
	s_cmp_lg_u32 s12, 0
	s_waitcnt vmcnt(0)
	v_mul_f32_e32 v4, s27, v4
	ds_store_b32 v3, v4
	v_add_nc_u32_e32 v3, 0x100, v3
	s_cbranch_scc1 .LBB43_16
.LBB43_17:
	s_or_b32 exec_lo, exec_lo, s18
	s_cmpk_eq_i32 s4, 0x6f
	s_mov_b32 s4, -1
	s_waitcnt lgkmcnt(0)
	s_barrier
	buffer_gl0_inv
	s_cbranch_scc1 .LBB43_46
; %bb.18:
	s_cmp_lt_i32 s6, 32
	s_mov_b32 s11, s26
	s_cbranch_scc1 .LBB43_24
; %bb.19:
	v_lshlrev_b32_e32 v1, 2, v0
	s_mul_i32 s4, s15, 0x104
	s_mov_b32 s10, s26
	s_addk_i32 s4, 0xdffc
	s_delay_alu instid0(VALU_DEP_1) | instskip(NEXT) | instid1(VALU_DEP_1)
	v_lshl_or_b32 v1, s15, 8, v1
	v_add_nc_u32_e32 v1, 0x3f00, v1
.LBB43_20:                              ; =>This Loop Header: Depth=1
                                        ;     Child Loop BB43_21 Depth 2
	s_lshl_b32 s12, s10, 6
	s_mov_b32 s47, s26
	s_sub_i32 s11, s12, 64
	s_add_i32 s46, s12, 0xffffff80
	v_or_b32_e32 v3, s11, v0
	v_or_b32_e32 v2, s12, v0
	;; [unrolled: 1-line block ×3, first 2 shown]
	s_add_i32 s45, s12, 0xffffff40
	s_add_i32 s44, s12, 0xffffff00
	v_lshlrev_b32_e32 v8, 2, v3
	v_or_b32_e32 v3, s45, v0
	s_add_i32 s43, s12, 0xfffffec0
	s_add_i32 s42, s12, 0xfffffe80
	;; [unrolled: 1-line block ×6, first 2 shown]
	v_dual_mov_b32 v64, v1 :: v_dual_lshlrev_b32 v33, 2, v2
	v_lshlrev_b32_e32 v2, 2, v4
	v_or_b32_e32 v4, s44, v0
	v_or_b32_e32 v5, s43, v0
	;; [unrolled: 1-line block ×4, first 2 shown]
	s_add_i32 s40, s12, 0xfffffe00
	v_or_b32_e32 v11, s38, v0
	v_or_b32_e32 v16, s31, v0
	;; [unrolled: 1-line block ×3, first 2 shown]
	s_add_i32 s22, s12, 0xfffffa00
	s_add_i32 s39, s12, 0xfffffdc0
	;; [unrolled: 1-line block ×4, first 2 shown]
	v_or_b32_e32 v9, s40, v0
	v_or_b32_e32 v24, s22, v0
	s_add_i32 s20, s12, 0xfffff980
	v_lshlrev_b32_e32 v3, 2, v3
	v_or_b32_e32 v10, s39, v0
	s_add_i32 s37, s12, 0xfffffd40
	v_or_b32_e32 v18, s30, v0
	s_add_i32 s28, s12, 0xfffffb40
	;; [unrolled: 2-line block ×3, first 2 shown]
	v_lshlrev_b32_e32 v4, 2, v4
	s_add_i32 s36, s12, 0xfffffd00
	s_add_i32 s35, s12, 0xfffffcc0
	;; [unrolled: 1-line block ×8, first 2 shown]
	v_or_b32_e32 v26, s20, v0
	s_add_i32 s18, s12, 0xfffff900
	s_add_i32 s13, s12, 0xfffff8c0
	;; [unrolled: 1-line block ×3, first 2 shown]
	s_addk_i32 s12, 0xf840
	v_lshlrev_b32_e32 v5, 2, v5
	v_lshlrev_b32_e32 v6, 2, v6
	;; [unrolled: 1-line block ×3, first 2 shown]
	ds_load_b32 v35, v33 offset:16384
	ds_load_b32 v40, v8 offset:16384
	;; [unrolled: 1-line block ×8, first 2 shown]
	v_lshlrev_b32_e32 v8, 2, v11
	v_or_b32_e32 v11, s37, v0
	v_lshlrev_b32_e32 v17, 2, v16
	v_lshlrev_b32_e32 v16, 2, v19
	v_or_b32_e32 v19, s28, v0
	v_or_b32_e32 v27, s19, v0
	;; [unrolled: 1-line block ×6, first 2 shown]
	v_lshlrev_b32_e32 v9, 2, v9
	v_or_b32_e32 v13, s35, v0
	v_or_b32_e32 v14, s34, v0
	;; [unrolled: 1-line block ×6, first 2 shown]
	v_lshlrev_b32_e32 v24, 2, v24
	v_or_b32_e32 v29, s13, v0
	v_or_b32_e32 v30, s11, v0
	v_lshlrev_b32_e32 v10, 2, v10
	v_lshlrev_b32_e32 v18, 2, v18
	v_lshlrev_b32_e32 v25, 2, v25
	v_lshlrev_b32_e32 v26, 2, v26
	v_lshlrev_b32_e32 v11, 2, v11
	v_lshlrev_b32_e32 v19, 2, v19
	v_lshlrev_b32_e32 v27, 2, v27
	v_lshlrev_b32_e32 v12, 2, v12
	v_lshlrev_b32_e32 v20, 2, v20
	v_lshlrev_b32_e32 v28, 2, v28
	v_lshlrev_b32_e32 v31, 2, v31
	v_lshlrev_b32_e32 v13, 2, v13
	v_lshlrev_b32_e32 v14, 2, v14
	v_lshlrev_b32_e32 v15, 2, v15
	ds_load_b32 v43, v9 offset:16384
	ds_load_b32 v62, v10 offset:16384
	;; [unrolled: 1-line block ×8, first 2 shown]
	v_lshlrev_b32_e32 v21, 2, v21
	v_lshlrev_b32_e32 v22, 2, v22
	;; [unrolled: 1-line block ×3, first 2 shown]
	ds_load_b32 v53, v17 offset:16384
	ds_load_b32 v54, v18 offset:16384
	;; [unrolled: 1-line block ×8, first 2 shown]
	v_lshlrev_b32_e32 v29, 2, v29
	v_lshlrev_b32_e32 v30, 2, v30
	ds_load_b32 v52, v24 offset:16384
	ds_load_b32 v50, v25 offset:16384
	;; [unrolled: 1-line block ×8, first 2 shown]
	s_cmp_le_i32 s26, s10
	s_mov_b32 s12, s4
	s_cbranch_scc1 .LBB43_22
.LBB43_21:                              ;   Parent Loop BB43_20 Depth=1
                                        ; =>  This Inner Loop Header: Depth=2
	v_mov_b32_e32 v95, s12
	ds_load_b32 v97, v64
	v_add_nc_u32_e32 v64, 0xffffff00, v64
	s_add_i32 s47, s47, -1
	s_add_i32 s12, s12, -4
	ds_load_2addr_stride64_b32 v[65:66], v95 offset0:30 offset1:31
	ds_load_2addr_stride64_b32 v[67:68], v95 offset0:28 offset1:29
	;; [unrolled: 1-line block ×15, first 2 shown]
	ds_load_2addr_stride64_b32 v[95:96], v95 offset1:1
	s_cmp_gt_i32 s47, s10
	s_waitcnt lgkmcnt(15)
	v_fma_f32 v35, -v97, v66, v35
	v_fma_f32 v40, -v97, v65, v40
	s_waitcnt lgkmcnt(14)
	v_fma_f32 v34, -v97, v68, v34
	v_fma_f32 v39, -v97, v67, v39
	;; [unrolled: 3-line block ×16, first 2 shown]
	s_cbranch_scc1 .LBB43_21
.LBB43_22:                              ;   in Loop: Header=BB43_20 Depth=1
	s_add_i32 s45, s45, s10
	s_mul_i32 s12, s10, 0x104
	s_lshl_b32 s45, s45, 2
	v_dual_mov_b32 v64, s12 :: v_dual_add_nc_u32 v33, 0x4000, v33
	s_add_i32 s46, s46, s10
	s_add_i32 s45, s45, -4
	s_add_i32 s47, s12, 0xfffffefc
	s_lshl_b32 s46, s46, 2
	v_mov_b32_e32 v67, s45
	s_add_i32 s45, s12, 0xfffffdf8
	v_dual_mov_b32 v65, s47 :: v_dual_mov_b32 v66, s46
	ds_load_b32 v70, v64
	v_mov_b32_e32 v68, s45
	s_add_i32 s44, s44, s10
	s_add_i32 s46, s12, 0xfffffcf4
	ds_load_b32 v74, v66
	s_add_i32 s43, s43, s10
	ds_load_2addr_b32 v[68:69], v68 offset1:1
	ds_load_2addr_b32 v[64:65], v65 offset1:1
	;; [unrolled: 1-line block ×3, first 2 shown]
	s_lshl_b32 s44, s44, 2
	s_delay_alu instid0(SALU_CYCLE_1)
	v_dual_mov_b32 v71, s46 :: v_dual_mov_b32 v72, s44
	s_lshl_b32 s43, s43, 2
	s_add_i32 s44, s44, -8
	s_add_i32 s42, s42, s10
	v_mov_b32_e32 v73, s44
	s_add_i32 s44, s43, -4
	s_add_i32 s43, s43, -12
	s_lshl_b32 s42, s42, 2
	s_add_i32 s41, s41, s10
	s_waitcnt lgkmcnt(4)
	v_mul_f32_e32 v35, v70, v35
	ds_load_2addr_b32 v[70:71], v71 offset1:1
	ds_load_b32 v75, v72
	v_mov_b32_e32 v76, s43
	s_add_i32 s43, s12, 0xfffffaec
	s_lshl_b32 s41, s41, 2
	s_waitcnt lgkmcnt(5)
	v_fma_f32 v74, -v35, v74, v34
	s_add_i32 s40, s40, s10
	s_waitcnt lgkmcnt(3)
	v_fma_f32 v40, -v35, v65, v40
	v_mov_b32_e32 v65, s44
	s_add_i32 s44, s12, 0xfffffbf0
	s_lshl_b32 s40, s40, 2
	s_add_i32 s39, s39, s10
	v_mul_f32_e32 v34, v64, v40
	s_waitcnt lgkmcnt(2)
	v_fma_f32 v67, -v35, v67, v39
	v_mov_b32_e32 v40, s44
	ds_load_2addr_b32 v[72:73], v73 offset1:1
	s_lshl_b32 s39, s39, 2
	v_fma_f32 v69, -v34, v69, v74
	v_fma_f32 v74, -v34, v66, v67
	ds_load_2addr_b32 v[66:67], v76 offset1:1
	ds_load_2addr_b32 v[64:65], v65 offset1:1
	;; [unrolled: 1-line block ×3, first 2 shown]
	s_waitcnt lgkmcnt(4)
	v_fma_f32 v75, -v35, v75, v36
	v_mul_f32_e32 v36, v68, v69
	v_mov_b32_e32 v76, s43
	s_add_i32 s43, s42, -4
	s_add_i32 s38, s38, s10
	s_add_i32 s37, s37, s10
	v_fma_f32 v71, -v36, v71, v74
	s_lshl_b32 s38, s38, 2
	s_lshl_b32 s37, s37, 2
	s_add_i32 s36, s36, s10
	s_add_i32 s35, s35, s10
	s_lshl_b32 s36, s36, 2
	s_lshl_b32 s35, s35, 2
	s_waitcnt lgkmcnt(3)
	v_fma_f32 v73, -v34, v73, v75
	s_add_i32 s34, s34, s10
	s_add_i32 s31, s31, s10
	s_lshl_b32 s34, s34, 2
	s_lshl_b32 s31, s31, 2
	s_waitcnt lgkmcnt(1)
	v_fma_f32 v65, -v35, v65, v38
	v_fma_f32 v72, -v36, v72, v73
	s_add_i32 s33, s33, s10
	s_add_i32 s30, s30, s10
	s_lshl_b32 s33, s33, 2
	v_fma_f32 v64, -v34, v64, v65
	v_mov_b32_e32 v65, s43
	ds_load_2addr_b32 v[68:69], v76 offset1:1
	s_add_i32 s43, s42, -12
	v_mul_f32_e32 v38, v70, v71
	s_sub_i32 s42, s42, 20
	s_lshl_b32 s30, s30, 2
	s_add_i32 s29, s29, s10
	s_add_i32 s28, s28, s10
	s_waitcnt lgkmcnt(1)
	v_fma_f32 v40, -v38, v40, v72
	v_mov_b32_e32 v72, s42
	s_add_i32 s42, s41, -16
	s_lshl_b32 s29, s29, 2
	s_lshl_b32 s28, s28, 2
	v_mul_f32_e32 v39, v39, v40
	v_fma_f32 v67, -v36, v67, v64
	ds_load_2addr_b32 v[64:65], v65 offset1:1
	v_mov_b32_e32 v40, s41
	s_add_i32 s27, s27, s10
	s_add_i32 s24, s24, s10
	v_fma_f32 v66, -v38, v66, v67
	v_mov_b32_e32 v67, s43
	ds_load_b32 v75, v40
	s_add_i32 s43, s41, -8
	s_sub_i32 s41, s41, 24
	s_waitcnt lgkmcnt(2)
	v_fma_f32 v71, -v39, v69, v66
	v_mov_b32_e32 v40, s43
	ds_load_2addr_b32 v[66:67], v67 offset1:1
	s_lshl_b32 s27, s27, 2
	s_add_i32 s25, s25, s10
	s_lshl_b32 s24, s24, 2
	ds_load_2addr_b32 v[69:70], v40 offset1:1
	v_mul_f32_e32 v40, v68, v71
	v_mov_b32_e32 v68, s41
	s_add_i32 s41, s40, -4
	s_lshl_b32 s25, s25, 2
	s_waitcnt lgkmcnt(3)
	v_fma_f32 v63, -v35, v65, v63
	v_mov_b32_e32 v65, s42
	v_mov_b32_e32 v77, s41
	s_add_i32 s41, s12, 0xfffff9e8
	s_sub_i32 s42, s39, 24
	v_fma_f32 v76, -v34, v64, v63
	s_waitcnt lgkmcnt(2)
	v_fma_f32 v41, -v35, v75, v41
	v_mov_b32_e32 v75, s41
	ds_load_2addr_b32 v[71:72], v72 offset1:1
	ds_load_2addr_b32 v[63:64], v65 offset1:1
	;; [unrolled: 1-line block ×3, first 2 shown]
	s_add_i32 s41, s40, -12
	s_waitcnt lgkmcnt(4)
	v_fma_f32 v65, -v36, v67, v76
	ds_load_2addr_b32 v[67:68], v77 offset1:1
	ds_load_b32 v77, v75
	s_add_i32 s23, s23, s10
	s_waitcnt lgkmcnt(5)
	v_fma_f32 v41, -v34, v70, v41
	v_fma_f32 v70, -v38, v66, v65
	v_mov_b32_e32 v65, s41
	s_add_i32 s41, s12, 0xfffff8e4
	s_lshl_b32 s23, s23, 2
	v_fma_f32 v41, -v36, v69, v41
	v_mov_b32_e32 v69, s41
	ds_load_2addr_b32 v[65:66], v65 offset1:1
	s_sub_i32 s41, s40, 20
	s_sub_i32 s40, s40, 28
	s_delay_alu instid0(SALU_CYCLE_1)
	v_dual_mov_b32 v75, s41 :: v_dual_mov_b32 v76, s40
	s_add_i32 s40, s39, -8
	s_waitcnt lgkmcnt(5)
	v_fma_f32 v72, -v39, v72, v70
	s_waitcnt lgkmcnt(4)
	v_fma_f32 v41, -v38, v64, v41
	ds_load_b32 v64, v69
	ds_load_2addr_b32 v[69:70], v75 offset1:1
	ds_load_2addr_b32 v[75:76], v76 offset1:1
	s_add_i32 s41, s39, -16
	s_waitcnt lgkmcnt(5)
	v_fma_f32 v43, -v35, v68, v43
	v_fma_f32 v68, -v40, v71, v72
	;; [unrolled: 1-line block ×3, first 2 shown]
	s_add_i32 s22, s22, s10
	s_add_i32 s21, s21, s10
	v_fma_f32 v43, -v34, v67, v43
	s_waitcnt lgkmcnt(4)
	v_mul_f32_e32 v41, v77, v68
	v_fma_f32 v63, -v40, v74, v63
	v_mov_b32_e32 v67, s41
	s_add_i32 s41, s38, -8
	s_waitcnt lgkmcnt(3)
	v_fma_f32 v43, -v36, v66, v43
	v_mov_b32_e32 v66, s39
	v_fma_f32 v63, -v41, v73, v63
	v_mov_b32_e32 v68, s41
	s_sub_i32 s39, s39, 32
	v_fma_f32 v65, -v38, v65, v43
	ds_load_b32 v71, v66
	s_waitcnt lgkmcnt(3)
	v_mul_f32_e32 v43, v64, v63
	v_mov_b32_e32 v63, s40
	s_add_i32 s40, s12, 0xfffff7e0
	s_waitcnt lgkmcnt(2)
	v_fma_f32 v65, -v39, v70, v65
	v_dual_mov_b32 v70, s42 :: v_dual_mov_b32 v79, s40
	ds_load_2addr_b32 v[63:64], v63 offset1:1
	v_mov_b32_e32 v66, s38
	v_fma_f32 v78, -v40, v69, v65
	s_add_i32 s40, s38, -16
	s_lshl_b32 s22, s22, 2
	s_lshl_b32 s21, s21, 2
	ds_load_b32 v77, v66
	ds_load_2addr_b32 v[65:66], v68 offset1:1
	ds_load_2addr_b32 v[67:68], v67 offset1:1
	;; [unrolled: 1-line block ×3, first 2 shown]
	s_waitcnt lgkmcnt(6)
	v_fma_f32 v78, -v41, v76, v78
	s_add_i32 s20, s20, s10
	s_add_i32 s19, s19, s10
	s_lshl_b32 s20, s20, 2
	s_lshl_b32 s19, s19, 2
	s_waitcnt lgkmcnt(5)
	v_fma_f32 v62, -v35, v71, v62
	v_mov_b32_e32 v71, s40
	s_sub_i32 s40, s38, 24
	s_sub_i32 s38, s38, 32
	v_mov_b32_e32 v73, s40
	s_add_i32 s40, s37, -4
	s_add_i32 s18, s18, s10
	s_waitcnt lgkmcnt(4)
	v_fma_f32 v64, -v34, v64, v62
	v_mov_b32_e32 v62, s40
	s_lshl_b32 s18, s18, 2
	s_add_i32 s13, s13, s10
	s_add_i32 s11, s11, s10
	v_fma_f32 v63, -v36, v63, v64
	v_mov_b32_e32 v64, s39
	ds_load_2addr_b32 v[71:72], v71 offset1:1
	ds_load_2addr_b32 v[73:74], v73 offset1:1
	s_waitcnt lgkmcnt(5)
	v_fma_f32 v77, -v35, v77, v61
	ds_load_2addr_b32 v[61:62], v62 offset1:1
	s_add_i32 s39, s37, -12
	s_waitcnt lgkmcnt(4)
	v_fma_f32 v68, -v38, v68, v63
	ds_load_2addr_b32 v[63:64], v64 offset1:1
	v_fma_f32 v66, -v34, v66, v77
	v_mov_b32_e32 v77, s39
	ds_load_b32 v79, v79
	v_fma_f32 v82, -v39, v67, v68
	s_add_i32 s39, s12, 0xfffff5d8
	v_fma_f32 v80, -v36, v65, v66
	ds_load_2addr_b32 v[65:66], v77 offset1:1
	v_mov_b32_e32 v81, s39
	s_sub_i32 s39, s37, 28
	v_mov_b32_e32 v77, s38
	s_add_i32 s38, s12, 0xfffff6dc
	s_lshl_b32 s13, s13, 2
	s_lshl_b32 s11, s11, 2
	s_waitcnt lgkmcnt(5)
	v_fma_f32 v72, -v38, v72, v80
	s_addk_i32 s4, 0xe000
	s_waitcnt lgkmcnt(3)
	v_fma_f32 v44, -v35, v62, v44
	v_fma_f32 v62, -v40, v70, v82
	;; [unrolled: 1-line block ×4, first 2 shown]
	s_delay_alu instid0(VALU_DEP_4) | instskip(NEXT) | instid1(VALU_DEP_4)
	v_fma_f32 v61, -v34, v61, v44
	v_fma_f32 v62, -v41, v69, v62
	s_delay_alu instid0(VALU_DEP_4)
	v_fma_f32 v71, -v40, v74, v71
	v_mov_b32_e32 v69, s38
	s_sub_i32 s38, s37, 20
	s_sub_i32 s37, s37, 36
	s_waitcnt lgkmcnt(0)
	v_fma_f32 v61, -v36, v66, v61
	v_fma_f32 v84, -v41, v73, v71
	v_mov_b32_e32 v73, s37
	s_add_i32 s37, s12, 0xfffff4d4
	v_fma_f32 v66, -v43, v64, v62
	v_mov_b32_e32 v78, s37
	s_sub_i32 s37, s36, 24
	v_fma_f32 v82, -v38, v65, v61
	v_mov_b32_e32 v80, s37
	s_add_i32 s37, s35, -4
	v_mov_b32_e32 v62, s38
	v_mov_b32_e32 v64, s39
	ds_load_2addr_b32 v[67:68], v77 offset1:1
	ds_load_2addr_b32 v[76:77], v81 offset1:1
	v_mov_b32_e32 v85, s37
	s_add_i32 s37, s35, -12
	v_dual_mov_b32 v61, s36 :: v_dual_mul_f32 v44, v79, v70
	ds_load_2addr_b32 v[64:65], v64 offset1:1
	s_add_i32 s38, s36, -8
	ds_load_b32 v75, v69
	ds_load_b32 v83, v61
	ds_load_2addr_b32 v[61:62], v62 offset1:1
	v_fma_f32 v63, -v44, v63, v66
	v_mov_b32_e32 v69, s38
	s_add_i32 s38, s36, -16
	s_delay_alu instid0(SALU_CYCLE_1)
	v_mov_b32_e32 v71, s38
	ds_load_2addr_b32 v[69:70], v69 offset1:1
	ds_load_2addr_b32 v[71:72], v71 offset1:1
	s_waitcnt lgkmcnt(7)
	v_fma_f32 v66, -v43, v68, v84
	s_waitcnt lgkmcnt(3)
	v_fma_f32 v46, -v35, v83, v46
	;; [unrolled: 2-line block ×3, first 2 shown]
	s_delay_alu instid0(VALU_DEP_1)
	v_fma_f32 v61, -v40, v61, v62
	v_mov_b32_e32 v62, s37
	s_sub_i32 s37, s36, 32
	s_sub_i32 s36, s36, 40
	s_waitcnt lgkmcnt(1)
	v_fma_f32 v68, -v34, v70, v46
	v_mov_b32_e32 v84, s36
	ds_load_2addr_b32 v[73:74], v73 offset1:1
	ds_load_2addr_b32 v[78:79], v78 offset1:1
	ds_load_2addr_b32 v[80:81], v80 offset1:1
	ds_load_2addr_b32 v[82:83], v85 offset1:1
	v_mul_f32_e32 v46, v75, v63
	v_fma_f32 v63, -v36, v69, v68
	v_fma_f32 v86, -v41, v65, v61
	ds_load_2addr_b32 v[61:62], v62 offset1:1
	s_sub_i32 s36, s35, 28
	v_fma_f32 v75, -v44, v67, v66
	s_waitcnt lgkmcnt(5)
	v_fma_f32 v72, -v38, v72, v63
	v_mov_b32_e32 v63, s37
	s_sub_i32 s37, s35, 20
	v_mov_b32_e32 v67, s36
	v_mov_b32_e32 v65, s37
	s_sub_i32 s36, s35, 36
	v_fma_f32 v71, -v39, v71, v72
	v_mov_b32_e32 v69, s36
	s_add_i32 s36, s12, 0xfffff3d0
	ds_load_2addr_b32 v[65:66], v65 offset1:1
	v_mov_b32_e32 v85, s36
	v_fma_f32 v64, -v43, v64, v86
	s_add_i32 s36, s34, -8
	s_waitcnt lgkmcnt(2)
	v_fma_f32 v48, -v35, v83, v48
	v_fma_f32 v72, -v46, v77, v75
	s_sub_i32 s35, s35, 44
	v_fma_f32 v64, -v44, v74, v64
	s_sub_i32 s37, s34, 40
	v_fma_f32 v48, -v34, v82, v48
	ds_load_2addr_b32 v[67:68], v67 offset1:1
	ds_load_2addr_b32 v[69:70], v69 offset1:1
	;; [unrolled: 1-line block ×3, first 2 shown]
	s_waitcnt lgkmcnt(4)
	v_fma_f32 v48, -v36, v62, v48
	ds_load_2addr_b32 v[62:63], v84 offset1:1
	ds_load_2addr_b32 v[84:85], v85 offset1:1
	v_fma_f32 v48, -v38, v61, v48
	v_fma_f32 v61, -v40, v81, v71
	v_mov_b32_e32 v71, s34
	s_waitcnt lgkmcnt(5)
	s_delay_alu instid0(VALU_DEP_3) | instskip(NEXT) | instid1(VALU_DEP_3)
	v_fma_f32 v48, -v39, v66, v48
	v_fma_f32 v61, -v41, v80, v61
	v_mov_b32_e32 v66, s36
	s_add_i32 s36, s34, -16
	s_delay_alu instid0(VALU_DEP_3)
	v_fma_f32 v74, -v40, v65, v48
	s_waitcnt lgkmcnt(2)
	v_fma_f32 v61, -v43, v83, v61
	v_mul_f32_e32 v48, v76, v72
	v_fma_f32 v72, -v46, v73, v64
	ds_load_2addr_b32 v[64:65], v66 offset1:1
	v_fma_f32 v66, -v41, v68, v74
	v_fma_f32 v61, -v44, v82, v61
	v_mov_b32_e32 v82, s31
	ds_load_b32 v71, v71
	v_mov_b32_e32 v68, s35
	v_fma_f32 v66, -v43, v67, v66
	s_waitcnt lgkmcnt(3)
	v_fma_f32 v61, -v46, v63, v61
	v_mov_b32_e32 v63, s36
	s_sub_i32 s35, s34, 24
	s_add_i32 s36, s33, -4
	v_fma_f32 v80, -v44, v70, v66
	v_mov_b32_e32 v76, s37
	ds_load_2addr_b32 v[66:67], v63 offset1:1
	v_mov_b32_e32 v63, s35
	s_add_i32 s35, s12, 0xfffff2cc
	v_fma_f32 v79, -v48, v79, v72
	v_mov_b32_e32 v81, s35
	s_add_i32 s35, s33, -12
	v_fma_f32 v69, -v46, v69, v80
	s_waitcnt lgkmcnt(1)
	v_fma_f32 v49, -v35, v71, v49
	ds_load_2addr_b32 v[70:71], v63 offset1:1
	v_mov_b32_e32 v63, s36
	s_sub_i32 s36, s34, 32
	s_sub_i32 s34, s34, 48
	v_fma_f32 v49, -v34, v65, v49
	v_mov_b32_e32 v65, s36
	ds_load_2addr_b32 v[72:73], v63 offset1:1
	v_fma_f32 v49, -v36, v64, v49
	ds_load_2addr_b32 v[63:64], v68 offset1:1
	ds_load_2addr_b32 v[74:75], v65 offset1:1
	ds_load_2addr_b32 v[76:77], v76 offset1:1
	s_waitcnt lgkmcnt(5)
	v_fma_f32 v65, -v38, v67, v49
	ds_load_2addr_b32 v[67:68], v81 offset1:1
	v_fma_f32 v81, -v48, v62, v61
	v_mov_b32_e32 v62, s35
	s_add_i32 s35, s12, 0xfffff1c8
	v_fma_f32 v61, -v39, v66, v65
	v_mov_b32_e32 v65, s34
	s_sub_i32 s34, s33, 20
	v_dual_mul_f32 v49, v78, v79 :: v_dual_mov_b32 v78, s35
	s_waitcnt lgkmcnt(5)
	v_fma_f32 v71, -v40, v71, v61
	ds_load_2addr_b32 v[61:62], v62 offset1:1
	s_sub_i32 s35, s33, 52
	s_waitcnt lgkmcnt(5)
	v_fma_f32 v51, -v35, v73, v51
	s_waitcnt lgkmcnt(4)
	v_fma_f32 v64, -v48, v64, v69
	v_mov_b32_e32 v69, s34
	s_add_i32 s34, s12, 0xfffff0c4
	v_fma_f32 v73, -v41, v70, v71
	v_dual_mov_b32 v71, s35 :: v_dual_mov_b32 v80, s34
	s_add_i32 s34, s31, -8
	ds_load_2addr_b32 v[65:66], v65 offset1:1
	ds_load_2addr_b32 v[78:79], v78 offset1:1
	v_fma_f32 v89, -v49, v85, v81
	v_fma_f32 v51, -v34, v72, v51
	ds_load_2addr_b32 v[69:70], v69 offset1:1
	v_mov_b32_e32 v83, s34
	ds_load_2addr_b32 v[71:72], v71 offset1:1
	ds_load_2addr_b32 v[80:81], v80 offset1:1
	ds_load_b32 v90, v82
	s_sub_i32 s34, s33, 28
	s_waitcnt lgkmcnt(9)
	v_fma_f32 v73, -v43, v75, v73
	ds_load_2addr_b32 v[82:83], v83 offset1:1
	s_waitcnt lgkmcnt(7)
	v_fma_f32 v51, -v36, v62, v51
	v_mov_b32_e32 v62, s34
	s_sub_i32 s34, s33, 36
	s_sub_i32 s33, s33, 44
	v_mov_b32_e32 v75, s34
	v_mov_b32_e32 v87, s33
	ds_load_2addr_b32 v[85:86], v62 offset1:1
	s_add_i32 s33, s31, -16
	v_fma_f32 v51, -v38, v61, v51
	v_mov_b32_e32 v88, s33
	v_fma_f32 v91, -v44, v74, v73
	ds_load_2addr_b32 v[61:62], v75 offset1:1
	ds_load_2addr_b32 v[73:74], v87 offset1:1
	;; [unrolled: 1-line block ×3, first 2 shown]
	s_waitcnt lgkmcnt(8)
	v_fma_f32 v70, -v39, v70, v51
	s_sub_i32 s33, s31, 24
	s_waitcnt lgkmcnt(5)
	v_fma_f32 v53, -v35, v90, v53
	v_fma_f32 v75, -v49, v63, v64
	v_mov_b32_e32 v64, s33
	s_sub_i32 s33, s31, 32
	v_fma_f32 v63, -v40, v69, v70
	s_waitcnt lgkmcnt(4)
	v_fma_f32 v53, -v34, v83, v53
	s_sub_i32 s34, s31, 40
	v_mov_b32_e32 v69, s33
	v_mov_b32_e32 v83, s34
	v_mul_f32_e32 v51, v84, v89
	v_fma_f32 v53, -v36, v82, v53
	s_waitcnt lgkmcnt(3)
	v_fma_f32 v84, -v41, v86, v63
	ds_load_2addr_b32 v[63:64], v64 offset1:1
	ds_load_2addr_b32 v[69:70], v69 offset1:1
	;; [unrolled: 1-line block ×3, first 2 shown]
	s_sub_i32 s33, s31, 48
	s_sub_i32 s31, s31, 56
	v_fma_f32 v77, -v46, v77, v91
	v_mov_b32_e32 v86, s33
	s_waitcnt lgkmcnt(3)
	v_fma_f32 v53, -v38, v88, v53
	v_mov_b32_e32 v88, s31
	s_add_i32 s31, s12, 0xffffefc0
	s_add_i32 s33, s30, -4
	v_mov_b32_e32 v90, s31
	v_mov_b32_e32 v92, s33
	v_fma_f32 v53, -v39, v87, v53
	ds_load_2addr_b32 v[86:87], v86 offset1:1
	ds_load_2addr_b32 v[88:89], v88 offset1:1
	;; [unrolled: 1-line block ×4, first 2 shown]
	v_fma_f32 v76, -v48, v76, v77
	s_add_i32 s31, s30, -12
	v_fma_f32 v68, -v51, v68, v75
	v_fma_f32 v75, -v43, v85, v84
	s_sub_i32 s33, s30, 36
	s_waitcnt lgkmcnt(6)
	v_fma_f32 v53, -v40, v64, v53
	v_fma_f32 v64, -v49, v66, v76
	v_mov_b32_e32 v66, s31
	v_fma_f32 v75, -v44, v62, v75
	s_sub_i32 s31, s30, 20
	v_fma_f32 v76, -v41, v63, v53
	v_mul_f32_e32 v53, v67, v68
	v_fma_f32 v64, -v51, v65, v64
	ds_load_2addr_b32 v[62:63], v66 offset1:1
	v_fma_f32 v61, -v46, v61, v75
	s_waitcnt lgkmcnt(6)
	v_fma_f32 v65, -v43, v70, v76
	v_mov_b32_e32 v75, s29
	v_fma_f32 v70, -v53, v79, v64
	v_mov_b32_e32 v64, s31
	v_fma_f32 v61, -v48, v74, v61
	v_fma_f32 v74, -v44, v69, v65
	s_waitcnt lgkmcnt(1)
	v_fma_f32 v54, -v35, v93, v54
	s_sub_i32 s31, s30, 28
	ds_load_2addr_b32 v[64:65], v64 offset1:1
	v_mov_b32_e32 v66, s31
	v_mov_b32_e32 v68, s33
	v_fma_f32 v54, -v34, v92, v54
	s_add_i32 s31, s29, -8
	ds_load_2addr_b32 v[66:67], v66 offset1:1
	ds_load_2addr_b32 v[68:69], v68 offset1:1
	v_fma_f32 v61, -v49, v73, v61
	ds_load_b32 v73, v75
	v_fma_f32 v74, -v46, v83, v74
	s_waitcnt lgkmcnt(4)
	v_fma_f32 v54, -v36, v63, v54
	v_mov_b32_e32 v63, s31
	s_add_i32 s31, s29, -16
	s_delay_alu instid0(VALU_DEP_2)
	v_fma_f32 v75, -v38, v62, v54
	v_mul_f32_e32 v54, v78, v70
	v_fma_f32 v70, -v51, v72, v61
	ds_load_2addr_b32 v[61:62], v63 offset1:1
	s_waitcnt lgkmcnt(4)
	v_fma_f32 v63, -v39, v65, v75
	v_fma_f32 v65, -v48, v82, v74
	;; [unrolled: 1-line block ×3, first 2 shown]
	v_mov_b32_e32 v71, s31
	s_sub_i32 s31, s29, 24
	v_fma_f32 v72, -v40, v64, v63
	v_fma_f32 v65, -v49, v87, v65
	v_mov_b32_e32 v74, s31
	ds_load_2addr_b32 v[63:64], v71 offset1:1
	s_waitcnt lgkmcnt(2)
	v_fma_f32 v73, -v35, v73, v56
	v_fma_f32 v67, -v41, v67, v72
	;; [unrolled: 1-line block ×4, first 2 shown]
	s_sub_i32 s31, s30, 44
	ds_load_2addr_b32 v[70:71], v74 offset1:1
	v_fma_f32 v66, -v43, v66, v67
	v_fma_f32 v65, -v53, v89, v65
	v_mul_f32_e32 v56, v80, v72
	s_waitcnt lgkmcnt(2)
	v_fma_f32 v62, -v34, v62, v73
	v_fma_f32 v66, -v44, v69, v66
	;; [unrolled: 1-line block ×3, first 2 shown]
	v_mov_b32_e32 v65, s31
	s_delay_alu instid0(VALU_DEP_4)
	v_fma_f32 v61, -v36, v61, v62
	s_sub_i32 s31, s30, 52
	s_sub_i32 s30, s30, 60
	v_fma_f32 v69, -v46, v68, v66
	v_mov_b32_e32 v66, s31
	s_waitcnt lgkmcnt(1)
	v_fma_f32 v64, -v38, v64, v61
	ds_load_2addr_b32 v[61:62], v65 offset1:1
	s_add_i32 s31, s12, 0xffffeebc
	v_mov_b32_e32 v65, s30
	s_sub_i32 s30, s29, 32
	v_mov_b32_e32 v67, s31
	s_add_i32 s31, s28, -4
	v_mov_b32_e32 v72, s30
	v_mov_b32_e32 v74, s31
	v_fma_f32 v76, -v39, v63, v64
	ds_load_2addr_b32 v[63:64], v66 offset1:1
	ds_load_2addr_b32 v[65:66], v65 offset1:1
	;; [unrolled: 1-line block ×5, first 2 shown]
	s_sub_i32 s30, s29, 40
	s_sub_i32 s31, s29, 56
	s_waitcnt lgkmcnt(6)
	v_fma_f32 v71, -v40, v71, v76
	v_mov_b32_e32 v76, s30
	s_add_i32 s30, s28, -12
	s_delay_alu instid0(SALU_CYCLE_1) | instskip(NEXT) | instid1(VALU_DEP_3)
	v_mov_b32_e32 v77, s30
	v_fma_f32 v71, -v41, v70, v71
	s_sub_i32 s30, s29, 48
	s_waitcnt lgkmcnt(5)
	v_fma_f32 v62, -v48, v62, v69
	ds_load_2addr_b32 v[69:70], v76 offset1:1
	ds_load_2addr_b32 v[76:77], v77 offset1:1
	s_sub_i32 s29, s29, 64
	v_mov_b32_e32 v78, s30
	v_fma_f32 v82, -v49, v61, v62
	s_sub_i32 s30, s28, 20
	s_waitcnt lgkmcnt(3)
	v_fma_f32 v71, -v43, v73, v71
	s_waitcnt lgkmcnt(2)
	v_fma_f32 v58, -v35, v75, v58
	v_fma_f32 v64, -v51, v64, v82
	v_mov_b32_e32 v81, s30
	v_fma_f32 v73, -v56, v91, v80
	v_fma_f32 v71, -v44, v72, v71
	;; [unrolled: 1-line block ×4, first 2 shown]
	s_sub_i32 s30, s28, 28
	s_delay_alu instid0(SALU_CYCLE_1) | instskip(SKIP_1) | instid1(VALU_DEP_2)
	v_dual_mul_f32 v58, v90, v73 :: v_dual_mov_b32 v73, s30
	s_sub_i32 s30, s28, 36
	v_fma_f32 v66, -v54, v66, v74
	v_mov_b32_e32 v74, s29
	s_add_i32 s29, s12, 0xffffedb8
	s_waitcnt lgkmcnt(1)
	v_fma_f32 v70, -v46, v70, v71
	s_waitcnt lgkmcnt(0)
	v_fma_f32 v71, -v36, v77, v72
	v_mov_b32_e32 v77, s29
	s_add_i32 s29, s27, -16
	v_mov_b32_e32 v79, s31
	ds_load_2addr_b32 v[61:62], v78 offset1:1
	ds_load_2addr_b32 v[78:79], v79 offset1:1
	;; [unrolled: 1-line block ×4, first 2 shown]
	s_sub_i32 s31, s28, 44
	v_mov_b32_e32 v72, s30
	v_fma_f32 v75, -v38, v76, v71
	v_mov_b32_e32 v73, s31
	v_fma_f32 v76, -v48, v69, v70
	ds_load_2addr_b32 v[69:70], v72 offset1:1
	ds_load_2addr_b32 v[71:72], v73 offset1:1
	s_add_i32 s30, s27, -8
	v_fma_f32 v65, -v56, v65, v66
	s_waitcnt lgkmcnt(5)
	v_fma_f32 v62, -v49, v62, v76
	v_mov_b32_e32 v76, s27
	s_waitcnt lgkmcnt(3)
	v_fma_f32 v73, -v39, v81, v75
	s_delay_alu instid0(VALU_DEP_3)
	v_fma_f32 v66, -v51, v61, v62
	ds_load_b32 v76, v76
	v_fma_f32 v75, -v40, v80, v73
	ds_load_2addr_b32 v[73:74], v74 offset1:1
	s_waitcnt lgkmcnt(4)
	v_fma_f32 v64, -v41, v64, v75
	v_mov_b32_e32 v75, s30
	s_delay_alu instid0(VALU_DEP_2)
	v_fma_f32 v80, -v43, v63, v64
	ds_load_2addr_b32 v[61:62], v75 offset1:1
	ds_load_2addr_b32 v[63:64], v77 offset1:1
	v_fma_f32 v75, -v58, v68, v65
	v_fma_f32 v65, -v53, v79, v66
	v_mov_b32_e32 v66, s29
	s_waitcnt lgkmcnt(5)
	v_fma_f32 v68, -v44, v70, v80
	s_sub_i32 s29, s27, 24
	v_fma_f32 v70, -v54, v78, v65
	ds_load_2addr_b32 v[65:66], v66 offset1:1
	v_mov_b32_e32 v77, s29
	s_sub_i32 s29, s28, 52
	s_waitcnt lgkmcnt(4)
	v_fma_f32 v76, -v35, v76, v59
	v_mov_b32_e32 v79, s29
	s_waitcnt lgkmcnt(3)
	v_fma_f32 v70, -v56, v74, v70
	v_mul_f32_e32 v59, v67, v75
	v_fma_f32 v78, -v46, v69, v68
	ds_load_2addr_b32 v[68:69], v77 offset1:1
	ds_load_2addr_b32 v[74:75], v79 offset1:1
	s_sub_i32 s29, s28, 60
	s_waitcnt lgkmcnt(4)
	v_fma_f32 v62, -v34, v62, v76
	v_fma_f32 v87, -v58, v73, v70
	v_mov_b32_e32 v70, s29
	s_add_i32 s29, s25, -4
	v_fma_f32 v72, -v48, v72, v78
	v_fma_f32 v61, -v36, v61, v62
	v_mov_b32_e32 v62, s29
	s_addk_i32 s28, 0xffbc
	s_waitcnt lgkmcnt(3)
	v_fma_f32 v64, -v59, v64, v87
	v_fma_f32 v67, -v49, v71, v72
	s_waitcnt lgkmcnt(2)
	v_fma_f32 v66, -v38, v66, v61
	ds_load_2addr_b32 v[61:62], v62 offset1:1
	v_mov_b32_e32 v71, s28
	s_sub_i32 s28, s27, 32
	s_add_i32 s29, s12, 0xffffecb4
	v_fma_f32 v76, -v39, v65, v66
	v_mov_b32_e32 v72, s29
	s_sub_i32 s29, s27, 40
	s_waitcnt lgkmcnt(1)
	v_fma_f32 v67, -v51, v75, v67
	v_mov_b32_e32 v75, s28
	s_add_i32 s28, s25, -12
	v_fma_f32 v69, -v40, v69, v76
	v_dual_mov_b32 v77, s28 :: v_dual_mov_b32 v78, s29
	ds_load_2addr_b32 v[65:66], v70 offset1:1
	ds_load_2addr_b32 v[70:71], v71 offset1:1
	;; [unrolled: 1-line block ×4, first 2 shown]
	v_fma_f32 v74, -v53, v74, v67
	v_fma_f32 v69, -v41, v68, v69
	ds_load_2addr_b32 v[67:68], v77 offset1:1
	ds_load_2addr_b32 v[77:78], v78 offset1:1
	s_sub_i32 s29, s25, 20
	s_sub_i32 s28, s27, 48
	s_waitcnt lgkmcnt(6)
	v_fma_f32 v60, -v35, v62, v60
	v_mov_b32_e32 v62, s29
	s_sub_i32 s29, s27, 56
	v_mov_b32_e32 v79, s28
	s_sub_i32 s28, s25, 28
	v_fma_f32 v88, -v34, v61, v60
	ds_load_2addr_b32 v[60:61], v62 offset1:1
	v_mov_b32_e32 v81, s29
	s_sub_i32 s29, s25, 36
	s_delay_alu instid0(SALU_CYCLE_1)
	v_dual_mov_b32 v62, s28 :: v_dual_mov_b32 v85, s29
	ds_load_2addr_b32 v[79:80], v79 offset1:1
	ds_load_2addr_b32 v[81:82], v81 offset1:1
	;; [unrolled: 1-line block ×4, first 2 shown]
	s_waitcnt lgkmcnt(7)
	v_fma_f32 v69, -v43, v76, v69
	s_waitcnt lgkmcnt(6)
	v_fma_f32 v62, -v36, v68, v88
	v_fma_f32 v74, -v54, v66, v74
	s_sub_i32 s28, s27, 64
	s_addk_i32 s27, 0xffb8
	v_fma_f32 v68, -v44, v75, v69
	v_fma_f32 v62, -v38, v67, v62
	v_mov_b32_e32 v67, s28
	s_add_i32 s28, s12, 0xffffebb0
	s_waitcnt lgkmcnt(5)
	v_fma_f32 v66, -v46, v78, v68
	s_waitcnt lgkmcnt(4)
	v_fma_f32 v61, -v39, v61, v62
	v_dual_mov_b32 v68, s27 :: v_dual_mov_b32 v69, s28
	s_sub_i32 s27, s25, 44
	v_fma_f32 v75, -v48, v77, v66
	s_delay_alu instid0(VALU_DEP_3)
	v_fma_f32 v76, -v40, v60, v61
	v_mul_f32_e32 v60, v63, v64
	v_fma_f32 v64, -v56, v65, v74
	v_mov_b32_e32 v74, s24
	s_waitcnt lgkmcnt(3)
	v_fma_f32 v75, -v49, v80, v75
	s_waitcnt lgkmcnt(1)
	v_fma_f32 v63, -v41, v84, v76
	s_add_i32 s28, s24, -8
	ds_load_2addr_b32 v[61:62], v67 offset1:1
	ds_load_2addr_b32 v[66:67], v68 offset1:1
	;; [unrolled: 1-line block ×3, first 2 shown]
	ds_load_b32 v78, v74
	v_fma_f32 v65, -v51, v79, v75
	v_fma_f32 v63, -v43, v83, v63
	v_dual_mov_b32 v75, s27 :: v_dual_mov_b32 v76, s28
	v_fma_f32 v71, -v58, v71, v64
	s_add_i32 s27, s24, -16
	s_waitcnt lgkmcnt(4)
	v_fma_f32 v77, -v44, v86, v63
	ds_load_2addr_b32 v[63:64], v75 offset1:1
	ds_load_2addr_b32 v[74:75], v76 offset1:1
	v_fma_f32 v65, -v53, v82, v65
	v_fma_f32 v82, -v59, v70, v71
	v_mov_b32_e32 v70, s27
	s_sub_i32 s28, s25, 52
	s_sub_i32 s27, s25, 60
	s_delay_alu instid0(SALU_CYCLE_1)
	v_dual_mov_b32 v76, s28 :: v_dual_mov_b32 v79, s27
	ds_load_2addr_b32 v[70:71], v70 offset1:1
	s_add_i32 s27, s25, 0xffffffbc
	v_fma_f32 v83, -v54, v81, v65
	v_mov_b32_e32 v80, s27
	s_sub_i32 s27, s24, 24
	v_fma_f32 v65, -v46, v85, v77
	ds_load_2addr_b32 v[76:77], v76 offset1:1
	s_waitcnt lgkmcnt(4)
	v_fma_f32 v57, -v35, v78, v57
	v_mov_b32_e32 v84, s27
	ds_load_2addr_b32 v[78:79], v79 offset1:1
	ds_load_2addr_b32 v[80:81], v80 offset1:1
	s_sub_i32 s27, s24, 32
	s_waitcnt lgkmcnt(5)
	v_fma_f32 v85, -v48, v64, v65
	s_waitcnt lgkmcnt(4)
	v_fma_f32 v57, -v34, v75, v57
	ds_load_2addr_b32 v[64:65], v84 offset1:1
	s_sub_i32 s28, s24, 40
	s_delay_alu instid0(SALU_CYCLE_1)
	v_dual_mov_b32 v75, s27 :: v_dual_mov_b32 v84, s28
	v_fma_f32 v57, -v36, v74, v57
	v_fma_f32 v83, -v56, v62, v83
	v_fma_f32 v85, -v49, v63, v85
	ds_load_2addr_b32 v[62:63], v75 offset1:1
	ds_load_2addr_b32 v[74:75], v84 offset1:1
	v_fma_f32 v73, -v60, v73, v82
	s_waitcnt lgkmcnt(6)
	v_fma_f32 v57, -v38, v71, v57
	v_fma_f32 v61, -v58, v61, v83
	s_add_i32 s27, s23, -4
	s_addk_i32 s25, 0xffb4
	s_waitcnt lgkmcnt(5)
	v_fma_f32 v71, -v51, v77, v85
	v_fma_f32 v70, -v39, v70, v57
	;; [unrolled: 1-line block ×3, first 2 shown]
	v_mul_f32_e32 v57, v72, v73
	s_sub_i32 s28, s23, 20
	v_fma_f32 v67, -v53, v76, v71
	s_waitcnt lgkmcnt(2)
	v_fma_f32 v65, -v40, v65, v70
	v_fma_f32 v61, -v60, v66, v61
	s_delay_alu instid0(VALU_DEP_3) | instskip(NEXT) | instid1(VALU_DEP_3)
	v_fma_f32 v66, -v54, v79, v67
	v_fma_f32 v64, -v41, v64, v65
	v_mov_b32_e32 v65, s27
	s_delay_alu instid0(VALU_DEP_4) | instskip(NEXT) | instid1(VALU_DEP_4)
	v_fma_f32 v82, -v57, v69, v61
	v_fma_f32 v66, -v56, v78, v66
	s_add_i32 s27, s23, -12
	s_waitcnt lgkmcnt(1)
	v_fma_f32 v61, -v43, v63, v64
	ds_load_2addr_b32 v[63:64], v65 offset1:1
	v_mov_b32_e32 v69, s27
	v_fma_f32 v65, -v58, v81, v66
	v_mov_b32_e32 v66, s25
	s_sub_i32 s25, s24, 48
	v_fma_f32 v61, -v44, v62, v61
	v_mov_b32_e32 v67, s25
	v_fma_f32 v81, -v59, v80, v65
	s_sub_i32 s27, s24, 56
	s_add_i32 s25, s12, 0xffffeaac
	s_waitcnt lgkmcnt(1)
	v_fma_f32 v71, -v46, v75, v61
	ds_load_2addr_b32 v[61:62], v66 offset1:1
	ds_load_2addr_b32 v[65:66], v67 offset1:1
	;; [unrolled: 1-line block ×3, first 2 shown]
	v_mov_b32_e32 v73, s27
	s_sub_i32 s27, s24, 64
	v_mov_b32_e32 v79, s25
	v_fma_f32 v67, -v48, v74, v71
	v_dual_mov_b32 v71, s28 :: v_dual_mov_b32 v74, s27
	s_add_i32 s27, s24, 0xffffffb8
	s_sub_i32 s28, s23, 44
	s_waitcnt lgkmcnt(3)
	v_fma_f32 v55, -v35, v64, v55
	ds_load_2addr_b32 v[71:72], v71 offset1:1
	v_mov_b32_e32 v75, s27
	s_sub_i32 s27, s23, 28
	s_add_i32 s25, s22, -8
	v_fma_f32 v55, -v34, v63, v55
	ds_load_2addr_b32 v[63:64], v73 offset1:1
	v_mov_b32_e32 v77, s27
	ds_load_2addr_b32 v[73:74], v74 offset1:1
	ds_load_2addr_b32 v[75:76], v75 offset1:1
	s_sub_i32 s27, s23, 36
	s_waitcnt lgkmcnt(5)
	v_fma_f32 v78, -v49, v66, v67
	s_waitcnt lgkmcnt(4)
	v_fma_f32 v55, -v36, v70, v55
	ds_load_2addr_b32 v[66:67], v77 offset1:1
	v_dual_mov_b32 v70, s27 :: v_dual_mov_b32 v77, s28
	v_fma_f32 v65, -v51, v65, v78
	v_fma_f32 v55, -v38, v69, v55
	v_fma_f32 v62, -v60, v62, v81
	ds_load_2addr_b32 v[69:70], v70 offset1:1
	ds_load_2addr_b32 v[77:78], v77 offset1:1
	;; [unrolled: 1-line block ×3, first 2 shown]
	s_addk_i32 s24, 0xffb0
	s_waitcnt lgkmcnt(7)
	v_fma_f32 v72, -v39, v72, v55
	v_mul_f32_e32 v55, v68, v82
	v_fma_f32 v68, -v57, v61, v62
	v_mov_b32_e32 v61, s22
	s_waitcnt lgkmcnt(6)
	v_fma_f32 v64, -v53, v64, v65
	v_fma_f32 v65, -v40, v71, v72
	ds_load_b32 v71, v61
	v_fma_f32 v63, -v54, v63, v64
	s_waitcnt lgkmcnt(4)
	v_fma_f32 v62, -v41, v67, v65
	v_mov_b32_e32 v64, s25
	s_add_i32 s25, s12, 0xffffe9a8
	s_delay_alu instid0(SALU_CYCLE_1) | instskip(NEXT) | instid1(VALU_DEP_3)
	v_mov_b32_e32 v67, s25
	v_fma_f32 v65, -v43, v66, v62
	v_mov_b32_e32 v66, s24
	ds_load_2addr_b32 v[61:62], v64 offset1:1
	s_add_i32 s24, s22, -16
	v_fma_f32 v72, -v56, v74, v63
	s_waitcnt lgkmcnt(4)
	v_fma_f32 v70, -v44, v70, v65
	ds_load_2addr_b32 v[63:64], v66 offset1:1
	ds_load_2addr_b32 v[65:66], v67 offset1:1
	v_mov_b32_e32 v67, s24
	s_waitcnt lgkmcnt(4)
	v_fma_f32 v84, -v55, v80, v68
	s_sub_i32 s24, s23, 52
	v_fma_f32 v69, -v46, v69, v70
	v_fma_f32 v70, -v58, v73, v72
	ds_load_2addr_b32 v[67:68], v67 offset1:1
	v_mov_b32_e32 v72, s24
	s_sub_i32 s24, s22, 24
	v_fma_f32 v69, -v48, v78, v69
	s_waitcnt lgkmcnt(4)
	v_fma_f32 v52, -v35, v71, v52
	v_mov_b32_e32 v71, s24
	v_fma_f32 v78, -v59, v76, v70
	s_sub_i32 s24, s22, 32
	v_fma_f32 v82, -v49, v77, v69
	ds_load_2addr_b32 v[69:70], v72 offset1:1
	s_waitcnt lgkmcnt(4)
	v_fma_f32 v52, -v34, v62, v52
	ds_load_2addr_b32 v[71:72], v71 offset1:1
	s_sub_i32 s25, s22, 40
	s_delay_alu instid0(SALU_CYCLE_1)
	v_dual_mov_b32 v62, s24 :: v_dual_mov_b32 v73, s25
	v_fma_f32 v52, -v36, v61, v52
	s_sub_i32 s24, s23, 60
	ds_load_2addr_b32 v[61:62], v62 offset1:1
	ds_load_2addr_b32 v[73:74], v73 offset1:1
	s_add_i32 s25, s23, 0xffffffbc
	s_waitcnt lgkmcnt(4)
	v_fma_f32 v52, -v38, v68, v52
	v_mov_b32_e32 v68, s24
	s_add_i32 s24, s23, 0xffffffb4
	s_addk_i32 s23, 0xffac
	v_mov_b32_e32 v76, s25
	v_fma_f32 v52, -v39, v67, v52
	ds_load_2addr_b32 v[67:68], v68 offset1:1
	v_mov_b32_e32 v83, s23
	s_add_i32 s23, s12, 0xffffe8a4
	v_mov_b32_e32 v80, s24
	ds_load_2addr_b32 v[76:77], v76 offset1:1
	ds_load_2addr_b32 v[80:81], v80 offset1:1
	s_waitcnt lgkmcnt(5)
	v_fma_f32 v52, -v40, v72, v52
	v_mov_b32_e32 v72, s23
	v_fma_f32 v85, -v51, v70, v82
	s_sub_i32 s23, s22, 48
	s_add_i32 s24, s21, -12
	v_fma_f32 v86, -v41, v71, v52
	ds_load_2addr_b32 v[70:71], v83 offset1:1
	ds_load_2addr_b32 v[82:83], v72 offset1:1
	v_fma_f32 v72, -v60, v75, v78
	v_mov_b32_e32 v75, s23
	s_add_i32 s23, s21, -4
	v_fma_f32 v69, -v53, v69, v85
	s_waitcnt lgkmcnt(6)
	v_fma_f32 v62, -v43, v62, v86
	v_fma_f32 v64, -v57, v64, v72
	v_mov_b32_e32 v72, s23
	s_sub_i32 s23, s22, 56
	s_waitcnt lgkmcnt(4)
	v_fma_f32 v68, -v54, v68, v69
	v_fma_f32 v69, -v44, v61, v62
	ds_load_2addr_b32 v[61:62], v75 offset1:1
	v_fma_f32 v90, -v55, v63, v64
	ds_load_2addr_b32 v[63:64], v72 offset1:1
	v_fma_f32 v91, -v56, v67, v68
	v_mov_b32_e32 v67, s24
	v_fma_f32 v69, -v46, v74, v69
	v_mul_f32_e32 v52, v79, v84
	s_add_i32 s24, s22, 0xffffffb8
	s_sub_i32 s25, s21, 36
	ds_load_2addr_b32 v[67:68], v67 offset1:1
	v_mov_b32_e32 v72, s23
	s_sub_i32 s23, s22, 64
	v_mov_b32_e32 v78, s24
	v_mov_b32_e32 v74, s23
	s_sub_i32 s23, s21, 20
	v_fma_f32 v69, -v48, v73, v69
	v_mov_b32_e32 v84, s23
	ds_load_2addr_b32 v[72:73], v72 offset1:1
	ds_load_2addr_b32 v[74:75], v74 offset1:1
	;; [unrolled: 1-line block ×3, first 2 shown]
	s_sub_i32 s24, s21, 28
	s_add_i32 s23, s22, 0xffffffb0
	s_waitcnt lgkmcnt(5)
	v_fma_f32 v62, -v49, v62, v69
	ds_load_2addr_b32 v[84:85], v84 offset1:1
	s_waitcnt lgkmcnt(5)
	v_fma_f32 v50, -v35, v64, v50
	v_dual_mov_b32 v64, s24 :: v_dual_mov_b32 v69, s25
	v_fma_f32 v86, -v51, v61, v62
	s_addk_i32 s22, 0xffa8
	s_delay_alu instid0(VALU_DEP_3)
	v_fma_f32 v50, -v34, v63, v50
	ds_load_2addr_b32 v[61:62], v64 offset1:1
	ds_load_2addr_b32 v[63:64], v69 offset1:1
	v_mov_b32_e32 v87, s23
	s_add_i32 s23, s12, 0xffffe7a0
	v_mov_b32_e32 v69, s22
	s_waitcnt lgkmcnt(6)
	v_fma_f32 v50, -v36, v68, v50
	v_mov_b32_e32 v88, s23
	s_add_i32 s22, s20, -8
	s_waitcnt lgkmcnt(5)
	v_fma_f32 v73, -v53, v73, v86
	v_fma_f32 v66, -v52, v66, v90
	v_fma_f32 v50, -v38, v67, v50
	ds_load_2addr_b32 v[67:68], v87 offset1:1
	ds_load_2addr_b32 v[86:87], v69 offset1:1
	;; [unrolled: 1-line block ×3, first 2 shown]
	v_fma_f32 v69, -v58, v77, v91
	v_fma_f32 v72, -v54, v72, v73
	v_mov_b32_e32 v73, s20
	s_waitcnt lgkmcnt(5)
	v_fma_f32 v50, -v39, v85, v50
	s_add_i32 s23, s20, -16
	v_fma_f32 v69, -v59, v76, v69
	v_fma_f32 v72, -v56, v75, v72
	ds_load_b32 v90, v73
	v_fma_f32 v50, -v40, v84, v50
	v_mov_b32_e32 v76, s23
	v_fma_f32 v69, -v60, v81, v69
	v_fma_f32 v81, -v58, v74, v72
	s_add_i32 s23, s21, 0xffffffbc
	s_waitcnt lgkmcnt(5)
	v_fma_f32 v50, -v41, v62, v50
	v_mov_b32_e32 v62, s22
	s_sub_i32 s22, s21, 44
	v_fma_f32 v79, -v59, v79, v81
	v_mov_b32_e32 v75, s22
	v_fma_f32 v50, -v43, v61, v50
	ds_load_2addr_b32 v[72:73], v62 offset1:1
	s_sub_i32 s22, s21, 52
	ds_load_2addr_b32 v[61:62], v75 offset1:1
	v_mov_b32_e32 v74, s22
	s_sub_i32 s22, s20, 24
	s_waitcnt lgkmcnt(6)
	v_fma_f32 v50, -v44, v64, v50
	ds_load_2addr_b32 v[74:75], v74 offset1:1
	ds_load_2addr_b32 v[76:77], v76 offset1:1
	v_mov_b32_e32 v64, s22
	s_sub_i32 s22, s21, 60
	s_waitcnt lgkmcnt(4)
	v_fma_f32 v47, -v35, v90, v47
	v_fma_f32 v50, -v46, v63, v50
	v_mov_b32_e32 v90, s23
	ds_load_2addr_b32 v[84:85], v64 offset1:1
	v_mov_b32_e32 v64, s22
	ds_load_2addr_b32 v[63:64], v64 offset1:1
	ds_load_2addr_b32 v[90:91], v90 offset1:1
	s_waitcnt lgkmcnt(6)
	v_fma_f32 v47, -v34, v73, v47
	s_waitcnt lgkmcnt(5)
	v_fma_f32 v50, -v48, v62, v50
	v_fma_f32 v62, -v57, v80, v69
	;; [unrolled: 1-line block ×3, first 2 shown]
	s_sub_i32 s22, s20, 32
	v_fma_f32 v72, -v36, v72, v47
	v_fma_f32 v50, -v49, v61, v50
	v_mul_f32_e32 v47, v65, v66
	v_fma_f32 v61, -v55, v71, v62
	v_fma_f32 v62, -v57, v68, v69
	s_waitcnt lgkmcnt(3)
	v_fma_f32 v65, -v38, v77, v72
	v_fma_f32 v50, -v51, v75, v50
	v_mov_b32_e32 v66, s22
	v_fma_f32 v68, -v52, v70, v61
	v_fma_f32 v67, -v55, v67, v62
	;; [unrolled: 1-line block ×4, first 2 shown]
	ds_load_2addr_b32 v[61:62], v66 offset1:1
	s_sub_i32 s22, s20, 40
	v_fma_f32 v70, -v47, v83, v68
	s_waitcnt lgkmcnt(3)
	v_fma_f32 v65, -v40, v85, v65
	s_waitcnt lgkmcnt(2)
	v_fma_f32 v50, -v54, v64, v50
	v_mov_b32_e32 v64, s22
	s_sub_i32 s22, s20, 48
	v_fma_f32 v71, -v52, v87, v67
	v_fma_f32 v72, -v41, v84, v65
	v_fma_f32 v73, -v56, v63, v50
	ds_load_2addr_b32 v[64:65], v64 offset1:1
	v_mov_b32_e32 v66, s22
	s_sub_i32 s22, s20, 56
	v_mul_f32_e32 v50, v82, v70
	v_mov_b32_e32 v68, s22
	s_add_i32 s22, s19, -4
	ds_load_2addr_b32 v[66:67], v66 offset1:1
	ds_load_2addr_b32 v[68:69], v68 offset1:1
	v_mov_b32_e32 v63, s22
	s_waitcnt lgkmcnt(3)
	v_fma_f32 v72, -v43, v62, v72
	s_add_i32 s22, s19, -12
	s_add_i32 s23, s21, 0xffffffb4
	v_fma_f32 v84, -v47, v86, v71
	ds_load_2addr_b32 v[62:63], v63 offset1:1
	v_fma_f32 v61, -v44, v61, v72
	v_fma_f32 v70, -v58, v91, v73
	v_dual_mov_b32 v71, s22 :: v_dual_mov_b32 v72, s23
	s_add_i32 s22, s21, 0xffffffac
	s_waitcnt lgkmcnt(3)
	v_fma_f32 v61, -v46, v65, v61
	v_fma_f32 v82, -v59, v90, v70
	ds_load_2addr_b32 v[70:71], v71 offset1:1
	ds_load_2addr_b32 v[72:73], v72 offset1:1
	s_addk_i32 s21, 0xffa4
	s_sub_i32 s23, s19, 44
	v_fma_f32 v61, -v48, v64, v61
	v_mov_b32_e32 v78, s21
	s_add_i32 s21, s12, 0xffffe69c
	v_mov_b32_e32 v76, s22
	s_sub_i32 s22, s19, 20
	s_waitcnt lgkmcnt(4)
	v_fma_f32 v61, -v49, v67, v61
	v_mov_b32_e32 v67, s21
	s_sub_i32 s21, s19, 28
	v_mov_b32_e32 v64, s22
	s_waitcnt lgkmcnt(2)
	v_fma_f32 v45, -v35, v63, v45
	v_fma_f32 v83, -v51, v66, v61
	v_mov_b32_e32 v61, s21
	s_sub_i32 s22, s20, 64
	ds_load_2addr_b32 v[63:64], v64 offset1:1
	v_fma_f32 v45, -v34, v62, v45
	v_mov_b32_e32 v65, s22
	s_sub_i32 s22, s19, 36
	v_mov_b32_e32 v74, s23
	s_add_i32 s21, s20, 0xffffffb8
	s_waitcnt lgkmcnt(2)
	v_fma_f32 v45, -v36, v71, v45
	ds_load_2addr_b32 v[65:66], v65 offset1:1
	ds_load_2addr_b32 v[61:62], v61 offset1:1
	v_mov_b32_e32 v71, s22
	v_mov_b32_e32 v85, s21
	v_fma_f32 v45, -v38, v70, v45
	ds_load_2addr_b32 v[70:71], v71 offset1:1
	ds_load_2addr_b32 v[74:75], v74 offset1:1
	;; [unrolled: 1-line block ×5, first 2 shown]
	v_fma_f32 v67, -v53, v69, v83
	s_waitcnt lgkmcnt(8)
	v_fma_f32 v73, -v60, v73, v82
	s_add_i32 s21, s20, 0xffffffb0
	s_add_i32 s22, s20, 0xffffffa8
	s_waitcnt lgkmcnt(7)
	v_fma_f32 v45, -v39, v64, v45
	v_mov_b32_e32 v69, s21
	s_sub_i32 s21, s19, 52
	s_addk_i32 s20, 0xffa0
	v_mov_b32_e32 v83, s22
	v_fma_f32 v45, -v40, v63, v45
	ds_load_2addr_b32 v[63:64], v85 offset1:1
	s_add_i32 s22, s19, 0xffffffb4
	s_waitcnt lgkmcnt(6)
	v_fma_f32 v45, -v41, v62, v45
	v_fma_f32 v62, -v54, v68, v67
	s_delay_alu instid0(VALU_DEP_2) | instskip(NEXT) | instid1(VALU_DEP_2)
	v_fma_f32 v45, -v43, v61, v45
	v_fma_f32 v61, -v56, v66, v62
	;; [unrolled: 1-line block ×4, first 2 shown]
	s_waitcnt lgkmcnt(5)
	v_fma_f32 v45, -v44, v71, v45
	v_fma_f32 v61, -v58, v65, v61
	s_waitcnt lgkmcnt(3)
	v_fma_f32 v62, -v55, v77, v62
	s_waitcnt lgkmcnt(0)
	s_delay_alu instid0(VALU_DEP_2) | instskip(NEXT) | instid1(VALU_DEP_2)
	v_fma_f32 v64, -v59, v64, v61
	v_fma_f32 v73, -v52, v76, v62
	v_mov_b32_e32 v76, s20
	s_add_i32 s20, s18, -16
	v_mov_b32_e32 v65, s21
	ds_load_2addr_b32 v[67:68], v69 offset1:1
	ds_load_2addr_b32 v[82:83], v83 offset1:1
	v_fma_f32 v69, -v46, v70, v45
	s_sub_i32 s21, s19, 60
	v_mul_f32_e32 v45, v88, v66
	ds_load_2addr_b32 v[61:62], v65 offset1:1
	v_fma_f32 v73, -v47, v79, v73
	v_fma_f32 v65, -v48, v75, v69
	;; [unrolled: 1-line block ×3, first 2 shown]
	v_mov_b32_e32 v63, s21
	s_add_i32 s21, s19, 0xffffffbc
	s_delay_alu instid0(VALU_DEP_3)
	v_fma_f32 v71, -v49, v74, v65
	v_mov_b32_e32 v65, s18
	ds_load_2addr_b32 v[63:64], v63 offset1:1
	v_mov_b32_e32 v66, s21
	s_add_i32 s21, s18, -8
	ds_load_b32 v74, v65
	v_mov_b32_e32 v72, s21
	s_sub_i32 s21, s18, 56
	v_mov_b32_e32 v69, s22
	ds_load_2addr_b32 v[65:66], v66 offset1:1
	ds_load_2addr_b32 v[69:70], v69 offset1:1
	s_waitcnt lgkmcnt(4)
	v_fma_f32 v62, -v51, v62, v71
	ds_load_2addr_b32 v[71:72], v72 offset1:1
	v_fma_f32 v68, -v57, v68, v75
	v_fma_f32 v75, -v53, v61, v62
	ds_load_2addr_b32 v[61:62], v76 offset1:1
	v_mov_b32_e32 v76, s20
	v_fma_f32 v77, -v55, v67, v68
	s_sub_i32 s20, s18, 24
	s_waitcnt lgkmcnt(5)
	v_fma_f32 v64, -v54, v64, v75
	v_mov_b32_e32 v75, s20
	ds_load_2addr_b32 v[67:68], v76 offset1:1
	s_waitcnt lgkmcnt(5)
	v_fma_f32 v42, -v35, v74, v42
	s_add_i32 s20, s12, 0xffffe598
	v_fma_f32 v76, -v56, v63, v64
	ds_load_2addr_b32 v[63:64], v75 offset1:1
	v_mov_b32_e32 v74, s20
	s_sub_i32 s20, s18, 32
	v_fma_f32 v75, -v50, v78, v73
	s_waitcnt lgkmcnt(5)
	v_fma_f32 v66, -v58, v66, v76
	s_waitcnt lgkmcnt(3)
	v_fma_f32 v42, -v34, v72, v42
	v_fma_f32 v77, -v52, v83, v77
	ds_load_2addr_b32 v[72:73], v74 offset1:1
	v_fma_f32 v65, -v59, v65, v66
	v_fma_f32 v66, -v36, v71, v42
	v_mov_b32_e32 v71, s20
	s_add_i32 s20, s19, 0xffffffac
	s_delay_alu instid0(VALU_DEP_3)
	v_fma_f32 v70, -v60, v70, v65
	s_waitcnt lgkmcnt(2)
	v_fma_f32 v68, -v38, v68, v66
	ds_load_2addr_b32 v[65:66], v71 offset1:1
	v_fma_f32 v74, -v45, v81, v75
	v_fma_f32 v75, -v47, v82, v77
	;; [unrolled: 1-line block ×3, first 2 shown]
	s_delay_alu instid0(VALU_DEP_3) | instskip(NEXT) | instid1(VALU_DEP_3)
	v_mul_f32_e32 v42, v80, v74
	v_fma_f32 v62, -v50, v62, v75
	v_fma_f32 v80, -v57, v69, v70
	s_waitcnt lgkmcnt(2)
	v_fma_f32 v64, -v40, v64, v67
	v_mov_b32_e32 v70, s21
	s_add_i32 s21, s13, -4
	v_fma_f32 v71, -v45, v61, v62
	v_mov_b32_e32 v61, s20
	s_sub_i32 s20, s18, 40
	v_fma_f32 v74, -v41, v63, v64
	v_mov_b32_e32 v68, s20
	s_sub_i32 s20, s18, 48
	s_waitcnt lgkmcnt(1)
	v_fma_f32 v71, -v42, v73, v71
	v_mov_b32_e32 v69, s20
	s_add_i32 s20, s19, 0xffffffa4
	s_addk_i32 s19, 0xff9c
	ds_load_2addr_b32 v[67:68], v68 offset1:1
	v_mov_b32_e32 v76, s19
	s_add_i32 s19, s12, 0xffffe494
	s_waitcnt lgkmcnt(1)
	v_fma_f32 v66, -v43, v66, v74
	v_mov_b32_e32 v78, s19
	ds_load_2addr_b32 v[61:62], v61 offset1:1
	v_mov_b32_e32 v74, s21
	s_add_i32 s19, s13, -12
	s_sub_i32 s21, s13, 36
	v_mov_b32_e32 v81, s19
	s_sub_i32 s19, s18, 64
	v_fma_f32 v77, -v44, v65, v66
	v_mov_b32_e32 v82, s19
	ds_load_2addr_b32 v[63:64], v69 offset1:1
	ds_load_2addr_b32 v[69:70], v70 offset1:1
	;; [unrolled: 1-line block ×3, first 2 shown]
	v_mov_b32_e32 v75, s20
	s_sub_i32 s20, s13, 20
	s_add_i32 s19, s18, 0xffffffa0
	v_mul_f32_e32 v96, v72, v71
	v_mov_b32_e32 v84, s19
	s_waitcnt lgkmcnt(4)
	v_fma_f32 v68, -v46, v68, v77
	s_add_i32 s19, s18, 0xffffff98
	s_waitcnt lgkmcnt(3)
	v_fma_f32 v62, -v55, v62, v80
	s_delay_alu instid0(VALU_DEP_2) | instskip(NEXT) | instid1(VALU_DEP_2)
	v_fma_f32 v80, -v48, v67, v68
	v_fma_f32 v73, -v52, v61, v62
	v_mov_b32_e32 v61, s20
	s_sub_i32 s20, s13, 28
	s_waitcnt lgkmcnt(2)
	v_fma_f32 v88, -v49, v64, v80
	s_waitcnt lgkmcnt(0)
	v_fma_f32 v37, -v35, v66, v37
	v_mov_b32_e32 v64, s20
	ds_load_2addr_b32 v[74:75], v75 offset1:1
	ds_load_2addr_b32 v[76:77], v76 offset1:1
	;; [unrolled: 1-line block ×3, first 2 shown]
	v_mov_b32_e32 v66, s21
	ds_load_2addr_b32 v[67:68], v81 offset1:1
	ds_load_2addr_b32 v[61:62], v61 offset1:1
	v_fma_f32 v37, -v34, v65, v37
	ds_load_2addr_b32 v[64:65], v64 offset1:1
	ds_load_2addr_b32 v[80:81], v66 offset1:1
	;; [unrolled: 1-line block ×3, first 2 shown]
	v_fma_f32 v63, -v51, v63, v88
	s_add_i32 s20, s12, 0xffffe390
	s_sub_i32 s21, s11, 48
	s_waitcnt lgkmcnt(7)
	v_fma_f32 v75, -v47, v75, v73
	s_waitcnt lgkmcnt(4)
	v_fma_f32 v37, -v36, v68, v37
	v_mov_b32_e32 v68, s19
	s_add_i32 s19, s18, 0xffffffb8
	v_fma_f32 v90, -v50, v74, v75
	s_delay_alu instid0(VALU_DEP_3) | instskip(NEXT) | instid1(VALU_DEP_2)
	v_fma_f32 v37, -v38, v67, v37
	v_fma_f32 v77, -v45, v77, v90
	s_waitcnt lgkmcnt(3)
	s_delay_alu instid0(VALU_DEP_2)
	v_fma_f32 v37, -v39, v62, v37
	v_fma_f32 v62, -v53, v70, v63
	v_mov_b32_e32 v63, s19
	s_add_i32 s19, s18, 0xffffffb0
	s_addk_i32 s18, 0xffa8
	v_fma_f32 v37, -v40, v61, v37
	v_mov_b32_e32 v70, s18
	s_add_i32 s18, s13, 0xffffff94
	v_mov_b32_e32 v86, s20
	ds_load_2addr_b32 v[66:67], v84 offset1:1
	ds_load_2addr_b32 v[84:85], v68 offset1:1
	;; [unrolled: 1-line block ×3, first 2 shown]
	v_mov_b32_e32 v68, s19
	v_fma_f32 v72, -v54, v69, v62
	s_waitcnt lgkmcnt(5)
	v_fma_f32 v37, -v41, v65, v37
	ds_load_2addr_b32 v[61:62], v63 offset1:1
	ds_load_2addr_b32 v[68:69], v68 offset1:1
	;; [unrolled: 1-line block ×3, first 2 shown]
	v_mov_b32_e32 v63, s18
	s_add_i32 s18, s12, 0xffffe28c
	s_sub_i32 s19, s13, 44
	s_waitcnt lgkmcnt(6)
	v_fma_f32 v65, -v56, v83, v72
	v_mov_b32_e32 v72, s18
	s_add_i32 s18, s11, -8
	v_fma_f32 v37, -v43, v64, v37
	v_dual_mov_b32 v88, s19 :: v_dual_mov_b32 v89, s18
	v_mov_b32_e32 v83, s11
	ds_load_2addr_b32 v[63:64], v63 offset1:1
	ds_load_2addr_b32 v[72:73], v72 offset1:1
	ds_load_b32 v83, v83
	v_fma_f32 v65, -v58, v82, v65
	v_fma_f32 v37, -v44, v81, v37
	ds_load_2addr_b32 v[74:75], v88 offset1:1
	ds_load_2addr_b32 v[81:82], v89 offset1:1
	s_add_i32 s18, s11, -16
	s_sub_i32 s19, s13, 52
	s_waitcnt lgkmcnt(7)
	v_fma_f32 v62, -v59, v62, v65
	v_mov_b32_e32 v65, s18
	v_fma_f32 v37, -v46, v80, v37
	v_mov_b32_e32 v80, s19
	s_sub_i32 s18, s13, 60
	s_sub_i32 s19, s11, 40
	ds_load_2addr_b32 v[88:89], v65 offset1:1
	v_mov_b32_e32 v92, s18
	s_add_i32 s18, s13, 0xffffffbc
	v_fma_f32 v76, -v42, v76, v77
	s_waitcnt lgkmcnt(3)
	v_fma_f32 v32, -v35, v83, v32
	s_waitcnt lgkmcnt(2)
	v_fma_f32 v37, -v48, v75, v37
	v_mov_b32_e32 v75, s19
	ds_load_2addr_b32 v[90:91], v80 offset1:1
	v_mov_b32_e32 v65, s18
	s_sub_i32 s18, s11, 24
	ds_load_2addr_b32 v[92:93], v92 offset1:1
	ds_load_2addr_b32 v[94:95], v65 offset1:1
	v_mov_b32_e32 v80, s18
	s_waitcnt lgkmcnt(4)
	v_fma_f32 v32, -v34, v82, v32
	s_sub_i32 s18, s11, 32
	v_fma_f32 v37, -v49, v74, v37
	v_mov_b32_e32 v65, s18
	ds_load_2addr_b32 v[82:83], v80 offset1:1
	v_fma_f32 v32, -v36, v81, v32
	v_fma_f32 v80, -v60, v61, v62
	s_sub_i32 s18, s10, 31
	ds_load_2addr_b32 v[61:62], v65 offset1:1
	ds_load_2addr_b32 v[74:75], v75 offset1:1
	s_lshl_b32 s18, s18, 6
	s_waitcnt lgkmcnt(6)
	v_fma_f32 v32, -v38, v89, v32
	s_add_i32 s19, s18, s10
	v_fma_f32 v65, -v57, v69, v80
	s_lshl_b32 s19, s19, 2
	s_waitcnt lgkmcnt(5)
	v_fma_f32 v37, -v51, v91, v37
	v_fma_f32 v32, -v39, v88, v32
	s_add_i32 s20, s19, -4
	v_fma_f32 v65, -v55, v68, v65
	v_mov_b32_e32 v68, s20
	s_add_i32 s20, s19, -12
	s_sub_i32 s23, s19, 44
	s_sub_i32 s22, s19, 36
	v_fma_f32 v65, -v52, v71, v65
	ds_load_2addr_b32 v[68:69], v68 offset1:1
	s_waitcnt lgkmcnt(3)
	v_fma_f32 v32, -v40, v83, v32
	v_fma_f32 v71, -v96, v79, v76
	;; [unrolled: 1-line block ×4, first 2 shown]
	v_mov_b32_e32 v70, s21
	v_fma_f32 v32, -v41, v82, v32
	v_dual_mul_f32 v88, v78, v71 :: v_dual_mov_b32 v77, s23
	s_delay_alu instid0(VALU_DEP_4)
	v_fma_f32 v65, -v50, v67, v65
	s_add_i32 s21, s11, 0xffffffb8
	s_waitcnt lgkmcnt(2)
	v_fma_f32 v32, -v43, v62, v32
	v_mov_b32_e32 v62, s20
	s_add_i32 s20, s13, 0xffffffb4
	s_delay_alu instid0(SALU_CYCLE_1) | instskip(NEXT) | instid1(VALU_DEP_3)
	v_dual_mov_b32 v80, s21 :: v_dual_mov_b32 v71, s20
	v_fma_f32 v32, -v44, v61, v32
	ds_load_2addr_b32 v[61:62], v62 offset1:1
	s_sub_i32 s20, s19, 20
	v_fma_f32 v37, -v54, v93, v37
	s_waitcnt lgkmcnt(1)
	v_fma_f32 v69, -v35, v69, v31
	v_fma_f32 v67, -v46, v75, v32
	v_mov_b32_e32 v32, s20
	s_sub_i32 s20, s11, 56
	v_fma_f32 v37, -v56, v92, v37
	v_mov_b32_e32 v75, s20
	v_fma_f32 v89, -v48, v74, v67
	ds_load_2addr_b32 v[31:32], v32 offset1:1
	v_fma_f32 v74, -v34, v68, v69
	ds_load_2addr_b32 v[67:68], v70 offset1:1
	ds_load_2addr_b32 v[69:70], v75 offset1:1
	s_sub_i32 s20, s19, 28
	v_fma_f32 v37, -v58, v95, v37
	v_mov_b32_e32 v75, s20
	s_sub_i32 s20, s11, 64
	s_add_i32 s21, s19, 0xffffffb4
	v_mov_b32_e32 v79, s20
	s_add_i32 s20, s13, 0xffffffac
	s_waitcnt lgkmcnt(3)
	v_fma_f32 v62, -v36, v62, v74
	ds_load_2addr_b32 v[74:75], v75 offset1:1
	v_fma_f32 v37, -v59, v94, v37
	v_fma_f32 v78, -v38, v61, v62
	s_waitcnt lgkmcnt(3)
	s_delay_alu instid0(VALU_DEP_1) | instskip(SKIP_2) | instid1(VALU_DEP_2)
	v_fma_f32 v32, -v39, v32, v78
	s_waitcnt lgkmcnt(2)
	v_fma_f32 v68, -v49, v68, v89
	v_fma_f32 v31, -v40, v31, v32
	v_mov_b32_e32 v32, s20
	s_add_i32 s20, s13, 0xffffffa4
	s_delay_alu instid0(VALU_DEP_3)
	v_fma_f32 v67, -v51, v67, v68
	v_mov_b32_e32 v68, s20
	s_add_i32 s20, s19, 0xffffffbc
	v_mov_b32_e32 v76, s22
	ds_load_2addr_b32 v[61:62], v76 offset1:1
	ds_load_2addr_b32 v[76:77], v77 offset1:1
	;; [unrolled: 1-line block ×5, first 2 shown]
	s_addk_i32 s13, 0xff9c
	s_waitcnt lgkmcnt(5)
	v_fma_f32 v31, -v41, v75, v31
	v_mov_b32_e32 v71, s13
	v_fma_f32 v89, -v53, v70, v67
	s_sub_i32 s13, s19, 52
	s_delay_alu instid0(VALU_DEP_3)
	v_fma_f32 v74, -v43, v74, v31
	ds_load_2addr_b32 v[31:32], v32 offset1:1
	ds_load_2addr_b32 v[67:68], v68 offset1:1
	;; [unrolled: 1-line block ×3, first 2 shown]
	v_mov_b32_e32 v75, s13
	v_fma_f32 v69, -v54, v69, v89
	s_sub_i32 s13, s19, 60
	s_waitcnt lgkmcnt(7)
	v_fma_f32 v62, -v44, v62, v74
	ds_load_2addr_b32 v[74:75], v75 offset1:1
	s_waitcnt lgkmcnt(4)
	v_fma_f32 v37, -v60, v83, v37
	v_fma_f32 v69, -v56, v79, v69
	v_mov_b32_e32 v79, s20
	v_fma_f32 v61, -v46, v61, v62
	v_mov_b32_e32 v62, s13
	v_fma_f32 v37, -v57, v82, v37
	v_fma_f32 v69, -v58, v78, v69
	s_add_i32 s20, s11, 0xffffff98
	v_fma_f32 v77, -v48, v77, v61
	ds_load_2addr_b32 v[61:62], v62 offset1:1
	s_waitcnt lgkmcnt(4)
	v_fma_f32 v32, -v55, v32, v37
	v_fma_f32 v37, -v59, v81, v69
	s_add_i32 s13, s11, 0xffffffb0
	v_fma_f32 v83, -v49, v76, v77
	v_mov_b32_e32 v89, s13
	s_add_i32 s13, s11, 0xffffffa8
	v_fma_f32 v37, -v60, v80, v37
	v_mov_b32_e32 v80, s20
	s_add_i32 s20, s19, 0xffffff94
	v_mov_b32_e32 v82, s21
	s_waitcnt lgkmcnt(1)
	v_fma_f32 v75, -v51, v75, v83
	ds_load_2addr_b32 v[76:77], v79 offset1:1
	ds_load_2addr_b32 v[78:79], v82 offset1:1
	v_fma_f32 v82, -v45, v66, v65
	ds_load_2addr_b32 v[65:66], v89 offset1:1
	v_fma_f32 v69, -v53, v74, v75
	v_fma_f32 v83, -v52, v31, v32
	v_mov_b32_e32 v32, s13
	s_add_i32 s21, s19, 0xffffffac
	s_add_i32 s13, s11, 0xffffffa0
	s_waitcnt lgkmcnt(3)
	v_fma_f32 v31, -v54, v62, v69
	v_dual_mov_b32 v62, s21 :: v_dual_mov_b32 v69, s13
	s_add_i32 s13, s19, 0xffffffa4
	v_fma_f32 v68, -v47, v68, v83
	s_delay_alu instid0(VALU_DEP_3)
	v_fma_f32 v61, -v56, v61, v31
	ds_load_2addr_b32 v[31:32], v32 offset1:1
	v_fma_f32 v82, -v42, v85, v82
	s_addk_i32 s11, 0xff90
	s_waitcnt lgkmcnt(3)
	v_fma_f32 v77, -v58, v77, v61
	ds_load_2addr_b32 v[61:62], v62 offset1:1
	ds_load_2addr_b32 v[74:75], v69 offset1:1
	;; [unrolled: 1-line block ×3, first 2 shown]
	v_mov_b32_e32 v69, s13
	s_waitcnt lgkmcnt(4)
	v_fma_f32 v37, -v57, v66, v37
	s_add_i32 s13, s19, 0xffffff9c
	v_fma_f32 v66, -v59, v76, v77
	v_mov_b32_e32 v77, s20
	v_fma_f32 v82, -v96, v84, v82
	v_fma_f32 v37, -v55, v65, v37
	s_delay_alu instid0(VALU_DEP_4)
	v_fma_f32 v76, -v60, v79, v66
	ds_load_2addr_b32 v[65:66], v69 offset1:1
	v_mov_b32_e32 v69, s13
	v_fma_f32 v79, -v50, v67, v68
	v_fma_f32 v78, -v57, v78, v76
	s_waitcnt lgkmcnt(4)
	v_fma_f32 v32, -v52, v32, v37
	ds_load_2addr_b32 v[67:68], v69 offset1:1
	ds_load_2addr_b32 v[76:77], v77 offset1:1
	v_fma_f32 v69, -v45, v71, v79
	ds_store_b32 v33, v35
	s_waitcnt lgkmcnt(6)
	v_fma_f32 v37, -v55, v62, v78
	v_fma_f32 v31, -v47, v31, v32
	s_delay_alu instid0(VALU_DEP_2) | instskip(SKIP_1) | instid1(VALU_DEP_2)
	v_fma_f32 v37, -v52, v61, v37
	s_waitcnt lgkmcnt(5)
	v_fma_f32 v71, -v50, v75, v31
	s_waitcnt lgkmcnt(3)
	s_delay_alu instid0(VALU_DEP_2) | instskip(SKIP_3) | instid1(VALU_DEP_4)
	v_fma_f32 v37, -v47, v66, v37
	v_fma_f32 v66, -v42, v70, v69
	;; [unrolled: 1-line block ×5, first 2 shown]
	s_delay_alu instid0(VALU_DEP_4) | instskip(NEXT) | instid1(VALU_DEP_4)
	v_fma_f32 v33, -v96, v64, v66
	v_mul_f32_e32 v35, v86, v69
	s_delay_alu instid0(VALU_DEP_4) | instskip(SKIP_3) | instid1(VALU_DEP_3)
	v_fma_f32 v64, -v42, v81, v70
	s_waitcnt lgkmcnt(2)
	v_fma_f32 v37, -v45, v68, v37
	v_fma_f32 v33, -v88, v63, v33
	;; [unrolled: 1-line block ×3, first 2 shown]
	s_delay_alu instid0(VALU_DEP_3) | instskip(NEXT) | instid1(VALU_DEP_3)
	v_fma_f32 v37, -v42, v67, v37
	v_fma_f32 v33, -v35, v73, v33
	v_mov_b32_e32 v32, s11
	s_add_i32 s11, s12, 0xffffe188
	s_delay_alu instid0(SALU_CYCLE_1) | instskip(NEXT) | instid1(VALU_DEP_3)
	v_mov_b32_e32 v61, s11
	v_mul_f32_e32 v33, v72, v33
	ds_load_2addr_b32 v[31:32], v32 offset1:1
	s_add_i32 s11, s19, 0xffffff8c
	s_waitcnt lgkmcnt(2)
	v_fma_f32 v37, -v96, v77, v37
	ds_load_2addr_b32 v[61:62], v61 offset1:1
	v_mov_b32_e32 v63, s11
	s_lshl_b32 s11, s10, 8
	s_delay_alu instid0(SALU_CYCLE_1)
	s_addk_i32 s11, 0xff00
	ds_load_2addr_b32 v[63:64], v63 offset1:1
	ds_store_b32 v2, v36 offset:16384
	ds_store_b32 v3, v38 offset:16384
	;; [unrolled: 1-line block ×8, first 2 shown]
	s_waitcnt lgkmcnt(10)
	v_fma_f32 v32, -v88, v32, v65
	v_lshl_or_b32 v65, v0, 2, s11
	s_add_i32 s11, s12, 0xffffe084
	s_delay_alu instid0(VALU_DEP_2) | instskip(SKIP_2) | instid1(VALU_DEP_2)
	v_fma_f32 v31, -v35, v31, v32
	v_fma_f32 v32, -v88, v76, v37
	s_waitcnt lgkmcnt(9)
	v_fma_f32 v4, -v33, v62, v31
	v_mov_b32_e32 v37, s11
	s_waitcnt lgkmcnt(8)
	v_fma_f32 v5, -v35, v64, v32
	s_sub_i32 s11, s10, 32
	s_cmp_gt_i32 s10, 62
	v_mul_f32_e32 v4, v61, v4
	ds_load_2addr_b32 v[2:3], v37 offset1:1
	v_fma_f32 v5, -v33, v63, v5
	ds_store_b32 v8, v48 offset:16384
	ds_store_b32 v11, v49 offset:16384
	;; [unrolled: 1-line block ×21, first 2 shown]
	s_waitcnt lgkmcnt(21)
	v_fma_f32 v3, -v4, v3, v5
	v_or_b32_e32 v5, s18, v0
	s_delay_alu instid0(VALU_DEP_1)
	v_dual_mul_f32 v2, v2, v3 :: v_dual_lshlrev_b32 v3, 2, v5
	ds_store_b32 v65, v34 offset:16384
	ds_store_b32 v3, v2 offset:16384
	s_cbranch_scc0 .LBB43_24
; %bb.23:                               ;   in Loop: Header=BB43_20 Depth=1
	s_mov_b32 s10, s11
	s_branch .LBB43_20
.LBB43_24:
	s_cmp_gt_i32 s11, -1
	s_cbranch_scc0 .LBB43_45
; %bb.25:
	s_cmp_lt_u32 s11, 3
	s_cbranch_scc1 .LBB43_31
; %bb.26:
	v_lshlrev_b32_e32 v1, 2, v0
	s_lshl_b32 s4, s11, 8
	s_lshl_b32 s10, s15, 2
	s_delay_alu instid0(SALU_CYCLE_1) | instskip(NEXT) | instid1(VALU_DEP_1)
	s_add_i32 s4, s4, s10
	v_lshl_or_b32 v1, s15, 8, v1
	s_addk_i32 s4, 0xfcfc
	s_delay_alu instid0(VALU_DEP_1)
	v_add_nc_u32_e32 v1, 0x3f00, v1
.LBB43_27:                              ; =>This Loop Header: Depth=1
                                        ;     Child Loop BB43_28 Depth 2
	s_lshl_b32 s10, s11, 6
	s_mov_b32 s18, s26
	s_sub_i32 s13, s10, 64
	v_or_b32_e32 v2, s10, v0
	s_add_i32 s12, s10, 0xffffff80
	v_or_b32_e32 v3, s13, v0
	s_addk_i32 s10, 0xff40
	v_or_b32_e32 v4, s12, v0
	v_or_b32_e32 v5, s10, v0
	v_dual_mov_b32 v9, v1 :: v_dual_lshlrev_b32 v8, 2, v2
	v_lshlrev_b32_e32 v6, 2, v3
	s_delay_alu instid0(VALU_DEP_4) | instskip(NEXT) | instid1(VALU_DEP_4)
	v_lshlrev_b32_e32 v3, 2, v4
	v_lshlrev_b32_e32 v2, 2, v5
	ds_load_b32 v7, v8 offset:16384
	ds_load_b32 v5, v6 offset:16384
	;; [unrolled: 1-line block ×4, first 2 shown]
	s_cmp_le_i32 s26, s11
	s_mov_b32 s13, s4
	s_cbranch_scc1 .LBB43_29
	.p2align	6
.LBB43_28:                              ;   Parent Loop BB43_27 Depth=1
                                        ; =>  This Inner Loop Header: Depth=2
	v_mov_b32_e32 v12, s13
	s_add_i32 s18, s18, -1
	s_add_i32 s13, s13, -4
	s_cmp_gt_i32 s18, s11
	ds_load_b32 v14, v9
	ds_load_2addr_stride64_b32 v[10:11], v12 offset0:2 offset1:3
	ds_load_2addr_stride64_b32 v[12:13], v12 offset1:1
	v_add_nc_u32_e32 v9, 0xffffff00, v9
	s_waitcnt lgkmcnt(1)
	v_fma_f32 v7, -v14, v11, v7
	v_fma_f32 v5, -v14, v10, v5
	s_waitcnt lgkmcnt(0)
	v_fma_f32 v6, -v14, v13, v6
	v_fma_f32 v4, -v14, v12, v4
	s_cbranch_scc1 .LBB43_28
.LBB43_29:                              ;   in Loop: Header=BB43_27 Depth=1
	s_mul_i32 s13, s11, 0x104
	s_delay_alu instid0(SALU_CYCLE_1) | instskip(SKIP_3) | instid1(SALU_CYCLE_1)
	v_dual_mov_b32 v9, s13 :: v_dual_add_nc_u32 v8, 0x4000, v8
	s_add_i32 s12, s12, s11
	s_add_i32 s18, s13, 0xfffffefc
	s_lshl_b32 s12, s12, 2
	v_dual_mov_b32 v10, s18 :: v_dual_mov_b32 v11, s12
	ds_load_b32 v15, v9
	s_add_i32 s10, s10, s11
	s_add_i32 s12, s13, 0xfffffdf8
	s_lshl_b32 s10, s10, 2
	ds_load_b32 v17, v11
	ds_load_2addr_b32 v[9:10], v10 offset1:1
	s_add_i32 s10, s10, -4
	s_delay_alu instid0(SALU_CYCLE_1)
	v_dual_mov_b32 v13, s12 :: v_dual_mov_b32 v12, s10
	ds_load_2addr_b32 v[11:12], v12 offset1:1
	ds_load_2addr_b32 v[13:14], v13 offset1:1
	s_add_i32 s10, s13, 0xfffffcf4
	s_addk_i32 s4, 0xfc00
	v_mov_b32_e32 v16, s10
	s_lshl_b32 s10, s11, 8
	s_delay_alu instid0(SALU_CYCLE_1)
	s_addk_i32 s10, 0xff00
	s_waitcnt lgkmcnt(4)
	v_mul_f32_e32 v7, v15, v7
	ds_load_2addr_b32 v[15:16], v16 offset1:1
	s_waitcnt lgkmcnt(3)
	v_fma_f32 v5, -v7, v10, v5
	v_fma_f32 v6, -v7, v17, v6
	ds_store_b32 v8, v7
	v_mul_f32_e32 v5, v9, v5
	v_lshl_or_b32 v9, v0, 2, s10
	s_waitcnt lgkmcnt(3)
	v_fma_f32 v4, -v7, v12, v4
	s_add_i32 s10, s11, -4
	s_cmp_gt_i32 s11, 6
	s_waitcnt lgkmcnt(2)
	v_fma_f32 v6, -v5, v14, v6
	v_fma_f32 v4, -v5, v11, v4
	s_delay_alu instid0(VALU_DEP_2) | instskip(SKIP_1) | instid1(VALU_DEP_1)
	v_mul_f32_e32 v6, v13, v6
	s_waitcnt lgkmcnt(1)
	v_fma_f32 v4, -v6, v16, v4
	ds_store_b32 v3, v6 offset:16384
	v_mul_f32_e32 v4, v15, v4
	ds_store_b32 v9, v5 offset:16384
	ds_store_b32 v2, v4 offset:16384
	s_cbranch_scc0 .LBB43_32
; %bb.30:                               ;   in Loop: Header=BB43_27 Depth=1
	s_mov_b32 s11, s10
	s_branch .LBB43_27
.LBB43_31:
	s_mov_b32 s10, s11
.LBB43_32:
	s_delay_alu instid0(SALU_CYCLE_1)
	s_cmp_lt_i32 s10, 0
	s_cbranch_scc1 .LBB43_45
; %bb.33:
	s_bitcmp1_b32 s10, 0
	s_cselect_b32 s4, -1, 0
	s_delay_alu instid0(SALU_CYCLE_1)
	s_and_b32 vcc_lo, exec_lo, s4
	s_mov_b32 s4, s10
	s_cbranch_vccnz .LBB43_38
; %bb.34:
	v_lshlrev_b32_e32 v3, 2, v0
	s_cmp_le_i32 s26, s10
	s_delay_alu instid0(VALU_DEP_1)
	v_lshl_or_b32 v2, s10, 8, v3
	ds_load_b32 v1, v2 offset:16384
	s_cbranch_scc1 .LBB43_37
; %bb.35:
	v_lshl_or_b32 v3, s15, 8, v3
	s_lshl_b32 s4, s10, 8
	s_lshl_b32 s11, s15, 2
	s_delay_alu instid0(SALU_CYCLE_1) | instskip(NEXT) | instid1(VALU_DEP_1)
	s_add_i32 s4, s4, s11
	v_add_nc_u32_e32 v3, 0x3f00, v3
	s_add_i32 s4, s4, -4
	s_mov_b32 s11, s26
.LBB43_36:                              ; =>This Inner Loop Header: Depth=1
	v_mov_b32_e32 v4, s4
	s_add_i32 s11, s11, -1
	s_add_i32 s4, s4, -4
	s_cmp_gt_i32 s11, s10
	ds_load_b32 v5, v3
	ds_load_b32 v4, v4
	v_add_nc_u32_e32 v3, 0xffffff00, v3
	s_waitcnt lgkmcnt(0)
	v_fma_f32 v1, -v5, v4, v1
	s_cbranch_scc1 .LBB43_36
.LBB43_37:
	s_mul_i32 s4, s10, 0x104
	s_delay_alu instid0(SALU_CYCLE_1)
	v_dual_mov_b32 v3, s4 :: v_dual_add_nc_u32 v2, 0x4000, v2
	s_add_i32 s4, s10, -1
	ds_load_b32 v3, v3
	s_waitcnt lgkmcnt(0)
	v_mul_f32_e32 v1, v3, v1
	ds_store_b32 v2, v1
.LBB43_38:
	s_cmp_eq_u32 s10, 0
	s_cbranch_scc1 .LBB43_45
; %bb.39:
	v_lshlrev_b32_e32 v1, 2, v0
	s_lshl_b32 s10, s4, 8
	s_lshl_b32 s11, s15, 2
	s_delay_alu instid0(SALU_CYCLE_1) | instskip(NEXT) | instid1(VALU_DEP_1)
	s_add_i32 s11, s10, s11
	v_lshl_or_b32 v2, s15, 8, v1
	s_add_i32 s10, s11, -4
	s_addk_i32 s11, 0xfefc
	s_delay_alu instid0(VALU_DEP_1)
	v_add_nc_u32_e32 v2, 0x3f00, v2
	s_branch .LBB43_41
.LBB43_40:                              ;   in Loop: Header=BB43_41 Depth=1
	s_addk_i32 s12, 0xfefc
	v_add_nc_u32_e32 v3, 0x4000, v5
	v_mov_b32_e32 v5, s12
	s_add_i32 s12, s4, -2
	s_addk_i32 s10, 0xfe00
	s_addk_i32 s11, 0xfe00
	s_cmp_lt_i32 s4, 2
	ds_load_b32 v5, v5
	s_mov_b32 s4, s12
	s_waitcnt lgkmcnt(0)
	v_mul_f32_e32 v4, v5, v4
	ds_store_b32 v3, v4
	s_cbranch_scc1 .LBB43_45
.LBB43_41:                              ; =>This Loop Header: Depth=1
                                        ;     Child Loop BB43_42 Depth 2
                                        ;     Child Loop BB43_44 Depth 2
	v_lshl_or_b32 v4, s4, 8, v1
	s_delay_alu instid0(VALU_DEP_2)
	v_mov_b32_e32 v5, v2
	s_cmp_le_i32 s26, s4
	s_mov_b32 s12, s10
	s_mov_b32 s13, s26
	ds_load_b32 v3, v4 offset:16384
	s_cbranch_scc1 .LBB43_43
.LBB43_42:                              ;   Parent Loop BB43_41 Depth=1
                                        ; =>  This Inner Loop Header: Depth=2
	v_mov_b32_e32 v6, s12
	s_add_i32 s13, s13, -1
	s_add_i32 s12, s12, -4
	s_cmp_gt_i32 s13, s4
	ds_load_b32 v7, v5
	ds_load_b32 v6, v6
	v_add_nc_u32_e32 v5, 0xffffff00, v5
	s_waitcnt lgkmcnt(0)
	v_fma_f32 v3, -v7, v6, v3
	s_cbranch_scc1 .LBB43_42
.LBB43_43:                              ;   in Loop: Header=BB43_41 Depth=1
	s_mul_i32 s12, s4, 0x104
	v_add_nc_u32_e32 v6, 0x4000, v4
	v_mov_b32_e32 v4, s12
	s_lshl_b32 s13, s4, 8
	s_mov_b32 s18, s15
	s_addk_i32 s13, 0xff00
	s_cmp_lt_i32 s26, s4
	ds_load_b32 v7, v4
	v_lshl_or_b32 v5, v0, 2, s13
	s_mov_b32 s13, s11
	ds_load_b32 v4, v5 offset:16384
	s_waitcnt lgkmcnt(1)
	v_mul_f32_e32 v7, v7, v3
	v_mov_b32_e32 v3, v2
	ds_store_b32 v6, v7
	s_cbranch_scc1 .LBB43_40
.LBB43_44:                              ;   Parent Loop BB43_41 Depth=1
                                        ; =>  This Inner Loop Header: Depth=2
	v_mov_b32_e32 v6, s13
	s_add_i32 s18, s18, -1
	s_add_i32 s13, s13, -4
	s_cmp_gt_i32 s18, s4
	ds_load_b32 v7, v3
	ds_load_b32 v6, v6
	v_add_nc_u32_e32 v3, 0xffffff00, v3
	s_waitcnt lgkmcnt(0)
	v_fma_f32 v4, -v7, v6, v4
	s_cbranch_scc1 .LBB43_44
	s_branch .LBB43_40
.LBB43_45:
	s_mov_b32 s4, 0
.LBB43_46:
	s_delay_alu instid0(SALU_CYCLE_1)
	s_and_b32 vcc_lo, exec_lo, s4
	s_cbranch_vccz .LBB43_79
; %bb.47:
	s_cmp_lt_i32 s6, 32
	s_mov_b32 s11, 0
	s_cbranch_scc1 .LBB43_54
; %bb.48:
	v_lshl_or_b32 v57, v0, 2, 0x4000
	v_lshlrev_b32_e32 v58, 2, v0
	s_mov_b32 s4, 0
	s_mov_b32 s10, 0
.LBB43_49:                              ; =>This Loop Header: Depth=1
                                        ;     Child Loop BB43_51 Depth 2
	s_delay_alu instid0(SALU_CYCLE_1) | instskip(SKIP_2) | instid1(VALU_DEP_1)
	s_lshl_b32 s11, s10, 6
	s_cmp_eq_u32 s10, 0
	v_or_b32_e32 v1, s11, v0
	v_lshlrev_b32_e32 v3, 2, v1
	ds_load_2addr_stride64_b32 v[1:2], v3 offset0:64 offset1:65
	ds_load_2addr_stride64_b32 v[7:8], v3 offset0:66 offset1:67
	;; [unrolled: 1-line block ×16, first 2 shown]
	s_cbranch_scc1 .LBB43_52
; %bb.50:                               ;   in Loop: Header=BB43_49 Depth=1
	v_mov_b32_e32 v4, v57
	s_mov_b32 s12, 0
	s_mov_b32 s13, s4
.LBB43_51:                              ;   Parent Loop BB43_49 Depth=1
                                        ; =>  This Inner Loop Header: Depth=2
	s_delay_alu instid0(SALU_CYCLE_1)
	v_mov_b32_e32 v55, s13
	ds_load_b32 v56, v4
	v_add_nc_u32_e32 v4, 0x100, v4
	s_add_i32 s12, s12, 1
	s_addk_i32 s13, 0x100
	ds_load_b128 v[9:12], v55
	ds_load_b128 v[13:16], v55 offset:16
	ds_load_b128 v[17:20], v55 offset:32
	;; [unrolled: 1-line block ×7, first 2 shown]
	s_cmp_lt_u32 s12, s10
	s_waitcnt lgkmcnt(7)
	v_fma_f32 v1, -v56, v9, v1
	v_fma_f32 v2, -v56, v10, v2
	v_fma_f32 v7, -v56, v11, v7
	v_fma_f32 v8, -v56, v12, v8
	s_waitcnt lgkmcnt(6)
	v_fma_f32 v5, -v56, v13, v5
	v_fma_f32 v6, -v56, v14, v6
	v_fma_f32 v45, -v56, v15, v45
	v_fma_f32 v46, -v56, v16, v46
	;; [unrolled: 5-line block ×8, first 2 shown]
	s_cbranch_scc1 .LBB43_51
.LBB43_52:                              ;   in Loop: Header=BB43_49 Depth=1
	s_mul_i32 s19, s10, 0x104
	s_or_b32 s21, s11, 0xc0
	v_mov_b32_e32 v55, s19
	v_or_b32_e32 v69, s21, v0
	s_add_i32 s21, s10, s21
	s_add_i32 s23, s19, 0x514
	v_add_nc_u32_e64 v67, 0x400, s19
	s_lshl_b32 s19, s21, 2
	s_or_b32 s18, s11, 64
	v_mov_b32_e32 v62, s19
	ds_load_b128 v[17:20], v55
	ds_load_2addr_b32 v[47:48], v55 offset0:65 offset1:66
	v_or_b32_e32 v68, s18, v0
	s_add_i32 s18, s10, s18
	s_or_b32 s20, s11, 0x80
	s_lshl_b32 s18, s18, 2
	s_delay_alu instid0(SALU_CYCLE_1)
	v_dual_mov_b32 v64, s18 :: v_dual_add_nc_u32 v65, 0x4000, v3
	v_or_b32_e32 v70, s20, v0
	ds_load_b128 v[13:16], v55 offset:16
	ds_load_2addr_b32 v[51:52], v64 offset0:3 offset1:4
	ds_load_2addr_b64 v[71:74], v55 offset0:65 offset1:66
	s_add_i32 s20, s10, s20
	s_or_b32 s22, s11, 0x100
	s_lshl_b32 s20, s20, 2
	v_or_b32_e32 v66, s22, v0
	v_lshlrev_b32_e32 v90, 2, v70
	s_or_b32 s13, s11, 0x140
	s_or_b32 s12, s11, 0x180
	s_waitcnt lgkmcnt(4)
	v_mul_f32_e32 v59, v17, v1
	s_add_i32 s18, s10, s13
	s_add_i32 s22, s10, s22
	s_lshl_b32 s18, s18, 2
	s_lshl_b32 s19, s22, 2
	v_fma_f32 v9, -v59, v18, v2
	v_mov_b32_e32 v63, s20
	ds_load_2addr_b32 v[75:76], v55 offset0:195 offset1:196
	ds_load_b128 v[1:4], v55 offset:32
	ds_load_2addr_b32 v[77:78], v64 offset0:5 offset1:6
	v_fma_f32 v7, -v59, v19, v7
	v_fma_f32 v8, -v59, v20, v8
	s_waitcnt lgkmcnt(6)
	v_mul_f32_e32 v60, v47, v9
	ds_load_2addr_b32 v[53:54], v62 offset0:5 offset1:6
	ds_load_2addr_b64 v[9:12], v63 offset0:3 offset1:4
	s_waitcnt lgkmcnt(7)
	v_fma_f32 v5, -v59, v13, v5
	v_fma_f32 v6, -v59, v14, v6
	;; [unrolled: 1-line block ×4, first 2 shown]
	ds_load_2addr_b32 v[49:50], v64 offset0:7 offset1:8
	ds_load_2addr_b32 v[47:48], v64 offset0:9 offset1:10
	s_waitcnt lgkmcnt(8)
	v_fma_f32 v8, -v60, v51, v8
	ds_load_b128 v[17:20], v55 offset:1040
	v_fma_f32 v5, -v60, v52, v5
	s_waitcnt lgkmcnt(8)
	v_dual_mul_f32 v61, v71, v7 :: v_dual_lshlrev_b32 v96, 2, v66
	v_dual_mov_b32 v7, s23 :: v_dual_mov_b32 v162, s18
	s_add_i32 s18, s10, s12
	s_delay_alu instid0(VALU_DEP_2)
	v_fma_f32 v8, -v61, v72, v8
	v_fma_f32 v15, -v61, v73, v5
	s_waitcnt lgkmcnt(5)
	v_fma_f32 v14, -v60, v77, v6
	s_lshl_b32 s18, s18, 2
	ds_load_b32 v71, v55 offset:2080
	v_mul_f32_e32 v45, v75, v8
	ds_load_2addr_b32 v[55:56], v7 offset1:1
	ds_load_2addr_b64 v[5:8], v63 offset0:5 offset1:6
	v_fma_f32 v72, -v61, v74, v14
	v_fma_f32 v73, -v60, v78, v13
	;; [unrolled: 1-line block ×4, first 2 shown]
	ds_load_2addr_b32 v[13:14], v64 offset0:27 offset1:28
	ds_load_2addr_b32 v[51:52], v64 offset0:29 offset1:30
	ds_load_b32 v74, v64 offset:124
	s_waitcnt lgkmcnt(10)
	v_fma_f32 v72, -v45, v53, v72
	s_waitcnt lgkmcnt(9)
	v_fma_f32 v9, -v61, v9, v73
	;; [unrolled: 2-line block ×3, first 2 shown]
	s_waitcnt lgkmcnt(6)
	v_mul_f32_e32 v53, v17, v15
	v_fma_f32 v17, -v59, v16, v46
	ds_store_b32 v65, v59
	v_lshlrev_b32_e32 v89, 2, v68
	v_fma_f32 v1, -v61, v11, v1
	v_fma_f32 v15, -v53, v18, v72
	;; [unrolled: 1-line block ×3, first 2 shown]
	ds_load_2addr_b32 v[17:18], v67 offset0:134 offset1:199
	v_lshlrev_b32_e32 v95, 2, v69
	ds_load_2addr_b32 v[69:70], v162 offset0:7 offset1:8
	v_or_b32_e32 v11, s13, v0
	v_fma_f32 v10, -v61, v10, v46
	v_mov_b32_e32 v46, s18
	v_fma_f32 v9, -v45, v54, v9
	ds_load_b32 v54, v62 offset:124
	s_or_b32 s18, s11, 0x1c0
	v_fma_f32 v3, -v59, v3, v41
	s_addk_i32 s4, 0x80
	v_fma_f32 v9, -v53, v19, v9
	s_waitcnt lgkmcnt(8)
	v_mul_f32_e32 v19, v55, v15
	ds_load_2addr_b32 v[15:16], v62 offset0:7 offset1:8
	v_mov_b32_e32 v55, s19
	s_add_i32 s19, s10, s18
	v_fma_f32 v3, -v60, v48, v3
	v_fma_f32 v9, -v19, v56, v9
	v_lshlrev_b32_e32 v56, 2, v11
	ds_load_b128 v[65:68], v55 offset:32
	ds_load_2addr_b32 v[72:73], v62 offset0:9 offset1:10
	ds_load_2addr_b32 v[91:92], v62 offset0:11 offset1:12
	;; [unrolled: 1-line block ×4, first 2 shown]
	s_lshl_b32 s19, s19, 2
	s_waitcnt lgkmcnt(8)
	v_dual_mul_f32 v43, v17, v9 :: v_dual_mov_b32 v50, s19
	v_fma_f32 v17, -v59, v2, v44
	v_fma_f32 v3, -v61, v5, v3
	ds_load_b128 v[75:78], v50 offset:32
	v_fma_f32 v17, -v60, v47, v17
	s_waitcnt lgkmcnt(6)
	v_fma_f32 v10, -v45, v15, v10
	v_fma_f32 v16, -v45, v16, v1
	s_delay_alu instid0(VALU_DEP_3)
	v_fma_f32 v11, -v61, v12, v17
	v_or_b32_e32 v12, s12, v0
	s_or_b32 s12, s11, 0x200
	v_fma_f32 v15, -v53, v20, v10
	s_waitcnt lgkmcnt(5)
	v_fma_f32 v49, -v53, v65, v16
	ds_load_2addr_b32 v[1:2], v162 offset0:9 offset1:10
	ds_load_2addr_b32 v[93:94], v162 offset0:11 offset1:12
	ds_load_b64 v[9:10], v63 offset:120
	ds_load_b128 v[79:82], v55 offset:48
	s_waitcnt lgkmcnt(8)
	v_fma_f32 v11, -v45, v72, v11
	v_fma_f32 v20, -v19, v69, v15
	;; [unrolled: 1-line block ×3, first 2 shown]
	ds_load_2addr_b32 v[87:88], v46 offset0:9 offset1:10
	ds_load_2addr_b32 v[15:16], v162 offset0:29 offset1:30
	ds_load_b32 v44, v162 offset:124
	v_fma_f32 v3, -v45, v73, v3
	v_fma_f32 v11, -v53, v66, v11
	s_waitcnt lgkmcnt(8)
	v_fma_f32 v20, -v43, v83, v20
	v_fma_f32 v17, -v43, v84, v47
	v_lshlrev_b32_e32 v47, 2, v12
	ds_load_b128 v[83:86], v50 offset:48
	s_add_i32 s11, s10, s11
	v_mul_f32_e32 v20, v18, v20
	v_or_b32_e32 v18, s18, v0
	s_lshl_b32 s11, s11, 2
	s_delay_alu instid0(SALU_CYCLE_1)
	v_mov_b32_e32 v73, s11
	s_waitcnt lgkmcnt(8)
	v_fma_f32 v12, -v20, v75, v17
	v_lshlrev_b32_e32 v65, 2, v18
	ds_load_2addr_b32 v[17:18], v64 offset0:11 offset1:12
	v_mul_f32_e32 v41, v71, v12
	v_or_b32_e32 v12, s12, v0
	s_add_i32 s12, s10, s12
	s_delay_alu instid0(SALU_CYCLE_1) | instskip(NEXT) | instid1(SALU_CYCLE_1)
	s_lshl_b32 s12, s12, 2
	v_mov_b32_e32 v49, s12
	s_or_b32 s12, s10, 9
	v_lshlrev_b32_e32 v48, 2, v12
	s_waitcnt lgkmcnt(8)
	v_fma_f32 v1, -v19, v1, v11
	s_mul_i32 s13, s12, 0x104
	ds_load_2addr_b32 v[11:12], v49 offset0:9 offset1:10
	v_mov_b32_e32 v5, s13
	ds_store_b32 v89, v60 offset:16384
	ds_store_b32 v90, v61 offset:16384
	;; [unrolled: 1-line block ×8, first 2 shown]
	s_waitcnt lgkmcnt(13)
	v_fma_f32 v1, -v43, v87, v1
	s_or_b32 s13, s10, 10
	s_lshl_b32 s11, s12, 6
	ds_load_2addr_b32 v[47:48], v5 offset1:1
	s_mul_i32 s18, s13, 0x104
	v_fma_f32 v56, -v20, v76, v1
	v_fma_f32 v1, -v53, v67, v3
	;; [unrolled: 1-line block ×3, first 2 shown]
	v_mov_b32_e32 v42, s18
	s_or_b32 s12, s10, 11
	s_delay_alu instid0(VALU_DEP_3)
	v_fma_f32 v5, -v19, v2, v1
	ds_load_2addr_b32 v[1:2], v64 offset0:13 offset1:14
	ds_load_2addr_b32 v[106:107], v64 offset0:15 offset1:16
	;; [unrolled: 1-line block ×3, first 2 shown]
	s_waitcnt lgkmcnt(13)
	v_fma_f32 v17, -v60, v17, v3
	ds_load_b128 v[69:72], v73 offset:48
	ds_load_2addr_b32 v[3:4], v49 offset0:11 offset1:12
	ds_load_2addr_b32 v[100:101], v49 offset0:13 offset1:14
	;; [unrolled: 1-line block ×3, first 2 shown]
	s_waitcnt lgkmcnt(16)
	v_fma_f32 v11, -v41, v11, v56
	v_fma_f32 v17, -v61, v6, v17
	;; [unrolled: 1-line block ×3, first 2 shown]
	ds_load_2addr_b32 v[5:6], v46 offset0:11 offset1:12
	ds_load_2addr_b64 v[87:90], v42 offset1:1
	s_waitcnt lgkmcnt(9)
	v_mul_f32_e32 v42, v47, v11
	v_fma_f32 v11, -v45, v91, v17
	v_or_b32_e32 v47, s11, v0
	v_fma_f32 v17, -v20, v77, v56
	s_add_i32 s11, s10, s11
	s_delay_alu instid0(VALU_DEP_3) | instskip(NEXT) | instid1(VALU_DEP_3)
	v_fma_f32 v11, -v53, v68, v11
	v_lshlrev_b32_e32 v144, 2, v47
	s_waitcnt lgkmcnt(5)
	v_fma_f32 v39, -v59, v69, v39
	v_fma_f32 v56, -v41, v12, v17
	s_lshl_b32 s11, s11, 2
	v_fma_f32 v69, -v19, v93, v11
	v_mov_b32_e32 v148, s11
	v_fma_f32 v39, -v60, v18, v39
	s_lshl_b32 s11, s13, 6
	s_mul_i32 s13, s12, 0x104
	s_waitcnt lgkmcnt(1)
	v_fma_f32 v5, -v43, v5, v69
	ds_load_2addr_b32 v[11:12], v148 offset0:11 offset1:12
	v_fma_f32 v7, -v61, v7, v39
	v_fma_f32 v39, -v42, v48, v56
	v_or_b32_e32 v48, s11, v0
	v_fma_f32 v5, -v20, v78, v5
	s_add_i32 s11, s10, s11
	v_fma_f32 v7, -v45, v92, v7
	s_lshl_b32 s11, s11, 2
	s_lshl_b32 s12, s12, 6
	v_mov_b32_e32 v172, s11
	ds_load_b128 v[65:68], v73 offset:64
	v_fma_f32 v3, -v41, v3, v5
	v_fma_f32 v5, -v53, v79, v7
	;; [unrolled: 1-line block ×3, first 2 shown]
	ds_load_2addr_b32 v[17:18], v46 offset0:13 offset1:14
	ds_load_2addr_b32 v[108:109], v46 offset0:15 offset1:16
	;; [unrolled: 1-line block ×3, first 2 shown]
	v_lshlrev_b32_e32 v145, 2, v48
	ds_load_2addr_b32 v[69:70], v148 offset0:13 offset1:14
	ds_load_2addr_b32 v[116:117], v148 offset0:15 offset1:16
	;; [unrolled: 1-line block ×3, first 2 shown]
	v_fma_f32 v5, -v19, v94, v5
	v_fma_f32 v1, -v60, v1, v7
	v_mov_b32_e32 v7, s13
	s_waitcnt lgkmcnt(7)
	v_fma_f32 v3, -v42, v11, v3
	v_or_b32_e32 v11, s12, v0
	v_fma_f32 v5, -v43, v6, v5
	s_add_i32 s12, s10, s12
	s_or_b32 s13, s10, 12
	s_lshl_b32 s12, s12, 2
	s_mul_i32 s18, s13, 0x104
	v_fma_f32 v5, -v20, v83, v5
	v_mov_b32_e32 v166, s12
	s_lshl_b32 s12, s13, 6
	s_or_b32 s13, s10, 13
	ds_load_2addr_b32 v[47:48], v162 offset0:13 offset1:14
	v_fma_f32 v4, -v41, v4, v5
	ds_load_2addr_b64 v[75:78], v63 offset0:7 offset1:8
	v_fma_f32 v1, -v61, v8, v1
	v_fma_f32 v6, -v59, v71, v37
	v_mov_b32_e32 v5, s18
	v_fma_f32 v4, -v42, v12, v4
	v_or_b32_e32 v12, s12, v0
	s_add_i32 s12, s10, s12
	v_fma_f32 v1, -v45, v98, v1
	s_lshl_b32 s11, s12, 2
	s_mul_i32 s12, s13, 0x104
	v_mul_f32_e32 v39, v87, v39
	v_fma_f32 v2, -v60, v2, v6
	v_fma_f32 v1, -v53, v80, v1
	v_lshlrev_b32_e32 v147, 2, v12
	v_lshlrev_b32_e32 v146, 2, v11
	v_fma_f32 v3, -v39, v88, v3
	ds_load_2addr_b32 v[87:88], v7 offset1:1
	ds_load_2addr_b32 v[120:121], v162 offset0:15 offset1:16
	ds_load_2addr_b32 v[122:123], v162 offset0:17 offset1:18
	;; [unrolled: 1-line block ×3, first 2 shown]
	s_waitcnt lgkmcnt(5)
	v_fma_f32 v1, -v19, v47, v1
	ds_load_b128 v[91:94], v5
	s_waitcnt lgkmcnt(5)
	v_fma_f32 v2, -v61, v75, v2
	ds_load_2addr_b32 v[79:80], v166 offset0:13 offset1:14
	ds_load_2addr_b64 v[95:98], v63 offset0:9 offset1:10
	v_mov_b32_e32 v186, s11
	v_fma_f32 v1, -v43, v17, v1
	ds_load_2addr_b32 v[7:8], v148 offset0:27 offset1:28
	ds_load_2addr_b32 v[5:6], v148 offset0:29 offset1:30
	ds_load_b32 v47, v148 offset:124
	v_fma_f32 v2, -v45, v99, v2
	v_fma_f32 v38, -v59, v72, v38
	v_fma_f32 v36, -v59, v66, v36
	v_fma_f32 v1, -v20, v84, v1
	v_fma_f32 v67, -v59, v67, v33
	v_fma_f32 v56, -v53, v81, v2
	v_fma_f32 v34, -v59, v68, v34
	v_fma_f32 v36, -v60, v110, v36
	v_fma_f32 v1, -v41, v100, v1
	v_fma_f32 v67, -v60, v111, v67
	v_fma_f32 v12, -v19, v48, v56
	s_waitcnt lgkmcnt(9)
	v_dual_mul_f32 v37, v87, v3 :: v_dual_mov_b32 v48, s12
	v_fma_f32 v3, -v39, v89, v4
	v_fma_f32 v17, -v42, v69, v1
	;; [unrolled: 1-line block ×3, first 2 shown]
	s_lshl_b32 s12, s13, 6
	s_or_b32 s13, s10, 14
	v_fma_f32 v11, -v37, v88, v3
	ds_load_b128 v[1:4], v73 offset:112
	ds_load_2addr_b32 v[126:127], v166 offset0:15 offset1:16
	ds_load_2addr_b32 v[128:129], v166 offset0:17 offset1:18
	ds_load_2addr_b32 v[130:131], v166 offset0:19 offset1:20
	v_fma_f32 v12, -v20, v85, v12
	ds_load_2addr_b32 v[83:84], v48 offset1:1
	s_waitcnt lgkmcnt(10)
	v_mul_f32_e32 v40, v91, v11
	v_fma_f32 v11, -v39, v90, v17
	ds_load_2addr_b32 v[17:18], v62 offset0:15 offset1:16
	ds_load_2addr_b64 v[87:90], v172 offset0:7 offset1:8
	s_mul_i32 s18, s13, 0x104
	ds_load_2addr_b32 v[132:133], v62 offset0:17 offset1:18
	ds_load_2addr_b32 v[134:135], v62 offset0:19 offset1:20
	;; [unrolled: 1-line block ×3, first 2 shown]
	s_waitcnt lgkmcnt(14)
	v_fma_f32 v11, -v37, v79, v11
	v_or_b32_e32 v48, s12, v0
	s_add_i32 s12, s10, s12
	v_fma_f32 v36, -v61, v78, v36
	s_lshl_b32 s12, s12, 2
	v_fma_f32 v56, -v40, v92, v11
	v_fma_f32 v11, -v41, v101, v12
	;; [unrolled: 1-line block ×3, first 2 shown]
	v_dual_mov_b32 v38, s18 :: v_dual_lshlrev_b32 v149, 2, v48
	v_mov_b32_e32 v184, s12
	s_delay_alu instid0(VALU_DEP_4) | instskip(NEXT) | instid1(VALU_DEP_4)
	v_fma_f32 v11, -v42, v70, v11
	v_fma_f32 v12, -v61, v76, v12
	ds_load_2addr_b64 v[69:72], v172 offset0:9 offset1:10
	ds_load_2addr_b64 v[99:102], v38 offset1:1
	ds_load_b128 v[103:106], v55 offset:64
	s_or_b32 s12, s10, 15
	s_waitcnt lgkmcnt(16)
	v_fma_f32 v67, -v61, v95, v67
	s_waitcnt lgkmcnt(7)
	v_fma_f32 v12, -v45, v17, v12
	v_fma_f32 v17, -v59, v65, v35
	s_waitcnt lgkmcnt(6)
	v_fma_f32 v65, -v39, v87, v11
	v_mul_f32_e32 v35, v83, v56
	s_waitcnt lgkmcnt(5)
	v_fma_f32 v36, -v45, v132, v36
	v_fma_f32 v75, -v53, v82, v12
	;; [unrolled: 1-line block ×4, first 2 shown]
	ds_load_2addr_b32 v[11:12], v166 offset0:29 offset1:30
	ds_load_b32 v38, v166 offset:124
	ds_load_b128 v[79:82], v50 offset:64
	v_fma_f32 v56, -v19, v120, v75
	v_fma_f32 v17, -v61, v77, v17
	s_mul_i32 s18, s12, 0x104
	s_lshl_b32 s12, s12, 6
	v_mov_b32_e32 v92, s18
	v_fma_f32 v48, -v43, v108, v56
	v_fma_f32 v56, -v40, v93, v65
	;; [unrolled: 1-line block ×3, first 2 shown]
	s_waitcnt lgkmcnt(3)
	v_fma_f32 v36, -v53, v104, v36
	v_fma_f32 v67, -v45, v133, v67
	;; [unrolled: 1-line block ×5, first 2 shown]
	ds_load_b128 v[83:86], v55 offset:80
	v_fma_f32 v36, -v19, v122, v36
	v_fma_f32 v65, -v41, v112, v18
	ds_load_b64 v[17:18], v172 offset:120
	v_fma_f32 v56, -v19, v121, v56
	v_mul_f32_e32 v48, v99, v48
	v_fma_f32 v36, -v43, v114, v36
	v_fma_f32 v75, -v42, v116, v65
	ds_load_2addr_b32 v[65:66], v184 offset0:15 offset1:16
	v_fma_f32 v56, -v43, v109, v56
	ds_load_b128 v[107:110], v50 offset:80
	s_waitcnt lgkmcnt(4)
	v_fma_f32 v36, -v20, v80, v36
	v_fma_f32 v75, -v39, v88, v75
	v_fma_f32 v67, -v53, v105, v67
	v_fma_f32 v56, -v20, v79, v56
	s_lshl_b32 s13, s13, 6
	v_fma_f32 v1, -v59, v1, v23
	v_fma_f32 v75, -v37, v126, v75
	v_or_b32_e32 v91, s13, v0
	v_fma_f32 v56, -v41, v113, v56
	s_add_i32 s11, s10, s13
	s_or_b32 s13, s10, 16
	v_fma_f32 v79, -v40, v94, v75
	ds_load_b128 v[75:78], v186 offset:64
	v_fma_f32 v56, -v42, v117, v56
	ds_load_2addr_b32 v[87:88], v49 offset0:17 offset1:18
	ds_load_2addr_b32 v[103:104], v184 offset0:17 offset1:18
	;; [unrolled: 1-line block ×4, first 2 shown]
	ds_load_2addr_b32 v[138:139], v92 offset1:1
	v_fma_f32 v67, -v19, v123, v67
	s_lshl_b32 s11, s11, 2
	v_fma_f32 v56, -v39, v89, v56
	s_mul_i32 s18, s13, 0x104
	v_mov_b32_e32 v187, s11
	v_fma_f32 v67, -v43, v115, v67
	v_fma_f32 v1, -v60, v14, v1
	;; [unrolled: 1-line block ×6, first 2 shown]
	s_delay_alu instid0(VALU_DEP_3) | instskip(NEXT) | instid1(VALU_DEP_3)
	v_fma_f32 v2, -v60, v51, v2
	v_fma_f32 v3, -v60, v52, v3
	s_delay_alu instid0(VALU_DEP_3)
	v_fma_f32 v4, -v60, v74, v4
	s_waitcnt lgkmcnt(5)
	v_fma_f32 v56, -v40, v75, v56
	s_waitcnt lgkmcnt(4)
	v_fma_f32 v75, -v41, v87, v36
	v_fma_f32 v3, -v61, v9, v3
	;; [unrolled: 1-line block ×4, first 2 shown]
	v_or_b32_e32 v66, s12, v0
	s_add_i32 s12, s10, s12
	s_delay_alu instid0(SALU_CYCLE_1) | instskip(NEXT) | instid1(VALU_DEP_2)
	s_lshl_b32 s12, s12, 2
	v_fma_f32 v56, -v48, v101, v56
	v_mov_b32_e32 v156, s12
	v_fma_f32 v65, -v35, v65, v79
	s_lshl_b32 s12, s13, 6
	s_or_b32 s13, s10, 17
	v_dual_mov_b32 v79, s18 :: v_dual_lshlrev_b32 v66, 2, v66
	s_delay_alu instid0(VALU_DEP_2)
	v_fma_f32 v65, -v48, v100, v65
	s_lshl_b32 s11, s13, 6
	v_or_b32_e32 v87, s12, v0
	v_or_b32_e32 v115, s11, v0
	s_mul_i32 s18, s13, 0x104
	s_waitcnt lgkmcnt(0)
	v_mul_f32_e32 v33, v138, v65
	v_fma_f32 v65, -v42, v118, v75
	v_lshlrev_b32_e32 v87, 2, v87
	s_or_b32 s13, s10, 18
	s_add_i32 s11, s10, s11
	v_fma_f32 v56, -v33, v139, v56
	v_fma_f32 v65, -v39, v90, v65
	v_lshlrev_b32_e32 v89, 2, v91
	ds_load_b128 v[91:94], v186 offset:80
	ds_load_2addr_b32 v[126:127], v49 offset0:19 offset1:20
	ds_load_2addr_b32 v[140:141], v49 offset0:21 offset1:22
	;; [unrolled: 1-line block ×3, first 2 shown]
	ds_load_b32 v36, v184 offset:124
	ds_load_b128 v[111:114], v79
	v_fma_f32 v65, -v37, v128, v65
	ds_load_2addr_b32 v[79:80], v64 offset0:19 offset1:20
	s_lshl_b32 s11, s11, 2
	s_add_i32 s12, s10, s12
	v_fma_f32 v4, -v45, v54, v4
	v_fma_f32 v65, -v40, v76, v65
	ds_load_2addr_b32 v[75:76], v156 offset0:17 offset1:18
	s_lshl_b32 s12, s12, 2
	v_fma_f32 v65, -v35, v103, v65
	s_delay_alu instid0(VALU_DEP_1)
	v_fma_f32 v65, -v48, v102, v65
	s_waitcnt lgkmcnt(2)
	v_mul_f32_e32 v56, v111, v56
	ds_store_b32 v144, v42 offset:16384
	ds_store_b32 v145, v39 offset:16384
	;; [unrolled: 1-line block ×7, first 2 shown]
	v_fma_f32 v66, -v20, v81, v67
	s_waitcnt lgkmcnt(8)
	v_fma_f32 v34, -v60, v79, v34
	ds_store_b32 v87, v56 offset:16384
	ds_load_2addr_b32 v[122:123], v64 offset0:21 offset1:22
	ds_load_2addr_b32 v[132:133], v64 offset0:23 offset1:24
	;; [unrolled: 1-line block ×3, first 2 shown]
	s_waitcnt lgkmcnt(11)
	v_fma_f32 v75, -v33, v75, v65
	v_fma_f32 v65, -v41, v88, v66
	;; [unrolled: 1-line block ×3, first 2 shown]
	ds_load_2addr_b32 v[95:96], v46 offset0:19 offset1:20
	ds_load_2addr_b64 v[87:90], v187 offset0:9 offset1:10
	v_fma_f32 v75, -v56, v112, v75
	v_fma_f32 v68, -v42, v119, v65
	ds_load_b128 v[64:67], v73 offset:80
	v_fma_f32 v34, -v45, v134, v34
	v_fma_f32 v68, -v39, v69, v68
	v_mov_b32_e32 v69, s18
	s_delay_alu instid0(VALU_DEP_3) | instskip(SKIP_1) | instid1(VALU_DEP_3)
	v_fma_f32 v34, -v53, v106, v34
	s_mul_i32 s18, s13, 0x104
	v_fma_f32 v79, -v37, v129, v68
	ds_load_2addr_b32 v[68:69], v69 offset1:1
	v_fma_f32 v34, -v19, v124, v34
	ds_load_2addr_b32 v[111:112], v148 offset0:19 offset1:20
	ds_load_b128 v[99:102], v73 offset:96
	v_mov_b32_e32 v73, s18
	v_fma_f32 v77, -v40, v77, v79
	ds_load_2addr_b32 v[118:119], v46 offset0:21 offset1:22
	ds_load_2addr_b32 v[128:129], v46 offset0:23 offset1:24
	;; [unrolled: 1-line block ×3, first 2 shown]
	s_waitcnt lgkmcnt(8)
	v_fma_f32 v34, -v43, v95, v34
	s_waitcnt lgkmcnt(6)
	v_fma_f32 v31, -v59, v64, v31
	s_delay_alu instid0(VALU_DEP_2)
	v_fma_f32 v34, -v20, v82, v34
	v_fma_f32 v64, -v35, v104, v77
	;; [unrolled: 1-line block ×7, first 2 shown]
	ds_load_2addr_b64 v[79:82], v187 offset0:11 offset1:12
	v_fma_f32 v32, -v60, v122, v32
	v_fma_f32 v31, -v61, v97, v31
	s_waitcnt lgkmcnt(5)
	v_fma_f32 v34, -v42, v111, v34
	v_fma_f32 v29, -v60, v123, v29
	;; [unrolled: 1-line block ×5, first 2 shown]
	ds_load_2addr_b32 v[134:135], v148 offset0:21 offset1:22
	ds_load_2addr_b32 v[146:147], v148 offset0:23 offset1:24
	ds_load_2addr_b32 v[148:149], v148 offset0:25 offset1:26
	ds_load_2addr_b32 v[150:151], v156 offset0:27 offset1:28
	ds_load_2addr_b32 v[152:153], v156 offset0:29 offset1:30
	ds_load_b32 v188, v156 offset:124
	ds_load_2addr_b64 v[103:106], v73 offset1:1
	s_waitcnt lgkmcnt(11)
	v_fma_f32 v27, -v59, v99, v27
	v_fma_f32 v32, -v45, v136, v32
	;; [unrolled: 1-line block ×3, first 2 shown]
	v_mul_f32_e32 v31, v68, v75
	v_fma_f32 v68, -v39, v70, v34
	v_lshlrev_b32_e32 v34, 2, v115
	v_fma_f32 v64, -v33, v76, v64
	v_fma_f32 v70, -v19, v125, v77
	ds_load_2addr_b32 v[124:125], v156 offset0:19 offset1:20
	v_fma_f32 v68, -v37, v130, v68
	v_mov_b32_e32 v83, s11
	v_fma_f32 v64, -v56, v113, v64
	v_fma_f32 v70, -v43, v96, v70
	s_lshl_b32 s11, s13, 6
	v_fma_f32 v68, -v40, v78, v68
	s_or_b32 s13, s10, 19
	v_fma_f32 v64, -v31, v69, v64
	v_fma_f32 v70, -v20, v107, v70
	s_mul_i32 s18, s13, 0x104
	v_fma_f32 v68, -v35, v116, v68
	ds_load_2addr_b32 v[115:116], v83 offset0:19 offset1:20
	v_mov_b32_e32 v107, s12
	v_fma_f32 v69, -v41, v127, v70
	ds_load_2addr_b32 v[126:127], v156 offset0:21 offset1:22
	ds_load_2addr_b32 v[154:155], v156 offset0:23 offset1:24
	;; [unrolled: 1-line block ×3, first 2 shown]
	v_fma_f32 v68, -v48, v88, v68
	ds_load_2addr_b32 v[87:88], v162 offset0:21 offset1:22
	v_or_b32_e32 v70, s11, v0
	v_fma_f32 v69, -v42, v112, v69
	v_fma_f32 v32, -v53, v84, v32
	s_waitcnt lgkmcnt(5)
	v_fma_f32 v65, -v33, v124, v68
	v_dual_mul_f32 v64, v103, v64 :: v_dual_lshlrev_b32 v189, 2, v70
	v_fma_f32 v68, -v39, v71, v69
	v_mov_b32_e32 v69, s18
	s_delay_alu instid0(VALU_DEP_4)
	v_fma_f32 v65, -v56, v114, v65
	s_lshl_b32 s12, s13, 6
	s_or_b32 s13, s10, 20
	v_fma_f32 v68, -v37, v131, v68
	ds_load_2addr_b32 v[130:131], v69 offset1:1
	s_mul_i32 s18, s13, 0x104
	s_waitcnt lgkmcnt(5)
	v_fma_f32 v65, -v31, v115, v65
	v_fma_f32 v84, -v60, v132, v30
	;; [unrolled: 1-line block ×3, first 2 shown]
	ds_load_b128 v[68:71], v107 offset:80
	ds_load_2addr_b32 v[158:159], v162 offset0:23 offset1:24
	ds_load_2addr_b32 v[160:161], v162 offset0:25 offset1:26
	;; [unrolled: 1-line block ×3, first 2 shown]
	s_waitcnt lgkmcnt(5)
	v_fma_f32 v32, -v19, v87, v32
	ds_load_2addr_b64 v[75:78], v63 offset0:11 offset1:12
	v_fma_f32 v73, -v35, v117, v73
	v_fma_f32 v65, -v64, v104, v65
	ds_load_2addr_b32 v[164:165], v83 offset0:29 offset1:30
	ds_load_b32 v190, v83 offset:124
	v_fma_f32 v32, -v43, v118, v32
	ds_load_2addr_b32 v[103:104], v166 offset0:21 offset1:22
	ds_load_b128 v[95:98], v107 offset:96
	v_fma_f32 v73, -v48, v89, v73
	ds_load_2addr_b64 v[111:114], v63 offset0:13 offset1:14
	v_fma_f32 v32, -v20, v108, v32
	s_add_i32 s11, s10, s11
	v_fma_f32 v27, -v60, v133, v27
	v_fma_f32 v73, -v33, v125, v73
	s_waitcnt lgkmcnt(10)
	v_mul_f32_e32 v191, v130, v65
	v_fma_f32 v32, -v41, v140, v32
	v_or_b32_e32 v65, s12, v0
	s_add_i32 s12, s10, s12
	s_waitcnt lgkmcnt(9)
	v_fma_f32 v66, -v56, v68, v73
	v_mov_b32_e32 v68, s18
	v_fma_f32 v32, -v42, v134, v32
	s_waitcnt lgkmcnt(5)
	v_fma_f32 v29, -v61, v75, v29
	v_fma_f32 v76, -v61, v76, v84
	;; [unrolled: 1-line block ×3, first 2 shown]
	ds_load_b128 v[115:118], v68
	v_fma_f32 v32, -v39, v72, v32
	v_fma_f32 v29, -v45, v137, v29
	ds_load_2addr_b32 v[72:73], v166 offset0:23 offset1:24
	ds_load_2addr_b32 v[136:137], v166 offset0:25 offset1:26
	;; [unrolled: 1-line block ×4, first 2 shown]
	v_fma_f32 v63, -v64, v105, v66
	s_waitcnt lgkmcnt(7)
	v_fma_f32 v32, -v37, v103, v32
	v_fma_f32 v29, -v53, v85, v29
	v_lshlrev_b32_e32 v192, 2, v65
	s_lshl_b32 s12, s12, 2
	v_fma_f32 v63, -v191, v131, v63
	v_fma_f32 v32, -v40, v92, v32
	;; [unrolled: 1-line block ×3, first 2 shown]
	ds_load_b128 v[65:68], v107 offset:112
	v_mov_b32_e32 v91, s12
	s_or_b32 s12, s10, 21
	v_fma_f32 v32, -v35, v120, v32
	v_fma_f32 v75, -v43, v119, v29
	ds_load_2addr_b32 v[29:30], v83 offset0:21 offset1:22
	s_mul_i32 s18, s12, 0x104
	s_waitcnt lgkmcnt(6)
	v_mul_f32_e32 v193, v115, v63
	v_fma_f32 v32, -v48, v90, v32
	ds_load_2addr_b64 v[87:90], v172 offset0:11 offset1:12
	ds_load_2addr_b32 v[131:132], v62 offset0:25 offset1:26
	ds_load_2addr_b32 v[168:169], v62 offset0:27 offset1:28
	;; [unrolled: 1-line block ×3, first 2 shown]
	v_fma_f32 v75, -v20, v109, v75
	s_waitcnt lgkmcnt(6)
	v_fma_f32 v76, -v45, v122, v76
	s_lshl_b32 s11, s11, 2
	v_fma_f32 v32, -v33, v126, v32
	v_fma_f32 v27, -v61, v77, v27
	;; [unrolled: 1-line block ×4, first 2 shown]
	ds_load_2addr_b32 v[75:76], v91 offset0:21 offset1:22
	v_fma_f32 v32, -v56, v69, v32
	s_lshl_b32 s13, s13, 6
	v_fma_f32 v69, -v42, v135, v84
	v_fma_f32 v92, -v19, v158, v85
	ds_load_2addr_b32 v[134:135], v83 offset0:23 offset1:24
	ds_load_2addr_b32 v[140:141], v83 offset0:25 offset1:26
	;; [unrolled: 1-line block ×3, first 2 shown]
	ds_load_2addr_b64 v[83:86], v172 offset0:13 offset1:14
	v_fma_f32 v27, -v45, v123, v27
	s_waitcnt lgkmcnt(9)
	v_fma_f32 v29, -v31, v29, v32
	v_mov_b32_e32 v32, s18
	s_waitcnt lgkmcnt(8)
	v_fma_f32 v69, -v39, v87, v69
	v_fma_f32 v87, -v43, v128, v92
	v_or_b32_e32 v92, s13, v0
	v_fma_f32 v29, -v64, v106, v29
	ds_load_2addr_b32 v[172:173], v32 offset1:1
	v_fma_f32 v32, -v37, v104, v69
	v_fma_f32 v69, -v20, v110, v87
	ds_load_2addr_b32 v[174:175], v91 offset0:23 offset1:24
	ds_load_2addr_b32 v[176:177], v91 offset0:25 offset1:26
	ds_load_2addr_b32 v[178:179], v91 offset0:27 offset1:28
	v_lshlrev_b32_e32 v158, 2, v92
	s_lshl_b32 s12, s12, 6
	s_waitcnt lgkmcnt(8)
	v_fma_f32 v29, -v191, v75, v29
	v_fma_f32 v32, -v40, v93, v32
	;; [unrolled: 1-line block ×3, first 2 shown]
	v_mov_b32_e32 v75, s11
	s_or_b32 s11, s10, 22
	v_fma_f32 v29, -v193, v116, v29
	v_fma_f32 v32, -v35, v121, v32
	;; [unrolled: 1-line block ×3, first 2 shown]
	ds_load_2addr_b32 v[115:116], v184 offset0:23 offset1:24
	ds_load_b128 v[103:106], v55 offset:96
	ds_load_2addr_b32 v[180:181], v91 offset0:29 offset1:30
	ds_load_b32 v194, v91 offset:124
	ds_load_2addr_b64 v[107:110], v75 offset0:11 offset1:12
	v_fma_f32 v32, -v48, v79, v32
	v_fma_f32 v69, -v39, v88, v69
	s_mul_i32 s18, s11, 0x104
	s_waitcnt lgkmcnt(8)
	v_mul_f32_e32 v172, v172, v29
	v_or_b32_e32 v77, s12, v0
	v_fma_f32 v29, -v33, v127, v32
	v_fma_f32 v32, -v37, v72, v69
	s_add_i32 s12, s10, s12
	v_fma_f32 v25, -v59, v101, v25
	s_lshl_b32 s12, s12, 2
	v_fma_f32 v29, -v56, v70, v29
	v_fma_f32 v32, -v40, v94, v32
	ds_load_b128 v[91:94], v50 offset:96
	ds_load_2addr_b32 v[87:88], v184 offset0:25 offset1:26
	ds_load_2addr_b32 v[182:183], v184 offset0:27 offset1:28
	;; [unrolled: 1-line block ×3, first 2 shown]
	ds_load_b128 v[119:122], v55 offset:112
	ds_load_2addr_b64 v[123:126], v75 offset0:13 offset1:14
	v_fma_f32 v29, -v31, v30, v29
	s_waitcnt lgkmcnt(9)
	v_fma_f32 v27, -v53, v103, v27
	v_fma_f32 v32, -v35, v115, v32
	v_fma_f32 v25, -v60, v139, v25
	s_add_i32 s13, s10, s13
	s_waitcnt lgkmcnt(6)
	v_fma_f32 v29, -v64, v107, v29
	v_fma_f32 v27, -v19, v159, v27
	;; [unrolled: 1-line block ×3, first 2 shown]
	v_mov_b32_e32 v32, s18
	v_fma_f32 v25, -v61, v111, v25
	v_fma_f32 v29, -v191, v76, v29
	;; [unrolled: 1-line block ×4, first 2 shown]
	ds_load_2addr_b64 v[127:130], v32 offset1:1
	v_fma_f32 v25, -v45, v132, v25
	v_fma_f32 v79, -v193, v117, v29
	s_waitcnt lgkmcnt(6)
	v_fma_f32 v27, -v20, v91, v27
	v_fma_f32 v30, -v56, v71, v30
	ds_load_b128 v[69:72], v50 offset:112
	v_mov_b32_e32 v32, s12
	v_fma_f32 v79, -v172, v173, v79
	v_fma_f32 v76, -v41, v143, v27
	;; [unrolled: 1-line block ×3, first 2 shown]
	s_or_b32 s12, s10, 23
	ds_load_2addr_b32 v[133:134], v32 offset0:23 offset1:24
	v_lshlrev_b32_e32 v55, 2, v77
	v_fma_f32 v77, -v59, v100, v28
	ds_load_b128 v[27:30], v186 offset:96
	v_fma_f32 v76, -v42, v147, v76
	v_fma_f32 v50, -v64, v108, v50
	ds_load_b64 v[107:108], v75 offset:120
	v_fma_f32 v77, -v60, v138, v77
	s_mul_i32 s19, s12, 0x104
	v_fma_f32 v76, -v39, v89, v76
	v_fma_f32 v50, -v191, v174, v50
	s_waitcnt lgkmcnt(4)
	v_mul_f32_e32 v138, v127, v79
	v_fma_f32 v77, -v61, v78, v77
	v_mov_b32_e32 v89, s19
	v_fma_f32 v73, -v37, v73, v76
	v_fma_f32 v50, -v193, v118, v50
	ds_load_2addr_b32 v[117:118], v32 offset0:25 offset1:26
	ds_load_2addr_b32 v[142:143], v32 offset0:27 offset1:28
	;; [unrolled: 1-line block ×3, first 2 shown]
	v_fma_f32 v79, -v45, v131, v77
	ds_load_b128 v[75:78], v186 offset:112
	v_fma_f32 v25, -v53, v105, v25
	s_waitcnt lgkmcnt(6)
	v_fma_f32 v50, -v172, v133, v50
	v_fma_f32 v26, -v59, v102, v26
	s_lshl_b32 s13, s13, 2
	s_waitcnt lgkmcnt(5)
	v_fma_f32 v27, -v40, v27, v73
	v_fma_f32 v73, -v53, v104, v79
	ds_load_2addr_b32 v[79:80], v49 offset0:25 offset1:26
	ds_load_2addr_b32 v[103:104], v89 offset1:1
	v_fma_f32 v50, -v138, v128, v50
	v_fma_f32 v27, -v35, v116, v27
	;; [unrolled: 1-line block ×3, first 2 shown]
	ds_load_2addr_b32 v[115:116], v49 offset0:27 offset1:28
	ds_load_2addr_b32 v[127:128], v49 offset0:29 offset1:30
	ds_load_b32 v111, v49 offset:124
	v_fma_f32 v25, -v19, v161, v25
	v_fma_f32 v13, -v60, v13, v26
	;; [unrolled: 1-line block ×4, first 2 shown]
	ds_load_b32 v32, v32 offset:124
	v_fma_f32 v25, -v43, v145, v25
	v_fma_f32 v13, -v61, v112, v13
	;; [unrolled: 1-line block ×8, first 2 shown]
	s_lshl_b32 s12, s12, 6
	s_waitcnt lgkmcnt(5)
	v_fma_f32 v49, -v41, v79, v73
	v_mov_b32_e32 v73, s13
	s_waitcnt lgkmcnt(4)
	v_mul_f32_e32 v131, v103, v50
	v_fma_f32 v27, -v31, v135, v27
	v_fma_f32 v25, -v41, v80, v25
	;; [unrolled: 1-line block ×3, first 2 shown]
	ds_load_b128 v[99:102], v73 offset:96
	v_fma_f32 v13, -v53, v106, v13
	v_fma_f32 v27, -v64, v109, v27
	;; [unrolled: 1-line block ×4, first 2 shown]
	s_or_b32 s13, s10, 24
	v_fma_f32 v13, -v19, v162, v13
	v_fma_f32 v79, -v191, v175, v27
	;; [unrolled: 1-line block ×4, first 2 shown]
	ds_load_2addr_b32 v[49:50], v46 offset0:27 offset1:28
	s_add_i32 s19, s10, s12
	v_fma_f32 v1, -v45, v169, v1
	v_fma_f32 v83, -v37, v137, v83
	;; [unrolled: 1-line block ×3, first 2 shown]
	s_mul_i32 s20, s13, 0x104
	s_lshl_b32 s19, s19, 2
	v_fma_f32 v1, -v53, v119, v1
	v_fma_f32 v29, -v40, v29, v83
	;; [unrolled: 1-line block ×3, first 2 shown]
	ds_load_b128 v[25:28], v73 offset:112
	s_waitcnt lgkmcnt(2)
	v_fma_f32 v73, -v193, v99, v79
	v_mov_b32_e32 v95, s19
	v_fma_f32 v29, -v35, v88, v29
	v_fma_f32 v87, -v48, v82, v80
	ds_load_2addr_b64 v[79:82], v187 offset0:13 offset1:14
	v_fma_f32 v73, -v172, v134, v73
	s_lshl_b32 s11, s11, 6
	ds_load_2addr_b32 v[105:106], v46 offset0:29 offset1:30
	ds_load_b32 v46, v46 offset:124
	v_fma_f32 v87, -v33, v156, v87
	s_waitcnt lgkmcnt(4)
	v_fma_f32 v13, -v43, v49, v13
	v_fma_f32 v49, -v138, v129, v73
	s_add_i32 s18, s10, s11
	v_fma_f32 v1, -v19, v163, v1
	v_fma_f32 v73, -v56, v96, v87
	;; [unrolled: 1-line block ×4, first 2 shown]
	ds_load_b64 v[103:104], v187 offset:120
	s_lshl_b32 s18, s18, 2
	v_fma_f32 v73, -v31, v140, v73
	v_fma_f32 v13, -v41, v115, v13
	s_or_b32 s19, s10, 25
	v_fma_f32 v1, -v43, v50, v1
	v_fma_f32 v2, -v61, v114, v2
	;; [unrolled: 1-line block ×4, first 2 shown]
	s_waitcnt lgkmcnt(3)
	v_fma_f32 v29, -v48, v79, v29
	v_mov_b32_e32 v13, s20
	s_mul_i32 s20, s19, 0x104
	v_fma_f32 v73, -v191, v176, v73
	v_fma_f32 v7, -v39, v84, v7
	;; [unrolled: 1-line block ×3, first 2 shown]
	ds_load_b128 v[87:90], v13
	ds_load_2addr_b32 v[83:84], v95 offset0:25 offset1:26
	v_fma_f32 v1, -v20, v69, v1
	v_fma_f32 v2, -v45, v62, v2
	;; [unrolled: 1-line block ×5, first 2 shown]
	v_mov_b32_e32 v73, s18
	v_fma_f32 v1, -v41, v116, v1
	v_fma_f32 v7, -v40, v30, v7
	;; [unrolled: 1-line block ×4, first 2 shown]
	v_mov_b32_e32 v30, s20
	ds_load_2addr_b64 v[91:94], v73 offset0:13 offset1:14
	v_fma_f32 v7, -v35, v182, v7
	v_fma_f32 v13, -v64, v123, v13
	;; [unrolled: 1-line block ×3, first 2 shown]
	ds_load_2addr_b32 v[29:30], v30 offset1:1
	v_fma_f32 v1, -v42, v8, v1
	v_fma_f32 v7, -v48, v80, v7
	;; [unrolled: 1-line block ×4, first 2 shown]
	s_waitcnt lgkmcnt(3)
	v_mul_f32_e32 v49, v87, v49
	s_waitcnt lgkmcnt(2)
	v_fma_f32 v23, -v131, v83, v79
	v_fma_f32 v7, -v33, v150, v7
	;; [unrolled: 1-line block ×8, first 2 shown]
	ds_load_b64 v[13:14], v73 offset:120
	s_lshl_b32 s19, s19, 6
	s_or_b32 s20, s10, 26
	v_fma_f32 v7, -v31, v170, v7
	s_waitcnt lgkmcnt(2)
	v_fma_f32 v73, -v138, v91, v79
	v_fma_f32 v1, -v37, v167, v1
	;; [unrolled: 1-line block ×3, first 2 shown]
	s_mul_i32 s21, s20, 0x104
	v_fma_f32 v7, -v64, v124, v7
	s_add_i32 s22, s10, s19
	s_waitcnt lgkmcnt(1)
	v_mul_f32_e32 v29, v29, v23
	v_fma_f32 v23, -v131, v84, v73
	v_mov_b32_e32 v73, s21
	s_lshl_b32 s21, s22, 2
	v_fma_f32 v3, -v45, v63, v3
	v_mov_b32_e32 v50, s21
	v_fma_f32 v7, -v191, v178, v7
	v_fma_f32 v1, -v40, v75, v1
	v_fma_f32 v2, -v20, v70, v2
	ds_load_2addr_b32 v[79:80], v95 offset0:27 offset1:28
	ds_load_2addr_b32 v[87:88], v95 offset0:29 offset1:30
	ds_load_b32 v83, v95 offset:124
	v_fma_f32 v3, -v53, v121, v3
	v_fma_f32 v7, -v193, v102, v7
	;; [unrolled: 1-line block ×4, first 2 shown]
	ds_load_2addr_b64 v[95:98], v73 offset1:1
	v_fma_f32 v51, -v49, v89, v23
	v_fma_f32 v7, -v172, v142, v7
	ds_load_2addr_b32 v[23:24], v50 offset0:27 offset1:28
	v_fma_f32 v3, -v19, v16, v3
	v_fma_f32 v1, -v48, v81, v1
	;; [unrolled: 1-line block ×8, first 2 shown]
	s_or_b32 s21, s10, 27
	s_waitcnt lgkmcnt(4)
	v_fma_f32 v7, -v131, v79, v7
	v_fma_f32 v3, -v20, v71, v3
	;; [unrolled: 1-line block ×5, first 2 shown]
	s_lshl_b32 s23, s21, 6
	s_mulk_i32 s21, 0x104
	v_fma_f32 v30, -v29, v30, v51
	v_fma_f32 v7, -v49, v90, v7
	;; [unrolled: 1-line block ×4, first 2 shown]
	v_mov_b32_e32 v5, s21
	v_fma_f32 v2, -v40, v76, v2
	v_fma_f32 v4, -v43, v46, v4
	s_lshl_b32 s13, s13, 6
	s_waitcnt lgkmcnt(1)
	v_mul_f32_e32 v21, v95, v30
	ds_load_2addr_b32 v[9:10], v5 offset1:1
	s_waitcnt lgkmcnt(1)
	v_fma_f32 v7, -v29, v23, v7
	v_fma_f32 v3, -v42, v6, v3
	;; [unrolled: 1-line block ×5, first 2 shown]
	s_add_i32 s18, s10, s13
	v_fma_f32 v15, -v21, v96, v7
	s_lshl_b32 s18, s18, 2
	v_fma_f32 v3, -v39, v17, v3
	v_fma_f32 v1, -v191, v179, v1
	v_mov_b32_e32 v5, s18
	v_fma_f32 v6, -v48, v82, v2
	v_fma_f32 v7, -v41, v111, v4
	v_fma_f32 v8, -v37, v12, v3
	v_fma_f32 v11, -v193, v25, v1
	ds_load_b128 v[1:4], v5 offset:112
	v_fma_f32 v5, -v33, v152, v6
	v_fma_f32 v6, -v42, v47, v7
	;; [unrolled: 1-line block ×4, first 2 shown]
	s_or_b32 s18, s10, 28
	v_fma_f32 v5, -v56, v66, v5
	v_fma_f32 v6, -v39, v18, v6
	;; [unrolled: 1-line block ×4, first 2 shown]
	s_mul_i32 s21, s18, 0x104
	v_fma_f32 v5, -v31, v164, v5
	v_fma_f32 v6, -v37, v38, v6
	;; [unrolled: 1-line block ×4, first 2 shown]
	s_waitcnt lgkmcnt(1)
	v_mul_f32_e32 v9, v9, v15
	v_fma_f32 v16, -v64, v126, v5
	v_fma_f32 v17, -v40, v78, v6
	;; [unrolled: 1-line block ×3, first 2 shown]
	v_mov_b32_e32 v11, s21
	s_waitcnt lgkmcnt(0)
	v_fma_f32 v1, -v49, v1, v12
	v_fma_f32 v16, -v191, v180, v16
	;; [unrolled: 1-line block ×4, first 2 shown]
	s_add_i32 s21, s10, s23
	v_fma_f32 v1, -v29, v24, v1
	s_lshl_b32 s21, s21, 2
	v_fma_f32 v15, -v48, v104, v17
	v_fma_f32 v17, -v31, v165, v18
	v_mov_b32_e32 v22, s21
	v_fma_f32 v16, -v193, v26, v16
	ds_load_b128 v[5:8], v11
	v_fma_f32 v15, -v33, v188, v15
	v_fma_f32 v17, -v64, v107, v17
	;; [unrolled: 1-line block ×4, first 2 shown]
	ds_load_2addr_b32 v[11:12], v50 offset0:29 offset1:30
	ds_load_b32 v19, v50 offset:124
	v_fma_f32 v1, -v56, v68, v15
	v_fma_f32 v15, -v191, v181, v17
	s_lshl_b32 s20, s20, 6
	v_fma_f32 v16, -v138, v94, v16
	s_add_i32 s22, s10, s20
	v_fma_f32 v1, -v31, v190, v1
	v_fma_f32 v17, -v193, v27, v15
	s_or_b32 s21, s10, 29
	v_fma_f32 v18, -v131, v87, v16
	ds_load_2addr_b32 v[15:16], v22 offset0:29 offset1:30
	v_fma_f32 v1, -v64, v108, v1
	s_lshl_b32 s22, s22, 2
	s_mul_i32 s24, s21, 0x104
	v_fma_f32 v17, -v172, v147, v17
	v_mov_b32_e32 v23, s22
	v_fma_f32 v18, -v49, v2, v18
	v_mov_b32_e32 v24, s24
	v_fma_f32 v25, -v191, v194, v1
	v_fma_f32 v10, -v9, v10, v20
	;; [unrolled: 1-line block ×3, first 2 shown]
	ds_load_b64 v[1:2], v23 offset:120
	s_waitcnt lgkmcnt(3)
	v_fma_f32 v11, -v29, v11, v18
	ds_load_2addr_b32 v[17:18], v24 offset1:1
	v_mul_f32_e32 v5, v5, v10
	ds_load_b32 v10, v22 offset:124
	v_fma_f32 v23, -v193, v28, v25
	v_fma_f32 v13, -v131, v88, v13
	;; [unrolled: 1-line block ×3, first 2 shown]
	v_or_b32_e32 v20, s11, v0
	s_lshl_b32 s11, s21, 6
	v_fma_f32 v23, -v172, v32, v23
	v_fma_f32 v3, -v49, v3, v13
	s_waitcnt lgkmcnt(3)
	v_fma_f32 v11, -v9, v15, v11
	s_delay_alu instid0(VALU_DEP_3) | instskip(NEXT) | instid1(VALU_DEP_3)
	v_fma_f32 v13, -v138, v14, v23
	v_fma_f32 v3, -v29, v12, v3
	s_delay_alu instid0(VALU_DEP_3)
	v_fma_f32 v6, -v5, v6, v11
	v_or_b32_e32 v12, s12, v0
	s_or_b32 s12, s10, 30
	v_fma_f32 v11, -v131, v83, v13
	s_waitcnt lgkmcnt(2)
	v_fma_f32 v1, -v21, v1, v3
	v_or_b32_e32 v13, s13, v0
	s_add_i32 s13, s10, s11
	s_mul_i32 s21, s12, 0x104
	v_fma_f32 v4, -v49, v4, v11
	s_lshl_b32 s13, s13, 2
	s_waitcnt lgkmcnt(1)
	v_mul_f32_e32 v3, v17, v6
	v_fma_f32 v1, -v9, v16, v1
	v_mov_b32_e32 v6, s21
	v_fma_f32 v4, -v29, v19, v4
	v_mov_b32_e32 v11, s13
	s_or_b32 s13, s10, 31
	v_fma_f32 v7, -v5, v7, v1
	s_mul_i32 s21, s13, 0x104
	v_fma_f32 v4, -v21, v2, v4
	ds_load_b64 v[1:2], v6
	ds_load_b32 v6, v11 offset:124
	v_lshlrev_b32_e32 v11, 2, v12
	v_fma_f32 v7, -v3, v18, v7
	v_lshlrev_b32_e32 v14, 2, v20
	s_waitcnt lgkmcnt(2)
	v_fma_f32 v4, -v9, v10, v4
	v_mov_b32_e32 v10, s21
	v_lshlrev_b32_e32 v12, 2, v13
	s_delay_alu instid0(VALU_DEP_3)
	v_fma_f32 v4, -v5, v8, v4
	ds_load_b32 v8, v10
	v_or_b32_e32 v10, s19, v0
	ds_store_b32 v34, v31 offset:16384
	ds_store_b32 v189, v64 offset:16384
	;; [unrolled: 1-line block ×8, first 2 shown]
	v_or_b32_e32 v11, s20, v0
	v_lshl_or_b32 v12, s12, 8, v58
	s_delay_alu instid0(VALU_DEP_2)
	v_lshlrev_b32_e32 v11, 2, v11
	s_waitcnt lgkmcnt(10)
	v_mul_f32_e32 v1, v1, v7
	s_waitcnt lgkmcnt(9)
	v_fma_f32 v4, -v3, v6, v4
	v_or_b32_e32 v6, s23, v0
	v_lshlrev_b32_e32 v7, 2, v10
	v_or_b32_e32 v10, s11, v0
	s_add_i32 s11, s10, 32
	v_fma_f32 v2, -v1, v2, v4
	s_add_i32 s10, s10, 63
	v_lshlrev_b32_e32 v4, 2, v6
	v_lshl_or_b32 v6, s18, 8, v58
	s_cmp_lt_i32 s10, s15
	v_lshlrev_b32_e32 v10, 2, v10
	s_waitcnt lgkmcnt(8)
	v_mul_f32_e32 v2, v8, v2
	v_lshl_or_b32 v8, s13, 8, v58
	ds_store_b32 v7, v29 offset:16384
	ds_store_b32 v11, v21 offset:16384
	;; [unrolled: 1-line block ×7, first 2 shown]
	s_cbranch_scc0 .LBB43_54
; %bb.53:                               ;   in Loop: Header=BB43_49 Depth=1
	s_mov_b32 s10, s11
	s_branch .LBB43_49
.LBB43_54:
	s_cmp_lt_i32 s11, s15
	s_cbranch_scc0 .LBB43_79
; %bb.55:
	s_add_i32 s4, s11, 3
	s_delay_alu instid0(SALU_CYCLE_1)
	s_cmp_ge_i32 s4, s15
	s_cbranch_scc1 .LBB43_67
; %bb.56:
	v_lshl_or_b32 v5, v0, 2, 0x4000
	v_lshlrev_b32_e32 v6, 2, v0
	s_add_i32 s4, s11, -1
	s_lshl_b32 s10, s11, 2
	s_and_b32 s12, s11, -4
	s_and_b32 s13, s11, 3
	s_mov_b32 s18, 0
.LBB43_57:                              ; =>This Loop Header: Depth=1
                                        ;     Child Loop BB43_60 Depth 2
                                        ;     Child Loop BB43_64 Depth 2
	v_lshl_or_b32 v7, s11, 8, v6
	s_cmp_eq_u32 s11, 0
	ds_load_2addr_stride64_b32 v[3:4], v7 offset0:64 offset1:65
	ds_load_2addr_stride64_b32 v[1:2], v7 offset0:66 offset1:67
	s_cbranch_scc1 .LBB43_65
; %bb.58:                               ;   in Loop: Header=BB43_57 Depth=1
	s_lshl_b32 s19, s18, 2
	s_delay_alu instid0(SALU_CYCLE_1) | instskip(NEXT) | instid1(SALU_CYCLE_1)
	s_add_i32 s19, s4, s19
	s_cmp_lt_u32 s19, 3
	s_cbranch_scc1 .LBB43_62
; %bb.59:                               ;   in Loop: Header=BB43_57 Depth=1
	v_mov_b32_e32 v8, v5
	s_mov_b32 s19, 0
	s_mov_b32 s20, s10
.LBB43_60:                              ;   Parent Loop BB43_57 Depth=1
                                        ; =>  This Inner Loop Header: Depth=2
	s_delay_alu instid0(SALU_CYCLE_1)
	v_mov_b32_e32 v27, s20
	s_add_i32 s19, s19, 4
	s_addk_i32 s20, 0x400
	s_cmp_lg_u32 s12, s19
	ds_load_2addr_stride64_b32 v[9:10], v8 offset1:1
	ds_load_2addr_b32 v[11:12], v27 offset1:1
	ds_load_2addr_b32 v[13:14], v27 offset0:2 offset1:3
	ds_load_2addr_b32 v[15:16], v27 offset0:64 offset1:65
	ds_load_2addr_b32 v[17:18], v27 offset0:66 offset1:67
	ds_load_2addr_stride64_b32 v[19:20], v8 offset0:2 offset1:3
	ds_load_2addr_b32 v[21:22], v27 offset0:128 offset1:129
	ds_load_2addr_b32 v[23:24], v27 offset0:130 offset1:131
	;; [unrolled: 1-line block ×4, first 2 shown]
	v_add_nc_u32_e32 v8, 0x400, v8
	s_waitcnt lgkmcnt(8)
	v_fma_f32 v3, -v9, v11, v3
	v_fma_f32 v4, -v9, v12, v4
	s_waitcnt lgkmcnt(7)
	v_fma_f32 v1, -v9, v13, v1
	v_fma_f32 v2, -v9, v14, v2
	;; [unrolled: 3-line block ×8, first 2 shown]
	s_cbranch_scc1 .LBB43_60
; %bb.61:                               ;   in Loop: Header=BB43_57 Depth=1
	s_mov_b32 s19, s12
	s_and_b32 s20, s11, 3
	s_delay_alu instid0(SALU_CYCLE_1)
	s_cmp_eq_u32 s20, 0
	s_cbranch_scc0 .LBB43_63
	s_branch .LBB43_65
.LBB43_62:                              ;   in Loop: Header=BB43_57 Depth=1
	s_mov_b32 s19, 0
	s_and_b32 s20, s11, 3
	s_delay_alu instid0(SALU_CYCLE_1)
	s_cmp_eq_u32 s20, 0
	s_cbranch_scc1 .LBB43_65
.LBB43_63:                              ;   in Loop: Header=BB43_57 Depth=1
	s_lshl_b32 s19, s19, 8
	s_mov_b32 s20, s13
	.p2align	6
.LBB43_64:                              ;   Parent Loop BB43_57 Depth=1
                                        ; =>  This Inner Loop Header: Depth=2
	s_add_i32 s21, s10, s19
	v_add_nc_u32_e32 v8, s19, v5
	v_mov_b32_e32 v10, s21
	s_add_i32 s20, s20, -1
	s_addk_i32 s19, 0x100
	s_cmp_lg_u32 s20, 0
	ds_load_b32 v12, v8
	ds_load_2addr_b32 v[8:9], v10 offset1:1
	ds_load_2addr_b32 v[10:11], v10 offset0:2 offset1:3
	s_waitcnt lgkmcnt(1)
	v_fma_f32 v3, -v12, v8, v3
	v_fma_f32 v4, -v12, v9, v4
	s_waitcnt lgkmcnt(0)
	v_fma_f32 v1, -v12, v10, v1
	v_fma_f32 v2, -v12, v11, v2
	s_cbranch_scc1 .LBB43_64
.LBB43_65:                              ;   in Loop: Header=BB43_57 Depth=1
	s_mul_i32 s19, s11, 0x104
	s_delay_alu instid0(SALU_CYCLE_1)
	v_dual_mov_b32 v16, s19 :: v_dual_add_nc_u32 v7, 0x4000, v7
	s_lshl_b32 s19, s11, 6
	s_lshl_b32 s21, s11, 8
	s_add_i32 s20, s19, 64
	s_add_i32 s22, s21, 0x200
	ds_load_2addr_b32 v[8:9], v16 offset1:1
	ds_load_2addr_b32 v[10:11], v16 offset0:130 offset1:131
	ds_load_2addr_b32 v[12:13], v16 offset0:65 offset1:66
	;; [unrolled: 1-line block ×3, first 2 shown]
	s_add_i32 s19, s11, s20
	s_addk_i32 s21, 0x300
	s_lshl_b32 s19, s19, 2
	s_add_i32 s18, s18, 1
	s_add_i32 s10, s10, 16
	;; [unrolled: 1-line block ×3, first 2 shown]
	s_waitcnt lgkmcnt(3)
	v_mul_f32_e32 v3, v8, v3
	ds_load_b32 v8, v16 offset:780
	v_fma_f32 v4, -v3, v9, v4
	v_mov_b32_e32 v17, s19
	s_waitcnt lgkmcnt(1)
	v_fma_f32 v1, -v3, v14, v1
	v_fma_f32 v2, -v3, v15, v2
	v_or_b32_e32 v9, s20, v0
	v_mul_f32_e32 v4, v12, v4
	ds_load_b32 v17, v17 offset:12
	s_add_i32 s19, s11, 4
	s_add_i32 s11, s11, 7
	v_lshlrev_b32_e32 v9, 2, v9
	v_fma_f32 v1, -v4, v13, v1
	s_cmp_lt_i32 s11, s15
	s_delay_alu instid0(VALU_DEP_1) | instskip(SKIP_3) | instid1(VALU_DEP_1)
	v_mul_f32_e32 v1, v10, v1
	v_or_b32_e32 v10, s22, v6
	s_waitcnt lgkmcnt(0)
	v_fma_f32 v2, -v4, v17, v2
	v_fma_f32 v2, -v1, v11, v2
	v_or_b32_e32 v11, s21, v6
	s_delay_alu instid0(VALU_DEP_2)
	v_mul_f32_e32 v2, v8, v2
	ds_store_b32 v7, v3
	ds_store_b32 v9, v4 offset:16384
	ds_store_b32 v10, v1 offset:16384
	;; [unrolled: 1-line block ×3, first 2 shown]
	s_cbranch_scc0 .LBB43_68
; %bb.66:                               ;   in Loop: Header=BB43_57 Depth=1
	s_mov_b32 s11, s19
	s_branch .LBB43_57
.LBB43_67:
	s_mov_b32 s19, s11
.LBB43_68:
	s_delay_alu instid0(SALU_CYCLE_1)
	s_cmp_ge_i32 s19, s15
	s_cbranch_scc1 .LBB43_79
; %bb.69:
	v_lshl_or_b32 v1, v0, 2, 0x4000
	v_lshlrev_b32_e32 v2, 2, v0
	s_add_i32 s4, s19, -1
	s_lshl_b32 s10, s19, 2
	s_mov_b32 s11, 0
	s_mov_b32 s12, s19
	s_branch .LBB43_71
.LBB43_70:                              ;   in Loop: Header=BB43_71 Depth=1
	s_mul_i32 s13, s19, 0x104
	v_add_nc_u16 v6, s12, 1
	v_mov_b32_e32 v5, s13
	s_add_i32 s19, s19, 1
	s_add_i32 s11, s11, 1
	;; [unrolled: 1-line block ×3, first 2 shown]
	v_readfirstlane_b32 s12, v6
	ds_load_b32 v5, v5
	v_add_nc_u32_e32 v3, 0x4000, v3
	s_cmp_ge_i32 s19, s15
	s_waitcnt lgkmcnt(0)
	v_mul_f32_e32 v4, v5, v4
	ds_store_b32 v3, v4
	s_cbranch_scc1 .LBB43_79
.LBB43_71:                              ; =>This Loop Header: Depth=1
                                        ;     Child Loop BB43_74 Depth 2
                                        ;     Child Loop BB43_78 Depth 2
	v_lshl_or_b32 v3, s19, 8, v2
	s_cmp_eq_u32 s19, 0
	ds_load_b32 v4, v3 offset:16384
	s_cbranch_scc1 .LBB43_70
; %bb.72:                               ;   in Loop: Header=BB43_71 Depth=1
	s_add_i32 s13, s4, s11
	s_delay_alu instid0(SALU_CYCLE_1)
	s_cmp_lt_u32 s13, 7
	s_cbranch_scc1 .LBB43_76
; %bb.73:                               ;   in Loop: Header=BB43_71 Depth=1
	v_mov_b32_e32 v5, v1
	s_and_b32 s13, s19, -8
	s_mov_b32 s18, 0
	s_mov_b32 s20, s10
	s_set_inst_prefetch_distance 0x1
	.p2align	6
.LBB43_74:                              ;   Parent Loop BB43_71 Depth=1
                                        ; =>  This Inner Loop Header: Depth=2
	v_mov_b32_e32 v20, s20
	s_add_i32 s18, s18, 8
	s_addk_i32 s20, 0x800
	s_cmp_lg_u32 s13, s18
	ds_load_2addr_stride64_b32 v[6:7], v5 offset1:1
	ds_load_2addr_stride64_b32 v[8:9], v20 offset1:1
	ds_load_2addr_stride64_b32 v[10:11], v5 offset0:2 offset1:3
	ds_load_2addr_stride64_b32 v[12:13], v20 offset0:2 offset1:3
	;; [unrolled: 1-line block ×6, first 2 shown]
	v_add_nc_u32_e32 v5, 0x800, v5
	s_waitcnt lgkmcnt(6)
	v_fma_f32 v4, -v6, v8, v4
	s_delay_alu instid0(VALU_DEP_1) | instskip(SKIP_1) | instid1(VALU_DEP_1)
	v_fma_f32 v4, -v7, v9, v4
	s_waitcnt lgkmcnt(4)
	v_fma_f32 v4, -v10, v12, v4
	s_delay_alu instid0(VALU_DEP_1) | instskip(SKIP_1) | instid1(VALU_DEP_1)
	v_fma_f32 v4, -v11, v13, v4
	;; [unrolled: 4-line block ×3, first 2 shown]
	s_waitcnt lgkmcnt(0)
	v_fma_f32 v4, -v16, v20, v4
	s_delay_alu instid0(VALU_DEP_1)
	v_fma_f32 v4, -v17, v21, v4
	s_cbranch_scc1 .LBB43_74
; %bb.75:                               ;   in Loop: Header=BB43_71 Depth=1
	s_set_inst_prefetch_distance 0x2
	s_and_b32 s18, s19, 7
	s_delay_alu instid0(SALU_CYCLE_1)
	s_cmp_eq_u32 s18, 0
	s_cbranch_scc0 .LBB43_77
	s_branch .LBB43_70
.LBB43_76:                              ;   in Loop: Header=BB43_71 Depth=1
	s_mov_b32 s13, 0
	s_and_b32 s18, s19, 7
	s_delay_alu instid0(SALU_CYCLE_1)
	s_cmp_eq_u32 s18, 0
	s_cbranch_scc1 .LBB43_70
.LBB43_77:                              ;   in Loop: Header=BB43_71 Depth=1
	s_and_b32 s18, s12, 7
	s_lshl_b32 s13, s13, 8
.LBB43_78:                              ;   Parent Loop BB43_71 Depth=1
                                        ; =>  This Inner Loop Header: Depth=2
	s_delay_alu instid0(SALU_CYCLE_1) | instskip(NEXT) | instid1(SALU_CYCLE_1)
	s_add_i32 s20, s10, s13
	v_dual_mov_b32 v6, s20 :: v_dual_add_nc_u32 v5, s13, v1
	s_add_i32 s18, s18, -1
	s_addk_i32 s13, 0x100
	s_cmp_lg_u32 s18, 0
	ds_load_b32 v5, v5
	ds_load_b32 v6, v6
	s_waitcnt lgkmcnt(0)
	v_fma_f32 v4, -v5, v6, v4
	s_cbranch_scc1 .LBB43_78
	s_branch .LBB43_70
.LBB43_79:
	s_waitcnt lgkmcnt(0)
	s_barrier
	buffer_gl0_inv
	s_and_saveexec_b32 s4, s14
	s_cbranch_execz .LBB43_86
; %bb.80:
	s_cmp_lt_i32 s6, 8
	s_mov_b32 s4, 0
	s_cbranch_scc1 .LBB43_83
; %bb.81:
	v_mad_i64_i32 v[1:2], null, s16, v0, 0
	v_lshl_or_b32 v3, v0, 2, 0x4000
	s_lshl_b32 s4, s15, 2
	s_delay_alu instid0(VALU_DEP_2) | instskip(NEXT) | instid1(VALU_DEP_1)
	v_lshlrev_b64 v[1:2], 2, v[1:2]
	v_add_co_u32 v1, vcc_lo, s5, v1
	s_delay_alu instid0(VALU_DEP_2)
	v_add_co_ci_u32_e32 v2, vcc_lo, s7, v2, vcc_lo
	s_and_b32 s5, s4, 0x1e0
	s_mov_b32 s4, 0
	s_mov_b64 s[6:7], 0
	.p2align	6
.LBB43_82:                              ; =>This Inner Loop Header: Depth=1
	ds_load_2addr_stride64_b32 v[4:5], v3 offset1:1
	ds_load_2addr_stride64_b32 v[6:7], v3 offset0:2 offset1:3
	ds_load_2addr_stride64_b32 v[8:9], v3 offset0:4 offset1:5
	;; [unrolled: 1-line block ×3, first 2 shown]
	v_add_co_u32 v12, vcc_lo, v1, s6
	v_add_co_ci_u32_e32 v13, vcc_lo, s7, v2, vcc_lo
	s_add_i32 s4, s4, 8
	v_add_nc_u32_e32 v3, 0x800, v3
	s_add_u32 s6, s6, 32
	s_addc_u32 s7, s7, 0
	s_cmp_lg_u32 s5, s6
	s_waitcnt lgkmcnt(2)
	global_store_b128 v[12:13], v[4:7], off
	s_waitcnt lgkmcnt(0)
	global_store_b128 v[12:13], v[8:11], off offset:16
	s_cbranch_scc1 .LBB43_82
.LBB43_83:
	s_and_b32 s6, s15, 7
	s_mov_b32 s5, 0
	s_cmp_eq_u32 s6, 0
	s_cbranch_scc1 .LBB43_86
; %bb.84:
	v_lshlrev_b32_e32 v2, 2, v0
	s_lshl_b64 s[8:9], s[8:9], 2
	s_lshl_b64 s[10:11], s[4:5], 2
	s_delay_alu instid0(SALU_CYCLE_1) | instskip(NEXT) | instid1(VALU_DEP_1)
	s_add_u32 s2, s2, s10
	v_add_co_u32 v3, s5, s8, v2
	s_delay_alu instid0(VALU_DEP_1) | instskip(SKIP_3) | instid1(VALU_DEP_1)
	v_add_co_ci_u32_e64 v4, null, s9, 0, s5
	s_addc_u32 s3, s3, s11
	s_add_u32 s0, s2, s0
	s_addc_u32 s1, s3, s1
	v_mul_lo_u32 v4, v4, s16
	v_mad_u64_u32 v[0:1], null, v3, s16, s[0:1]
	v_mul_lo_u32 v3, v3, s17
	v_lshl_or_b32 v2, s4, 8, v2
	s_delay_alu instid0(VALU_DEP_1) | instskip(NEXT) | instid1(VALU_DEP_3)
	v_add_nc_u32_e32 v2, 0x4000, v2
	v_add3_u32 v1, v4, v1, v3
.LBB43_85:                              ; =>This Inner Loop Header: Depth=1
	ds_load_b32 v3, v2
	v_add_nc_u32_e32 v2, 0x100, v2
	s_add_i32 s6, s6, -1
	s_delay_alu instid0(SALU_CYCLE_1)
	s_cmp_lg_u32 s6, 0
	s_waitcnt lgkmcnt(0)
	global_store_b32 v[0:1], v3, off
	v_add_co_u32 v0, vcc_lo, v0, 4
	v_add_co_ci_u32_e32 v1, vcc_lo, 0, v1, vcc_lo
	s_cbranch_scc1 .LBB43_85
.LBB43_86:
	s_nop 0
	s_sendmsg sendmsg(MSG_DEALLOC_VGPRS)
	s_endpgm
	.section	.rodata,"a",@progbits
	.p2align	6, 0x0
	.amdhsa_kernel _ZL38rocblas_trsm_small_left_device_sharedBILi64ELi32ELb1EffPKPKfPKPfEv13rocblas_fill_18rocblas_operation_17rocblas_diagonal_iiT3_T4_lilT5_lili
		.amdhsa_group_segment_fixed_size 32768
		.amdhsa_private_segment_fixed_size 0
		.amdhsa_kernarg_size 352
		.amdhsa_user_sgpr_count 14
		.amdhsa_user_sgpr_dispatch_ptr 0
		.amdhsa_user_sgpr_queue_ptr 0
		.amdhsa_user_sgpr_kernarg_segment_ptr 1
		.amdhsa_user_sgpr_dispatch_id 0
		.amdhsa_user_sgpr_private_segment_size 0
		.amdhsa_wavefront_size32 1
		.amdhsa_uses_dynamic_stack 0
		.amdhsa_enable_private_segment 0
		.amdhsa_system_sgpr_workgroup_id_x 1
		.amdhsa_system_sgpr_workgroup_id_y 0
		.amdhsa_system_sgpr_workgroup_id_z 1
		.amdhsa_system_sgpr_workgroup_info 0
		.amdhsa_system_vgpr_workitem_id 0
		.amdhsa_next_free_vgpr 195
		.amdhsa_next_free_sgpr 48
		.amdhsa_reserve_vcc 1
		.amdhsa_float_round_mode_32 0
		.amdhsa_float_round_mode_16_64 0
		.amdhsa_float_denorm_mode_32 3
		.amdhsa_float_denorm_mode_16_64 3
		.amdhsa_dx10_clamp 1
		.amdhsa_ieee_mode 1
		.amdhsa_fp16_overflow 0
		.amdhsa_workgroup_processor_mode 1
		.amdhsa_memory_ordered 1
		.amdhsa_forward_progress 0
		.amdhsa_shared_vgpr_count 0
		.amdhsa_exception_fp_ieee_invalid_op 0
		.amdhsa_exception_fp_denorm_src 0
		.amdhsa_exception_fp_ieee_div_zero 0
		.amdhsa_exception_fp_ieee_overflow 0
		.amdhsa_exception_fp_ieee_underflow 0
		.amdhsa_exception_fp_ieee_inexact 0
		.amdhsa_exception_int_div_zero 0
	.end_amdhsa_kernel
	.section	.text._ZL38rocblas_trsm_small_left_device_sharedBILi64ELi32ELb1EffPKPKfPKPfEv13rocblas_fill_18rocblas_operation_17rocblas_diagonal_iiT3_T4_lilT5_lili,"axG",@progbits,_ZL38rocblas_trsm_small_left_device_sharedBILi64ELi32ELb1EffPKPKfPKPfEv13rocblas_fill_18rocblas_operation_17rocblas_diagonal_iiT3_T4_lilT5_lili,comdat
.Lfunc_end43:
	.size	_ZL38rocblas_trsm_small_left_device_sharedBILi64ELi32ELb1EffPKPKfPKPfEv13rocblas_fill_18rocblas_operation_17rocblas_diagonal_iiT3_T4_lilT5_lili, .Lfunc_end43-_ZL38rocblas_trsm_small_left_device_sharedBILi64ELi32ELb1EffPKPKfPKPfEv13rocblas_fill_18rocblas_operation_17rocblas_diagonal_iiT3_T4_lilT5_lili
                                        ; -- End function
	.section	.AMDGPU.csdata,"",@progbits
; Kernel info:
; codeLenInByte = 23760
; NumSgprs: 50
; NumVgprs: 195
; ScratchSize: 0
; MemoryBound: 0
; FloatMode: 240
; IeeeMode: 1
; LDSByteSize: 32768 bytes/workgroup (compile time only)
; SGPRBlocks: 6
; VGPRBlocks: 24
; NumSGPRsForWavesPerEU: 50
; NumVGPRsForWavesPerEU: 195
; Occupancy: 2
; WaveLimiterHint : 1
; COMPUTE_PGM_RSRC2:SCRATCH_EN: 0
; COMPUTE_PGM_RSRC2:USER_SGPR: 14
; COMPUTE_PGM_RSRC2:TRAP_HANDLER: 0
; COMPUTE_PGM_RSRC2:TGID_X_EN: 1
; COMPUTE_PGM_RSRC2:TGID_Y_EN: 0
; COMPUTE_PGM_RSRC2:TGID_Z_EN: 1
; COMPUTE_PGM_RSRC2:TIDIG_COMP_CNT: 0
	.section	.text._ZL30rocblas_trsm_small_left_deviceILi64ELi32ELb1EffPKPKfPKPfEv13rocblas_fill_18rocblas_operation_17rocblas_diagonal_iiT3_T4_lilT5_lili,"axG",@progbits,_ZL30rocblas_trsm_small_left_deviceILi64ELi32ELb1EffPKPKfPKPfEv13rocblas_fill_18rocblas_operation_17rocblas_diagonal_iiT3_T4_lilT5_lili,comdat
	.globl	_ZL30rocblas_trsm_small_left_deviceILi64ELi32ELb1EffPKPKfPKPfEv13rocblas_fill_18rocblas_operation_17rocblas_diagonal_iiT3_T4_lilT5_lili ; -- Begin function _ZL30rocblas_trsm_small_left_deviceILi64ELi32ELb1EffPKPKfPKPfEv13rocblas_fill_18rocblas_operation_17rocblas_diagonal_iiT3_T4_lilT5_lili
	.p2align	8
	.type	_ZL30rocblas_trsm_small_left_deviceILi64ELi32ELb1EffPKPKfPKPfEv13rocblas_fill_18rocblas_operation_17rocblas_diagonal_iiT3_T4_lilT5_lili,@function
_ZL30rocblas_trsm_small_left_deviceILi64ELi32ELb1EffPKPKfPKPfEv13rocblas_fill_18rocblas_operation_17rocblas_diagonal_iiT3_T4_lilT5_lili: ; @_ZL30rocblas_trsm_small_left_deviceILi64ELi32ELb1EffPKPKfPKPfEv13rocblas_fill_18rocblas_operation_17rocblas_diagonal_iiT3_T4_lilT5_lili
; %bb.0:
	s_clause 0x1
	s_load_b128 s[8:11], s[0:1], 0x38
	s_load_b128 s[4:7], s[0:1], 0x4
	s_mov_b32 s12, s15
	s_mov_b32 s13, 0
	s_delay_alu instid0(SALU_CYCLE_1)
	s_lshl_b64 s[22:23], s[12:13], 3
	s_waitcnt lgkmcnt(0)
	s_add_u32 s2, s8, s22
	s_addc_u32 s3, s9, s23
	s_load_b32 s15, s[0:1], 0x14
	s_load_b64 s[2:3], s[2:3], 0x0
	s_min_i32 s28, s6, 64
	s_mov_b32 s9, exec_lo
	s_add_i32 s8, s28, -1
	v_cmpx_gt_i32_e64 s28, v0
	s_cbranch_execz .LBB44_10
; %bb.1:
	s_clause 0x1
	s_load_b32 s20, s[0:1], 0x28
	s_load_b128 s[16:19], s[0:1], 0x18
	v_lshlrev_b32_e32 v3, 2, v0
	s_waitcnt lgkmcnt(0)
	s_ashr_i32 s21, s20, 31
	s_add_u32 s16, s16, s22
	s_addc_u32 s17, s17, s23
	s_cmp_lt_u32 s8, 3
	s_load_b64 s[16:17], s[16:17], 0x0
	s_cbranch_scc1 .LBB44_4
; %bb.2:
	s_lshl_b64 s[12:13], s[18:19], 2
	v_mov_b32_e32 v4, v3
	s_waitcnt lgkmcnt(0)
	s_add_u32 s12, s16, s12
	s_addc_u32 s13, s17, s13
	v_add_co_u32 v1, s12, s12, v3
	s_delay_alu instid0(VALU_DEP_1)
	v_add_co_ci_u32_e64 v2, null, s13, 0, s12
	s_and_b32 s13, s28, -4
	s_mul_hi_i32 s12, s20, 12
	s_mul_i32 s29, s20, 12
	s_lshl_b64 s[22:23], s[20:21], 4
	s_lshl_b64 s[24:25], s[20:21], 3
	;; [unrolled: 1-line block ×3, first 2 shown]
	s_mov_b32 s30, 0
	.p2align	6
.LBB44_3:                               ; =>This Inner Loop Header: Depth=1
	v_add_co_u32 v5, vcc_lo, v1, s26
	v_add_co_ci_u32_e32 v6, vcc_lo, s27, v2, vcc_lo
	v_add_co_u32 v7, vcc_lo, v1, s24
	v_add_co_ci_u32_e32 v8, vcc_lo, s25, v2, vcc_lo
	;; [unrolled: 2-line block ×3, first 2 shown]
	s_clause 0x3
	global_load_b32 v11, v[1:2], off
	global_load_b32 v5, v[5:6], off
	;; [unrolled: 1-line block ×4, first 2 shown]
	v_add_co_u32 v1, vcc_lo, v1, s22
	v_add_co_ci_u32_e32 v2, vcc_lo, s23, v2, vcc_lo
	s_add_i32 s30, s30, 4
	s_waitcnt vmcnt(2)
	ds_store_2addr_stride64_b32 v4, v11, v5 offset1:1
	s_waitcnt vmcnt(0)
	ds_store_2addr_stride64_b32 v4, v6, v7 offset0:2 offset1:3
	v_add_nc_u32_e32 v4, 0x400, v4
	s_cmp_eq_u32 s13, s30
	s_cbranch_scc0 .LBB44_3
.LBB44_4:
	s_and_b32 s22, s28, 3
	s_delay_alu instid0(SALU_CYCLE_1)
	s_cmp_eq_u32 s22, 0
	s_cbranch_scc1 .LBB44_7
; %bb.5:
	s_mul_i32 s12, s21, s13
	s_mul_hi_u32 s23, s20, s13
	s_mul_i32 s24, s20, s13
	s_add_i32 s25, s23, s12
	s_lshl_b64 s[18:19], s[18:19], 2
	s_lshl_b64 s[24:25], s[24:25], 2
	v_lshl_or_b32 v4, s13, 8, v3
	s_add_u32 s12, s24, s18
	s_addc_u32 s13, s25, s19
	s_waitcnt lgkmcnt(0)
	s_add_u32 s12, s16, s12
	s_addc_u32 s13, s17, s13
	v_add_co_u32 v1, s12, s12, v3
	s_delay_alu instid0(VALU_DEP_1)
	v_add_co_ci_u32_e64 v2, null, s13, 0, s12
	s_lshl_b64 s[12:13], s[20:21], 2
.LBB44_6:                               ; =>This Inner Loop Header: Depth=1
	global_load_b32 v3, v[1:2], off
	v_add_co_u32 v1, vcc_lo, v1, s12
	v_add_co_ci_u32_e32 v2, vcc_lo, s13, v2, vcc_lo
	s_add_i32 s22, s22, -1
	s_delay_alu instid0(SALU_CYCLE_1)
	s_cmp_lg_u32 s22, 0
	s_waitcnt vmcnt(0)
	ds_store_b32 v4, v3
	v_add_nc_u32_e32 v4, 0x100, v4
	s_cbranch_scc1 .LBB44_6
.LBB44_7:
	v_mul_u32_u24_e32 v1, 0x41, v0
	s_cmpk_lg_i32 s5, 0x84
	s_delay_alu instid0(VALU_DEP_1)
	v_dual_mov_b32 v2, 1.0 :: v_dual_lshlrev_b32 v1, 2, v1
	s_cbranch_scc0 .LBB44_9
; %bb.8:
	ds_load_b32 v2, v1
	s_waitcnt lgkmcnt(0)
	v_div_scale_f32 v3, null, v2, v2, 1.0
	s_delay_alu instid0(VALU_DEP_1) | instskip(SKIP_2) | instid1(VALU_DEP_1)
	v_rcp_f32_e32 v4, v3
	s_waitcnt_depctr 0xfff
	v_fma_f32 v5, -v3, v4, 1.0
	v_fmac_f32_e32 v4, v5, v4
	v_div_scale_f32 v5, vcc_lo, 1.0, v2, 1.0
	s_delay_alu instid0(VALU_DEP_1) | instskip(NEXT) | instid1(VALU_DEP_1)
	v_mul_f32_e32 v6, v5, v4
	v_fma_f32 v7, -v3, v6, v5
	s_delay_alu instid0(VALU_DEP_1) | instskip(NEXT) | instid1(VALU_DEP_1)
	v_fmac_f32_e32 v6, v7, v4
	v_fma_f32 v3, -v3, v6, v5
	s_delay_alu instid0(VALU_DEP_1) | instskip(NEXT) | instid1(VALU_DEP_1)
	v_div_fmas_f32 v3, v3, v4, v6
	v_div_fixup_f32 v2, v3, v2, 1.0
.LBB44_9:
	ds_store_b32 v1, v2
.LBB44_10:
	s_or_b32 exec_lo, exec_lo, s9
	s_load_b32 s5, s[0:1], 0x60
	s_lshl_b32 s9, s14, 6
	s_waitcnt lgkmcnt(0)
	s_sub_i32 s7, s7, s9
	s_barrier
	buffer_gl0_inv
	s_add_i32 s5, s5, -1
	s_delay_alu instid0(SALU_CYCLE_1) | instskip(SKIP_1) | instid1(SALU_CYCLE_1)
	s_cmp_ge_u32 s14, s5
	s_cselect_b32 s5, s7, 64
	v_cmp_gt_i32_e32 vcc_lo, s5, v0
	s_mov_b32 s5, -1
	s_and_saveexec_b32 s7, vcc_lo
	s_cbranch_execz .LBB44_77
; %bb.11:
	s_load_b32 s0, s[0:1], 0x48
	v_add_nc_u32_e32 v2, s9, v0
	s_waitcnt lgkmcnt(0)
	s_delay_alu instid0(VALU_DEP_1) | instskip(SKIP_1) | instid1(SALU_CYCLE_1)
	v_mad_i64_i32 v[0:1], null, s0, v2, 0
	s_lshl_b64 s[0:1], s[10:11], 2
	s_add_u32 s7, s2, s0
	s_addc_u32 s9, s3, s1
	s_cmpk_eq_i32 s4, 0x6f
	s_delay_alu instid0(VALU_DEP_1) | instskip(NEXT) | instid1(VALU_DEP_1)
	v_lshlrev_b64 v[34:35], 2, v[0:1]
	v_add_co_u32 v32, vcc_lo, s7, v34
	s_delay_alu instid0(VALU_DEP_2)
	v_add_co_ci_u32_e32 v33, vcc_lo, s9, v35, vcc_lo
	s_cbranch_scc1 .LBB44_44
; %bb.12:
	s_cmp_gt_i32 s6, 31
	s_mov_b32 s10, s8
	s_cbranch_scc0 .LBB44_18
; %bb.13:
	s_ashr_i32 s9, s8, 31
	s_mul_i32 s7, s28, 0x104
	s_lshl_b64 s[4:5], s[8:9], 2
	s_addk_i32 s7, 0xdffc
	s_add_u32 s4, s2, s4
	s_addc_u32 s5, s3, s5
	s_add_u32 s4, s4, s0
	s_addc_u32 s5, s5, s1
	v_add_co_u32 v28, vcc_lo, s4, v34
	v_add_co_ci_u32_e32 v29, vcc_lo, s5, v35, vcc_lo
	s_mov_b32 s4, s8
.LBB44_14:                              ; =>This Loop Header: Depth=1
                                        ;     Child Loop BB44_15 Depth 2
	s_delay_alu instid0(SALU_CYCLE_1)
	s_ashr_i32 s5, s4, 31
	s_mov_b32 s9, s8
	s_lshl_b64 s[10:11], s[4:5], 2
	s_cmp_le_i32 s8, s4
	v_add_co_u32 v30, vcc_lo, v32, s10
	v_add_co_ci_u32_e32 v31, vcc_lo, s11, v33, vcc_lo
	s_mov_b32 s5, s7
	s_clause 0x7
	global_load_b128 v[0:3], v[30:31], off offset:-12
	global_load_b128 v[4:7], v[30:31], off offset:-28
	;; [unrolled: 1-line block ×8, first 2 shown]
	s_waitcnt vmcnt(7)
	v_mul_f32_e32 v3, s15, v3
	v_dual_mul_f32 v41, s15, v2 :: v_dual_mul_f32 v40, s15, v0
	s_waitcnt vmcnt(6)
	v_dual_mul_f32 v2, s15, v1 :: v_dual_mul_f32 v39, s15, v7
	v_dual_mul_f32 v7, s15, v6 :: v_dual_mul_f32 v38, s15, v4
	s_waitcnt vmcnt(5)
	v_dual_mul_f32 v6, s15, v5 :: v_dual_mul_f32 v5, s15, v11
	;; [unrolled: 3-line block ×7, first 2 shown]
	v_dual_mul_f32 v36, s15, v43 :: v_dual_mul_f32 v25, s15, v44
	v_mul_f32_e32 v24, s15, v42
	v_dual_mov_b32 v0, v28 :: v_dual_mov_b32 v1, v29
	s_cbranch_scc1 .LBB44_16
.LBB44_15:                              ;   Parent Loop BB44_14 Depth=1
                                        ; =>  This Inner Loop Header: Depth=2
	global_load_b32 v74, v[0:1], off
	v_mov_b32_e32 v72, s5
	v_add_co_u32 v0, vcc_lo, v0, -4
	v_add_co_ci_u32_e32 v1, vcc_lo, -1, v1, vcc_lo
	ds_load_2addr_stride64_b32 v[42:43], v72 offset0:30 offset1:31
	ds_load_2addr_stride64_b32 v[44:45], v72 offset0:28 offset1:29
	;; [unrolled: 1-line block ×15, first 2 shown]
	ds_load_2addr_stride64_b32 v[72:73], v72 offset1:1
	s_add_i32 s9, s9, -1
	s_add_i32 s5, s5, -4
	s_cmp_gt_i32 s9, s4
	s_waitcnt vmcnt(0) lgkmcnt(15)
	v_fma_f32 v3, -v74, v43, v3
	v_fma_f32 v41, -v74, v42, v41
	s_waitcnt lgkmcnt(14)
	v_fma_f32 v2, -v74, v45, v2
	v_fma_f32 v40, -v74, v44, v40
	s_waitcnt lgkmcnt(13)
	;; [unrolled: 3-line block ×15, first 2 shown]
	v_fma_f32 v36, -v74, v73, v36
	v_fma_f32 v24, -v74, v72, v24
	s_cbranch_scc1 .LBB44_15
.LBB44_16:                              ;   in Loop: Header=BB44_14 Depth=1
	s_mul_i32 s5, s4, 0x104
	s_lshl_b32 s9, s4, 6
	s_add_i32 s10, s5, 0xfffffefc
	s_delay_alu instid0(SALU_CYCLE_1)
	v_dual_mov_b32 v0, s5 :: v_dual_mov_b32 v1, s10
	s_add_i32 s9, s9, s4
	s_add_i32 s11, s5, 0xfffffdf8
	s_lshl_b32 s9, s9, 2
	ds_load_b32 v48, v0
	s_add_i32 s10, s9, 0xfffffe00
	s_add_i32 s12, s5, 0xfffffbf0
	s_delay_alu instid0(SALU_CYCLE_1) | instskip(SKIP_1) | instid1(SALU_CYCLE_1)
	v_dual_mov_b32 v44, s11 :: v_dual_mov_b32 v51, s12
	s_add_i32 s11, s9, 0xfffffc00
	v_dual_mov_b32 v42, s10 :: v_dual_mov_b32 v49, s11
	s_add_i32 s13, s9, 0xfffffcfc
	s_add_i32 s10, s5, 0xfffffcf4
	;; [unrolled: 1-line block ×3, first 2 shown]
	ds_load_b32 v50, v42
	ds_load_2addr_b32 v[0:1], v1 offset1:1
	v_mov_b32_e32 v42, s13
	s_add_i32 s12, s9, 0xfffff9fc
	s_add_i32 s13, s9, 0xfffff2fc
	s_addk_i32 s7, 0xe000
	s_waitcnt lgkmcnt(2)
	v_mul_f32_e32 v3, v48, v3
	ds_load_2addr_b32 v[42:43], v42 offset1:1
	ds_load_2addr_b32 v[44:45], v44 offset1:1
	v_mov_b32_e32 v48, s11
	s_add_i32 s11, s9, 0xfffffafc
	v_mov_b32_e32 v46, s10
	s_add_i32 s10, s5, 0xfffffaec
	s_waitcnt lgkmcnt(3)
	v_fma_f32 v55, -v3, v50, v2
	s_waitcnt lgkmcnt(2)
	v_fma_f32 v1, -v3, v1, v41
	v_mov_b32_e32 v41, s11
	ds_load_2addr_b32 v[46:47], v46 offset1:1
	ds_load_b32 v54, v49
	s_add_i32 s11, s9, 0xfffffaf4
	v_mul_f32_e32 v2, v0, v1
	s_waitcnt lgkmcnt(3)
	v_fma_f32 v1, -v3, v43, v40
	s_waitcnt lgkmcnt(2)
	s_delay_alu instid0(VALU_DEP_2)
	v_fma_f32 v43, -v2, v45, v55
	v_mov_b32_e32 v45, s11
	ds_load_2addr_b32 v[48:49], v48 offset1:1
	ds_load_2addr_b32 v[50:51], v51 offset1:1
	;; [unrolled: 1-line block ×3, first 2 shown]
	v_mov_b32_e32 v0, s12
	s_add_i32 s12, s9, 0xfffff8e8
	s_add_i32 s11, s9, 0xfffff9f4
	ds_load_2addr_b32 v[40:41], v0 offset1:1
	s_waitcnt lgkmcnt(4)
	v_fma_f32 v0, -v3, v54, v39
	v_fma_f32 v39, -v2, v42, v1
	v_mul_f32_e32 v1, v44, v43
	ds_load_2addr_b32 v[42:43], v45 offset1:1
	v_mov_b32_e32 v54, s11
	s_add_i32 s11, s9, 0xfffff8f0
	v_fma_f32 v39, -v1, v47, v39
	s_waitcnt lgkmcnt(4)
	v_fma_f32 v47, -v2, v49, v0
	s_waitcnt lgkmcnt(2)
	v_fma_f32 v7, -v3, v53, v7
	v_mul_f32_e32 v0, v46, v39
	s_delay_alu instid0(VALU_DEP_3) | instskip(SKIP_2) | instid1(VALU_DEP_2)
	v_fma_f32 v39, -v1, v48, v47
	s_waitcnt lgkmcnt(1)
	v_fma_f32 v6, -v3, v41, v6
	v_fma_f32 v39, -v0, v51, v39
	v_mov_b32_e32 v44, s10
	s_add_i32 s10, s9, 0xfffff9ec
	s_delay_alu instid0(SALU_CYCLE_1)
	v_mov_b32_e32 v49, s10
	v_fma_f32 v7, -v2, v52, v7
	s_add_i32 s10, s9, 0xfffff900
	v_fma_f32 v6, -v2, v40, v6
	v_mov_b32_e32 v40, s10
	s_add_i32 s10, s9, 0xfffff8f8
	s_waitcnt lgkmcnt(0)
	v_fma_f32 v41, -v1, v43, v7
	v_mul_f32_e32 v7, v50, v39
	ds_load_2addr_b32 v[44:45], v44 offset1:1
	ds_load_2addr_b32 v[54:55], v54 offset1:1
	;; [unrolled: 1-line block ×3, first 2 shown]
	ds_load_b32 v48, v40
	v_mov_b32_e32 v43, s12
	v_fma_f32 v39, -v0, v42, v41
	s_add_i32 s12, s9, 0xfffff7e4
	s_delay_alu instid0(SALU_CYCLE_1)
	v_mov_b32_e32 v51, s12
	s_add_i32 s12, s5, 0xfffff3d0
	s_waitcnt lgkmcnt(3)
	v_fma_f32 v41, -v7, v45, v39
	s_waitcnt lgkmcnt(2)
	v_fma_f32 v6, -v1, v55, v6
	;; [unrolled: 2-line block ×3, first 2 shown]
	s_delay_alu instid0(VALU_DEP_2) | instskip(SKIP_3) | instid1(VALU_DEP_3)
	v_fma_f32 v42, -v0, v54, v6
	v_dual_mul_f32 v6, v44, v41 :: v_dual_mov_b32 v41, s11
	s_add_i32 s11, s9, 0xfffff7fc
	v_mov_b32_e32 v40, s10
	v_fma_f32 v45, -v7, v47, v42
	v_mov_b32_e32 v47, s11
	s_add_i32 s10, s5, 0xfffff9e8
	s_add_i32 s11, s9, 0xfffff6f8
	ds_load_2addr_b32 v[39:40], v40 offset1:1
	ds_load_2addr_b32 v[41:42], v41 offset1:1
	;; [unrolled: 1-line block ×4, first 2 shown]
	v_mov_b32_e32 v49, s10
	s_add_i32 s10, s9, 0xfffff7f4
	s_delay_alu instid0(SALU_CYCLE_1)
	v_mov_b32_e32 v50, s10
	s_add_i32 s10, s9, 0xfffff700
	ds_load_b32 v56, v49
	v_mov_b32_e32 v49, s11
	v_fma_f32 v55, -v6, v46, v45
	ds_load_2addr_b32 v[45:46], v50 offset1:1
	s_add_i32 s11, s9, 0xfffff6f0
	s_waitcnt lgkmcnt(5)
	v_fma_f32 v38, -v2, v40, v38
	v_mov_b32_e32 v40, s10
	s_add_i32 s10, s9, 0xfffff7ec
	s_delay_alu instid0(SALU_CYCLE_1) | instskip(SKIP_4) | instid1(SALU_CYCLE_1)
	v_mov_b32_e32 v50, s10
	s_add_i32 s10, s5, 0xfffff8e4
	v_fma_f32 v53, -v1, v39, v38
	v_mov_b32_e32 v54, s10
	s_add_i32 s10, s9, 0xfffff6e8
	v_mov_b32_e32 v57, s10
	ds_load_b32 v40, v40
	s_waitcnt lgkmcnt(3)
	v_fma_f32 v5, -v3, v48, v5
	v_mov_b32_e32 v48, s11
	v_fma_f32 v42, -v0, v42, v53
	s_add_i32 s10, s9, 0xfffff5fc
	s_add_i32 s11, s9, 0xfffff5e4
	v_fma_f32 v5, -v2, v47, v5
	s_waitcnt lgkmcnt(1)
	s_delay_alu instid0(VALU_DEP_1)
	v_fma_f32 v46, -v1, v46, v5
	v_mul_f32_e32 v5, v56, v55
	ds_load_2addr_b32 v[38:39], v49 offset1:1
	ds_load_2addr_b32 v[49:50], v50 offset1:1
	;; [unrolled: 1-line block ×3, first 2 shown]
	s_waitcnt lgkmcnt(3)
	v_fma_f32 v4, -v3, v40, v4
	v_fma_f32 v40, -v7, v41, v42
	;; [unrolled: 1-line block ×3, first 2 shown]
	v_mov_b32_e32 v45, s11
	s_add_i32 s11, s9, 0xfffff6e0
	s_delay_alu instid0(VALU_DEP_3)
	v_fma_f32 v40, -v6, v44, v40
	s_waitcnt lgkmcnt(2)
	v_fma_f32 v4, -v2, v39, v4
	v_mov_b32_e32 v39, s10
	ds_load_2addr_b32 v[47:48], v48 offset1:1
	ds_load_b32 v58, v54
	s_add_i32 s10, s5, 0xfffff7e0
	s_waitcnt lgkmcnt(3)
	v_fma_f32 v41, -v7, v50, v41
	v_mov_b32_e32 v42, s10
	v_fma_f32 v4, -v1, v38, v4
	ds_load_2addr_b32 v[38:39], v39 offset1:1
	v_fma_f32 v40, -v5, v43, v40
	v_fma_f32 v41, -v6, v49, v41
	ds_load_b32 v46, v42
	v_mov_b32_e32 v50, s11
	s_add_i32 s11, s9, 0xfffff4f4
	ds_load_2addr_b32 v[53:54], v57 offset1:1
	s_waitcnt lgkmcnt(5)
	v_fma_f32 v44, -v5, v52, v41
	s_add_i32 s10, s9, 0xfffff5f4
	s_waitcnt lgkmcnt(4)
	v_fma_f32 v43, -v0, v48, v4
	s_waitcnt lgkmcnt(3)
	v_mul_f32_e32 v4, v58, v40
	s_delay_alu instid0(VALU_DEP_2) | instskip(NEXT) | instid1(VALU_DEP_2)
	v_fma_f32 v43, -v7, v47, v43
	v_fma_f32 v47, -v4, v51, v44
	v_mov_b32_e32 v42, s10
	s_waitcnt lgkmcnt(2)
	v_fma_f32 v39, -v3, v39, v11
	s_add_i32 s10, s9, 0xfffff5ec
	s_waitcnt lgkmcnt(1)
	v_mul_f32_e32 v11, v46, v47
	ds_load_2addr_b32 v[40:41], v42 offset1:1
	v_mov_b32_e32 v42, s10
	s_waitcnt lgkmcnt(1)
	v_fma_f32 v48, -v6, v54, v43
	s_add_i32 s10, s9, 0xfffff4fc
	v_fma_f32 v51, -v2, v38, v39
	v_mov_b32_e32 v49, s10
	s_add_i32 s10, s5, 0xfffff6dc
	v_fma_f32 v54, -v5, v53, v48
	v_mov_b32_e32 v48, s10
	s_add_i32 s10, s9, 0xfffff5dc
	s_waitcnt lgkmcnt(0)
	v_fma_f32 v41, -v1, v41, v51
	v_mov_b32_e32 v51, s10
	ds_load_2addr_b32 v[42:43], v42 offset1:1
	ds_load_2addr_b32 v[44:45], v45 offset1:1
	;; [unrolled: 1-line block ×4, first 2 shown]
	v_mov_b32_e32 v49, s11
	v_fma_f32 v50, -v0, v40, v41
	s_add_i32 s10, s9, 0xfffff4ec
	s_add_i32 s11, s9, 0xfffff4e4
	v_mov_b32_e32 v52, s10
	ds_load_2addr_b32 v[40:41], v49 offset1:1
	s_add_i32 s10, s9, 0xfffff400
	v_mov_b32_e32 v53, s11
	s_add_i32 s11, s5, 0xfffff4d4
	s_waitcnt lgkmcnt(4)
	v_fma_f32 v43, -v7, v43, v50
	s_waitcnt lgkmcnt(2)
	v_fma_f32 v10, -v3, v39, v10
	v_mov_b32_e32 v39, s10
	s_add_i32 s10, s9, 0xfffff3f8
	ds_load_b32 v55, v48
	v_fma_f32 v42, -v6, v42, v43
	v_fma_f32 v10, -v2, v38, v10
	v_mov_b32_e32 v38, s10
	s_add_i32 s10, s5, 0xfffff5d8
	s_waitcnt lgkmcnt(2)
	v_fma_f32 v47, -v4, v47, v54
	v_fma_f32 v42, -v5, v45, v42
	s_waitcnt lgkmcnt(1)
	v_fma_f32 v10, -v1, v41, v10
	v_mov_b32_e32 v41, s10
	ds_load_2addr_b32 v[48:49], v51 offset1:1
	ds_load_2addr_b32 v[50:51], v52 offset1:1
	;; [unrolled: 1-line block ×3, first 2 shown]
	ds_load_b32 v43, v39
	v_fma_f32 v45, -v11, v46, v47
	v_fma_f32 v40, -v0, v40, v10
	;; [unrolled: 1-line block ×3, first 2 shown]
	s_add_i32 s10, s9, 0xfffff4dc
	ds_load_b32 v44, v41
	s_waitcnt lgkmcnt(4)
	v_fma_f32 v41, -v11, v49, v42
	s_waitcnt lgkmcnt(3)
	v_fma_f32 v40, -v7, v51, v40
	;; [unrolled: 2-line block ×3, first 2 shown]
	s_delay_alu instid0(VALU_DEP_2) | instskip(SKIP_2) | instid1(SALU_CYCLE_1)
	v_fma_f32 v46, -v6, v50, v40
	v_mov_b32_e32 v40, s10
	s_add_i32 s10, s9, 0xfffff3f0
	v_dual_mul_f32 v10, v55, v45 :: v_dual_mov_b32 v43, s10
	s_delay_alu instid0(VALU_DEP_3) | instskip(SKIP_1) | instid1(VALU_DEP_2)
	v_fma_f32 v51, -v5, v53, v46
	s_add_i32 s10, s9, 0xfffff3e8
	v_fma_f32 v45, -v10, v48, v41
	v_mov_b32_e32 v41, s11
	ds_load_2addr_b32 v[38:39], v38 offset1:1
	v_mov_b32_e32 v49, s10
	s_add_i32 s10, s9, 0xfffff3d8
	v_fma_f32 v57, -v4, v52, v51
	v_mov_b32_e32 v54, s10
	s_add_i32 s10, s9, 0xfffff2f4
	s_add_i32 s11, s9, 0xfffff3e0
	v_mov_b32_e32 v55, s10
	s_add_i32 s10, s9, 0xfffff2ec
	s_waitcnt lgkmcnt(0)
	v_fma_f32 v47, -v2, v39, v9
	v_mul_f32_e32 v9, v44, v45
	ds_load_2addr_b32 v[39:40], v40 offset1:1
	ds_load_2addr_b32 v[41:42], v41 offset1:1
	;; [unrolled: 1-line block ×3, first 2 shown]
	v_mov_b32_e32 v45, s12
	v_fma_f32 v38, -v1, v38, v47
	v_mov_b32_e32 v47, s13
	s_add_i32 s12, s9, 0xffffedf8
	s_add_i32 s13, s9, 0xffffe4c4
	s_waitcnt lgkmcnt(2)
	v_fma_f32 v40, -v11, v40, v57
	s_waitcnt lgkmcnt(0)
	v_fma_f32 v38, -v0, v44, v38
	v_mov_b32_e32 v44, s10
	s_add_i32 s10, s9, 0xfffff200
	ds_load_2addr_b32 v[45:46], v45 offset1:1
	ds_load_2addr_b32 v[47:48], v47 offset1:1
	v_mov_b32_e32 v57, s10
	s_add_i32 s10, s9, 0xfffff1f8
	v_fma_f32 v38, -v7, v43, v38
	v_mov_b32_e32 v58, s10
	ds_load_2addr_b32 v[49:50], v49 offset1:1
	v_fma_f32 v59, -v10, v39, v40
	s_add_i32 s10, s9, 0xfffff2e4
	s_delay_alu instid0(VALU_DEP_1) | instskip(SKIP_4) | instid1(VALU_DEP_2)
	v_fma_f32 v42, -v9, v42, v59
	s_waitcnt lgkmcnt(1)
	v_fma_f32 v15, -v3, v48, v15
	s_waitcnt lgkmcnt(0)
	v_fma_f32 v40, -v6, v50, v38
	v_fma_f32 v15, -v2, v47, v15
	v_mov_b32_e32 v47, s10
	s_add_i32 s10, s9, 0xfffff1f0
	s_delay_alu instid0(VALU_DEP_3)
	v_fma_f32 v40, -v5, v49, v40
	v_mov_b32_e32 v49, s10
	s_add_i32 s10, s9, 0xfffff1e8
	v_mov_b32_e32 v53, s11
	ds_load_2addr_b32 v[51:52], v53 offset1:1
	ds_load_2addr_b32 v[53:54], v54 offset1:1
	;; [unrolled: 1-line block ×3, first 2 shown]
	ds_load_b32 v57, v57
	ds_load_2addr_b32 v[43:44], v44 offset1:1
	ds_load_2addr_b32 v[47:48], v47 offset1:1
	;; [unrolled: 1-line block ×4, first 2 shown]
	s_add_i32 s11, s5, 0xfffff2cc
	s_waitcnt lgkmcnt(7)
	v_fma_f32 v52, -v4, v52, v40
	s_waitcnt lgkmcnt(5)
	v_fma_f32 v15, -v1, v56, v15
	v_mov_b32_e32 v56, s10
	s_add_i32 s10, s9, 0xfffff2dc
	s_waitcnt lgkmcnt(4)
	v_fma_f32 v8, -v3, v57, v8
	v_mov_b32_e32 v40, s10
	v_fma_f32 v15, -v0, v55, v15
	ds_load_2addr_b32 v[55:56], v56 offset1:1
	s_add_i32 s10, s9, 0xfffff2d4
	s_waitcnt lgkmcnt(1)
	v_fma_f32 v8, -v2, v39, v8
	ds_load_2addr_b32 v[39:40], v40 offset1:1
	v_fma_f32 v15, -v7, v44, v15
	v_mov_b32_e32 v44, s10
	s_add_i32 s10, s9, 0xfffff1e0
	v_fma_f32 v8, -v1, v38, v8
	v_fma_f32 v38, -v11, v51, v52
	;; [unrolled: 1-line block ×3, first 2 shown]
	s_delay_alu instid0(VALU_DEP_3) | instskip(NEXT) | instid1(VALU_DEP_3)
	v_fma_f32 v8, -v0, v50, v8
	v_fma_f32 v38, -v10, v54, v38
	s_delay_alu instid0(VALU_DEP_3)
	v_fma_f32 v15, -v5, v48, v15
	v_mov_b32_e32 v48, s10
	s_add_i32 s10, s9, 0xfffff0fc
	v_fma_f32 v49, -v7, v49, v8
	v_mov_b32_e32 v57, s11
	v_fma_f32 v15, -v4, v47, v15
	v_mul_f32_e32 v8, v41, v42
	s_add_i32 s11, s9, 0xfffff1d8
	s_waitcnt lgkmcnt(0)
	s_delay_alu instid0(VALU_DEP_2)
	v_fma_f32 v15, -v11, v40, v15
	v_mov_b32_e32 v40, s10
	ds_load_2addr_b32 v[43:44], v44 offset1:1
	ds_load_2addr_b32 v[51:52], v57 offset1:1
	;; [unrolled: 1-line block ×3, first 2 shown]
	v_fma_f32 v57, -v9, v53, v38
	v_fma_f32 v38, -v6, v56, v49
	ds_load_2addr_b32 v[47:48], v40 offset1:1
	s_add_i32 s10, s9, 0xfffff1d0
	v_fma_f32 v15, -v10, v39, v15
	v_fma_f32 v46, -v8, v46, v57
	v_fma_f32 v55, -v5, v55, v38
	v_mov_b32_e32 v38, s11
	s_add_i32 s11, s5, 0xfffff1c8
	s_delay_alu instid0(SALU_CYCLE_1)
	v_mov_b32_e32 v53, s11
	s_add_i32 s11, s9, 0xfffff0e4
	ds_load_2addr_b32 v[49:50], v38 offset1:1
	v_mov_b32_e32 v40, s10
	s_add_i32 s10, s9, 0xfffff0f4
	v_mov_b32_e32 v58, s11
	v_mov_b32_e32 v56, s10
	s_waitcnt lgkmcnt(4)
	v_fma_f32 v44, -v9, v44, v15
	v_mul_f32_e32 v15, v45, v46
	ds_load_2addr_b32 v[38:39], v40 offset1:1
	ds_load_2addr_b32 v[53:54], v53 offset1:1
	s_waitcnt lgkmcnt(4)
	v_fma_f32 v40, -v4, v42, v55
	s_add_i32 s10, s9, 0xfffff0ec
	ds_load_2addr_b32 v[55:56], v56 offset1:1
	v_mov_b32_e32 v42, s10
	s_waitcnt lgkmcnt(4)
	v_fma_f32 v14, -v3, v48, v14
	v_fma_f32 v59, -v11, v41, v40
	ds_load_2addr_b32 v[40:41], v42 offset1:1
	ds_load_2addr_b32 v[57:58], v58 offset1:1
	v_fma_f32 v42, -v8, v43, v44
	s_add_i32 s10, s9, 0xfffff000
	v_fma_f32 v14, -v2, v47, v14
	s_waitcnt lgkmcnt(5)
	v_fma_f32 v43, -v10, v50, v59
	v_mov_b32_e32 v44, s10
	s_add_i32 s10, s9, 0xffffeff8
	s_add_i32 s11, s9, 0xffffeef4
	v_mov_b32_e32 v46, s10
	v_fma_f32 v43, -v9, v49, v43
	s_add_i32 s10, s9, 0xfffff0dc
	v_fma_f32 v42, -v15, v52, v42
	ds_load_b32 v47, v44
	s_waitcnt lgkmcnt(5)
	v_fma_f32 v39, -v8, v39, v43
	s_waitcnt lgkmcnt(3)
	v_fma_f32 v45, -v1, v56, v14
	v_mul_f32_e32 v14, v51, v42
	ds_load_2addr_b32 v[42:43], v46 offset1:1
	v_fma_f32 v52, -v15, v38, v39
	v_mov_b32_e32 v38, s10
	s_add_i32 s10, s9, 0xffffeff0
	ds_load_2addr_b32 v[38:39], v38 offset1:1
	v_fma_f32 v44, -v0, v55, v45
	s_waitcnt lgkmcnt(4)
	s_delay_alu instid0(VALU_DEP_1)
	v_fma_f32 v41, -v7, v41, v44
	v_mov_b32_e32 v44, s10
	s_add_i32 s10, s9, 0xffffefe8
	s_waitcnt lgkmcnt(2)
	v_fma_f32 v37, -v3, v47, v37
	v_mov_b32_e32 v46, s10
	s_add_i32 s10, s9, 0xfffff0d4
	ds_load_2addr_b32 v[44:45], v44 offset1:1
	v_fma_f32 v48, -v6, v40, v41
	v_mov_b32_e32 v49, s10
	ds_load_2addr_b32 v[40:41], v46 offset1:1
	s_add_i32 s10, s9, 0xfffff0cc
	s_waitcnt lgkmcnt(3)
	v_fma_f32 v37, -v2, v43, v37
	v_fma_f32 v48, -v5, v58, v48
	ds_load_2addr_b32 v[46:47], v49 offset1:1
	v_mov_b32_e32 v50, s10
	s_add_i32 s10, s5, 0xfffff0c4
	v_fma_f32 v37, -v1, v42, v37
	v_mov_b32_e32 v49, s10
	s_add_i32 s10, s9, 0xffffeefc
	v_fma_f32 v51, -v4, v57, v48
	v_mov_b32_e32 v55, s10
	ds_load_2addr_b32 v[42:43], v50 offset1:1
	ds_load_2addr_b32 v[48:49], v49 offset1:1
	s_add_i32 s10, s9, 0xffffefe0
	s_waitcnt lgkmcnt(5)
	v_fma_f32 v39, -v11, v39, v51
	ds_load_2addr_b32 v[50:51], v55 offset1:1
	s_waitcnt lgkmcnt(5)
	v_fma_f32 v37, -v0, v45, v37
	v_mov_b32_e32 v45, s10
	v_mov_b32_e32 v55, s11
	v_fma_f32 v39, -v10, v38, v39
	s_add_i32 s10, s9, 0xffffeeec
	s_add_i32 s11, s9, 0xffffefd8
	s_waitcnt lgkmcnt(3)
	s_delay_alu instid0(VALU_DEP_1)
	v_fma_f32 v39, -v9, v47, v39
	v_mov_b32_e32 v47, s10
	v_fma_f32 v56, -v14, v54, v52
	v_fma_f32 v52, -v7, v44, v37
	ds_load_2addr_b32 v[37:38], v45 offset1:1
	ds_load_2addr_b32 v[44:45], v55 offset1:1
	s_add_i32 s10, s9, 0xffffefd0
	ds_load_2addr_b32 v[54:55], v47 offset1:1
	v_fma_f32 v41, -v6, v41, v52
	v_mov_b32_e32 v52, s11
	s_add_i32 s11, s9, 0xffffefc8
	s_waitcnt lgkmcnt(3)
	v_fma_f32 v13, -v3, v51, v13
	v_mov_b32_e32 v57, s11
	v_fma_f32 v41, -v5, v40, v41
	ds_load_2addr_b32 v[51:52], v52 offset1:1
	v_mov_b32_e32 v47, s10
	v_fma_f32 v13, -v2, v50, v13
	s_add_i32 s10, s9, 0xffffeee4
	v_fma_f32 v50, -v8, v46, v39
	ds_load_2addr_b32 v[39:40], v47 offset1:1
	ds_load_2addr_b32 v[46:47], v57 offset1:1
	s_add_i32 s11, s9, 0xffffeecc
	s_waitcnt lgkmcnt(5)
	v_fma_f32 v38, -v4, v38, v41
	s_waitcnt lgkmcnt(4)
	v_fma_f32 v41, -v1, v45, v13
	v_mov_b32_e32 v45, s10
	v_fma_f32 v43, -v15, v43, v50
	s_add_i32 s10, s9, 0xffffeedc
	v_fma_f32 v50, -v11, v37, v38
	v_fma_f32 v41, -v0, v44, v41
	ds_load_2addr_b32 v[37:38], v45 offset1:1
	v_fma_f32 v45, -v14, v42, v43
	v_mov_b32_e32 v42, s10
	s_add_i32 s10, s9, 0xffffee00
	s_waitcnt lgkmcnt(4)
	v_fma_f32 v43, -v7, v55, v41
	v_mov_b32_e32 v44, s10
	s_add_i32 s10, s9, 0xffffeed4
	s_waitcnt lgkmcnt(3)
	v_fma_f32 v50, -v10, v52, v50
	v_mov_b32_e32 v52, s10
	v_fma_f32 v57, -v6, v54, v43
	s_add_i32 s10, s5, 0xffffefc0
	v_mul_f32_e32 v13, v53, v56
	v_fma_f32 v50, -v9, v51, v50
	v_mov_b32_e32 v55, s11
	s_add_i32 s11, s9, 0xffffede0
	s_delay_alu instid0(VALU_DEP_3)
	v_fma_f32 v45, -v13, v49, v45
	s_waitcnt lgkmcnt(2)
	v_fma_f32 v40, -v8, v40, v50
	s_waitcnt lgkmcnt(0)
	v_fma_f32 v38, -v5, v38, v57
	v_mov_b32_e32 v57, s10
	s_add_i32 s10, s9, 0xffffedf0
	ds_load_2addr_b32 v[41:42], v42 offset1:1
	v_mov_b32_e32 v51, s10
	ds_load_b32 v56, v44
	s_add_i32 s10, s9, 0xffffede8
	v_mov_b32_e32 v44, s12
	ds_load_2addr_b32 v[43:44], v44 offset1:1
	ds_load_2addr_b32 v[52:53], v52 offset1:1
	;; [unrolled: 1-line block ×4, first 2 shown]
	v_fma_f32 v51, -v15, v39, v40
	v_mov_b32_e32 v39, s10
	v_fma_f32 v58, -v4, v37, v38
	ds_load_2addr_b32 v[37:38], v57 offset1:1
	s_add_i32 s10, s9, 0xffffeec4
	s_add_i32 s12, s9, 0xffffedd8
	ds_load_2addr_b32 v[39:40], v39 offset1:1
	s_waitcnt lgkmcnt(7)
	v_fma_f32 v42, -v11, v42, v58
	s_waitcnt lgkmcnt(6)
	v_fma_f32 v12, -v3, v56, v12
	v_mov_b32_e32 v56, s10
	s_add_i32 s10, s9, 0xffffecfc
	v_fma_f32 v41, -v10, v41, v42
	s_waitcnt lgkmcnt(5)
	v_fma_f32 v12, -v2, v44, v12
	s_waitcnt lgkmcnt(4)
	s_delay_alu instid0(VALU_DEP_2) | instskip(NEXT) | instid1(VALU_DEP_2)
	v_fma_f32 v53, -v9, v53, v41
	v_fma_f32 v12, -v1, v43, v12
	s_waitcnt lgkmcnt(2)
	s_delay_alu instid0(VALU_DEP_1) | instskip(SKIP_3) | instid1(VALU_DEP_4)
	v_fma_f32 v50, -v0, v50, v12
	v_mul_f32_e32 v12, v48, v45
	v_fma_f32 v45, -v14, v47, v51
	v_fma_f32 v47, -v8, v52, v53
	v_fma_f32 v48, -v7, v49, v50
	v_mov_b32_e32 v49, s10
	s_add_i32 s10, s5, 0xffffeebc
	v_fma_f32 v50, -v13, v46, v45
	v_fma_f32 v47, -v15, v55, v47
	s_waitcnt lgkmcnt(0)
	v_fma_f32 v40, -v6, v40, v48
	v_mov_b32_e32 v48, s10
	s_add_i32 s10, s9, 0xffffecf4
	s_delay_alu instid0(SALU_CYCLE_1)
	v_dual_mov_b32 v42, s11 :: v_dual_mov_b32 v51, s10
	s_add_i32 s10, s9, 0xffffecec
	v_mov_b32_e32 v44, s12
	ds_load_2addr_b32 v[41:42], v42 offset1:1
	ds_load_2addr_b32 v[43:44], v44 offset1:1
	;; [unrolled: 1-line block ×4, first 2 shown]
	v_fma_f32 v47, -v14, v54, v47
	v_fma_f32 v49, -v5, v39, v40
	ds_load_2addr_b32 v[39:40], v48 offset1:1
	s_add_i32 s11, s9, 0xffffece4
	s_add_i32 s12, s9, 0xffffebb8
	s_waitcnt lgkmcnt(4)
	v_fma_f32 v42, -v4, v42, v49
	v_mov_b32_e32 v49, s10
	s_waitcnt lgkmcnt(2)
	v_fma_f32 v55, -v13, v57, v47
	ds_load_2addr_b32 v[47:48], v51 offset1:1
	s_waitcnt lgkmcnt(2)
	v_fma_f32 v19, -v3, v46, v19
	v_fma_f32 v51, -v11, v41, v42
	s_add_i32 s10, s9, 0xffffedd0
	s_delay_alu instid0(SALU_CYCLE_1) | instskip(NEXT) | instid1(VALU_DEP_3)
	v_mov_b32_e32 v52, s10
	v_fma_f32 v19, -v2, v45, v19
	s_add_i32 s10, s9, 0xffffedc8
	v_fma_f32 v46, -v10, v44, v51
	v_mov_b32_e32 v51, s10
	s_add_i32 s10, s9, 0xffffedc0
	s_delay_alu instid0(SALU_CYCLE_1)
	v_mov_b32_e32 v53, s10
	v_fma_f32 v38, -v12, v38, v50
	v_mov_b32_e32 v50, s11
	s_add_i32 s11, s5, 0xffffedb8
	s_add_i32 s10, s9, 0xffffec00
	v_mov_b32_e32 v57, s11
	s_add_i32 s11, s9, 0xffffecbc
	v_fma_f32 v43, -v9, v43, v46
	s_waitcnt lgkmcnt(0)
	v_fma_f32 v19, -v1, v48, v19
	v_mov_b32_e32 v46, s10
	s_add_i32 s10, s9, 0xffffebf8
	v_fma_f32 v65, -v12, v56, v55
	s_delay_alu instid0(VALU_DEP_3) | instskip(SKIP_4) | instid1(SALU_CYCLE_1)
	v_fma_f32 v19, -v0, v47, v19
	v_mov_b32_e32 v47, s11
	ds_load_2addr_b32 v[41:42], v49 offset1:1
	ds_load_2addr_b32 v[49:50], v50 offset1:1
	s_add_i32 s11, s5, 0xffffecb4
	v_mov_b32_e32 v60, s11
	s_add_i32 s11, s9, 0xffffecd4
	s_delay_alu instid0(SALU_CYCLE_1) | instskip(SKIP_4) | instid1(VALU_DEP_1)
	v_dual_mov_b32 v48, s10 :: v_dual_mov_b32 v55, s11
	s_add_i32 s10, s9, 0xffffecdc
	s_add_i32 s11, s9, 0xffffebe8
	s_waitcnt lgkmcnt(1)
	v_fma_f32 v19, -v7, v42, v19
	v_fma_f32 v41, -v6, v41, v19
	v_mul_f32_e32 v19, v37, v38
	ds_load_2addr_b32 v[44:45], v52 offset1:1
	ds_load_2addr_b32 v[51:52], v51 offset1:1
	;; [unrolled: 1-line block ×4, first 2 shown]
	v_mov_b32_e32 v37, s10
	ds_load_b32 v59, v46
	s_waitcnt lgkmcnt(5)
	v_fma_f32 v41, -v5, v50, v41
	s_add_i32 s10, s9, 0xffffebf0
	v_fma_f32 v40, -v19, v40, v65
	s_waitcnt lgkmcnt(4)
	v_fma_f32 v61, -v8, v45, v43
	s_waitcnt lgkmcnt(0)
	v_fma_f32 v18, -v3, v59, v18
	s_delay_alu instid0(VALU_DEP_2)
	v_fma_f32 v66, -v15, v44, v61
	v_fma_f32 v61, -v4, v49, v41
	v_mov_b32_e32 v41, s11
	ds_load_2addr_b32 v[42:43], v48 offset1:1
	ds_load_2addr_b32 v[45:46], v47 offset1:1
	;; [unrolled: 1-line block ×3, first 2 shown]
	v_mov_b32_e32 v44, s10
	ds_load_2addr_b32 v[37:38], v37 offset1:1
	s_add_i32 s10, s9, 0xffffeccc
	s_add_i32 s11, s9, 0xffffecc4
	s_waitcnt lgkmcnt(3)
	v_fma_f32 v18, -v2, v43, v18
	v_mov_b32_e32 v43, s10
	ds_load_2addr_b32 v[49:50], v44 offset1:1
	ds_load_2addr_b32 v[55:56], v55 offset1:1
	s_add_i32 s10, s9, 0xffffebe0
	s_delay_alu instid0(SALU_CYCLE_1)
	v_dual_mov_b32 v59, s11 :: v_dual_mov_b32 v62, s10
	v_fma_f32 v18, -v1, v42, v18
	ds_load_2addr_b32 v[41:42], v41 offset1:1
	s_add_i32 s11, s9, 0xffffebd8
	s_waitcnt lgkmcnt(3)
	v_fma_f32 v38, -v11, v38, v61
	s_add_i32 s10, s9, 0xffffeafc
	v_mov_b32_e32 v63, s11
	ds_load_2addr_b32 v[43:44], v43 offset1:1
	ds_load_2addr_b32 v[59:60], v59 offset1:1
	s_add_i32 s11, s9, 0xffffeae4
	v_fma_f32 v37, -v10, v37, v38
	v_mov_b32_e32 v38, s10
	ds_load_2addr_b32 v[61:62], v62 offset1:1
	ds_load_2addr_b32 v[63:64], v63 offset1:1
	s_add_i32 s10, s9, 0xffffeaf4
	s_waitcnt lgkmcnt(6)
	v_fma_f32 v18, -v0, v50, v18
	v_fma_f32 v50, -v14, v52, v66
	s_delay_alu instid0(VALU_DEP_2) | instskip(NEXT) | instid1(VALU_DEP_2)
	v_fma_f32 v18, -v7, v49, v18
	v_fma_f32 v49, -v13, v51, v50
	s_waitcnt lgkmcnt(5)
	v_fma_f32 v50, -v9, v56, v37
	ds_load_2addr_b32 v[37:38], v38 offset1:1
	v_mov_b32_e32 v51, s12
	s_waitcnt lgkmcnt(5)
	v_fma_f32 v18, -v6, v42, v18
	v_fma_f32 v42, -v12, v54, v49
	;; [unrolled: 1-line block ×3, first 2 shown]
	s_add_i32 s12, s9, 0xffffe4cc
	s_delay_alu instid0(VALU_DEP_3)
	v_fma_f32 v41, -v5, v41, v18
	v_mul_f32_e32 v18, v39, v40
	v_fma_f32 v42, -v19, v53, v42
	s_waitcnt lgkmcnt(4)
	v_fma_f32 v44, -v15, v44, v49
	s_waitcnt lgkmcnt(2)
	v_fma_f32 v41, -v4, v62, v41
	v_fma_f32 v49, -v18, v58, v42
	v_mov_b32_e32 v50, s10
	s_add_i32 s10, s9, 0xffffeaec
	s_delay_alu instid0(SALU_CYCLE_1)
	v_mov_b32_e32 v42, s10
	s_add_i32 s10, s9, 0xffffebd0
	ds_load_2addr_b32 v[39:40], v50 offset1:1
	v_fma_f32 v50, -v14, v43, v44
	v_fma_f32 v43, -v11, v61, v41
	ds_load_2addr_b32 v[41:42], v42 offset1:1
	s_waitcnt lgkmcnt(2)
	v_fma_f32 v38, -v3, v38, v17
	v_dual_mul_f32 v17, v57, v49 :: v_dual_mov_b32 v44, s10
	v_fma_f32 v49, -v10, v64, v43
	s_add_i32 s10, s9, 0xffffebc8
	v_fma_f32 v57, -v13, v60, v50
	v_fma_f32 v37, -v2, v37, v38
	s_delay_alu instid0(VALU_DEP_3)
	v_fma_f32 v53, -v9, v63, v49
	v_mov_b32_e32 v49, s10
	s_add_i32 s10, s9, 0xffffebc0
	v_fma_f32 v57, -v12, v59, v57
	v_mov_b32_e32 v50, s10
	s_add_i32 s10, s9, 0xffffeadc
	s_delay_alu instid0(SALU_CYCLE_1)
	v_mov_b32_e32 v55, s10
	ds_load_2addr_b32 v[43:44], v44 offset1:1
	s_waitcnt lgkmcnt(2)
	v_fma_f32 v37, -v1, v40, v37
	s_add_i32 s10, s9, 0xffffea00
	v_mov_b32_e32 v38, s11
	s_add_i32 s11, s9, 0xffffead4
	v_fma_f32 v46, -v19, v46, v57
	v_fma_f32 v54, -v0, v39, v37
	v_mov_b32_e32 v56, s11
	ds_load_2addr_b32 v[37:38], v38 offset1:1
	ds_load_2addr_b32 v[39:40], v49 offset1:1
	;; [unrolled: 1-line block ×4, first 2 shown]
	s_add_i32 s11, s9, 0xffffeacc
	s_waitcnt lgkmcnt(5)
	v_fma_f32 v42, -v7, v42, v54
	s_delay_alu instid0(VALU_DEP_1)
	v_fma_f32 v61, -v6, v41, v42
	s_waitcnt lgkmcnt(4)
	v_fma_f32 v44, -v8, v44, v53
	ds_load_2addr_b32 v[53:54], v55 offset1:1
	v_mov_b32_e32 v55, s10
	s_add_i32 s10, s9, 0xffffe9f8
	s_delay_alu instid0(SALU_CYCLE_1)
	v_mov_b32_e32 v58, s10
	v_fma_f32 v62, -v15, v43, v44
	ds_load_b32 v60, v55
	v_mov_b32_e32 v55, s11
	ds_load_2addr_b32 v[41:42], v58 offset1:1
	ds_load_2addr_b32 v[43:44], v56 offset1:1
	;; [unrolled: 1-line block ×3, first 2 shown]
	s_add_i32 s10, s9, 0xffffe9f0
	s_waitcnt lgkmcnt(8)
	v_fma_f32 v38, -v5, v38, v61
	v_mov_b32_e32 v58, s10
	s_waitcnt lgkmcnt(7)
	v_fma_f32 v40, -v14, v40, v62
	s_add_i32 s10, s9, 0xffffe9e8
	s_add_i32 s11, s9, 0xffffeabc
	v_fma_f32 v59, -v4, v37, v38
	ds_load_2addr_b32 v[37:38], v58 offset1:1
	v_fma_f32 v58, -v13, v39, v40
	v_mov_b32_e32 v61, s10
	s_add_i32 s10, s5, 0xffffebb0
	s_waitcnt lgkmcnt(5)
	v_fma_f32 v54, -v11, v54, v59
	v_fma_f32 v50, -v12, v50, v58
	ds_load_2addr_b32 v[39:40], v61 offset1:1
	s_waitcnt lgkmcnt(5)
	v_fma_f32 v16, -v3, v60, v16
	v_fma_f32 v53, -v10, v53, v54
	v_mov_b32_e32 v54, s10
	v_mov_b32_e32 v60, s11
	s_add_i32 s11, s9, 0xffffe9c8
	s_waitcnt lgkmcnt(4)
	v_fma_f32 v16, -v2, v42, v16
	v_fma_f32 v42, -v18, v45, v46
	;; [unrolled: 1-line block ×3, first 2 shown]
	s_add_i32 s10, s9, 0xffffeac4
	s_waitcnt lgkmcnt(3)
	v_fma_f32 v49, -v9, v44, v53
	v_fma_f32 v16, -v1, v41, v16
	;; [unrolled: 1-line block ×4, first 2 shown]
	v_mov_b32_e32 v52, s11
	s_add_i32 s11, s9, 0xffffe8e4
	ds_load_2addr_b32 v[44:45], v54 offset1:1
	s_waitcnt lgkmcnt(2)
	v_fma_f32 v38, -v0, v38, v16
	v_mov_b32_e32 v58, s11
	s_add_i32 s11, s5, 0xffffeaac
	v_dual_mul_f32 v16, v47, v41 :: v_dual_mov_b32 v41, s10
	s_add_i32 s10, s9, 0xffffe9e0
	v_fma_f32 v54, -v17, v51, v42
	v_fma_f32 v42, -v7, v37, v38
	;; [unrolled: 1-line block ×3, first 2 shown]
	ds_load_2addr_b32 v[37:38], v41 offset1:1
	v_mov_b32_e32 v41, s10
	s_add_i32 s10, s9, 0xffffe8fc
	s_waitcnt lgkmcnt(2)
	v_fma_f32 v46, -v6, v40, v42
	v_mov_b32_e32 v42, s10
	v_fma_f32 v62, -v15, v56, v43
	ds_load_2addr_b32 v[40:41], v41 offset1:1
	s_add_i32 s10, s9, 0xffffe9d8
	v_fma_f32 v39, -v5, v39, v46
	ds_load_2addr_b32 v[42:43], v42 offset1:1
	v_mov_b32_e32 v47, s10
	s_add_i32 s10, s9, 0xffffe8f4
	s_delay_alu instid0(SALU_CYCLE_1)
	v_mov_b32_e32 v48, s10
	s_add_i32 s10, s9, 0xffffe9d0
	ds_load_2addr_b32 v[46:47], v47 offset1:1
	ds_load_2addr_b32 v[48:49], v48 offset1:1
	s_waitcnt lgkmcnt(3)
	v_fma_f32 v39, -v4, v41, v39
	v_mov_b32_e32 v41, s11
	s_add_i32 s11, s9, 0xffffe8c4
	v_mov_b32_e32 v50, s10
	s_add_i32 s10, s9, 0xffffe8ec
	s_waitcnt lgkmcnt(2)
	v_fma_f32 v23, -v3, v43, v23
	v_mov_b32_e32 v56, s10
	ds_load_2addr_b32 v[50:51], v50 offset1:1
	ds_load_2addr_b32 v[52:53], v52 offset1:1
	;; [unrolled: 1-line block ×4, first 2 shown]
	v_fma_f32 v39, -v11, v40, v39
	v_fma_f32 v23, -v2, v42, v23
	;; [unrolled: 1-line block ×3, first 2 shown]
	s_add_i32 s10, s9, 0xffffeab4
	ds_load_2addr_b32 v[60:61], v60 offset1:1
	s_waitcnt lgkmcnt(6)
	v_fma_f32 v47, -v10, v47, v39
	s_waitcnt lgkmcnt(5)
	v_fma_f32 v23, -v1, v49, v23
	v_mov_b32_e32 v40, s10
	s_add_i32 s10, s9, 0xffffe8dc
	v_fma_f32 v38, -v13, v38, v43
	v_fma_f32 v43, -v9, v46, v47
	;; [unrolled: 1-line block ×3, first 2 shown]
	v_mov_b32_e32 v46, s10
	ds_load_2addr_b32 v[39:40], v40 offset1:1
	ds_load_2addr_b32 v[41:42], v41 offset1:1
	v_fma_f32 v47, -v12, v37, v38
	s_add_i32 s10, s9, 0xffffe8d4
	v_fma_f32 v62, -v16, v45, v54
	ds_load_2addr_b32 v[37:38], v46 offset1:1
	s_waitcnt lgkmcnt(5)
	v_fma_f32 v23, -v7, v57, v23
	v_mov_b32_e32 v45, s10
	s_add_i32 s10, s9, 0xffffe9c0
	v_fma_f32 v43, -v8, v51, v43
	v_mov_b32_e32 v51, s11
	v_fma_f32 v23, -v6, v56, v23
	ds_load_2addr_b32 v[45:46], v45 offset1:1
	s_waitcnt lgkmcnt(4)
	v_fma_f32 v57, -v19, v61, v47
	v_mov_b32_e32 v47, s10
	s_add_i32 s10, s9, 0xffffe8cc
	v_fma_f32 v23, -v5, v59, v23
	v_fma_f32 v43, -v15, v50, v43
	v_mov_b32_e32 v49, s10
	ds_load_2addr_b32 v[47:48], v47 offset1:1
	s_add_i32 s10, s9, 0xffffe9b8
	v_fma_f32 v23, -v4, v58, v23
	v_fma_f32 v43, -v14, v53, v43
	ds_load_2addr_b32 v[49:50], v49 offset1:1
	ds_load_2addr_b32 v[53:54], v51 offset1:1
	s_add_i32 s11, s9, 0xffffe8b4
	s_waitcnt lgkmcnt(4)
	v_fma_f32 v23, -v11, v38, v23
	v_mov_b32_e32 v38, s10
	s_add_i32 s10, s9, 0xffffe9b0
	v_fma_f32 v43, -v13, v52, v43
	v_mov_b32_e32 v51, s10
	v_fma_f32 v23, -v10, v37, v23
	s_add_i32 s10, s5, 0xffffe9a8
	ds_load_2addr_b32 v[37:38], v38 offset1:1
	v_mov_b32_e32 v55, s10
	s_add_i32 s10, s9, 0xffffe800
	s_waitcnt lgkmcnt(4)
	v_fma_f32 v23, -v9, v46, v23
	v_mov_b32_e32 v46, s10
	s_add_i32 s10, s9, 0xffffe7f8
	ds_load_2addr_b32 v[51:52], v51 offset1:1
	ds_load_2addr_b32 v[55:56], v55 offset1:1
	v_mov_b32_e32 v58, s10
	v_fma_f32 v45, -v8, v45, v23
	ds_load_b32 v59, v46
	s_waitcnt lgkmcnt(6)
	v_fma_f32 v46, -v12, v48, v43
	v_mul_f32_e32 v23, v44, v62
	ds_load_2addr_b32 v[43:44], v58 offset1:1
	s_add_i32 s10, s9, 0xffffe7f0
	v_fma_f32 v48, -v18, v60, v57
	v_fma_f32 v46, -v19, v47, v46
	s_waitcnt lgkmcnt(6)
	v_fma_f32 v45, -v15, v50, v45
	v_mov_b32_e32 v47, s10
	s_add_i32 s10, s9, 0xffffe7e8
	v_fma_f32 v40, -v17, v40, v48
	s_waitcnt lgkmcnt(4)
	v_fma_f32 v38, -v18, v38, v46
	v_fma_f32 v48, -v14, v49, v45
	ds_load_2addr_b32 v[45:46], v47 offset1:1
	v_mov_b32_e32 v49, s10
	v_fma_f32 v39, -v16, v39, v40
	v_fma_f32 v40, -v17, v37, v38
	s_add_i32 s10, s9, 0xffffe8bc
	ds_load_2addr_b32 v[37:38], v49 offset1:1
	s_waitcnt lgkmcnt(3)
	v_fma_f32 v22, -v3, v59, v22
	v_fma_f32 v47, -v13, v54, v48
	;; [unrolled: 1-line block ×3, first 2 shown]
	v_mov_b32_e32 v39, s10
	s_add_i32 s10, s9, 0xffffe8ac
	s_waitcnt lgkmcnt(2)
	v_fma_f32 v22, -v2, v44, v22
	v_mov_b32_e32 v42, s11
	s_add_i32 s11, s5, 0xffffe8a4
	v_mov_b32_e32 v44, s10
	s_add_i32 s10, s9, 0xffffe7e0
	v_fma_f32 v22, -v1, v43, v22
	v_mov_b32_e32 v48, s11
	v_fma_f32 v54, -v16, v52, v40
	v_mov_b32_e32 v52, s10
	v_fma_f32 v59, -v12, v53, v47
	s_waitcnt lgkmcnt(1)
	v_fma_f32 v22, -v0, v46, v22
	ds_load_2addr_b32 v[39:40], v39 offset1:1
	ds_load_2addr_b32 v[42:43], v42 offset1:1
	;; [unrolled: 1-line block ×5, first 2 shown]
	s_add_i32 s11, s9, 0xffffe7d8
	s_add_i32 s10, s9, 0xffffe6fc
	v_mov_b32_e32 v57, s11
	s_add_i32 s11, s9, 0xffffe6f4
	v_fma_f32 v22, -v7, v45, v22
	v_mov_b32_e32 v61, s11
	s_add_i32 s11, s9, 0xffffe7c0
	v_mov_b32_e32 v44, s10
	ds_load_2addr_b32 v[44:45], v44 offset1:1
	ds_load_2addr_b32 v[57:58], v57 offset1:1
	s_waitcnt lgkmcnt(7)
	v_fma_f32 v22, -v6, v38, v22
	s_add_i32 s10, s9, 0xffffe7d0
	s_waitcnt lgkmcnt(6)
	v_fma_f32 v40, -v19, v40, v59
	v_mov_b32_e32 v38, s10
	s_add_i32 s10, s9, 0xffffe7c8
	v_fma_f32 v22, -v5, v37, v22
	v_mov_b32_e32 v60, s10
	ds_load_2addr_b32 v[37:38], v38 offset1:1
	ds_load_2addr_b32 v[59:60], v60 offset1:1
	;; [unrolled: 1-line block ×3, first 2 shown]
	s_waitcnt lgkmcnt(5)
	v_fma_f32 v53, -v4, v53, v22
	s_add_i32 s10, s9, 0xffffe6ec
	s_delay_alu instid0(SALU_CYCLE_1) | instskip(SKIP_1) | instid1(VALU_DEP_3)
	v_dual_mul_f32 v22, v41, v50 :: v_dual_mov_b32 v41, s10
	v_fma_f32 v50, -v23, v51, v54
	v_fma_f32 v51, -v11, v52, v53
	;; [unrolled: 1-line block ×3, first 2 shown]
	s_waitcnt lgkmcnt(4)
	v_fma_f32 v21, -v3, v45, v21
	ds_load_2addr_b32 v[39:40], v41 offset1:1
	s_add_i32 s10, s5, 0xffffe7a0
	s_waitcnt lgkmcnt(4)
	v_fma_f32 v41, -v10, v58, v51
	v_mov_b32_e32 v45, s10
	s_add_i32 s10, s9, 0xffffe6e4
	v_fma_f32 v50, -v22, v56, v50
	v_fma_f32 v51, -v17, v43, v52
	;; [unrolled: 1-line block ×4, first 2 shown]
	ds_load_2addr_b32 v[43:44], v45 offset1:1
	v_mul_f32_e32 v21, v55, v50
	v_fma_f32 v42, -v16, v42, v51
	s_waitcnt lgkmcnt(4)
	v_fma_f32 v38, -v8, v38, v41
	v_mov_b32_e32 v41, s10
	s_add_i32 s10, s9, 0xffffe6dc
	v_mov_b32_e32 v51, s11
	s_add_i32 s11, s9, 0xffffe6d4
	v_fma_f32 v50, -v15, v37, v38
	ds_load_2addr_b32 v[37:38], v41 offset1:1
	s_waitcnt lgkmcnt(3)
	v_fma_f32 v45, -v1, v62, v52
	v_mov_b32_e32 v52, s10
	s_add_i32 s10, s9, 0xffffe600
	v_fma_f32 v47, -v23, v47, v42
	v_fma_f32 v42, -v14, v60, v50
	;; [unrolled: 1-line block ×3, first 2 shown]
	s_delay_alu instid0(VALU_DEP_2) | instskip(SKIP_1) | instid1(VALU_DEP_2)
	v_fma_f32 v42, -v13, v59, v42
	s_waitcnt lgkmcnt(2)
	v_fma_f32 v45, -v7, v40, v45
	ds_load_2addr_b32 v[40:41], v51 offset1:1
	v_fma_f32 v39, -v6, v39, v45
	v_mov_b32_e32 v45, s10
	s_add_i32 s10, s9, 0xffffe6cc
	s_delay_alu instid0(SALU_CYCLE_1)
	v_mov_b32_e32 v54, s10
	s_add_i32 s10, s9, 0xffffe5f8
	ds_load_b32 v45, v45
	ds_load_2addr_b32 v[50:51], v52 offset1:1
	v_mov_b32_e32 v52, s11
	v_mov_b32_e32 v56, s10
	s_add_i32 s10, s9, 0xffffe7b8
	ds_load_2addr_b32 v[52:53], v52 offset1:1
	ds_load_2addr_b32 v[54:55], v54 offset1:1
	s_waitcnt lgkmcnt(5)
	v_fma_f32 v57, -v5, v38, v39
	ds_load_2addr_b32 v[38:39], v56 offset1:1
	v_mov_b32_e32 v58, s10
	s_add_i32 s11, s9, 0xffffe5f0
	s_add_i32 s10, s9, 0xffffe7b0
	v_fma_f32 v37, -v4, v37, v57
	v_mov_b32_e32 v60, s10
	ds_load_2addr_b32 v[58:59], v58 offset1:1
	v_mov_b32_e32 v56, s11
	s_add_i32 s10, s9, 0xffffe5e8
	s_add_i32 s11, s9, 0xffffe7a8
	s_waitcnt lgkmcnt(5)
	v_fma_f32 v20, -v3, v45, v20
	ds_load_2addr_b32 v[56:57], v56 offset1:1
	v_dual_mov_b32 v45, s10 :: v_dual_mov_b32 v62, s11
	s_waitcnt lgkmcnt(5)
	v_fma_f32 v37, -v11, v51, v37
	ds_load_2addr_b32 v[60:61], v60 offset1:1
	ds_load_2addr_b32 v[62:63], v62 offset1:1
	v_fma_f32 v51, -v12, v41, v42
	s_waitcnt lgkmcnt(4)
	v_fma_f32 v20, -v2, v39, v20
	ds_load_2addr_b32 v[41:42], v45 offset1:1
	s_add_i32 s10, s9, 0xffffe5e0
	s_add_i32 s11, s9, 0xffffe5d8
	v_fma_f32 v37, -v10, v50, v37
	v_fma_f32 v20, -v1, v38, v20
	v_mov_b32_e32 v39, s10
	v_mov_b32_e32 v45, s11
	v_fma_f32 v50, -v19, v40, v51
	v_fma_f32 v51, -v9, v53, v37
	ds_load_2addr_b32 v[37:38], v39 offset1:1
	ds_load_2addr_b32 v[39:40], v45 offset1:1
	s_waitcnt lgkmcnt(5)
	v_fma_f32 v20, -v0, v57, v20
	s_add_i32 s10, s9, 0xffffe6c4
	v_fma_f32 v45, -v22, v46, v47
	v_fma_f32 v46, -v18, v59, v50
	v_mov_b32_e32 v50, s10
	v_fma_f32 v20, -v7, v56, v20
	v_fma_f32 v47, -v8, v52, v51
	;; [unrolled: 1-line block ×4, first 2 shown]
	ds_load_2addr_b32 v[45:46], v50 offset1:1
	s_waitcnt lgkmcnt(3)
	v_fma_f32 v20, -v6, v42, v20
	s_add_i32 s10, s9, 0xffffe6bc
	v_fma_f32 v47, -v15, v55, v47
	v_mov_b32_e32 v49, s10
	s_add_i32 s10, s9, 0xffffe5d0
	v_fma_f32 v20, -v5, v41, v20
	v_mov_b32_e32 v41, s10
	s_add_i32 s10, s9, 0xffffe6ac
	v_fma_f32 v58, -v16, v61, v51
	s_add_i32 s11, s9, 0xffffe6b4
	s_waitcnt lgkmcnt(2)
	v_fma_f32 v20, -v4, v38, v20
	ds_load_2addr_b32 v[41:42], v41 offset1:1
	v_mov_b32_e32 v51, s10
	s_add_i32 s10, s9, 0xffffe5c8
	v_fma_f32 v47, -v14, v54, v47
	v_fma_f32 v20, -v11, v37, v20
	ds_load_2addr_b32 v[37:38], v49 offset1:1
	v_dual_mov_b32 v50, s11 :: v_dual_mov_b32 v53, s10
	ds_load_2addr_b32 v[49:50], v50 offset1:1
	ds_load_2addr_b32 v[51:52], v51 offset1:1
	s_waitcnt lgkmcnt(4)
	v_fma_f32 v54, -v13, v46, v47
	v_fma_f32 v20, -v10, v40, v20
	ds_load_2addr_b32 v[46:47], v53 offset1:1
	s_add_i32 s11, s9, 0xffffe5b8
	s_add_i32 s10, s9, 0xffffe5c0
	v_mov_b32_e32 v53, s11
	v_fma_f32 v20, -v9, v39, v20
	s_add_i32 s11, s9, 0xffffe4e4
	v_fma_f32 v45, -v12, v45, v54
	s_waitcnt lgkmcnt(4)
	s_delay_alu instid0(VALU_DEP_2) | instskip(SKIP_3) | instid1(VALU_DEP_3)
	v_fma_f32 v20, -v8, v42, v20
	v_fma_f32 v42, -v23, v60, v58
	s_waitcnt lgkmcnt(3)
	v_fma_f32 v38, -v19, v38, v45
	v_fma_f32 v41, -v15, v41, v20
	v_mul_f32_e32 v20, v48, v57
	s_delay_alu instid0(VALU_DEP_3)
	v_fma_f32 v48, -v18, v37, v38
	v_fma_f32 v42, -v22, v63, v42
	s_waitcnt lgkmcnt(0)
	v_fma_f32 v41, -v14, v47, v41
	v_mov_b32_e32 v47, s11
	s_add_i32 s11, s5, 0xffffe69c
	v_mov_b32_e32 v40, s10
	s_add_i32 s10, s9, 0xffffe4fc
	ds_load_2addr_b32 v[39:40], v40 offset1:1
	ds_load_2addr_b32 v[53:54], v53 offset1:1
	v_mov_b32_e32 v55, s10
	s_add_i32 s10, s9, 0xffffe4f4
	v_fma_f32 v57, -v21, v62, v42
	v_mov_b32_e32 v45, s10
	s_add_i32 s10, s9, 0xffffe4ec
	ds_load_2addr_b32 v[55:56], v55 offset1:1
	v_fma_f32 v48, -v17, v50, v48
	v_fma_f32 v50, -v13, v46, v41
	ds_load_2addr_b32 v[37:38], v45 offset1:1
	v_mov_b32_e32 v45, s10
	ds_load_2addr_b32 v[41:42], v45 offset1:1
	ds_load_2addr_b32 v[45:46], v47 offset1:1
	v_fma_f32 v47, -v16, v49, v48
	s_add_i32 s10, s9, 0xffffe6a4
	v_mov_b32_e32 v49, s11
	s_waitcnt lgkmcnt(5)
	v_fma_f32 v40, -v12, v40, v50
	v_mov_b32_e32 v48, s10
	s_add_i32 s10, s9, 0xffffe4dc
	s_add_i32 s11, s9, 0xffffe5b0
	v_fma_f32 v50, -v23, v52, v47
	v_fma_f32 v40, -v19, v39, v40
	s_waitcnt lgkmcnt(3)
	v_fma_f32 v27, -v3, v56, v27
	s_delay_alu instid0(VALU_DEP_3) | instskip(NEXT) | instid1(VALU_DEP_3)
	v_fma_f32 v62, -v22, v51, v50
	v_fma_f32 v40, -v18, v54, v40
	s_delay_alu instid0(VALU_DEP_3) | instskip(SKIP_1) | instid1(VALU_DEP_1)
	v_fma_f32 v27, -v2, v55, v27
	s_waitcnt lgkmcnt(2)
	v_fma_f32 v27, -v1, v38, v27
	ds_load_2addr_b32 v[38:39], v48 offset1:1
	ds_load_2addr_b32 v[47:48], v49 offset1:1
	v_fma_f32 v27, -v0, v37, v27
	v_mov_b32_e32 v37, s10
	s_add_i32 s10, s9, 0xffffe5a8
	v_fma_f32 v61, -v20, v44, v57
	v_mov_b32_e32 v44, s10
	s_waitcnt lgkmcnt(3)
	v_fma_f32 v27, -v7, v42, v27
	v_mov_b32_e32 v42, s11
	s_add_i32 s11, s5, 0xffffe598
	ds_load_2addr_b32 v[49:50], v37 offset1:1
	v_mov_b32_e32 v59, s11
	v_fma_f32 v37, -v17, v53, v40
	v_fma_f32 v27, -v6, v41, v27
	ds_load_2addr_b32 v[40:41], v42 offset1:1
	ds_load_2addr_b32 v[51:52], v44 offset1:1
	s_add_i32 s10, s9, 0xffffe4d4
	s_add_i32 s11, s9, 0xffffe3e0
	v_mov_b32_e32 v42, s10
	s_waitcnt lgkmcnt(5)
	v_fma_f32 v27, -v5, v46, v27
	s_add_i32 s10, s9, 0xffffe5a0
	s_delay_alu instid0(SALU_CYCLE_1)
	v_dual_mov_b32 v46, s13 :: v_dual_mov_b32 v57, s10
	ds_load_2addr_b32 v[53:54], v42 offset1:1
	v_fma_f32 v27, -v4, v45, v27
	v_mov_b32_e32 v42, s12
	s_add_i32 s10, s9, 0xffffe400
	ds_load_2addr_b32 v[44:45], v42 offset1:1
	ds_load_2addr_b32 v[55:56], v46 offset1:1
	s_waitcnt lgkmcnt(5)
	v_fma_f32 v27, -v11, v50, v27
	v_mov_b32_e32 v42, s10
	v_fma_f32 v46, -v21, v39, v62
	s_waitcnt lgkmcnt(4)
	v_fma_f32 v37, -v16, v41, v37
	s_add_i32 s10, s9, 0xffffe3f8
	v_fma_f32 v27, -v10, v49, v27
	v_mov_b32_e32 v41, s10
	s_add_i32 s10, s9, 0xffffe3f0
	v_fma_f32 v37, -v23, v40, v37
	ds_load_2addr_b32 v[57:58], v57 offset1:1
	ds_load_2addr_b32 v[59:60], v59 offset1:1
	ds_load_b32 v42, v42
	v_fma_f32 v38, -v20, v38, v46
	s_waitcnt lgkmcnt(5)
	v_fma_f32 v49, -v9, v54, v27
	v_mul_f32_e32 v27, v43, v61
	v_fma_f32 v37, -v22, v52, v37
	v_mov_b32_e32 v43, s10
	s_add_i32 s10, s9, 0xffffe4bc
	s_add_i32 s12, s9, 0xffffe3d8
	v_fma_f32 v61, -v27, v48, v38
	v_fma_f32 v62, -v21, v51, v37
	ds_load_2addr_b32 v[37:38], v43 offset1:1
	ds_load_2addr_b32 v[39:40], v41 offset1:1
	v_fma_f32 v41, -v8, v53, v49
	v_mov_b32_e32 v43, s10
	s_add_i32 s10, s9, 0xffffe3e8
	s_add_i32 s13, s9, 0xffffe1b8
	s_waitcnt lgkmcnt(6)
	v_fma_f32 v41, -v15, v45, v41
	s_waitcnt lgkmcnt(2)
	v_fma_f32 v26, -v3, v42, v26
	s_delay_alu instid0(VALU_DEP_2) | instskip(SKIP_2) | instid1(SALU_CYCLE_1)
	v_fma_f32 v41, -v14, v44, v41
	v_mov_b32_e32 v44, s10
	s_add_i32 s10, s9, 0xffffe4b4
	v_mov_b32_e32 v48, s10
	s_add_i32 s10, s9, 0xffffe4ac
	v_fma_f32 v45, -v13, v56, v41
	v_mov_b32_e32 v49, s10
	s_add_i32 s10, s9, 0xffffe49c
	ds_load_2addr_b32 v[41:42], v43 offset1:1
	s_waitcnt lgkmcnt(1)
	v_fma_f32 v26, -v2, v40, v26
	v_mov_b32_e32 v53, s10
	ds_load_2addr_b32 v[43:44], v44 offset1:1
	v_fma_f32 v52, -v12, v55, v45
	s_add_i32 s10, s9, 0xffffe3d0
	v_fma_f32 v26, -v1, v39, v26
	v_mov_b32_e32 v40, s11
	s_add_i32 s11, s9, 0xffffe4a4
	v_fma_f32 v56, -v20, v58, v62
	v_mov_b32_e32 v50, s11
	v_fma_f32 v26, -v0, v38, v26
	s_add_i32 s11, s5, 0xffffe494
	s_delay_alu instid0(SALU_CYCLE_1) | instskip(SKIP_1) | instid1(VALU_DEP_2)
	v_mov_b32_e32 v54, s11
	s_add_i32 s11, s9, 0xffffe2fc
	v_fma_f32 v26, -v7, v37, v26
	v_mov_b32_e32 v46, s12
	s_add_i32 s12, s9, 0xffffe1c8
	s_waitcnt lgkmcnt(1)
	v_fma_f32 v42, -v19, v42, v52
	s_waitcnt lgkmcnt(0)
	v_fma_f32 v26, -v6, v44, v26
	s_delay_alu instid0(VALU_DEP_1)
	v_fma_f32 v43, -v5, v43, v26
	v_mul_f32_e32 v26, v47, v61
	v_fma_f32 v47, -v18, v41, v42
	v_mov_b32_e32 v41, s10
	ds_load_2addr_b32 v[39:40], v40 offset1:1
	ds_load_2addr_b32 v[45:46], v46 offset1:1
	;; [unrolled: 1-line block ×5, first 2 shown]
	s_add_i32 s10, s5, 0xffffe390
	s_delay_alu instid0(SALU_CYCLE_1)
	v_mov_b32_e32 v42, s10
	s_add_i32 s10, s9, 0xffffe3c8
	s_waitcnt lgkmcnt(4)
	v_fma_f32 v40, -v4, v40, v43
	v_mov_b32_e32 v43, s11
	s_waitcnt lgkmcnt(2)
	v_fma_f32 v38, -v17, v38, v47
	v_mov_b32_e32 v47, s10
	s_add_i32 s10, s9, 0xffffe2f4
	v_fma_f32 v58, -v11, v39, v40
	v_mov_b32_e32 v61, s10
	s_add_i32 s10, s9, 0xffffe3c0
	v_fma_f32 v67, -v16, v37, v38
	v_mov_b32_e32 v63, s10
	ds_load_2addr_b32 v[52:53], v53 offset1:1
	ds_load_2addr_b32 v[54:55], v54 offset1:1
	;; [unrolled: 1-line block ×5, first 2 shown]
	v_fma_f32 v58, -v10, v46, v58
	ds_load_2addr_b32 v[46:47], v47 offset1:1
	ds_load_2addr_b32 v[61:62], v61 offset1:1
	s_add_i32 s10, s9, 0xffffe3b8
	s_add_i32 s11, s9, 0xffffe2cc
	v_fma_f32 v45, -v9, v45, v58
	v_mov_b32_e32 v64, s10
	s_add_i32 s10, s9, 0xffffe2ec
	s_delay_alu instid0(SALU_CYCLE_1)
	v_mov_b32_e32 v58, s10
	s_add_i32 s10, s9, 0xffffe2e4
	s_waitcnt lgkmcnt(4)
	v_fma_f32 v40, -v8, v40, v45
	s_waitcnt lgkmcnt(2)
	v_fma_f32 v25, -v3, v44, v25
	v_fma_f32 v45, -v23, v49, v67
	;; [unrolled: 1-line block ×3, first 2 shown]
	v_mov_b32_e32 v67, s12
	v_fma_f32 v39, -v15, v39, v40
	v_fma_f32 v25, -v2, v43, v25
	;; [unrolled: 1-line block ×4, first 2 shown]
	v_mov_b32_e32 v40, s10
	s_waitcnt lgkmcnt(1)
	v_fma_f32 v45, -v14, v47, v39
	s_waitcnt lgkmcnt(0)
	v_fma_f32 v47, -v1, v62, v25
	v_fma_f32 v43, -v21, v51, v43
	s_add_i32 s10, s9, 0xffffe2dc
	v_mul_f32_e32 v25, v59, v44
	v_fma_f32 v44, -v13, v46, v45
	v_fma_f32 v45, -v0, v61, v47
	;; [unrolled: 1-line block ×3, first 2 shown]
	v_mov_b32_e32 v43, s10
	s_add_i32 s10, s9, 0xffffe2d4
	s_delay_alu instid0(SALU_CYCLE_1)
	v_dual_mov_b32 v48, s11 :: v_dual_mov_b32 v47, s10
	ds_load_2addr_b32 v[37:38], v63 offset1:1
	ds_load_2addr_b32 v[63:64], v64 offset1:1
	;; [unrolled: 1-line block ×4, first 2 shown]
	s_add_i32 s11, s9, 0xffffe1f8
	s_add_i32 s10, s9, 0xffffe200
	v_fma_f32 v53, -v27, v53, v46
	s_waitcnt lgkmcnt(3)
	v_fma_f32 v38, -v12, v38, v44
	ds_load_2addr_b32 v[43:44], v43 offset1:1
	s_waitcnt lgkmcnt(2)
	v_fma_f32 v45, -v7, v66, v45
	v_fma_f32 v50, -v19, v37, v38
	s_delay_alu instid0(VALU_DEP_2) | instskip(SKIP_1) | instid1(VALU_DEP_1)
	v_fma_f32 v49, -v6, v65, v45
	s_waitcnt lgkmcnt(1)
	v_fma_f32 v40, -v5, v40, v49
	s_delay_alu instid0(VALU_DEP_1) | instskip(SKIP_2) | instid1(SALU_CYCLE_1)
	v_fma_f32 v39, -v4, v39, v40
	v_mov_b32_e32 v40, s11
	s_add_i32 s11, s9, 0xffffe2c4
	v_mov_b32_e32 v56, s11
	s_add_i32 s11, s9, 0xffffe398
	s_waitcnt lgkmcnt(0)
	v_fma_f32 v44, -v11, v44, v39
	v_mov_b32_e32 v61, s11
	ds_load_2addr_b32 v[37:38], v47 offset1:1
	ds_load_2addr_b32 v[45:46], v48 offset1:1
	v_mov_b32_e32 v48, s10
	s_add_i32 s10, s9, 0xffffe3b0
	v_fma_f32 v47, -v18, v64, v50
	v_fma_f32 v49, -v10, v43, v44
	s_add_i32 s11, s9, 0xffffe2ac
	ds_load_b32 v51, v48
	v_mov_b32_e32 v48, s10
	v_fma_f32 v63, -v17, v63, v47
	s_add_i32 s10, s9, 0xffffe3a8
	ds_load_2addr_b32 v[39:40], v40 offset1:1
	ds_load_2addr_b32 v[47:48], v48 offset1:1
	v_mov_b32_e32 v58, s10
	s_add_i32 s10, s9, 0xffffe1f0
	s_delay_alu instid0(SALU_CYCLE_1) | instskip(SKIP_1) | instid1(SALU_CYCLE_1)
	v_mov_b32_e32 v43, s10
	s_add_i32 s10, s9, 0xffffe1e8
	v_mov_b32_e32 v50, s10
	s_waitcnt lgkmcnt(4)
	v_fma_f32 v38, -v9, v38, v49
	ds_load_2addr_b32 v[43:44], v43 offset1:1
	ds_load_2addr_b32 v[49:50], v50 offset1:1
	;; [unrolled: 1-line block ×3, first 2 shown]
	v_fma_f32 v37, -v8, v37, v38
	s_add_i32 s10, s9, 0xffffe3a0
	s_waitcnt lgkmcnt(5)
	v_fma_f32 v36, -v3, v51, v36
	v_mov_b32_e32 v51, s10
	s_add_i32 s10, s9, 0xffffe2bc
	v_fma_f32 v37, -v15, v46, v37
	v_mov_b32_e32 v38, s10
	s_waitcnt lgkmcnt(4)
	v_fma_f32 v36, -v2, v40, v36
	s_add_i32 s10, s9, 0xffffe2b4
	v_mov_b32_e32 v40, s11
	v_fma_f32 v46, -v14, v45, v37
	s_add_i32 s11, s9, 0xffffe1d8
	v_fma_f32 v36, -v1, v39, v36
	v_mov_b32_e32 v39, s10
	s_add_i32 s10, s9, 0xffffe1e0
	s_waitcnt lgkmcnt(3)
	v_fma_f32 v69, -v16, v48, v63
	s_waitcnt lgkmcnt(2)
	v_fma_f32 v59, -v0, v44, v36
	ds_load_2addr_b32 v[36:37], v38 offset1:1
	ds_load_2addr_b32 v[38:39], v39 offset1:1
	;; [unrolled: 1-line block ×3, first 2 shown]
	s_waitcnt lgkmcnt(3)
	v_fma_f32 v40, -v13, v57, v46
	v_mov_b32_e32 v46, s10
	s_sub_i32 s10, s4, 31
	v_fma_f32 v43, -v7, v43, v59
	s_lshl_b32 s10, s10, 6
	ds_load_2addr_b32 v[57:58], v58 offset1:1
	ds_load_2addr_b32 v[59:60], v51 offset1:1
	ds_load_2addr_b32 v[61:62], v61 offset1:1
	s_add_i32 s10, s10, s4
	v_fma_f32 v40, -v12, v56, v40
	v_fma_f32 v43, -v6, v50, v43
	ds_load_2addr_b32 v[50:51], v46 offset1:1
	v_mov_b32_e32 v46, s11
	s_add_i32 s11, s9, 0xffffe1d0
	s_lshl_b32 s10, s10, 2
	v_mov_b32_e32 v56, s11
	s_add_i32 s11, s10, -4
	ds_load_2addr_b32 v[63:64], v46 offset1:1
	v_mov_b32_e32 v48, s11
	s_waitcnt lgkmcnt(7)
	v_fma_f32 v37, -v19, v37, v40
	v_fma_f32 v40, -v5, v49, v43
	ds_load_2addr_b32 v[48:49], v48 offset1:1
	ds_load_2addr_b32 v[65:66], v56 offset1:1
	;; [unrolled: 1-line block ×3, first 2 shown]
	s_add_i32 s11, s10, -12
	v_fma_f32 v46, -v23, v47, v69
	v_mov_b32_e32 v43, s11
	v_fma_f32 v47, -v18, v36, v37
	s_sub_i32 s11, s10, 20
	s_sub_i32 s12, s10, 28
	ds_load_2addr_b32 v[36:37], v43 offset1:1
	s_waitcnt lgkmcnt(5)
	v_fma_f32 v40, -v4, v51, v40
	v_mov_b32_e32 v43, s11
	v_fma_f32 v51, -v26, v52, v53
	v_fma_f32 v52, -v22, v58, v46
	;; [unrolled: 1-line block ×4, first 2 shown]
	v_mov_b32_e32 v50, s12
	s_sub_i32 s12, s10, 36
	s_add_i32 s11, s9, 0xffffe2a4
	s_waitcnt lgkmcnt(3)
	v_fma_f32 v24, -v3, v49, v24
	v_fma_f32 v56, -v10, v64, v40
	ds_load_2addr_b32 v[39:40], v43 offset1:1
	ds_load_2addr_b32 v[46:47], v50 offset1:1
	v_fma_f32 v38, -v16, v38, v53
	v_fma_f32 v43, -v21, v57, v52
	;; [unrolled: 1-line block ×7, first 2 shown]
	s_waitcnt lgkmcnt(2)
	v_fma_f32 v37, -v1, v37, v48
	v_fma_f32 v45, -v8, v66, v50
	v_mul_f32_e32 v24, v54, v49
	v_fma_f32 v60, -v22, v44, v38
	v_fma_f32 v59, -v27, v59, v43
	v_fma_f32 v36, -v0, v36, v37
	v_mov_b32_e32 v37, s12
	v_fma_f32 v38, -v15, v65, v45
	s_add_i32 s12, s9, 0xffffe1c0
	v_mov_b32_e32 v49, s13
	s_sub_i32 s13, s10, 60
	s_waitcnt lgkmcnt(1)
	v_fma_f32 v40, -v7, v40, v36
	ds_load_2addr_b32 v[36:37], v37 offset1:1
	v_fma_f32 v51, -v14, v68, v38
	v_mov_b32_e32 v38, s12
	s_sub_i32 s12, s10, 44
	v_fma_f32 v40, -v6, v39, v40
	v_mov_b32_e32 v43, s12
	s_sub_i32 s12, s10, 52
	ds_load_2addr_b32 v[38:39], v38 offset1:1
	v_mov_b32_e32 v45, s12
	s_waitcnt lgkmcnt(2)
	v_fma_f32 v40, -v5, v47, v40
	ds_load_2addr_b32 v[43:44], v43 offset1:1
	v_mov_b32_e32 v47, s13
	s_add_i32 s12, s9, 0xffffe1b0
	s_add_i32 s13, s9, 0xffffe1a8
	v_fma_f32 v40, -v4, v46, v40
	ds_load_2addr_b32 v[45:46], v45 offset1:1
	ds_load_2addr_b32 v[47:48], v47 offset1:1
	;; [unrolled: 1-line block ×3, first 2 shown]
	v_fma_f32 v54, -v13, v67, v51
	v_dual_mov_b32 v52, s13 :: v_dual_mov_b32 v53, s11
	s_add_i32 s11, s9, 0xffffe29c
	s_waitcnt lgkmcnt(5)
	v_fma_f32 v37, -v11, v37, v40
	v_mov_b32_e32 v40, s12
	s_add_i32 s13, s10, 0xffffffbc
	v_mov_b32_e32 v55, s11
	s_add_i32 s11, s9, 0xffffe294
	v_fma_f32 v56, -v10, v36, v37
	ds_load_2addr_b32 v[36:37], v40 offset1:1
	ds_load_2addr_b32 v[51:52], v52 offset1:1
	s_waitcnt lgkmcnt(6)
	v_fma_f32 v54, -v12, v39, v54
	s_add_i32 s12, s5, 0xffffe28c
	ds_load_2addr_b32 v[39:40], v53 offset1:1
	s_waitcnt lgkmcnt(6)
	v_fma_f32 v44, -v9, v44, v56
	v_mov_b32_e32 v56, s11
	v_fma_f32 v38, -v19, v38, v54
	v_mov_b32_e32 v57, s12
	s_add_i32 s11, s10, 0xffffffb4
	v_fma_f32 v43, -v8, v43, v44
	v_mov_b32_e32 v44, s13
	s_waitcnt lgkmcnt(3)
	v_fma_f32 v38, -v18, v50, v38
	s_add_i32 s12, s10, 0xffffffac
	s_add_i32 s13, s10, 0xffffffa4
	v_fma_f32 v46, -v15, v46, v43
	ds_load_2addr_b32 v[43:44], v44 offset1:1
	ds_load_2addr_b32 v[53:54], v55 offset1:1
	ds_load_2addr_b32 v[55:56], v56 offset1:1
	ds_load_2addr_b32 v[57:58], v57 offset1:1
	v_fma_f32 v38, -v17, v49, v38
	v_fma_f32 v45, -v14, v45, v46
	v_mov_b32_e32 v46, s11
	s_waitcnt lgkmcnt(6)
	s_delay_alu instid0(VALU_DEP_3)
	v_fma_f32 v49, -v16, v37, v38
	s_add_i32 s11, s9, 0xffffe1a0
	s_waitcnt lgkmcnt(4)
	v_fma_f32 v40, -v21, v40, v60
	v_fma_f32 v45, -v13, v48, v45
	ds_load_2addr_b32 v[37:38], v46 offset1:1
	v_mov_b32_e32 v46, s12
	v_mov_b32_e32 v48, s13
	v_fma_f32 v36, -v23, v36, v49
	v_fma_f32 v50, -v12, v47, v45
	ds_load_2addr_b32 v[45:46], v46 offset1:1
	ds_load_2addr_b32 v[47:48], v48 offset1:1
	v_mov_b32_e32 v49, s11
	v_fma_f32 v36, -v22, v52, v36
	s_waitcnt lgkmcnt(6)
	v_fma_f32 v44, -v19, v44, v50
	v_fma_f32 v50, -v26, v62, v59
	;; [unrolled: 1-line block ×3, first 2 shown]
	ds_load_2addr_b32 v[39:40], v49 offset1:1
	s_add_i32 s11, s9, 0xffffe198
	v_fma_f32 v43, -v18, v43, v44
	s_add_i32 s12, s10, 0xffffff9c
	s_waitcnt lgkmcnt(6)
	v_fma_f32 v54, -v27, v54, v59
	v_fma_f32 v59, -v21, v51, v36
	s_addk_i32 s9, 0xe190
	v_mov_b32_e32 v44, s12
	s_waitcnt lgkmcnt(3)
	v_fma_f32 v36, -v17, v38, v43
	v_mov_b32_e32 v38, s11
	s_add_i32 s11, s5, 0xffffe188
	v_fma_f32 v60, -v25, v61, v50
	v_mov_b32_e32 v51, s11
	v_fma_f32 v43, -v16, v37, v36
	ds_load_2addr_b32 v[36:37], v38 offset1:1
	v_mov_b32_e32 v49, s9
	s_add_i32 s9, s10, 0xffffff94
	v_fma_f32 v53, -v26, v53, v54
	s_waitcnt lgkmcnt(3)
	v_fma_f32 v38, -v23, v46, v43
	ds_load_2addr_b32 v[43:44], v44 offset1:1
	ds_load_2addr_b32 v[49:50], v49 offset1:1
	;; [unrolled: 1-line block ×3, first 2 shown]
	s_waitcnt lgkmcnt(4)
	v_fma_f32 v40, -v20, v40, v59
	s_addk_i32 s5, 0xe084
	v_fma_f32 v42, -v24, v42, v60
	v_fma_f32 v38, -v22, v45, v38
	v_mov_b32_e32 v45, s9
	s_add_i32 s9, s10, 0xffffff8c
	v_fma_f32 v39, -v27, v39, v40
	v_mov_b32_e32 v40, s9
	v_fma_f32 v38, -v21, v48, v38
	ds_load_2addr_b32 v[45:46], v45 offset1:1
	v_mov_b32_e32 v54, s5
	v_fma_f32 v56, -v25, v56, v53
	s_sub_i32 s10, s4, 32
	v_fma_f32 v38, -v20, v47, v38
	s_waitcnt lgkmcnt(4)
	v_fma_f32 v37, -v26, v37, v39
	ds_load_2addr_b32 v[47:48], v40 offset1:1
	ds_load_2addr_b32 v[53:54], v54 offset1:1
	v_mul_f32_e32 v39, v41, v42
	v_fma_f32 v40, -v24, v55, v56
	s_waitcnt lgkmcnt(5)
	v_fma_f32 v38, -v27, v44, v38
	v_fma_f32 v36, -v25, v36, v37
	s_clause 0x1
	global_store_b128 v[30:31], v[0:3], off offset:-12
	global_store_b128 v[30:31], v[4:7], off offset:-28
	s_cmp_gt_i32 s4, 62
	s_clause 0x3
	global_store_b128 v[30:31], v[8:11], off offset:-44
	global_store_b128 v[30:31], v[12:15], off offset:-60
	;; [unrolled: 1-line block ×4, first 2 shown]
	v_fma_f32 v37, -v26, v43, v38
	v_fma_f32 v38, -v39, v58, v40
	s_waitcnt lgkmcnt(4)
	v_fma_f32 v36, -v24, v50, v36
	s_waitcnt lgkmcnt(2)
	v_fma_f32 v37, -v25, v46, v37
	v_mul_f32_e32 v38, v57, v38
	s_delay_alu instid0(VALU_DEP_3) | instskip(NEXT) | instid1(VALU_DEP_3)
	v_fma_f32 v36, -v39, v49, v36
	v_fma_f32 v37, -v24, v45, v37
	s_delay_alu instid0(VALU_DEP_2) | instskip(SKIP_1) | instid1(VALU_DEP_2)
	v_fma_f32 v36, -v38, v52, v36
	s_waitcnt lgkmcnt(1)
	v_fma_f32 v40, -v39, v48, v37
	s_delay_alu instid0(VALU_DEP_2) | instskip(NEXT) | instid1(VALU_DEP_2)
	v_mul_f32_e32 v37, v51, v36
	v_fma_f32 v36, -v38, v47, v40
	s_waitcnt lgkmcnt(0)
	s_delay_alu instid0(VALU_DEP_1) | instskip(NEXT) | instid1(VALU_DEP_1)
	v_fma_f32 v0, -v37, v54, v36
	v_mul_f32_e32 v36, v53, v0
	s_clause 0x1
	global_store_b128 v[30:31], v[24:27], off offset:-108
	global_store_b128 v[30:31], v[36:39], off offset:-124
	s_cbranch_scc0 .LBB44_18
; %bb.17:                               ;   in Loop: Header=BB44_14 Depth=1
	s_mov_b32 s4, s10
	s_branch .LBB44_14
.LBB44_18:
	s_cmp_gt_i32 s10, -1
	s_cbranch_scc0 .LBB44_43
; %bb.19:
	s_cmp_lt_u32 s10, 3
	s_cbranch_scc1 .LBB44_25
; %bb.20:
	s_lshl_b32 s4, s10, 8
	s_lshl_b32 s5, s28, 2
	s_ashr_i32 s9, s8, 31
	s_add_i32 s4, s4, s5
	s_lshl_b64 s[12:13], s[8:9], 2
	s_addk_i32 s4, 0xfcfc
	s_add_u32 s5, s2, s12
	s_addc_u32 s7, s3, s13
	s_add_u32 s5, s5, s0
	s_addc_u32 s7, s7, s1
	v_add_co_u32 v0, vcc_lo, s5, v34
	v_add_co_ci_u32_e32 v1, vcc_lo, s7, v35, vcc_lo
	s_mov_b32 s11, 0
.LBB44_21:                              ; =>This Loop Header: Depth=1
                                        ;     Child Loop BB44_22 Depth 2
	s_delay_alu instid0(SALU_CYCLE_1)
	s_lshl_b64 s[12:13], s[10:11], 2
	s_cmp_le_i32 s8, s10
	v_add_co_u32 v2, vcc_lo, v32, s12
	v_add_co_ci_u32_e32 v3, vcc_lo, s13, v33, vcc_lo
	s_mov_b32 s5, s4
	s_mov_b32 s7, s8
	global_load_b128 v[2:5], v[2:3], off offset:-12
	s_waitcnt vmcnt(0)
	v_dual_mul_f32 v7, s15, v5 :: v_dual_mul_f32 v6, s15, v4
	v_dual_mul_f32 v5, s15, v3 :: v_dual_mul_f32 v4, s15, v2
	v_dual_mov_b32 v3, v1 :: v_dual_mov_b32 v2, v0
	s_cbranch_scc1 .LBB44_23
	.p2align	6
.LBB44_22:                              ;   Parent Loop BB44_21 Depth=1
                                        ; =>  This Inner Loop Header: Depth=2
	global_load_b32 v12, v[2:3], off
	v_mov_b32_e32 v10, s5
	v_add_co_u32 v2, vcc_lo, v2, -4
	v_add_co_ci_u32_e32 v3, vcc_lo, -1, v3, vcc_lo
	ds_load_2addr_stride64_b32 v[8:9], v10 offset0:2 offset1:3
	ds_load_2addr_stride64_b32 v[10:11], v10 offset1:1
	s_add_i32 s7, s7, -1
	s_add_i32 s5, s5, -4
	s_cmp_gt_i32 s7, s10
	s_waitcnt vmcnt(0) lgkmcnt(1)
	v_fma_f32 v7, -v12, v9, v7
	v_fma_f32 v6, -v12, v8, v6
	s_waitcnt lgkmcnt(0)
	v_fma_f32 v5, -v12, v11, v5
	v_fma_f32 v4, -v12, v10, v4
	s_cbranch_scc1 .LBB44_22
.LBB44_23:                              ;   in Loop: Header=BB44_21 Depth=1
	s_lshl_b32 s7, s10, 6
	s_mul_i32 s5, s10, 0x104
	s_add_i32 s7, s7, s10
	s_add_i32 s9, s5, 0xfffffefc
	s_delay_alu instid0(SALU_CYCLE_1)
	v_dual_mov_b32 v2, s5 :: v_dual_mov_b32 v3, s9
	s_lshl_b32 s7, s7, 2
	s_ashr_i32 s13, s10, 31
	s_add_i32 s9, s7, 0xfffffe00
	ds_load_b32 v12, v2
	v_mov_b32_e32 v8, s9
	s_add_i32 s9, s5, 0xfffffdf8
	s_addk_i32 s7, 0xfcfc
	s_addk_i32 s5, 0xfcf4
	v_mov_b32_e32 v10, s7
	ds_load_b32 v14, v8
	ds_load_2addr_b32 v[2:3], v3 offset1:1
	v_mov_b32_e32 v8, s9
	ds_load_2addr_b32 v[8:9], v8 offset1:1
	ds_load_2addr_b32 v[10:11], v10 offset1:1
	s_mov_b32 s12, s10
	s_add_i32 s7, s10, -4
	s_lshl_b64 s[12:13], s[12:13], 2
	s_addk_i32 s4, 0xfc00
	s_cmp_gt_i32 s10, 6
	s_waitcnt lgkmcnt(4)
	v_dual_mul_f32 v7, v12, v7 :: v_dual_mov_b32 v12, s5
	ds_load_2addr_b32 v[12:13], v12 offset1:1
	s_waitcnt lgkmcnt(3)
	v_fma_f32 v3, -v7, v3, v6
	v_fma_f32 v5, -v7, v14, v5
	s_delay_alu instid0(VALU_DEP_2) | instskip(SKIP_2) | instid1(VALU_DEP_2)
	v_mul_f32_e32 v6, v2, v3
	s_waitcnt lgkmcnt(1)
	v_fma_f32 v3, -v7, v11, v4
	v_fma_f32 v2, -v6, v9, v5
	s_delay_alu instid0(VALU_DEP_1) | instskip(NEXT) | instid1(VALU_DEP_3)
	v_mul_f32_e32 v5, v8, v2
	v_fma_f32 v2, -v6, v10, v3
	s_waitcnt lgkmcnt(0)
	s_delay_alu instid0(VALU_DEP_1) | instskip(SKIP_2) | instid1(VALU_DEP_3)
	v_fma_f32 v4, -v5, v13, v2
	v_add_co_u32 v2, vcc_lo, v32, s12
	v_add_co_ci_u32_e32 v3, vcc_lo, s13, v33, vcc_lo
	v_mul_f32_e32 v4, v12, v4
	global_store_b128 v[2:3], v[4:7], off offset:-12
	s_cbranch_scc0 .LBB44_26
; %bb.24:                               ;   in Loop: Header=BB44_21 Depth=1
	s_mov_b32 s10, s7
	s_branch .LBB44_21
.LBB44_25:
	s_mov_b32 s7, s10
.LBB44_26:
	s_delay_alu instid0(SALU_CYCLE_1)
	s_cmp_lt_i32 s7, 0
	s_cbranch_scc1 .LBB44_43
; %bb.27:
	s_add_i32 s4, s7, 1
	s_delay_alu instid0(SALU_CYCLE_1)
	s_and_b32 s10, s4, 3
	s_mov_b32 s4, s7
	s_cmp_eq_u32 s10, 0
	s_cbranch_scc1 .LBB44_32
; %bb.28:
	s_lshl_b32 s4, s7, 8
	s_lshl_b32 s5, s28, 2
	s_ashr_i32 s9, s8, 31
	s_add_i32 s11, s4, s5
	s_lshl_b64 s[4:5], s[8:9], 2
	s_add_i32 s9, s11, -4
	s_add_u32 s4, s2, s4
	s_addc_u32 s5, s3, s5
	s_add_u32 s4, s4, s0
	s_addc_u32 s5, s5, s1
	v_add_co_u32 v0, vcc_lo, s4, v34
	v_add_co_ci_u32_e32 v1, vcc_lo, s5, v35, vcc_lo
	s_mov_b32 s5, 0
	s_mov_b32 s4, s7
	;; [unrolled: 1-line block ×3, first 2 shown]
	s_set_inst_prefetch_distance 0x1
	s_branch .LBB44_30
	.p2align	6
.LBB44_29:                              ;   in Loop: Header=BB44_30 Depth=1
	s_mul_i32 s12, s4, 0x104
	s_ashr_i32 s13, s4, 31
	v_mov_b32_e32 v2, s12
	s_mov_b32 s12, s4
	s_add_i32 s11, s11, 1
	s_lshl_b64 s[12:13], s[12:13], 2
	s_add_i32 s4, s4, -1
	ds_load_b32 v5, v2
	v_add_co_u32 v2, vcc_lo, v32, s12
	v_add_co_ci_u32_e32 v3, vcc_lo, s13, v33, vcc_lo
	s_addk_i32 s9, 0xff00
	s_cmp_lg_u32 s11, s10
	s_waitcnt lgkmcnt(0)
	v_mul_f32_e32 v4, v5, v4
	global_store_b32 v[2:3], v4, off
	s_cbranch_scc0 .LBB44_32
.LBB44_30:                              ; =>This Loop Header: Depth=1
                                        ;     Child Loop BB44_31 Depth 2
	s_lshl_b64 s[12:13], s[4:5], 2
	s_cmp_le_i32 s8, s4
	v_add_co_u32 v2, vcc_lo, v32, s12
	v_add_co_ci_u32_e32 v3, vcc_lo, s13, v33, vcc_lo
	s_mov_b32 s12, s9
	s_mov_b32 s13, s8
	global_load_b32 v2, v[2:3], off
	s_waitcnt vmcnt(0)
	v_dual_mul_f32 v4, s15, v2 :: v_dual_mov_b32 v3, v1
	v_mov_b32_e32 v2, v0
	s_cbranch_scc1 .LBB44_29
.LBB44_31:                              ;   Parent Loop BB44_30 Depth=1
                                        ; =>  This Inner Loop Header: Depth=2
	global_load_b32 v5, v[2:3], off
	v_mov_b32_e32 v6, s12
	v_add_co_u32 v2, vcc_lo, v2, -4
	v_add_co_ci_u32_e32 v3, vcc_lo, -1, v3, vcc_lo
	ds_load_b32 v6, v6
	s_add_i32 s13, s13, -1
	s_add_i32 s12, s12, -4
	s_cmp_gt_i32 s13, s4
	s_waitcnt vmcnt(0) lgkmcnt(0)
	v_fma_f32 v4, -v5, v6, v4
	s_cbranch_scc1 .LBB44_31
	s_branch .LBB44_29
.LBB44_32:
	s_set_inst_prefetch_distance 0x2
	s_cmp_lt_u32 s7, 3
	s_cbranch_scc1 .LBB44_43
; %bb.33:
	s_lshl_b32 s5, s4, 8
	s_lshl_b32 s7, s28, 2
	s_ashr_i32 s9, s8, 31
	s_add_i32 s5, s5, s7
	s_lshl_b64 s[10:11], s[8:9], 2
	s_add_i32 s7, s5, -4
	s_add_u32 s9, s2, s10
	s_addc_u32 s10, s3, s11
	s_add_u32 s9, s9, s0
	s_addc_u32 s10, s10, s1
	v_add_co_u32 v0, vcc_lo, s9, v34
	v_add_co_ci_u32_e32 v1, vcc_lo, s10, v35, vcc_lo
	s_add_i32 s9, s5, 0xfffffefc
	s_add_i32 s12, s5, 0xfffffdfc
	;; [unrolled: 1-line block ×3, first 2 shown]
	s_mov_b32 s5, 0
	s_branch .LBB44_35
.LBB44_34:                              ;   in Loop: Header=BB44_35 Depth=1
	s_add_i32 s10, s11, 0xfffffefc
	s_addk_i32 s7, 0xfc00
	v_mov_b32_e32 v4, s10
	s_add_i32 s10, s4, -4
	s_addk_i32 s9, 0xfc00
	s_addk_i32 s12, 0xfc00
	;; [unrolled: 1-line block ×3, first 2 shown]
	ds_load_b32 v4, v4
	s_cmp_lt_i32 s4, 4
	s_mov_b32 s4, s10
	s_waitcnt lgkmcnt(0)
	v_mul_f32_e32 v4, v4, v6
	global_store_b32 v[2:3], v4, off offset:-12
	s_cbranch_scc1 .LBB44_43
.LBB44_35:                              ; =>This Loop Header: Depth=1
                                        ;     Child Loop BB44_36 Depth 2
                                        ;     Child Loop BB44_38 Depth 2
	;; [unrolled: 1-line block ×4, first 2 shown]
	s_lshl_b64 s[10:11], s[4:5], 2
	s_cmp_le_i32 s8, s4
	v_add_co_u32 v2, vcc_lo, v32, s10
	v_add_co_ci_u32_e32 v3, vcc_lo, s11, v33, vcc_lo
	s_mov_b32 s10, s7
	s_mov_b32 s11, s8
	global_load_b32 v2, v[2:3], off
	s_waitcnt vmcnt(0)
	v_dual_mul_f32 v4, s15, v2 :: v_dual_mov_b32 v3, v1
	v_mov_b32_e32 v2, v0
	s_cbranch_scc1 .LBB44_37
.LBB44_36:                              ;   Parent Loop BB44_35 Depth=1
                                        ; =>  This Inner Loop Header: Depth=2
	global_load_b32 v5, v[2:3], off
	v_mov_b32_e32 v6, s10
	v_add_co_u32 v2, vcc_lo, v2, -4
	v_add_co_ci_u32_e32 v3, vcc_lo, -1, v3, vcc_lo
	ds_load_b32 v6, v6
	s_add_i32 s11, s11, -1
	s_add_i32 s10, s10, -4
	s_cmp_gt_i32 s11, s4
	s_waitcnt vmcnt(0) lgkmcnt(0)
	v_fma_f32 v4, -v5, v6, v4
	s_cbranch_scc1 .LBB44_36
.LBB44_37:                              ;   in Loop: Header=BB44_35 Depth=1
	s_add_i32 s10, s4, -1
	s_mov_b32 s11, s5
	s_mul_i32 s14, s4, 0x104
	s_lshl_b64 s[10:11], s[10:11], 2
	s_delay_alu instid0(SALU_CYCLE_1)
	v_add_co_u32 v2, vcc_lo, v32, s10
	v_add_co_ci_u32_e32 v3, vcc_lo, s11, v33, vcc_lo
	s_ashr_i32 s11, s4, 31
	s_mov_b32 s10, s4
	global_load_b32 v5, v[2:3], off
	v_mov_b32_e32 v2, s14
	s_lshl_b64 s[10:11], s[10:11], 2
	s_cmp_lt_i32 s8, s4
	ds_load_b32 v6, v2
	v_add_co_u32 v2, vcc_lo, v32, s10
	v_add_co_ci_u32_e32 v3, vcc_lo, s11, v33, vcc_lo
	s_mov_b32 s10, s9
	s_mov_b32 s11, s28
	s_waitcnt lgkmcnt(0)
	v_mul_f32_e32 v7, v6, v4
	global_store_b32 v[2:3], v7, off
	s_waitcnt vmcnt(0)
	v_dual_mul_f32 v6, s15, v5 :: v_dual_mov_b32 v5, v1
	v_mov_b32_e32 v4, v0
	s_cbranch_scc1 .LBB44_39
.LBB44_38:                              ;   Parent Loop BB44_35 Depth=1
                                        ; =>  This Inner Loop Header: Depth=2
	global_load_b32 v7, v[4:5], off
	v_mov_b32_e32 v8, s10
	v_add_co_u32 v4, vcc_lo, v4, -4
	v_add_co_ci_u32_e32 v5, vcc_lo, -1, v5, vcc_lo
	ds_load_b32 v8, v8
	s_add_i32 s11, s11, -1
	s_add_i32 s10, s10, -4
	s_cmp_gt_i32 s11, s4
	s_waitcnt vmcnt(0) lgkmcnt(0)
	v_fma_f32 v6, -v7, v8, v6
	s_cbranch_scc1 .LBB44_38
.LBB44_39:                              ;   in Loop: Header=BB44_35 Depth=1
	s_add_i32 s10, s4, -2
	s_mov_b32 s11, s5
	s_addk_i32 s14, 0xfefc
	s_lshl_b64 s[16:17], s[10:11], 2
	s_cmp_le_i32 s8, s10
	v_add_co_u32 v4, vcc_lo, v32, s16
	v_add_co_ci_u32_e32 v5, vcc_lo, s17, v33, vcc_lo
	s_mov_b32 s11, s12
	s_mov_b32 s16, s8
	global_load_b32 v4, v[4:5], off
	v_mov_b32_e32 v5, s14
	ds_load_b32 v5, v5
	s_waitcnt vmcnt(0) lgkmcnt(0)
	v_dual_mul_f32 v7, v5, v6 :: v_dual_mul_f32 v6, s15, v4
	v_dual_mov_b32 v5, v1 :: v_dual_mov_b32 v4, v0
	global_store_b32 v[2:3], v7, off offset:-4
	s_cbranch_scc1 .LBB44_41
.LBB44_40:                              ;   Parent Loop BB44_35 Depth=1
                                        ; =>  This Inner Loop Header: Depth=2
	global_load_b32 v7, v[4:5], off
	v_mov_b32_e32 v8, s11
	v_add_co_u32 v4, vcc_lo, v4, -4
	v_add_co_ci_u32_e32 v5, vcc_lo, -1, v5, vcc_lo
	ds_load_b32 v8, v8
	s_add_i32 s16, s16, -1
	s_add_i32 s11, s11, -4
	s_cmp_gt_i32 s16, s10
	s_waitcnt vmcnt(0) lgkmcnt(0)
	v_fma_f32 v6, -v7, v8, v6
	s_cbranch_scc1 .LBB44_40
.LBB44_41:                              ;   in Loop: Header=BB44_35 Depth=1
	s_add_i32 s10, s4, -3
	s_mov_b32 s11, s5
	s_delay_alu instid0(SALU_CYCLE_1)
	s_lshl_b64 s[16:17], s[10:11], 2
	s_add_i32 s11, s14, 0xfffffefc
	v_add_co_u32 v4, vcc_lo, v32, s16
	v_add_co_ci_u32_e32 v5, vcc_lo, s17, v33, vcc_lo
	s_cmp_le_i32 s8, s10
	s_mov_b32 s14, s13
	s_mov_b32 s16, s8
	global_load_b32 v4, v[4:5], off
	v_mov_b32_e32 v5, s11
	ds_load_b32 v5, v5
	s_waitcnt vmcnt(0) lgkmcnt(0)
	v_dual_mul_f32 v7, v5, v6 :: v_dual_mul_f32 v6, s15, v4
	v_dual_mov_b32 v5, v1 :: v_dual_mov_b32 v4, v0
	global_store_b32 v[2:3], v7, off offset:-8
	s_cbranch_scc1 .LBB44_34
.LBB44_42:                              ;   Parent Loop BB44_35 Depth=1
                                        ; =>  This Inner Loop Header: Depth=2
	global_load_b32 v7, v[4:5], off
	v_mov_b32_e32 v8, s14
	v_add_co_u32 v4, vcc_lo, v4, -4
	v_add_co_ci_u32_e32 v5, vcc_lo, -1, v5, vcc_lo
	ds_load_b32 v8, v8
	s_add_i32 s16, s16, -1
	s_add_i32 s14, s14, -4
	s_cmp_gt_i32 s16, s10
	s_waitcnt vmcnt(0) lgkmcnt(0)
	v_fma_f32 v6, -v7, v8, v6
	s_cbranch_scc1 .LBB44_42
	s_branch .LBB44_34
.LBB44_43:
	s_mov_b32 s5, 0
.LBB44_44:
	s_delay_alu instid0(SALU_CYCLE_1)
	s_and_b32 vcc_lo, exec_lo, s5
	s_cbranch_vccz .LBB44_77
; %bb.45:
	s_cmp_lt_i32 s6, 32
	s_mov_b32 s6, 0
	s_cbranch_scc1 .LBB44_52
; %bb.46:
	s_mov_b32 s5, 0
	s_mov_b32 s4, 0
	;; [unrolled: 1-line block ×3, first 2 shown]
.LBB44_47:                              ; =>This Loop Header: Depth=1
                                        ;     Child Loop BB44_49 Depth 2
	s_lshl_b64 s[8:9], s[4:5], 2
	s_cmp_eq_u32 s4, 0
	v_add_co_u32 v36, vcc_lo, v32, s8
	v_add_co_ci_u32_e32 v37, vcc_lo, s9, v33, vcc_lo
	s_clause 0x7
	global_load_b128 v[0:3], v[36:37], off
	global_load_b128 v[11:14], v[36:37], off offset:16
	global_load_b128 v[15:18], v[36:37], off offset:32
	;; [unrolled: 1-line block ×7, first 2 shown]
	s_waitcnt vmcnt(7)
	v_dual_mul_f32 v4, s15, v0 :: v_dual_mul_f32 v9, s15, v2
	s_waitcnt vmcnt(6)
	v_dual_mul_f32 v10, s15, v1 :: v_dual_mul_f32 v75, s15, v12
	v_dual_mul_f32 v8, s15, v3 :: v_dual_mul_f32 v73, s15, v14
	s_waitcnt vmcnt(5)
	v_dual_mul_f32 v76, s15, v11 :: v_dual_mul_f32 v71, s15, v16
	;; [unrolled: 3-line block ×7, first 2 shown]
	v_dual_mul_f32 v52, s15, v41 :: v_dual_mul_f32 v49, s15, v44
	v_mul_f32_e32 v50, s15, v43
	v_mul_f32_e32 v48, s15, v45
	s_cbranch_scc1 .LBB44_50
; %bb.48:                               ;   in Loop: Header=BB44_47 Depth=1
	v_dual_mov_b32 v0, v32 :: v_dual_mov_b32 v1, v33
	s_mov_b32 s6, 0
	s_mov_b32 s8, s7
.LBB44_49:                              ;   Parent Loop BB44_47 Depth=1
                                        ; =>  This Inner Loop Header: Depth=2
	global_load_b32 v2, v[0:1], off
	v_mov_b32_e32 v3, s8
	v_add_co_u32 v0, vcc_lo, v0, 4
	v_add_co_ci_u32_e32 v1, vcc_lo, 0, v1, vcc_lo
	ds_load_b128 v[11:14], v3
	ds_load_b128 v[15:18], v3 offset:16
	ds_load_b128 v[19:22], v3 offset:32
	;; [unrolled: 1-line block ×7, first 2 shown]
	s_add_i32 s6, s6, 1
	s_addk_i32 s8, 0x100
	s_cmp_lt_u32 s6, s4
	s_waitcnt vmcnt(0) lgkmcnt(7)
	v_fma_f32 v4, -v2, v11, v4
	v_fma_f32 v10, -v2, v12, v10
	v_fma_f32 v9, -v2, v13, v9
	v_fma_f32 v8, -v2, v14, v8
	s_waitcnt lgkmcnt(6)
	v_fma_f32 v76, -v2, v15, v76
	v_fma_f32 v75, -v2, v16, v75
	v_fma_f32 v74, -v2, v17, v74
	v_fma_f32 v73, -v2, v18, v73
	s_waitcnt lgkmcnt(5)
	;; [unrolled: 5-line block ×7, first 2 shown]
	v_fma_f32 v51, -v2, v77, v51
	v_fma_f32 v50, -v2, v78, v50
	;; [unrolled: 1-line block ×4, first 2 shown]
	s_cbranch_scc1 .LBB44_49
.LBB44_50:                              ;   in Loop: Header=BB44_47 Depth=1
	s_mul_i32 s6, s4, 0x104
	s_lshl_b32 s9, s4, 6
	v_mov_b32_e32 v1, s6
	s_add_i32 s9, s4, s9
	s_add_i32 s10, s6, 0x514
	v_add_nc_u32_e64 v0, 0x400, s6
	s_lshl_b32 s6, s9, 2
	s_or_b32 s8, s4, 9
	v_mov_b32_e32 v60, s6
	ds_load_b128 v[11:14], v1
	ds_load_2addr_b32 v[83:84], v1 offset0:65 offset1:66
	v_mov_b32_e32 v15, s10
	ds_load_b128 v[28:31], v1 offset:16
	ds_load_2addr_b64 v[24:27], v1 offset0:65 offset1:66
	ds_load_2addr_b32 v[44:45], v1 offset0:195 offset1:196
	ds_load_2addr_b32 v[38:39], v0 offset0:134 offset1:199
	;; [unrolled: 1-line block ×3, first 2 shown]
	s_add_i32 s10, s6, 0x51c
	s_add_i32 s12, s6, 0x524
	s_delay_alu instid0(SALU_CYCLE_1) | instskip(SKIP_3) | instid1(SALU_CYCLE_1)
	v_dual_mov_b32 v81, s10 :: v_dual_mov_b32 v80, s12
	s_add_i32 s11, s6, 0x61c
	s_add_i32 s9, s6, 0x824
	;; [unrolled: 1-line block ×3, first 2 shown]
	v_dual_mov_b32 v79, s11 :: v_dual_mov_b32 v78, s13
	s_add_i32 s11, s6, 0x52c
	s_add_i32 s12, s6, 0x53c
	;; [unrolled: 1-line block ×3, first 2 shown]
	s_addk_i32 s7, 0x80
	s_waitcnt lgkmcnt(6)
	v_mul_f32_e32 v0, v11, v4
	ds_load_b128 v[16:19], v1 offset:32
	ds_load_b128 v[4:7], v1 offset:1040
	ds_load_b32 v77, v1 offset:2080
	ds_load_2addr_b32 v[46:47], v60 offset0:69 offset1:70
	ds_load_2addr_b32 v[40:41], v15 offset1:1
	ds_load_2addr_b64 v[20:23], v60 offset0:67 offset1:68
	ds_load_2addr_b32 v[42:43], v60 offset0:71 offset1:72
	v_fma_f32 v1, -v0, v12, v10
	v_fma_f32 v9, -v0, v13, v9
	s_waitcnt lgkmcnt(11)
	v_fma_f32 v28, -v0, v28, v76
	s_delay_alu instid0(VALU_DEP_3) | instskip(SKIP_1) | instid1(VALU_DEP_2)
	v_mul_f32_e32 v1, v83, v1
	v_fma_f32 v83, -v0, v14, v8
	v_fma_f32 v82, -v1, v84, v9
	s_waitcnt lgkmcnt(7)
	s_delay_alu instid0(VALU_DEP_2)
	v_fma_f32 v76, -v1, v2, v83
	ds_load_b128 v[12:15], v60 offset:1056
	ds_load_b128 v[8:11], v60 offset:112
	ds_load_2addr_b32 v[86:87], v60 offset0:197 offset1:198
	ds_load_2addr_b32 v[88:89], v60 offset0:199 offset1:200
	;; [unrolled: 1-line block ×3, first 2 shown]
	s_waitcnt lgkmcnt(11)
	v_fma_f32 v16, -v0, v16, v72
	v_mul_f32_e32 v2, v24, v82
	v_fma_f32 v24, -v0, v29, v75
	v_fma_f32 v3, -v1, v3, v28
	;; [unrolled: 1-line block ×5, first 2 shown]
	s_waitcnt lgkmcnt(8)
	v_fma_f32 v24, -v1, v46, v24
	v_fma_f32 v26, -v2, v26, v3
	;; [unrolled: 1-line block ×3, first 2 shown]
	s_waitcnt lgkmcnt(5)
	v_fma_f32 v42, -v1, v42, v29
	v_mul_f32_e32 v3, v44, v25
	v_fma_f32 v27, -v2, v27, v24
	ds_load_2addr_b32 v[75:76], v60 offset0:73 offset1:74
	ds_load_2addr_b32 v[92:93], v60 offset0:75 offset1:76
	v_fma_f32 v20, -v2, v20, v28
	ds_load_2addr_b64 v[82:85], v60 offset0:69 offset1:70
	ds_load_b64 v[24:25], v60 offset:632
	v_fma_f32 v26, -v3, v45, v26
	s_waitcnt lgkmcnt(6)
	v_fma_f32 v44, -v3, v86, v27
	v_fma_f32 v45, -v3, v87, v20
	;; [unrolled: 1-line block ×4, first 2 shown]
	v_mul_f32_e32 v4, v4, v26
	ds_load_2addr_b32 v[30:31], v81 offset1:1
	ds_load_b128 v[26:29], v60 offset:1824
	ds_load_2addr_b32 v[20:21], v79 offset1:1
	ds_load_2addr_b32 v[46:47], v80 offset1:1
	v_fma_f32 v17, -v0, v17, v71
	v_fma_f32 v16, -v2, v22, v16
	;; [unrolled: 1-line block ×7, first 2 shown]
	v_mul_f32_e32 v5, v40, v5
	s_waitcnt lgkmcnt(7)
	v_fma_f32 v17, -v1, v75, v17
	v_fma_f32 v18, -v1, v76, v18
	;; [unrolled: 1-line block ×6, first 2 shown]
	s_waitcnt lgkmcnt(5)
	v_fma_f32 v18, -v2, v82, v18
	s_delay_alu instid0(VALU_DEP_3)
	v_mul_f32_e32 v6, v38, v6
	v_fma_f32 v72, -v3, v88, v42
	v_fma_f32 v22, -v3, v89, v16
	ds_load_2addr_b32 v[16:17], v78 offset1:1
	v_fma_f32 v18, -v3, v91, v18
	ds_load_b128 v[42:45], v60 offset:1072
	v_fma_f32 v7, -v4, v7, v72
	s_waitcnt lgkmcnt(5)
	s_delay_alu instid0(VALU_DEP_1) | instskip(SKIP_1) | instid1(VALU_DEP_1)
	v_fma_f32 v7, -v5, v30, v7
	s_waitcnt lgkmcnt(3)
	v_fma_f32 v7, -v6, v20, v7
	v_fma_f32 v20, -v3, v90, v23
	s_delay_alu instid0(VALU_DEP_2) | instskip(SKIP_2) | instid1(VALU_DEP_4)
	v_mul_f32_e32 v7, v39, v7
	v_fma_f32 v12, -v4, v12, v22
	v_mov_b32_e32 v22, s9
	v_fma_f32 v13, -v4, v13, v20
	s_mul_i32 s9, s8, 0x104
	v_fma_f32 v18, -v4, v14, v18
	v_fma_f32 v12, -v5, v31, v12
	ds_load_2addr_b32 v[30:31], v22 offset1:1
	s_waitcnt lgkmcnt(3)
	v_fma_f32 v39, -v5, v46, v13
	v_mov_b32_e32 v38, s9
	v_fma_f32 v18, -v5, v47, v18
	v_fma_f32 v12, -v6, v21, v12
	s_or_b32 s9, s4, 10
	s_waitcnt lgkmcnt(2)
	v_fma_f32 v16, -v6, v16, v39
	ds_load_2addr_b32 v[13:14], v38 offset1:1
	s_mul_i32 s10, s9, 0x104
	v_fma_f32 v12, -v7, v26, v12
	v_fma_f32 v17, -v6, v17, v18
	;; [unrolled: 1-line block ×3, first 2 shown]
	ds_load_2addr_b32 v[26:27], v60 offset0:203 offset1:204
	v_mov_b32_e32 v38, s10
	v_mul_f32_e32 v12, v77, v12
	v_mov_b32_e32 v46, s11
	ds_load_b128 v[20:23], v60 offset:1840
	v_fma_f32 v28, -v7, v28, v17
	s_add_i32 s10, s6, 0x62c
	s_lshl_b32 s8, s8, 6
	s_waitcnt lgkmcnt(3)
	v_fma_f32 v30, -v12, v30, v16
	v_fma_f32 v16, -v0, v19, v69
	v_mov_b32_e32 v70, s10
	v_fma_f32 v28, -v12, v31, v28
	s_add_i32 s8, s4, s8
	s_add_i32 s10, s6, 0x82c
	v_fma_f32 v69, -v1, v92, v16
	ds_load_b128 v[16:19], v60 offset:48
	ds_load_2addr_b64 v[38:41], v38 offset1:1
	ds_load_2addr_b32 v[46:47], v46 offset1:1
	s_waitcnt lgkmcnt(5)
	v_mul_f32_e32 v13, v13, v30
	s_lshl_b32 s8, s8, 2
	v_fma_f32 v69, -v2, v83, v69
	ds_load_2addr_b32 v[30:31], v70 offset1:1
	ds_load_2addr_b32 v[80:81], v60 offset0:205 offset1:206
	ds_load_2addr_b32 v[82:83], v60 offset0:207 offset1:208
	;; [unrolled: 1-line block ×3, first 2 shown]
	v_fma_f32 v14, -v13, v14, v28
	v_mov_b32_e32 v28, s10
	v_mov_b32_e32 v148, s8
	s_waitcnt lgkmcnt(8)
	v_fma_f32 v26, -v3, v26, v69
	ds_load_b128 v[69:72], v60 offset:64
	s_or_b32 s10, s4, 12
	s_or_b32 s8, s4, 11
	s_mul_i32 s11, s10, 0x104
	v_fma_f32 v15, -v4, v15, v26
	s_lshl_b32 s10, s10, 6
	s_waitcnt lgkmcnt(7)
	v_fma_f32 v26, -v0, v16, v68
	v_fma_f32 v17, -v0, v17, v67
	s_waitcnt lgkmcnt(5)
	v_fma_f32 v46, -v5, v46, v15
	ds_load_2addr_b32 v[15:16], v60 offset0:77 offset1:78
	ds_load_2addr_b32 v[77:78], v28 offset1:1
	ds_load_2addr_b32 v[86:87], v148 offset0:11 offset1:12
	ds_load_2addr_b32 v[88:89], v148 offset0:13 offset1:14
	v_fma_f32 v26, -v1, v93, v26
	v_mul_f32_e32 v14, v38, v14
	s_waitcnt lgkmcnt(8)
	v_fma_f32 v28, -v6, v30, v46
	ds_load_2addr_b32 v[67:68], v60 offset0:79 offset1:80
	ds_load_2addr_b32 v[92:93], v60 offset0:81 offset1:82
	ds_load_2addr_b32 v[100:101], v60 offset0:83 offset1:84
	v_fma_f32 v18, -v0, v18, v66
	v_fma_f32 v26, -v2, v84, v26
	;; [unrolled: 1-line block ×3, first 2 shown]
	s_delay_alu instid0(VALU_DEP_2) | instskip(SKIP_2) | instid1(SALU_CYCLE_1)
	v_fma_f32 v30, -v3, v27, v26
	v_mov_b32_e32 v26, s11
	s_add_i32 s11, s6, 0x534
	v_mov_b32_e32 v46, s11
	s_add_i32 s11, s6, 0x634
	ds_load_b128 v[26:29], v26
	ds_load_2addr_b32 v[90:91], v46 offset1:1
	s_waitcnt lgkmcnt(8)
	v_fma_f32 v15, -v1, v15, v17
	v_mov_b32_e32 v17, s11
	s_mul_i32 s11, s8, 0x104
	v_fma_f32 v30, -v4, v42, v30
	v_mov_b32_e32 v42, s11
	v_fma_f32 v15, -v2, v85, v15
	ds_load_2addr_b32 v[84:85], v17 offset1:1
	ds_load_2addr_b64 v[73:76], v60 offset0:71 offset1:72
	s_add_i32 s11, s6, 0x834
	s_lshl_b32 s8, s8, 6
	v_fma_f32 v15, -v3, v80, v15
	s_waitcnt lgkmcnt(9)
	v_fma_f32 v77, -v12, v77, v38
	v_fma_f32 v16, -v1, v16, v18
	s_add_i32 s8, s4, s8
	v_fma_f32 v15, -v4, v43, v15
	ds_load_2addr_b32 v[42:43], v42 offset1:1
	v_fma_f32 v17, -v5, v47, v30
	v_mov_b32_e32 v30, s11
	s_lshl_b32 s8, s8, 2
	s_waitcnt lgkmcnt(3)
	v_fma_f32 v15, -v5, v90, v15
	v_mov_b32_e32 v38, s8
	v_fma_f32 v17, -v6, v31, v17
	ds_load_2addr_b32 v[30:31], v30 offset1:1
	ds_load_2addr_b32 v[46:47], v38 offset0:13 offset1:14
	ds_load_2addr_b32 v[96:97], v38 offset0:15 offset1:16
	v_fma_f32 v17, -v7, v20, v17
	s_waitcnt lgkmcnt(5)
	v_fma_f32 v15, -v6, v84, v15
	v_fma_f32 v20, -v13, v86, v77
	s_waitcnt lgkmcnt(4)
	v_fma_f32 v16, -v2, v73, v16
	s_lshl_b32 s8, s9, 6
	v_fma_f32 v17, -v12, v78, v17
	v_fma_f32 v15, -v7, v21, v15
	;; [unrolled: 1-line block ×4, first 2 shown]
	s_or_b32 s9, s4, 13
	v_fma_f32 v17, -v13, v87, v17
	s_add_i32 s8, s4, s8
	s_mul_i32 s11, s9, 0x104
	v_fma_f32 v16, -v4, v44, v16
	s_lshl_b32 s8, s8, 2
	v_fma_f32 v17, -v14, v40, v17
	s_waitcnt lgkmcnt(2)
	v_fma_f32 v20, -v12, v30, v15
	v_mul_f32_e32 v15, v42, v18
	v_dual_mov_b32 v21, s11 :: v_dual_mov_b32 v152, s8
	ds_load_2addr_b64 v[77:80], v60 offset0:73 offset1:74
	ds_load_b32 v30, v148 offset:124
	v_fma_f32 v18, -v13, v88, v20
	v_fma_f32 v17, -v15, v43, v17
	;; [unrolled: 1-line block ×3, first 2 shown]
	s_or_b32 s8, s4, 14
	s_lshl_b32 s9, s9, 6
	v_fma_f32 v18, -v14, v41, v18
	v_mul_f32_e32 v16, v26, v17
	v_fma_f32 v17, -v6, v85, v20
	ds_load_2addr_b32 v[84:85], v21 offset1:1
	ds_load_2addr_b64 v[39:42], v152 offset0:7 offset1:8
	s_mul_i32 s11, s8, 0x104
	s_waitcnt lgkmcnt(5)
	v_fma_f32 v26, -v15, v46, v18
	v_fma_f32 v18, -v0, v19, v65
	;; [unrolled: 1-line block ×3, first 2 shown]
	v_dual_mov_b32 v19, s11 :: v_dual_mov_b32 v22, s12
	s_lshl_b32 s8, s8, 6
	s_add_i32 s11, s6, 0x63c
	s_add_i32 s8, s4, s8
	v_fma_f32 v17, -v12, v31, v17
	v_fma_f32 v31, -v1, v67, v18
	ds_load_2addr_b64 v[18:21], v19 offset1:1
	ds_load_2addr_b32 v[86:87], v22 offset1:1
	s_lshl_b32 s8, s8, 2
	s_delay_alu instid0(SALU_CYCLE_1)
	v_dual_mov_b32 v22, s11 :: v_dual_mov_b32 v155, s8
	v_fma_f32 v43, -v16, v27, v26
	v_fma_f32 v44, -v13, v89, v17
	v_fma_f32 v31, -v2, v74, v31
	ds_load_2addr_b32 v[26:27], v22 offset1:1
	ds_load_2addr_b32 v[98:99], v148 offset0:15 offset1:16
	s_add_i32 s11, s6, 0x83c
	s_waitcnt lgkmcnt(4)
	v_fma_f32 v22, -v14, v39, v44
	v_fma_f32 v31, -v3, v82, v31
	v_mov_b32_e32 v39, s11
	s_add_i32 s9, s4, s9
	v_mul_f32_e32 v17, v84, v43
	v_fma_f32 v22, -v15, v47, v22
	v_fma_f32 v31, -v4, v45, v31
	ds_load_2addr_b32 v[73:74], v39 offset1:1
	s_lshl_b32 s9, s9, 2
	s_or_b32 s12, s4, 16
	v_mov_b32_e32 v47, s9
	v_fma_f32 v22, -v16, v28, v22
	s_waitcnt lgkmcnt(3)
	v_fma_f32 v28, -v5, v86, v31
	v_fma_f32 v31, -v0, v69, v64
	ds_load_b128 v[43:46], v60 offset:1088
	ds_load_2addr_b32 v[102:103], v47 offset0:15 offset1:16
	ds_load_2addr_b32 v[104:105], v47 offset0:17 offset1:18
	s_mul_i32 s13, s12, 0x104
	v_fma_f32 v22, -v17, v85, v22
	s_waitcnt lgkmcnt(5)
	v_fma_f32 v26, -v6, v26, v28
	v_fma_f32 v28, -v1, v68, v31
	;; [unrolled: 1-line block ×3, first 2 shown]
	v_dual_mov_b32 v39, s13 :: v_dual_mul_f32 v18, v18, v22
	s_delay_alu instid0(VALU_DEP_4) | instskip(NEXT) | instid1(VALU_DEP_4)
	v_fma_f32 v23, -v7, v23, v26
	v_fma_f32 v26, -v2, v75, v28
	s_add_i32 s9, s4, s10
	s_add_i32 s13, s6, 0x644
	s_lshl_b32 s9, s9, 2
	s_waitcnt lgkmcnt(3)
	v_fma_f32 v28, -v12, v73, v23
	v_fma_f32 v26, -v3, v83, v26
	ds_load_2addr_b32 v[22:23], v148 offset0:17 offset1:18
	ds_load_2addr_b32 v[106:107], v148 offset0:19 offset1:20
	ds_load_2addr_b32 v[108:109], v148 offset0:21 offset1:22
	ds_load_b128 v[64:67], v60 offset:1856
	ds_load_b128 v[81:84], v60 offset:1104
	v_mov_b32_e32 v153, s9
	v_fma_f32 v28, -v13, v98, v28
	s_waitcnt lgkmcnt(7)
	v_fma_f32 v26, -v4, v43, v26
	s_add_i32 s9, s6, 0x844
	s_or_b32 s10, s4, 15
	s_lshl_b32 s8, s12, 6
	v_fma_f32 v28, -v14, v40, v28
	v_fma_f32 v26, -v5, v87, v26
	v_mov_b32_e32 v40, s14
	ds_load_b128 v[85:88], v39
	ds_load_2addr_b32 v[39:40], v40 offset1:1
	v_fma_f32 v26, -v6, v27, v26
	v_fma_f32 v27, -v1, v92, v31
	v_mov_b32_e32 v31, s13
	ds_load_b128 v[89:92], v60 offset:1872
	v_fma_f32 v28, -v15, v96, v28
	s_waitcnt lgkmcnt(4)
	v_fma_f32 v26, -v7, v64, v26
	v_fma_f32 v27, -v2, v76, v27
	ds_load_2addr_b32 v[68:69], v31 offset1:1
	v_mov_b32_e32 v31, s9
	v_fma_f32 v28, -v16, v29, v28
	v_fma_f32 v26, -v12, v74, v26
	ds_load_b128 v[73:76], v153 offset:64
	v_fma_f32 v27, -v3, v94, v27
	v_fma_f32 v29, -v0, v71, v62
	s_mul_i32 s11, s10, 0x104
	v_fma_f32 v26, -v13, v99, v26
	s_lshl_b32 s9, s10, 6
	v_fma_f32 v27, -v4, v44, v27
	ds_load_2addr_b32 v[43:44], v31 offset1:1
	v_fma_f32 v29, -v1, v93, v29
	v_fma_f32 v26, -v14, v41, v26
	v_mov_b32_e32 v63, s11
	s_waitcnt lgkmcnt(4)
	v_fma_f32 v27, -v5, v39, v27
	s_add_i32 s9, s4, s9
	v_fma_f32 v29, -v2, v77, v29
	v_fma_f32 v26, -v15, v97, v26
	ds_load_2addr_b32 v[98:99], v63 offset1:1
	s_waitcnt lgkmcnt(3)
	v_fma_f32 v27, -v6, v68, v27
	s_lshl_b32 s9, s9, 2
	v_fma_f32 v41, -v3, v95, v29
	v_mov_b32_e32 v154, s9
	s_waitcnt lgkmcnt(2)
	v_fma_f32 v26, -v16, v73, v26
	v_fma_f32 v27, -v7, v65, v27
	v_fma_f32 v28, -v17, v102, v28
	ds_load_2addr_b32 v[110:111], v154 offset0:17 offset1:18
	ds_load_2addr_b32 v[112:113], v154 offset0:19 offset1:20
	v_fma_f32 v39, -v17, v103, v26
	ds_load_2addr_b32 v[114:115], v38 offset0:17 offset1:18
	ds_load_b128 v[62:65], v153 offset:80
	s_waitcnt lgkmcnt(5)
	v_fma_f32 v27, -v12, v43, v27
	v_fma_f32 v19, -v18, v19, v28
	s_or_b32 s10, s4, 18
	v_fma_f32 v20, -v18, v20, v39
	v_fma_f32 v39, -v4, v45, v41
	v_fma_f32 v22, -v13, v22, v27
	ds_load_2addr_b32 v[28:29], v47 offset0:27 offset1:28
	ds_load_2addr_b32 v[26:27], v47 offset0:29 offset1:30
	ds_load_b32 v31, v47 offset:124
	ds_load_2addr_b32 v[102:103], v38 offset0:19 offset1:20
	ds_load_2addr_b32 v[116:117], v38 offset0:21 offset1:22
	;; [unrolled: 1-line block ×4, first 2 shown]
	v_fma_f32 v39, -v5, v40, v39
	s_mul_i32 s11, s10, 0x104
	s_add_i32 s13, s6, 0x54c
	s_add_i32 s12, s6, 0x854
	v_mov_b32_e32 v40, s11
	v_fma_f32 v43, -v6, v69, v39
	v_fma_f32 v39, -v0, v72, v61
	v_mov_b32_e32 v45, s13
	s_add_i32 s11, s6, 0x64c
	v_fma_f32 v22, -v14, v42, v22
	v_mov_b32_e32 v72, s11
	v_fma_f32 v61, -v1, v100, v39
	ds_load_2addr_b64 v[39:42], v40 offset1:1
	ds_load_2addr_b32 v[122:123], v45 offset1:1
	s_waitcnt lgkmcnt(13)
	v_mul_f32_e32 v19, v98, v19
	ds_load_2addr_b64 v[68:71], v152 offset0:9 offset1:10
	s_add_i32 s11, s6, 0x84c
	v_fma_f32 v45, -v2, v78, v61
	ds_load_2addr_b32 v[77:78], v72 offset1:1
	s_or_b32 s9, s4, 17
	v_fma_f32 v43, -v7, v66, v43
	v_mov_b32_e32 v61, s11
	s_waitcnt lgkmcnt(4)
	v_fma_f32 v45, -v3, v120, v45
	s_lshl_b32 s11, s9, 6
	ds_load_2addr_b32 v[124:125], v60 offset0:213 offset1:214
	ds_load_2addr_b32 v[126:127], v60 offset0:215 offset1:216
	;; [unrolled: 1-line block ×3, first 2 shown]
	s_add_i32 s11, s4, s11
	v_fma_f32 v43, -v12, v44, v43
	v_fma_f32 v44, -v4, v46, v45
	ds_load_2addr_b32 v[130:131], v61 offset1:1
	s_lshl_b32 s11, s11, 2
	s_add_i32 s8, s4, s8
	v_fma_f32 v22, -v15, v114, v22
	s_lshl_b32 s8, s8, 2
	v_mov_b32_e32 v150, s11
	s_waitcnt lgkmcnt(6)
	v_fma_f32 v61, -v5, v122, v44
	v_fma_f32 v23, -v13, v23, v43
	ds_load_b128 v[43:46], v60 offset:80
	ds_load_2addr_b32 v[132:133], v150 offset0:19 offset1:20
	ds_load_2addr_b32 v[134:135], v150 offset0:21 offset1:22
	v_fma_f32 v22, -v16, v74, v22
	s_waitcnt lgkmcnt(7)
	v_fma_f32 v61, -v6, v77, v61
	v_fma_f32 v23, -v14, v68, v23
	s_mulk_i32 s9, 0x104
	v_fma_f32 v20, -v19, v99, v20
	v_fma_f32 v22, -v17, v104, v22
	;; [unrolled: 1-line block ×3, first 2 shown]
	v_mov_b32_e32 v66, s9
	v_fma_f32 v23, -v15, v115, v23
	ds_load_2addr_b64 v[93:96], v152 offset0:11 offset1:12
	v_fma_f32 v67, -v18, v21, v22
	s_waitcnt lgkmcnt(4)
	v_fma_f32 v61, -v12, v130, v61
	ds_load_2addr_b32 v[21:22], v66 offset1:1
	ds_load_2addr_b64 v[97:100], v155 offset0:9 offset1:10
	v_mul_f32_e32 v20, v85, v20
	v_fma_f32 v66, -v19, v110, v67
	v_fma_f32 v23, -v16, v75, v23
	s_waitcnt lgkmcnt(5)
	v_fma_f32 v43, -v0, v43, v59
	v_fma_f32 v61, -v13, v106, v61
	ds_load_2addr_b32 v[114:115], v47 offset0:19 offset1:20
	ds_load_b128 v[72:75], v60 offset:96
	v_fma_f32 v59, -v20, v86, v66
	v_fma_f32 v23, -v17, v105, v23
	;; [unrolled: 1-line block ×4, first 2 shown]
	ds_load_2addr_b32 v[104:105], v60 offset0:85 offset1:86
	ds_load_2addr_b64 v[66:69], v155 offset0:11 offset1:12
	v_fma_f32 v44, -v0, v44, v58
	s_add_i32 s9, s6, 0x554
	v_fma_f32 v43, -v2, v79, v43
	v_fma_f32 v61, -v15, v102, v61
	;; [unrolled: 1-line block ×3, first 2 shown]
	s_lshl_b32 s10, s10, 6
	s_delay_alu instid0(VALU_DEP_3)
	v_fma_f32 v43, -v3, v121, v43
	s_waitcnt lgkmcnt(5)
	v_mul_f32_e32 v21, v21, v59
	s_waitcnt lgkmcnt(4)
	v_fma_f32 v23, -v18, v97, v23
	v_fma_f32 v59, -v16, v76, v61
	v_mov_b32_e32 v61, s9
	v_fma_f32 v43, -v4, v81, v43
	s_add_i32 s9, s6, 0x654
	v_fma_f32 v23, -v19, v111, v23
	v_mov_b32_e32 v79, s9
	ds_load_b32 v156, v154 offset:124
	ds_load_2addr_b32 v[110:111], v47 offset0:21 offset1:22
	ds_load_2addr_b32 v[120:121], v47 offset0:23 offset1:24
	;; [unrolled: 1-line block ×3, first 2 shown]
	s_waitcnt lgkmcnt(7)
	v_fma_f32 v47, -v17, v114, v59
	s_waitcnt lgkmcnt(5)
	v_fma_f32 v76, -v1, v104, v44
	v_fma_f32 v77, -v5, v123, v43
	ds_load_2addr_b32 v[58:59], v60 offset0:87 offset1:88
	ds_load_2addr_b32 v[138:139], v60 offset0:89 offset1:90
	;; [unrolled: 1-line block ×3, first 2 shown]
	ds_load_2addr_b32 v[43:44], v61 offset1:1
	v_fma_f32 v47, -v18, v98, v47
	ds_load_2addr_b32 v[97:98], v79 offset1:1
	v_fma_f32 v61, -v2, v80, v76
	v_fma_f32 v76, -v6, v78, v77
	s_or_b32 s9, s4, 19
	v_mov_b32_e32 v77, s12
	s_lshl_b32 s11, s9, 6
	v_fma_f32 v61, -v3, v124, v61
	v_fma_f32 v76, -v7, v89, v76
	;; [unrolled: 1-line block ×4, first 2 shown]
	s_add_i32 s11, s4, s11
	v_fma_f32 v61, -v4, v82, v61
	v_fma_f32 v76, -v12, v131, v76
	s_lshl_b32 s11, s11, 2
	ds_load_2addr_b32 v[122:123], v77 offset1:1
	v_mov_b32_e32 v151, s11
	v_fma_f32 v22, -v21, v22, v23
	v_fma_f32 v23, -v20, v88, v47
	;; [unrolled: 1-line block ×3, first 2 shown]
	s_waitcnt lgkmcnt(2)
	v_fma_f32 v43, -v5, v43, v61
	ds_load_2addr_b32 v[130:131], v151 offset0:21 offset1:22
	v_mul_f32_e32 v22, v39, v22
	v_fma_f32 v23, -v21, v132, v23
	v_fma_f32 v39, -v14, v70, v47
	v_mov_b32_e32 v47, s8
	ds_load_b32 v157, v150 offset:124
	ds_load_2addr_b64 v[76:79], v60 offset0:75 offset1:76
	s_waitcnt lgkmcnt(4)
	v_fma_f32 v43, -v6, v97, v43
	v_fma_f32 v39, -v15, v103, v39
	ds_load_b128 v[85:88], v47 offset:80
	v_fma_f32 v23, -v22, v40, v23
	v_fma_f32 v40, -v1, v105, v45
	;; [unrolled: 1-line block ×4, first 2 shown]
	s_mulk_i32 s9, 0x104
	s_add_i32 s8, s4, s10
	v_mov_b32_e32 v61, s9
	s_waitcnt lgkmcnt(4)
	v_fma_f32 v43, -v12, v122, v43
	v_fma_f32 v39, -v17, v115, v39
	s_or_b32 s9, s4, 20
	ds_load_2addr_b64 v[101:104], v60 offset0:77 offset1:78
	s_mul_i32 s10, s9, 0x104
	v_fma_f32 v43, -v13, v108, v43
	ds_load_b128 v[105:108], v47 offset:96
	v_fma_f32 v39, -v18, v99, v39
	v_mov_b32_e32 v45, s10
	s_waitcnt lgkmcnt(3)
	v_fma_f32 v40, -v2, v76, v40
	v_fma_f32 v43, -v14, v71, v43
	ds_load_2addr_b32 v[70:71], v154 offset0:21 offset1:22
	v_fma_f32 v39, -v19, v113, v39
	s_add_i32 s10, s6, 0x55c
	v_fma_f32 v40, -v3, v125, v40
	v_fma_f32 v43, -v15, v116, v43
	ds_load_2addr_b32 v[61:62], v61 offset1:1
	s_add_i32 s12, s6, 0x85c
	v_fma_f32 v55, -v0, v72, v55
	v_fma_f32 v40, -v4, v83, v40
	;; [unrolled: 1-line block ×3, first 2 shown]
	ds_load_b128 v[80:83], v45
	s_waitcnt lgkmcnt(5)
	v_fma_f32 v39, -v20, v85, v39
	v_mov_b32_e32 v45, s10
	v_fma_f32 v40, -v5, v44, v40
	v_fma_f32 v44, -v0, v46, v56
	s_add_i32 s10, s6, 0x65c
	v_fma_f32 v43, -v17, v110, v43
	v_mov_b32_e32 v46, s10
	s_or_b32 s10, s4, 21
	v_fma_f32 v39, -v21, v133, v39
	s_lshl_b32 s11, s10, 6
	ds_load_2addr_b32 v[124:125], v154 offset0:23 offset1:24
	ds_load_2addr_b32 v[132:133], v154 offset0:25 offset1:26
	;; [unrolled: 1-line block ×3, first 2 shown]
	v_fma_f32 v44, -v1, v58, v44
	v_fma_f32 v40, -v6, v98, v40
	ds_load_2addr_b32 v[97:98], v45 offset1:1
	s_add_i32 s11, s4, s11
	v_fma_f32 v43, -v18, v100, v43
	s_lshl_b32 s11, s11, 2
	v_fma_f32 v44, -v2, v77, v44
	ds_load_2addr_b32 v[76:77], v46 offset1:1
	v_fma_f32 v40, -v7, v91, v40
	v_mov_b32_e32 v158, s11
	s_waitcnt lgkmcnt(7)
	v_fma_f32 v43, -v19, v70, v43
	v_fma_f32 v44, -v3, v126, v44
	s_mulk_i32 s10, 0x104
	v_fma_f32 v40, -v12, v123, v40
	ds_load_2addr_b32 v[122:123], v158 offset0:23 offset1:24
	v_mov_b32_e32 v45, s12
	v_fma_f32 v43, -v20, v86, v43
	v_fma_f32 v44, -v4, v84, v44
	s_waitcnt lgkmcnt(7)
	v_mul_f32_e32 v23, v61, v23
	v_fma_f32 v39, -v22, v41, v39
	ds_load_2addr_b32 v[112:113], v45 offset1:1
	ds_load_2addr_b32 v[114:115], v148 offset0:23 offset1:24
	v_fma_f32 v41, -v21, v134, v43
	s_waitcnt lgkmcnt(4)
	v_fma_f32 v43, -v5, v97, v44
	v_fma_f32 v40, -v13, v109, v40
	;; [unrolled: 1-line block ×5, first 2 shown]
	s_waitcnt lgkmcnt(3)
	v_fma_f32 v56, -v6, v76, v43
	v_fma_f32 v46, -v14, v93, v40
	v_mul_f32_e32 v43, v80, v44
	ds_load_b128 v[39:42], v47 offset:112
	v_fma_f32 v70, -v23, v130, v45
	v_fma_f32 v45, -v7, v92, v56
	;; [unrolled: 1-line block ×3, first 2 shown]
	v_mov_b32_e32 v56, s10
	v_fma_f32 v63, -v2, v78, v55
	s_lshl_b32 s8, s8, 2
	s_lshl_b32 s9, s9, 6
	v_fma_f32 v57, -v16, v64, v44
	s_waitcnt lgkmcnt(2)
	v_fma_f32 v58, -v12, v112, v45
	ds_load_b128 v[44:47], v60 offset:1120
	ds_load_2addr_b32 v[144:145], v148 offset0:25 offset1:26
	ds_load_2addr_b32 v[146:147], v148 offset0:27 offset1:28
	;; [unrolled: 1-line block ×3, first 2 shown]
	ds_load_2addr_b32 v[116:117], v56 offset1:1
	ds_load_b128 v[89:92], v60 offset:1136
	v_fma_f32 v56, -v17, v111, v57
	s_waitcnt lgkmcnt(7)
	v_fma_f32 v58, -v13, v114, v58
	v_fma_f32 v72, -v3, v127, v63
	ds_load_b32 v159, v151 offset:124
	s_add_i32 s12, s6, 0x564
	v_fma_f32 v62, -v18, v66, v56
	v_fma_f32 v61, -v14, v94, v58
	;; [unrolled: 1-line block ×7, first 2 shown]
	ds_load_b128 v[61:64], v60 offset:1888
	v_fma_f32 v54, -v1, v138, v54
	v_fma_f32 v53, -v1, v139, v53
	;; [unrolled: 1-line block ×5, first 2 shown]
	v_mov_b32_e32 v59, s8
	s_waitcnt lgkmcnt(7)
	v_fma_f32 v70, -v4, v44, v72
	v_fma_f32 v71, -v21, v135, v71
	v_fma_f32 v72, -v17, v120, v65
	s_waitcnt lgkmcnt(3)
	v_mul_f32_e32 v44, v116, v66
	ds_load_2addr_b64 v[55:58], v59 offset0:11 offset1:12
	ds_load_2addr_b64 v[84:87], v59 offset0:13 offset1:14
	v_fma_f32 v70, -v5, v98, v70
	ds_load_2addr_b32 v[65:66], v150 offset0:23 offset1:24
	v_fma_f32 v67, -v18, v67, v72
	s_add_i32 s8, s4, s9
	s_or_b32 s9, s4, 22
	v_fma_f32 v70, -v6, v77, v70
	ds_load_2addr_b32 v[76:77], v151 offset0:23 offset1:24
	ds_load_b128 v[97:100], v60 offset:1904
	v_fma_f32 v67, -v19, v124, v67
	s_mul_i32 s10, s9, 0x104
	v_fma_f32 v54, -v2, v79, v54
	s_waitcnt lgkmcnt(5)
	v_fma_f32 v61, -v7, v61, v70
	s_lshl_b32 s8, s8, 2
	v_fma_f32 v67, -v20, v88, v67
	v_fma_f32 v52, -v1, v140, v52
	;; [unrolled: 1-line block ×5, first 2 shown]
	s_waitcnt lgkmcnt(4)
	v_fma_f32 v55, -v22, v55, v71
	v_fma_f32 v45, -v4, v45, v54
	;; [unrolled: 1-line block ×3, first 2 shown]
	s_waitcnt lgkmcnt(2)
	v_fma_f32 v65, -v21, v65, v67
	v_fma_f32 v52, -v2, v102, v52
	;; [unrolled: 1-line block ×3, first 2 shown]
	ds_load_b128 v[109:112], v153 offset:96
	ds_load_2addr_b32 v[80:81], v150 offset0:25 offset1:26
	ds_load_2addr_b32 v[126:127], v150 offset0:27 offset1:28
	;; [unrolled: 1-line block ×3, first 2 shown]
	v_fma_f32 v8, -v2, v103, v8
	v_fma_f32 v67, -v43, v82, v55
	v_fma_f32 v55, -v22, v56, v65
	v_fma_f32 v56, -v14, v95, v61
	s_delay_alu instid0(VALU_DEP_3) | instskip(SKIP_1) | instid1(VALU_DEP_3)
	v_fma_f32 v67, -v44, v117, v67
	s_waitcnt lgkmcnt(5)
	v_fma_f32 v61, -v23, v76, v55
	s_delay_alu instid0(VALU_DEP_3) | instskip(SKIP_2) | instid1(SALU_CYCLE_1)
	v_fma_f32 v55, -v15, v119, v56
	v_mov_b32_e32 v56, s12
	s_add_i32 s12, s6, 0x664
	v_dual_mov_b32 v70, s10 :: v_dual_mov_b32 v65, s12
	s_or_b32 s10, s4, 23
	s_waitcnt lgkmcnt(3)
	v_fma_f32 v55, -v16, v109, v55
	s_mul_i32 s11, s10, 0x104
	s_lshl_b32 s10, s10, 6
	ds_load_2addr_b64 v[113:116], v70 offset1:1
	s_add_i32 s10, s4, s10
	v_fma_f32 v55, -v17, v121, v55
	ds_load_2addr_b32 v[93:94], v151 offset0:25 offset1:26
	ds_load_2addr_b32 v[134:135], v151 offset0:27 offset1:28
	;; [unrolled: 1-line block ×3, first 2 shown]
	ds_load_2addr_b32 v[118:119], v56 offset1:1
	ds_load_2addr_b32 v[78:79], v65 offset1:1
	s_lshl_b32 s10, s10, 2
	v_fma_f32 v55, -v18, v68, v55
	v_mov_b32_e32 v88, s10
	ds_load_b128 v[70:73], v153 offset:112
	v_fma_f32 v68, -v2, v101, v53
	v_fma_f32 v74, -v43, v83, v61
	;; [unrolled: 1-line block ×3, first 2 shown]
	ds_load_2addr_b32 v[124:125], v88 offset0:25 offset1:26
	v_mov_b32_e32 v56, s11
	s_add_i32 s11, s6, 0x864
	v_fma_f32 v68, -v3, v129, v68
	v_mov_b32_e32 v65, s11
	v_fma_f32 v74, -v44, v122, v74
	s_add_i32 s10, s6, 0x56c
	s_add_i32 s12, s6, 0x86c
	v_fma_f32 v46, -v4, v46, v68
	ds_load_2addr_b32 v[120:121], v65 offset1:1
	v_mov_b32_e32 v153, s8
	s_waitcnt lgkmcnt(4)
	v_fma_f32 v45, -v5, v118, v45
	v_fma_f32 v65, -v20, v105, v55
	ds_load_2addr_b32 v[138:139], v56 offset1:1
	ds_load_b128 v[53:56], v153 offset:96
	ds_load_b64 v[82:83], v59 offset:120
	s_waitcnt lgkmcnt(6)
	v_fma_f32 v45, -v6, v78, v45
	v_fma_f32 v65, -v21, v66, v65
	;; [unrolled: 1-line block ×3, first 2 shown]
	s_lshl_b32 s8, s9, 6
	s_or_b32 s9, s4, 24
	v_fma_f32 v66, -v7, v62, v45
	ds_load_2addr_b32 v[61:62], v38 offset0:25 offset1:26
	v_fma_f32 v57, -v22, v57, v65
	v_mul_f32_e32 v45, v113, v67
	v_fma_f32 v46, -v6, v79, v46
	s_add_i32 s8, s4, s8
	s_delay_alu instid0(VALU_DEP_3)
	v_fma_f32 v57, -v23, v77, v57
	s_waitcnt lgkmcnt(4)
	v_fma_f32 v59, -v12, v120, v66
	ds_load_2addr_b64 v[65:68], v152 offset0:13 offset1:14
	v_fma_f32 v46, -v7, v63, v46
	ds_load_2addr_b32 v[117:118], v38 offset0:27 offset1:28
	ds_load_2addr_b32 v[119:120], v38 offset0:29 offset1:30
	ds_load_b32 v38, v38 offset:124
	s_lshl_b32 s8, s8, 2
	v_fma_f32 v59, -v13, v144, v59
	s_waitcnt lgkmcnt(6)
	v_fma_f32 v53, -v43, v53, v57
	s_delay_alu instid0(VALU_DEP_2) | instskip(SKIP_1) | instid1(VALU_DEP_3)
	v_fma_f32 v57, -v14, v96, v59
	v_fma_f32 v59, -v45, v114, v74
	;; [unrolled: 1-line block ×3, first 2 shown]
	s_waitcnt lgkmcnt(4)
	s_delay_alu instid0(VALU_DEP_3) | instskip(SKIP_3) | instid1(VALU_DEP_4)
	v_fma_f32 v57, -v15, v61, v57
	v_fma_f32 v61, -v12, v121, v46
	v_mul_f32_e32 v46, v138, v59
	v_fma_f32 v53, -v45, v115, v53
	v_fma_f32 v57, -v16, v110, v57
	s_delay_alu instid0(VALU_DEP_4)
	v_fma_f32 v59, -v13, v145, v61
	v_mov_b32_e32 v61, s10
	ds_load_2addr_b32 v[109:110], v60 offset0:219 offset1:220
	ds_load_b64 v[113:114], v152 offset:120
	ds_load_2addr_b64 v[74:77], v155 offset0:13 offset1:14
	v_fma_f32 v57, -v17, v136, v57
	s_waitcnt lgkmcnt(6)
	v_fma_f32 v59, -v14, v65, v59
	s_add_i32 s10, s6, 0x66c
	ds_load_2addr_b32 v[121:122], v61 offset1:1
	ds_load_2addr_b32 v[128:129], v60 offset0:221 offset1:222
	v_fma_f32 v57, -v18, v69, v57
	v_fma_f32 v59, -v15, v62, v59
	v_mov_b32_e32 v61, s10
	s_or_b32 s10, s4, 25
	s_delay_alu instid0(VALU_DEP_3) | instskip(NEXT) | instid1(VALU_DEP_3)
	v_fma_f32 v57, -v19, v132, v57
	v_fma_f32 v59, -v16, v111, v59
	ds_load_2addr_b32 v[101:102], v61 offset1:1
	s_lshl_b32 s11, s10, 6
	s_mulk_i32 s10, 0x104
	v_fma_f32 v57, -v20, v106, v57
	v_fma_f32 v59, -v17, v137, v59
	s_waitcnt lgkmcnt(5)
	v_fma_f32 v52, -v3, v109, v52
	v_mov_b32_e32 v61, s12
	s_add_i32 s11, s4, s11
	v_fma_f32 v57, -v21, v80, v57
	s_lshl_b32 s11, s11, 2
	v_fma_f32 v47, -v4, v47, v52
	s_waitcnt lgkmcnt(3)
	v_fma_f32 v52, -v18, v74, v59
	v_fma_f32 v74, -v46, v139, v53
	;; [unrolled: 1-line block ×3, first 2 shown]
	v_mov_b32_e32 v69, s11
	s_waitcnt lgkmcnt(2)
	v_fma_f32 v47, -v5, v121, v47
	v_fma_f32 v52, -v19, v133, v52
	s_mul_i32 s11, s9, 0x104
	v_fma_f32 v53, -v23, v93, v57
	v_mov_b32_e32 v59, s11
	s_waitcnt lgkmcnt(0)
	v_fma_f32 v47, -v6, v101, v47
	v_fma_f32 v52, -v20, v107, v52
	s_lshl_b32 s9, s9, 6
	v_fma_f32 v53, -v43, v54, v53
	v_mov_b32_e32 v54, s10
	ds_load_2addr_b32 v[136:137], v61 offset1:1
	ds_load_b64 v[144:145], v155 offset:120
	v_fma_f32 v47, -v7, v64, v47
	ds_load_2addr_b32 v[105:106], v69 offset0:27 offset1:28
	ds_load_2addr_b32 v[132:133], v69 offset0:29 offset1:30
	;; [unrolled: 1-line block ×3, first 2 shown]
	v_fma_f32 v52, -v21, v81, v52
	ds_load_b128 v[61:64], v59
	s_add_i32 s9, s4, s9
	s_add_i32 s12, s6, 0x874
	s_lshl_b32 s9, s9, 2
	v_fma_f32 v52, -v22, v84, v52
	v_mov_b32_e32 v84, s8
	s_or_b32 s8, s4, 26
	v_fma_f32 v8, -v3, v110, v8
	s_mul_i32 s10, s8, 0x104
	v_fma_f32 v52, -v23, v94, v52
	ds_load_2addr_b64 v[78:81], v84 offset0:13 offset1:14
	v_fma_f32 v8, -v4, v89, v8
	s_waitcnt lgkmcnt(6)
	v_fma_f32 v47, -v12, v136, v47
	v_fma_f32 v94, -v43, v55, v52
	s_delay_alu instid0(VALU_DEP_3)
	v_fma_f32 v51, -v5, v122, v8
	s_waitcnt lgkmcnt(2)
	v_fma_f32 v93, -v44, v95, v53
	v_fma_f32 v47, -v13, v146, v47
	s_waitcnt lgkmcnt(1)
	v_mul_f32_e32 v57, v61, v74
	v_fma_f32 v74, -v44, v96, v94
	v_fma_f32 v61, -v45, v116, v93
	;; [unrolled: 1-line block ×3, first 2 shown]
	ds_load_2addr_b32 v[65:66], v158 offset0:27 offset1:28
	ds_load_2addr_b32 v[138:139], v158 offset0:29 offset1:30
	ds_load_b32 v101, v158 offset:124
	ds_load_2addr_b32 v[58:59], v54 offset1:1
	v_fma_f32 v61, -v46, v124, v61
	v_fma_f32 v47, -v15, v117, v47
	s_waitcnt lgkmcnt(4)
	v_fma_f32 v74, -v45, v78, v74
	ds_load_b32 v78, v88 offset:124
	v_fma_f32 v47, -v16, v112, v47
	ds_load_b64 v[111:112], v84 offset:120
	v_fma_f32 v74, -v46, v125, v74
	v_fma_f32 v28, -v17, v28, v47
	v_mov_b32_e32 v47, s10
	s_add_i32 s10, s6, 0x574
	s_delay_alu instid0(VALU_DEP_2)
	v_fma_f32 v28, -v18, v75, v28
	ds_load_2addr_b64 v[93:96], v47 offset1:1
	v_fma_f32 v47, -v57, v62, v61
	ds_load_2addr_b32 v[61:62], v60 offset0:93 offset1:94
	ds_load_b128 v[52:55], v153 offset:112
	v_fma_f32 v28, -v19, v142, v28
	s_waitcnt lgkmcnt(5)
	v_mul_f32_e32 v58, v58, v47
	v_fma_f32 v47, -v57, v63, v74
	ds_load_2addr_b32 v[74:75], v154 offset0:29 offset1:30
	v_fma_f32 v28, -v20, v108, v28
	ds_load_2addr_b32 v[107:108], v88 offset0:27 offset1:28
	ds_load_2addr_b32 v[115:116], v88 offset0:29 offset1:30
	ds_load_b32 v88, v60 offset:380
	v_fma_f32 v47, -v58, v59, v47
	v_fma_f32 v28, -v21, v126, v28
	s_delay_alu instid0(VALU_DEP_1) | instskip(SKIP_1) | instid1(VALU_DEP_3)
	v_fma_f32 v28, -v22, v85, v28
	s_waitcnt lgkmcnt(6)
	v_mul_f32_e32 v59, v93, v47
	v_mov_b32_e32 v47, s10
	s_waitcnt lgkmcnt(5)
	v_fma_f32 v50, -v1, v61, v9
	v_fma_f32 v61, -v6, v102, v51
	;; [unrolled: 1-line block ×4, first 2 shown]
	ds_load_2addr_b32 v[8:9], v47 offset1:1
	v_fma_f32 v47, -v2, v104, v50
	v_fma_f32 v63, -v7, v97, v61
	;; [unrolled: 1-line block ×4, first 2 shown]
	s_waitcnt lgkmcnt(1)
	v_fma_f32 v11, -v1, v88, v11
	v_fma_f32 v47, -v3, v128, v47
	;; [unrolled: 1-line block ×7, first 2 shown]
	v_add_nc_u32_e64 v90, 0x7c, s6
	v_fma_f32 v24, -v45, v79, v24
	s_add_i32 s10, s6, 0x674
	s_lshl_b32 s6, s8, 6
	v_mov_b32_e32 v60, s10
	ds_load_2addr_stride64_b32 v[62:63], v90 offset0:3 offset1:5
	v_fma_f32 v24, -v46, v107, v24
	s_or_b32 s10, s4, 27
	s_waitcnt lgkmcnt(1)
	v_fma_f32 v8, -v5, v8, v47
	v_fma_f32 v47, -v13, v147, v49
	s_mul_i32 s8, s10, 0x104
	v_fma_f32 v24, -v57, v64, v24
	ds_load_2addr_b32 v[50:51], v60 offset1:1
	s_lshl_b32 s11, s10, 6
	v_fma_f32 v28, -v14, v67, v47
	v_fma_f32 v47, -v4, v91, v10
	ds_load_2addr_stride64_b32 v[10:11], v90 offset0:6 offset1:8
	s_add_i32 s11, s4, s11
	s_add_i32 s6, s4, s6
	v_fma_f32 v28, -v15, v118, v28
	v_fma_f32 v9, -v5, v9, v47
	;; [unrolled: 1-line block ×3, first 2 shown]
	s_lshl_b32 s11, s11, 2
	s_lshl_b32 s6, s6, 2
	v_fma_f32 v28, -v16, v70, v28
	s_waitcnt lgkmcnt(2)
	v_fma_f32 v25, -v3, v62, v25
	v_mov_b32_e32 v89, s11
	s_delay_alu instid0(VALU_DEP_3) | instskip(NEXT) | instid1(VALU_DEP_3)
	v_fma_f32 v28, -v17, v29, v28
	v_fma_f32 v25, -v4, v92, v25
	ds_load_2addr_b32 v[84:85], v89 offset0:29 offset1:30
	v_fma_f32 v28, -v18, v76, v28
	v_fma_f32 v24, -v5, v63, v25
	s_delay_alu instid0(VALU_DEP_2) | instskip(SKIP_1) | instid1(VALU_DEP_2)
	v_fma_f32 v25, -v19, v143, v28
	s_waitcnt lgkmcnt(1)
	v_fma_f32 v10, -v6, v10, v24
	s_delay_alu instid0(VALU_DEP_2) | instskip(SKIP_1) | instid1(VALU_DEP_3)
	v_fma_f32 v24, -v20, v39, v25
	v_mov_b32_e32 v25, s8
	v_fma_f32 v10, -v7, v100, v10
	s_or_b32 s8, s4, 28
	s_delay_alu instid0(VALU_DEP_3)
	v_fma_f32 v24, -v21, v127, v24
	ds_load_2addr_b32 v[28:29], v25 offset1:1
	v_mov_b32_e32 v60, s12
	v_fma_f32 v8, -v6, v50, v8
	v_fma_f32 v9, -v6, v51, v9
	;; [unrolled: 1-line block ×4, first 2 shown]
	ds_load_2addr_b32 v[60:61], v60 offset1:1
	v_fma_f32 v8, -v7, v98, v8
	v_fma_f32 v9, -v7, v99, v9
	;; [unrolled: 1-line block ×4, first 2 shown]
	v_mov_b32_e32 v24, s9
	s_mulk_i32 s8, 0x104
	s_delay_alu instid0(VALU_DEP_3) | instskip(NEXT) | instid1(VALU_DEP_3)
	v_fma_f32 v30, -v14, v114, v10
	v_fma_f32 v39, -v43, v52, v11
	s_waitcnt lgkmcnt(0)
	v_fma_f32 v8, -v12, v60, v8
	v_fma_f32 v9, -v12, v61, v9
	s_delay_alu instid0(VALU_DEP_2) | instskip(NEXT) | instid1(VALU_DEP_2)
	v_fma_f32 v8, -v13, v148, v8
	v_fma_f32 v9, -v13, v149, v9
	s_delay_alu instid0(VALU_DEP_2) | instskip(NEXT) | instid1(VALU_DEP_2)
	;; [unrolled: 3-line block ×4, first 2 shown]
	v_fma_f32 v8, -v16, v71, v8
	v_fma_f32 v25, -v16, v72, v9
	s_delay_alu instid0(VALU_DEP_2) | instskip(NEXT) | instid1(VALU_DEP_1)
	v_fma_f32 v8, -v17, v26, v8
	v_fma_f32 v8, -v18, v77, v8
	s_delay_alu instid0(VALU_DEP_1) | instskip(NEXT) | instid1(VALU_DEP_1)
	v_fma_f32 v8, -v19, v74, v8
	v_fma_f32 v26, -v20, v40, v8
	ds_load_b128 v[8:11], v24 offset:112
	v_fma_f32 v24, -v17, v27, v25
	v_fma_f32 v27, -v44, v66, v39
	;; [unrolled: 1-line block ×4, first 2 shown]
	s_delay_alu instid0(VALU_DEP_4) | instskip(NEXT) | instid1(VALU_DEP_4)
	v_fma_f32 v24, -v18, v144, v24
	v_fma_f32 v27, -v45, v80, v27
	v_mov_b32_e32 v30, s8
	v_fma_f32 v25, -v22, v87, v25
	v_fma_f32 v26, -v16, v73, v26
	;; [unrolled: 1-line block ×3, first 2 shown]
	s_or_b32 s8, s4, 29
	s_delay_alu instid0(VALU_DEP_3) | instskip(NEXT) | instid1(VALU_DEP_3)
	v_fma_f32 v25, -v23, v150, v25
	v_fma_f32 v26, -v17, v31, v26
	v_fma_f32 v31, -v46, v108, v27
	v_fma_f32 v38, -v20, v41, v24
	s_mul_i32 s9, s8, 0x104
	v_fma_f32 v39, -v43, v53, v25
	v_fma_f32 v40, -v18, v145, v26
	ds_load_b128 v[24:27], v30
	s_waitcnt lgkmcnt(1)
	v_fma_f32 v8, -v57, v8, v31
	v_fma_f32 v30, -v21, v131, v38
	;; [unrolled: 1-line block ×9, first 2 shown]
	v_mul_f32_e32 v60, v28, v39
	v_fma_f32 v8, -v59, v95, v8
	v_fma_f32 v28, -v23, v151, v30
	;; [unrolled: 1-line block ×4, first 2 shown]
	ds_load_b32 v40, v69 offset:124
	v_fma_f32 v8, -v60, v29, v8
	v_fma_f32 v28, -v43, v54, v28
	;; [unrolled: 1-line block ×4, first 2 shown]
	s_waitcnt lgkmcnt(1)
	v_dual_mov_b32 v39, s9 :: v_dual_mul_f32 v8, v24, v8
	v_fma_f32 v28, -v44, v139, v28
	v_fma_f32 v9, -v58, v132, v9
	;; [unrolled: 1-line block ×3, first 2 shown]
	v_mov_b32_e32 v29, s6
	s_or_b32 s6, s4, 30
	v_fma_f32 v28, -v45, v111, v28
	s_mulk_i32 s6, 0x104
	v_fma_f32 v24, -v43, v55, v24
	v_mov_b32_e32 v30, s6
	s_lshl_b32 s6, s8, 6
	v_fma_f32 v38, -v59, v96, v9
	s_add_i32 s6, s4, s6
	v_fma_f32 v24, -v44, v101, v24
	s_lshl_b32 s6, s6, 2
	v_fma_f32 v9, -v46, v116, v28
	v_fma_f32 v38, -v60, v84, v38
	s_delay_alu instid0(VALU_DEP_3) | instskip(NEXT) | instid1(VALU_DEP_3)
	v_fma_f32 v24, -v45, v112, v24
	v_fma_f32 v41, -v57, v10, v9
	s_delay_alu instid0(VALU_DEP_3) | instskip(NEXT) | instid1(VALU_DEP_3)
	v_fma_f32 v25, -v8, v25, v38
	v_fma_f32 v24, -v46, v78, v24
	s_delay_alu instid0(VALU_DEP_3) | instskip(NEXT) | instid1(VALU_DEP_2)
	v_fma_f32 v41, -v58, v133, v41
	v_fma_f32 v11, -v57, v11, v24
	v_mov_b32_e32 v24, s6
	ds_load_b64 v[28:29], v29 offset:120
	ds_load_b64 v[30:31], v30
	ds_load_2addr_b32 v[9:10], v39 offset1:1
	ds_load_b32 v39, v89 offset:124
	s_waitcnt lgkmcnt(4)
	v_fma_f32 v11, -v58, v40, v11
	ds_load_b32 v24, v24 offset:124
	s_or_b32 s6, s4, 31
	s_delay_alu instid0(SALU_CYCLE_1)
	s_mulk_i32 s6, 0x104
	s_waitcnt lgkmcnt(4)
	v_fma_f32 v28, -v59, v28, v41
	v_fma_f32 v11, -v59, v29, v11
	v_mov_b32_e32 v29, s6
	s_waitcnt lgkmcnt(2)
	v_mul_f32_e32 v9, v9, v25
	s_add_i32 s6, s4, 32
	v_fma_f32 v28, -v60, v85, v28
	s_add_i32 s4, s4, 63
	s_delay_alu instid0(SALU_CYCLE_1) | instskip(NEXT) | instid1(VALU_DEP_1)
	s_cmp_lt_i32 s4, s28
	v_fma_f32 v25, -v8, v26, v28
	ds_load_b32 v26, v29
	s_waitcnt lgkmcnt(2)
	v_fma_f32 v11, -v60, v39, v11
	s_clause 0x5
	global_store_b128 v[36:37], v[0:3], off
	global_store_b128 v[36:37], v[4:7], off offset:16
	global_store_b128 v[36:37], v[12:15], off offset:32
	global_store_b128 v[36:37], v[16:19], off offset:48
	global_store_b128 v[36:37], v[20:23], off offset:64
	global_store_b128 v[36:37], v[43:46], off offset:80
	v_fma_f32 v10, -v9, v10, v25
	v_fma_f32 v11, -v8, v27, v11
	s_delay_alu instid0(VALU_DEP_2) | instskip(SKIP_1) | instid1(VALU_DEP_2)
	v_mul_f32_e32 v10, v30, v10
	s_waitcnt lgkmcnt(1)
	v_fma_f32 v11, -v9, v24, v11
	s_delay_alu instid0(VALU_DEP_1) | instskip(SKIP_1) | instid1(VALU_DEP_1)
	v_fma_f32 v0, -v10, v31, v11
	s_waitcnt lgkmcnt(0)
	v_mul_f32_e32 v11, v26, v0
	s_clause 0x1
	global_store_b128 v[36:37], v[57:60], off offset:96
	global_store_b128 v[36:37], v[8:11], off offset:112
	s_cbranch_scc0 .LBB44_52
; %bb.51:                               ;   in Loop: Header=BB44_47 Depth=1
	s_mov_b32 s4, s6
	s_branch .LBB44_47
.LBB44_52:
	s_cmp_lt_i32 s6, s28
	s_cbranch_scc0 .LBB44_77
; %bb.53:
	s_add_i32 s4, s6, 3
	s_delay_alu instid0(SALU_CYCLE_1)
	s_cmp_ge_i32 s4, s28
	s_cbranch_scc1 .LBB44_65
; %bb.54:
	s_add_i32 s8, s6, -1
	s_lshl_b32 s9, s6, 2
	s_and_b32 s10, s6, -4
	s_add_u32 s4, s2, s0
	s_addc_u32 s5, s3, s1
	v_add_co_u32 v6, vcc_lo, s4, v34
	v_add_co_ci_u32_e32 v7, vcc_lo, s5, v35, vcc_lo
	s_and_b32 s11, s6, 3
	s_delay_alu instid0(VALU_DEP_2) | instskip(NEXT) | instid1(VALU_DEP_2)
	v_add_co_u32 v0, vcc_lo, v6, 8
	v_add_co_ci_u32_e32 v1, vcc_lo, 0, v7, vcc_lo
	s_mov_b32 s5, 0
	s_mov_b32 s12, 0
.LBB44_55:                              ; =>This Loop Header: Depth=1
                                        ;     Child Loop BB44_58 Depth 2
                                        ;     Child Loop BB44_62 Depth 2
	s_ashr_i32 s7, s6, 31
	s_delay_alu instid0(SALU_CYCLE_1)
	s_lshl_b64 s[16:17], s[6:7], 2
	s_cmp_eq_u32 s6, 0
	v_add_co_u32 v2, vcc_lo, v32, s16
	v_add_co_ci_u32_e32 v3, vcc_lo, s17, v33, vcc_lo
	global_load_b128 v[11:14], v[2:3], off
	s_waitcnt vmcnt(0)
	v_dual_mul_f32 v11, s15, v11 :: v_dual_mul_f32 v10, s15, v12
	v_dual_mul_f32 v9, s15, v13 :: v_dual_mul_f32 v8, s15, v14
	s_cbranch_scc1 .LBB44_63
; %bb.56:                               ;   in Loop: Header=BB44_55 Depth=1
	s_lshl_b32 s4, s12, 2
	s_delay_alu instid0(SALU_CYCLE_1) | instskip(NEXT) | instid1(SALU_CYCLE_1)
	s_add_i32 s4, s8, s4
	s_cmp_lt_u32 s4, 3
	s_cbranch_scc1 .LBB44_60
; %bb.57:                               ;   in Loop: Header=BB44_55 Depth=1
	v_dual_mov_b32 v5, v1 :: v_dual_mov_b32 v4, v0
	s_mov_b32 s4, 0
	s_mov_b32 s7, s9
.LBB44_58:                              ;   Parent Loop BB44_55 Depth=1
                                        ; =>  This Inner Loop Header: Depth=2
	global_load_b128 v[12:15], v[4:5], off offset:-8
	v_mov_b32_e32 v30, s7
	v_add_co_u32 v4, vcc_lo, v4, 16
	v_add_co_ci_u32_e32 v5, vcc_lo, 0, v5, vcc_lo
	ds_load_2addr_b32 v[16:17], v30 offset1:1
	ds_load_2addr_b32 v[18:19], v30 offset0:2 offset1:3
	ds_load_2addr_b32 v[20:21], v30 offset0:64 offset1:65
	;; [unrolled: 1-line block ×7, first 2 shown]
	s_add_i32 s4, s4, 4
	s_addk_i32 s7, 0x400
	s_cmp_lg_u32 s10, s4
	s_waitcnt vmcnt(0) lgkmcnt(7)
	v_fma_f32 v11, -v12, v16, v11
	v_fma_f32 v10, -v12, v17, v10
	s_waitcnt lgkmcnt(6)
	v_fma_f32 v9, -v12, v18, v9
	v_fma_f32 v8, -v12, v19, v8
	s_waitcnt lgkmcnt(5)
	;; [unrolled: 3-line block ×7, first 2 shown]
	v_fma_f32 v9, -v15, v30, v9
	v_fma_f32 v8, -v15, v31, v8
	s_cbranch_scc1 .LBB44_58
; %bb.59:                               ;   in Loop: Header=BB44_55 Depth=1
	s_mov_b32 s4, s10
	s_and_b32 s7, s6, 3
	s_delay_alu instid0(SALU_CYCLE_1)
	s_cmp_eq_u32 s7, 0
	s_cbranch_scc0 .LBB44_61
	s_branch .LBB44_63
.LBB44_60:                              ;   in Loop: Header=BB44_55 Depth=1
	s_mov_b32 s4, 0
	s_and_b32 s7, s6, 3
	s_delay_alu instid0(SALU_CYCLE_1)
	s_cmp_eq_u32 s7, 0
	s_cbranch_scc1 .LBB44_63
.LBB44_61:                              ;   in Loop: Header=BB44_55 Depth=1
	s_lshl_b64 s[16:17], s[4:5], 2
	s_lshl_b32 s4, s4, 8
	v_add_co_u32 v4, vcc_lo, v6, s16
	v_add_co_ci_u32_e32 v5, vcc_lo, s17, v7, vcc_lo
	s_mov_b32 s7, s11
	.p2align	6
.LBB44_62:                              ;   Parent Loop BB44_55 Depth=1
                                        ; =>  This Inner Loop Header: Depth=2
	global_load_b32 v16, v[4:5], off
	s_add_i32 s13, s9, s4
	v_add_co_u32 v4, vcc_lo, v4, 4
	v_mov_b32_e32 v14, s13
	v_add_co_ci_u32_e32 v5, vcc_lo, 0, v5, vcc_lo
	ds_load_2addr_b32 v[12:13], v14 offset1:1
	ds_load_2addr_b32 v[14:15], v14 offset0:2 offset1:3
	s_add_i32 s7, s7, -1
	s_addk_i32 s4, 0x100
	s_cmp_lg_u32 s7, 0
	s_waitcnt vmcnt(0) lgkmcnt(1)
	v_fma_f32 v11, -v16, v12, v11
	v_fma_f32 v10, -v16, v13, v10
	s_waitcnt lgkmcnt(0)
	v_fma_f32 v9, -v16, v14, v9
	v_fma_f32 v8, -v16, v15, v8
	s_cbranch_scc1 .LBB44_62
.LBB44_63:                              ;   in Loop: Header=BB44_55 Depth=1
	s_mul_i32 s4, s6, 0x104
	s_add_i32 s12, s12, 1
	v_mov_b32_e32 v12, s4
	s_lshl_b32 s4, s6, 6
	s_add_i32 s9, s9, 16
	s_add_i32 s4, s4, s6
	;; [unrolled: 1-line block ×3, first 2 shown]
	s_lshl_b32 s4, s4, 2
	s_delay_alu instid0(SALU_CYCLE_1)
	v_mov_b32_e32 v19, s4
	ds_load_2addr_b32 v[4:5], v12 offset1:1
	ds_load_2addr_b32 v[13:14], v12 offset0:130 offset1:131
	ds_load_2addr_b32 v[15:16], v12 offset0:65 offset1:66
	;; [unrolled: 1-line block ×3, first 2 shown]
	s_add_i32 s4, s6, 4
	s_add_i32 s6, s6, 7
	ds_load_b32 v19, v19 offset:268
	s_cmp_lt_i32 s6, s28
	s_waitcnt lgkmcnt(4)
	v_mul_f32_e32 v11, v4, v11
	s_delay_alu instid0(VALU_DEP_1)
	v_fma_f32 v4, -v11, v5, v10
	ds_load_b32 v5, v12 offset:780
	s_waitcnt lgkmcnt(3)
	v_mul_f32_e32 v12, v15, v4
	s_waitcnt lgkmcnt(2)
	v_fma_f32 v9, -v11, v17, v9
	v_fma_f32 v4, -v11, v18, v8
	s_delay_alu instid0(VALU_DEP_2) | instskip(SKIP_1) | instid1(VALU_DEP_2)
	v_fma_f32 v8, -v12, v16, v9
	s_waitcnt lgkmcnt(1)
	v_fma_f32 v4, -v12, v19, v4
	s_delay_alu instid0(VALU_DEP_2) | instskip(NEXT) | instid1(VALU_DEP_1)
	v_mul_f32_e32 v13, v13, v8
	v_fma_f32 v4, -v13, v14, v4
	s_waitcnt lgkmcnt(0)
	s_delay_alu instid0(VALU_DEP_1)
	v_mul_f32_e32 v14, v5, v4
	global_store_b128 v[2:3], v[11:14], off
	s_cbranch_scc0 .LBB44_66
; %bb.64:                               ;   in Loop: Header=BB44_55 Depth=1
	s_mov_b32 s6, s4
	s_branch .LBB44_55
.LBB44_65:
	s_mov_b32 s4, s6
.LBB44_66:
	s_delay_alu instid0(SALU_CYCLE_1)
	s_cmp_ge_i32 s4, s28
	s_cbranch_scc1 .LBB44_77
; %bb.67:
	s_add_i32 s6, s4, -1
	s_lshl_b32 s7, s4, 2
	s_add_u32 s0, s2, s0
	s_addc_u32 s1, s3, s1
	v_add_co_u32 v6, vcc_lo, s0, v34
	v_add_co_ci_u32_e32 v7, vcc_lo, s1, v35, vcc_lo
	s_mov_b32 s1, 0
	s_delay_alu instid0(VALU_DEP_2) | instskip(NEXT) | instid1(VALU_DEP_2)
	v_add_co_u32 v0, vcc_lo, v6, 28
	v_add_co_ci_u32_e32 v1, vcc_lo, 0, v7, vcc_lo
	s_mov_b32 s3, s4
	s_mov_b32 s2, 0
	s_branch .LBB44_69
.LBB44_68:                              ;   in Loop: Header=BB44_69 Depth=1
	s_mul_i32 s0, s4, 0x104
	v_add_nc_u16 v5, s3, 1
	v_mov_b32_e32 v4, s0
	s_add_i32 s4, s4, 1
	s_add_i32 s2, s2, 1
	;; [unrolled: 1-line block ×3, first 2 shown]
	v_readfirstlane_b32 s3, v5
	ds_load_b32 v4, v4
	s_cmp_ge_i32 s4, s28
	s_waitcnt lgkmcnt(0)
	v_mul_f32_e32 v4, v4, v8
	global_store_b32 v[2:3], v4, off
	s_cbranch_scc1 .LBB44_77
.LBB44_69:                              ; =>This Loop Header: Depth=1
                                        ;     Child Loop BB44_72 Depth 2
                                        ;     Child Loop BB44_76 Depth 2
	s_ashr_i32 s5, s4, 31
	s_delay_alu instid0(SALU_CYCLE_1)
	s_lshl_b64 s[8:9], s[4:5], 2
	s_cmp_eq_u32 s4, 0
	v_add_co_u32 v2, vcc_lo, v32, s8
	v_add_co_ci_u32_e32 v3, vcc_lo, s9, v33, vcc_lo
	global_load_b32 v4, v[2:3], off
	s_waitcnt vmcnt(0)
	v_mul_f32_e32 v8, s15, v4
	s_cbranch_scc1 .LBB44_68
; %bb.70:                               ;   in Loop: Header=BB44_69 Depth=1
	s_add_i32 s0, s6, s2
	s_delay_alu instid0(SALU_CYCLE_1)
	s_cmp_lt_u32 s0, 7
	s_cbranch_scc1 .LBB44_74
; %bb.71:                               ;   in Loop: Header=BB44_69 Depth=1
	v_dual_mov_b32 v5, v1 :: v_dual_mov_b32 v4, v0
	s_and_b32 s0, s4, -8
	s_mov_b32 s5, 0
	s_mov_b32 s8, s7
	s_set_inst_prefetch_distance 0x1
	.p2align	6
.LBB44_72:                              ;   Parent Loop BB44_69 Depth=1
                                        ; =>  This Inner Loop Header: Depth=2
	s_clause 0x1
	global_load_b128 v[9:12], v[4:5], off offset:-28
	global_load_b128 v[13:16], v[4:5], off offset:-12
	v_mov_b32_e32 v23, s8
	v_add_co_u32 v4, vcc_lo, v4, 32
	v_add_co_ci_u32_e32 v5, vcc_lo, 0, v5, vcc_lo
	ds_load_2addr_stride64_b32 v[17:18], v23 offset1:1
	ds_load_2addr_stride64_b32 v[19:20], v23 offset0:2 offset1:3
	ds_load_2addr_stride64_b32 v[21:22], v23 offset0:4 offset1:5
	;; [unrolled: 1-line block ×3, first 2 shown]
	s_add_i32 s5, s5, 8
	s_addk_i32 s8, 0x800
	s_cmp_lg_u32 s0, s5
	s_waitcnt vmcnt(1) lgkmcnt(3)
	v_fma_f32 v8, -v9, v17, v8
	s_delay_alu instid0(VALU_DEP_1) | instskip(SKIP_1) | instid1(VALU_DEP_1)
	v_fma_f32 v8, -v10, v18, v8
	s_waitcnt lgkmcnt(2)
	v_fma_f32 v8, -v11, v19, v8
	s_delay_alu instid0(VALU_DEP_1) | instskip(SKIP_1) | instid1(VALU_DEP_1)
	v_fma_f32 v8, -v12, v20, v8
	s_waitcnt vmcnt(0) lgkmcnt(1)
	v_fma_f32 v8, -v13, v21, v8
	s_delay_alu instid0(VALU_DEP_1) | instskip(SKIP_1) | instid1(VALU_DEP_1)
	v_fma_f32 v8, -v14, v22, v8
	s_waitcnt lgkmcnt(0)
	v_fma_f32 v8, -v15, v23, v8
	s_delay_alu instid0(VALU_DEP_1)
	v_fma_f32 v8, -v16, v24, v8
	s_cbranch_scc1 .LBB44_72
; %bb.73:                               ;   in Loop: Header=BB44_69 Depth=1
	s_set_inst_prefetch_distance 0x2
	s_and_b32 s5, s4, 7
	s_delay_alu instid0(SALU_CYCLE_1)
	s_cmp_eq_u32 s5, 0
	s_cbranch_scc0 .LBB44_75
	s_branch .LBB44_68
.LBB44_74:                              ;   in Loop: Header=BB44_69 Depth=1
	s_mov_b32 s0, 0
	s_and_b32 s5, s4, 7
	s_delay_alu instid0(SALU_CYCLE_1)
	s_cmp_eq_u32 s5, 0
	s_cbranch_scc1 .LBB44_68
.LBB44_75:                              ;   in Loop: Header=BB44_69 Depth=1
	s_lshl_b64 s[8:9], s[0:1], 2
	s_and_b32 s5, s3, 7
	v_add_co_u32 v4, vcc_lo, v6, s8
	v_add_co_ci_u32_e32 v5, vcc_lo, s9, v7, vcc_lo
	s_lshl_b32 s0, s0, 8
.LBB44_76:                              ;   Parent Loop BB44_69 Depth=1
                                        ; =>  This Inner Loop Header: Depth=2
	global_load_b32 v9, v[4:5], off
	s_add_i32 s8, s7, s0
	v_add_co_u32 v4, vcc_lo, v4, 4
	v_mov_b32_e32 v10, s8
	v_add_co_ci_u32_e32 v5, vcc_lo, 0, v5, vcc_lo
	s_add_i32 s5, s5, -1
	s_addk_i32 s0, 0x100
	ds_load_b32 v10, v10
	s_cmp_lg_u32 s5, 0
	s_waitcnt vmcnt(0) lgkmcnt(0)
	v_fma_f32 v8, -v9, v10, v8
	s_cbranch_scc1 .LBB44_76
	s_branch .LBB44_68
.LBB44_77:
	s_nop 0
	s_sendmsg sendmsg(MSG_DEALLOC_VGPRS)
	s_endpgm
	.section	.rodata,"a",@progbits
	.p2align	6, 0x0
	.amdhsa_kernel _ZL30rocblas_trsm_small_left_deviceILi64ELi32ELb1EffPKPKfPKPfEv13rocblas_fill_18rocblas_operation_17rocblas_diagonal_iiT3_T4_lilT5_lili
		.amdhsa_group_segment_fixed_size 16384
		.amdhsa_private_segment_fixed_size 0
		.amdhsa_kernarg_size 352
		.amdhsa_user_sgpr_count 14
		.amdhsa_user_sgpr_dispatch_ptr 0
		.amdhsa_user_sgpr_queue_ptr 0
		.amdhsa_user_sgpr_kernarg_segment_ptr 1
		.amdhsa_user_sgpr_dispatch_id 0
		.amdhsa_user_sgpr_private_segment_size 0
		.amdhsa_wavefront_size32 1
		.amdhsa_uses_dynamic_stack 0
		.amdhsa_enable_private_segment 0
		.amdhsa_system_sgpr_workgroup_id_x 1
		.amdhsa_system_sgpr_workgroup_id_y 0
		.amdhsa_system_sgpr_workgroup_id_z 1
		.amdhsa_system_sgpr_workgroup_info 0
		.amdhsa_system_vgpr_workitem_id 0
		.amdhsa_next_free_vgpr 160
		.amdhsa_next_free_sgpr 31
		.amdhsa_reserve_vcc 1
		.amdhsa_float_round_mode_32 0
		.amdhsa_float_round_mode_16_64 0
		.amdhsa_float_denorm_mode_32 3
		.amdhsa_float_denorm_mode_16_64 3
		.amdhsa_dx10_clamp 1
		.amdhsa_ieee_mode 1
		.amdhsa_fp16_overflow 0
		.amdhsa_workgroup_processor_mode 1
		.amdhsa_memory_ordered 1
		.amdhsa_forward_progress 0
		.amdhsa_shared_vgpr_count 0
		.amdhsa_exception_fp_ieee_invalid_op 0
		.amdhsa_exception_fp_denorm_src 0
		.amdhsa_exception_fp_ieee_div_zero 0
		.amdhsa_exception_fp_ieee_overflow 0
		.amdhsa_exception_fp_ieee_underflow 0
		.amdhsa_exception_fp_ieee_inexact 0
		.amdhsa_exception_int_div_zero 0
	.end_amdhsa_kernel
	.section	.text._ZL30rocblas_trsm_small_left_deviceILi64ELi32ELb1EffPKPKfPKPfEv13rocblas_fill_18rocblas_operation_17rocblas_diagonal_iiT3_T4_lilT5_lili,"axG",@progbits,_ZL30rocblas_trsm_small_left_deviceILi64ELi32ELb1EffPKPKfPKPfEv13rocblas_fill_18rocblas_operation_17rocblas_diagonal_iiT3_T4_lilT5_lili,comdat
.Lfunc_end44:
	.size	_ZL30rocblas_trsm_small_left_deviceILi64ELi32ELb1EffPKPKfPKPfEv13rocblas_fill_18rocblas_operation_17rocblas_diagonal_iiT3_T4_lilT5_lili, .Lfunc_end44-_ZL30rocblas_trsm_small_left_deviceILi64ELi32ELb1EffPKPKfPKPfEv13rocblas_fill_18rocblas_operation_17rocblas_diagonal_iiT3_T4_lilT5_lili
                                        ; -- End function
	.section	.AMDGPU.csdata,"",@progbits
; Kernel info:
; codeLenInByte = 23520
; NumSgprs: 33
; NumVgprs: 160
; ScratchSize: 0
; MemoryBound: 0
; FloatMode: 240
; IeeeMode: 1
; LDSByteSize: 16384 bytes/workgroup (compile time only)
; SGPRBlocks: 4
; VGPRBlocks: 19
; NumSGPRsForWavesPerEU: 33
; NumVGPRsForWavesPerEU: 160
; Occupancy: 4
; WaveLimiterHint : 1
; COMPUTE_PGM_RSRC2:SCRATCH_EN: 0
; COMPUTE_PGM_RSRC2:USER_SGPR: 14
; COMPUTE_PGM_RSRC2:TRAP_HANDLER: 0
; COMPUTE_PGM_RSRC2:TGID_X_EN: 1
; COMPUTE_PGM_RSRC2:TGID_Y_EN: 0
; COMPUTE_PGM_RSRC2:TGID_Z_EN: 1
; COMPUTE_PGM_RSRC2:TIDIG_COMP_CNT: 0
	.section	.text._ZL31rocblas_trsm_small_right_deviceIffPKPKfPKPfLi64EEv13rocblas_fill_18rocblas_operation_17rocblas_diagonal_iiT0_T1_lilT2_lili,"axG",@progbits,_ZL31rocblas_trsm_small_right_deviceIffPKPKfPKPfLi64EEv13rocblas_fill_18rocblas_operation_17rocblas_diagonal_iiT0_T1_lilT2_lili,comdat
	.globl	_ZL31rocblas_trsm_small_right_deviceIffPKPKfPKPfLi64EEv13rocblas_fill_18rocblas_operation_17rocblas_diagonal_iiT0_T1_lilT2_lili ; -- Begin function _ZL31rocblas_trsm_small_right_deviceIffPKPKfPKPfLi64EEv13rocblas_fill_18rocblas_operation_17rocblas_diagonal_iiT0_T1_lilT2_lili
	.p2align	8
	.type	_ZL31rocblas_trsm_small_right_deviceIffPKPKfPKPfLi64EEv13rocblas_fill_18rocblas_operation_17rocblas_diagonal_iiT0_T1_lilT2_lili,@function
_ZL31rocblas_trsm_small_right_deviceIffPKPKfPKPfLi64EEv13rocblas_fill_18rocblas_operation_17rocblas_diagonal_iiT0_T1_lilT2_lili: ; @_ZL31rocblas_trsm_small_right_deviceIffPKPKfPKPfLi64EEv13rocblas_fill_18rocblas_operation_17rocblas_diagonal_iiT0_T1_lilT2_lili
; %bb.0:
	s_clause 0x1
	s_load_b128 s[8:11], s[0:1], 0x38
	s_load_b64 s[12:13], s[0:1], 0x10
	s_mov_b32 s20, s15
	s_mov_b32 s21, 0
	s_mov_b32 s15, exec_lo
	s_lshl_b64 s[22:23], s[20:21], 3
	s_waitcnt lgkmcnt(0)
	s_add_u32 s2, s8, s22
	s_addc_u32 s3, s9, s23
	s_load_b128 s[4:7], s[0:1], 0x0
	s_load_b64 s[2:3], s[2:3], 0x0
	s_min_i32 s20, s12, 64
	s_delay_alu instid0(SALU_CYCLE_1)
	s_add_i32 s28, s20, -1
	v_cmpx_gt_i32_e64 s20, v0
	s_cbranch_execz .LBB45_9
; %bb.1:
	s_clause 0x1
	s_load_b32 s8, s[0:1], 0x28
	s_load_b128 s[16:19], s[0:1], 0x18
	s_waitcnt lgkmcnt(0)
	s_ashr_i32 s9, s8, 31
	s_add_u32 s16, s16, s22
	s_addc_u32 s17, s17, s23
	s_cmp_lt_u32 s28, 3
	s_load_b64 s[16:17], s[16:17], 0x0
	s_cbranch_scc1 .LBB45_4
; %bb.2:
	v_lshlrev_b32_e32 v3, 2, v0
	s_lshl_b64 s[22:23], s[18:19], 2
	s_mul_hi_i32 s29, s8, 12
	s_waitcnt lgkmcnt(0)
	s_add_u32 s21, s16, s22
	s_addc_u32 s22, s17, s23
	v_add_co_u32 v1, s21, s21, v3
	s_delay_alu instid0(VALU_DEP_1)
	v_add_co_ci_u32_e64 v2, null, s22, 0, s21
	s_and_b32 s21, s20, -4
	s_mul_i32 s30, s8, 12
	s_lshl_b64 s[22:23], s[8:9], 4
	s_lshl_b64 s[24:25], s[8:9], 3
	;; [unrolled: 1-line block ×3, first 2 shown]
	s_mov_b32 s31, 0
	.p2align	6
.LBB45_3:                               ; =>This Inner Loop Header: Depth=1
	v_add_co_u32 v4, vcc_lo, v1, s26
	v_add_co_ci_u32_e32 v5, vcc_lo, s27, v2, vcc_lo
	v_add_co_u32 v6, vcc_lo, v1, s24
	v_add_co_ci_u32_e32 v7, vcc_lo, s25, v2, vcc_lo
	;; [unrolled: 2-line block ×3, first 2 shown]
	s_clause 0x3
	global_load_b32 v10, v[1:2], off
	global_load_b32 v4, v[4:5], off
	;; [unrolled: 1-line block ×4, first 2 shown]
	v_add_co_u32 v1, vcc_lo, v1, s22
	v_add_co_ci_u32_e32 v2, vcc_lo, s23, v2, vcc_lo
	s_add_i32 s31, s31, 4
	s_waitcnt vmcnt(2)
	ds_store_2addr_stride64_b32 v3, v10, v4 offset1:1
	s_waitcnt vmcnt(0)
	ds_store_2addr_stride64_b32 v3, v5, v6 offset0:2 offset1:3
	v_add_nc_u32_e32 v3, 0x400, v3
	s_cmp_eq_u32 s21, s31
	s_cbranch_scc0 .LBB45_3
.LBB45_4:
	s_and_b32 s22, s20, 3
	s_delay_alu instid0(SALU_CYCLE_1)
	s_cmp_eq_u32 s22, 0
	s_cbranch_scc1 .LBB45_7
; %bb.5:
	s_mul_i32 s23, s9, s21
	s_mul_hi_u32 s24, s8, s21
	s_lshl_b64 s[18:19], s[18:19], 2
	s_add_i32 s25, s24, s23
	s_mul_i32 s24, s8, s21
	v_lshlrev_b32_e32 v1, 2, v0
	s_lshl_b64 s[24:25], s[24:25], 2
	s_delay_alu instid0(SALU_CYCLE_1)
	s_add_u32 s18, s24, s18
	s_addc_u32 s19, s25, s19
	s_waitcnt lgkmcnt(0)
	s_add_u32 s16, s16, s18
	v_lshl_or_b32 v3, s21, 8, v1
	s_addc_u32 s17, s17, s19
	v_add_co_u32 v1, s16, s16, v1
	s_delay_alu instid0(VALU_DEP_1)
	v_add_co_ci_u32_e64 v2, null, s17, 0, s16
	s_lshl_b64 s[8:9], s[8:9], 2
.LBB45_6:                               ; =>This Inner Loop Header: Depth=1
	global_load_b32 v4, v[1:2], off
	v_add_co_u32 v1, vcc_lo, v1, s8
	v_add_co_ci_u32_e32 v2, vcc_lo, s9, v2, vcc_lo
	s_add_i32 s22, s22, -1
	s_delay_alu instid0(SALU_CYCLE_1)
	s_cmp_lg_u32 s22, 0
	s_waitcnt vmcnt(0)
	ds_store_b32 v3, v4
	v_add_nc_u32_e32 v3, 0x100, v3
	s_cbranch_scc1 .LBB45_6
.LBB45_7:
	s_cmpk_eq_i32 s6, 0x84
	s_cbranch_scc0 .LBB45_9
; %bb.8:
	v_mul_u32_u24_e32 v1, 0x41, v0
	s_delay_alu instid0(VALU_DEP_1)
	v_dual_mov_b32 v2, 1.0 :: v_dual_lshlrev_b32 v1, 2, v1
	ds_store_b32 v1, v2
.LBB45_9:
	s_or_b32 exec_lo, exec_lo, s15
	s_waitcnt lgkmcnt(0)
	s_load_b32 s6, s[0:1], 0x60
	s_lshl_b64 s[8:9], s[10:11], 2
	s_load_b32 s0, s[0:1], 0x48
	s_add_u32 s1, s2, s8
	s_addc_u32 s10, s3, s9
	s_lshl_b32 s11, s14, 6
	s_mov_b32 s23, 0
	s_sub_i32 s7, s7, s11
	s_waitcnt lgkmcnt(0)
	s_add_i32 s6, s6, -1
	s_delay_alu instid0(SALU_CYCLE_1) | instskip(SKIP_4) | instid1(SALU_CYCLE_1)
	s_cmp_ge_u32 s14, s6
	s_cselect_b32 s11, s7, 64
	s_ashr_i32 s15, s14, 31
	v_cmp_gt_i32_e32 vcc_lo, s11, v0
	s_lshl_b64 s[6:7], s[14:15], 8
	s_add_u32 s18, s1, s6
	s_addc_u32 s19, s10, s7
	s_cmp_gt_i32 s12, 0
	s_cselect_b32 s1, -1, 0
	s_delay_alu instid0(SALU_CYCLE_1) | instskip(NEXT) | instid1(SALU_CYCLE_1)
	s_and_b32 s21, vcc_lo, s1
	s_and_saveexec_b32 s22, s21
	s_cbranch_execz .LBB45_16
; %bb.10:
	s_ashr_i32 s1, s0, 31
	s_cmp_lt_u32 s12, 4
	s_cbranch_scc1 .LBB45_13
; %bb.11:
	v_lshlrev_b32_e32 v1, 2, v0
	v_lshl_or_b32 v3, v0, 2, 0x4000
	s_and_b32 s23, s12, 0x7ffffffc
	s_mul_hi_i32 s24, s0, 12
	s_mul_i32 s25, s0, 12
	v_add_co_u32 v1, s10, s18, v1
	s_delay_alu instid0(VALU_DEP_1)
	v_add_co_ci_u32_e64 v2, null, s19, 0, s10
	s_lshl_b64 s[10:11], s[0:1], 4
	s_lshl_b64 s[14:15], s[0:1], 3
	;; [unrolled: 1-line block ×3, first 2 shown]
	s_mov_b32 s26, 0
	s_set_inst_prefetch_distance 0x1
	.p2align	6
.LBB45_12:                              ; =>This Inner Loop Header: Depth=1
	v_add_co_u32 v4, vcc_lo, v1, s16
	v_add_co_ci_u32_e32 v5, vcc_lo, s17, v2, vcc_lo
	v_add_co_u32 v6, vcc_lo, v1, s14
	v_add_co_ci_u32_e32 v7, vcc_lo, s15, v2, vcc_lo
	;; [unrolled: 2-line block ×3, first 2 shown]
	s_clause 0x3
	global_load_b32 v10, v[1:2], off
	global_load_b32 v4, v[4:5], off
	;; [unrolled: 1-line block ×4, first 2 shown]
	v_add_co_u32 v1, vcc_lo, v1, s10
	v_add_co_ci_u32_e32 v2, vcc_lo, s11, v2, vcc_lo
	s_add_i32 s26, s26, 4
	s_delay_alu instid0(SALU_CYCLE_1)
	s_cmp_lg_u32 s23, s26
	s_waitcnt vmcnt(2)
	v_dual_mul_f32 v7, s13, v10 :: v_dual_mul_f32 v4, s13, v4
	s_waitcnt vmcnt(0)
	v_dual_mul_f32 v5, s13, v5 :: v_dual_mul_f32 v6, s13, v6
	ds_store_2addr_stride64_b32 v3, v7, v4 offset1:1
	ds_store_2addr_stride64_b32 v3, v5, v6 offset0:2 offset1:3
	v_add_nc_u32_e32 v3, 0x400, v3
	s_cbranch_scc1 .LBB45_12
.LBB45_13:
	s_set_inst_prefetch_distance 0x2
	s_and_b32 s14, s12, 3
	s_delay_alu instid0(SALU_CYCLE_1)
	s_cmp_eq_u32 s14, 0
	s_cbranch_scc1 .LBB45_16
; %bb.14:
	s_mul_hi_i32 s11, s0, s23
	s_mul_i32 s10, s0, s23
	v_lshlrev_b32_e32 v1, 2, v0
	s_lshl_b64 s[10:11], s[10:11], 2
	s_delay_alu instid0(SALU_CYCLE_1)
	s_add_u32 s10, s10, s6
	s_addc_u32 s11, s11, s7
	s_add_u32 s10, s10, s8
	v_lshl_or_b32 v2, s23, 8, v1
	s_addc_u32 s11, s11, s9
	s_add_u32 s10, s2, s10
	s_addc_u32 s11, s3, s11
	v_add_co_u32 v1, s10, s10, v1
	v_add_nc_u32_e32 v3, 0x4000, v2
	v_add_co_ci_u32_e64 v2, null, s11, 0, s10
	s_lshl_b64 s[10:11], s[0:1], 2
.LBB45_15:                              ; =>This Inner Loop Header: Depth=1
	global_load_b32 v4, v[1:2], off
	v_add_co_u32 v1, vcc_lo, v1, s10
	v_add_co_ci_u32_e32 v2, vcc_lo, s11, v2, vcc_lo
	s_add_i32 s14, s14, -1
	s_delay_alu instid0(SALU_CYCLE_1)
	s_cmp_lg_u32 s14, 0
	s_waitcnt vmcnt(0)
	v_mul_f32_e32 v4, s13, v4
	ds_store_b32 v3, v4
	v_add_nc_u32_e32 v3, 0x100, v3
	s_cbranch_scc1 .LBB45_15
.LBB45_16:
	s_or_b32 exec_lo, exec_lo, s22
	s_cmpk_eq_i32 s5, 0x6f
	s_waitcnt lgkmcnt(0)
	s_cselect_b32 s1, -1, 0
	s_cmpk_eq_i32 s4, 0x79
	s_barrier
	s_cselect_b32 s10, -1, 0
	s_cmpk_lg_i32 s4, 0x79
	buffer_gl0_inv
	s_cselect_b32 s5, -1, 0
	s_and_b32 s10, s10, s1
	s_delay_alu instid0(SALU_CYCLE_1)
	s_and_not1_b32 vcc_lo, exec_lo, s10
	s_mov_b32 s10, -1
	s_cbranch_vccz .LBB45_80
; %bb.17:
	s_cmpk_lg_i32 s4, 0x7a
	s_cselect_b32 s4, -1, 0
	s_xor_b32 s1, s1, -1
	s_delay_alu instid0(SALU_CYCLE_1)
	s_or_b32 s4, s4, s1
	s_cmp_gt_i32 s12, 3
	s_cselect_b32 s1, -1, 0
	s_and_b32 vcc_lo, exec_lo, s4
	s_mov_b32 s4, -1
	s_cbranch_vccz .LBB45_59
; %bb.18:
	s_and_not1_b32 vcc_lo, exec_lo, s5
	s_cbranch_vccnz .LBB45_38
; %bb.19:
	s_and_not1_b32 vcc_lo, exec_lo, s1
	s_mov_b32 s10, 0
	s_cbranch_vccnz .LBB45_26
; %bb.20:
	v_lshl_or_b32 v3, v0, 2, 0x4000
	s_mov_b32 s4, 0
	s_mov_b32 s5, 0
.LBB45_21:                              ; =>This Loop Header: Depth=1
                                        ;     Child Loop BB45_23 Depth 2
	s_delay_alu instid0(SALU_CYCLE_1) | instskip(NEXT) | instid1(SALU_CYCLE_1)
	s_lshl_b32 s11, s5, 6
	s_or_b32 s10, s11, 64
	v_or_b32_e32 v1, s11, v0
	v_or_b32_e32 v2, s10, v0
	s_lshl_b32 s11, s5, 8
	s_cmp_eq_u32 s5, 0
	v_lshl_or_b32 v7, v0, 2, s11
	v_lshlrev_b32_e32 v4, 2, v1
	v_lshlrev_b32_e32 v5, 2, v2
	ds_load_b32 v9, v4 offset:16384
	ds_load_b32 v8, v5 offset:16384
	ds_load_2addr_stride64_b32 v[1:2], v7 offset0:66 offset1:67
	s_cbranch_scc1 .LBB45_24
; %bb.22:                               ;   in Loop: Header=BB45_21 Depth=1
	v_mov_b32_e32 v6, v3
	s_mov_b32 s11, 0
	s_mov_b32 s13, s4
.LBB45_23:                              ;   Parent Loop BB45_21 Depth=1
                                        ; =>  This Inner Loop Header: Depth=2
	s_delay_alu instid0(SALU_CYCLE_1)
	v_mov_b32_e32 v22, s13
	s_add_i32 s11, s11, 4
	s_addk_i32 s13, 0x400
	s_cmp_ge_u32 s11, s5
	ds_load_2addr_stride64_b32 v[26:27], v6 offset1:1
	ds_load_b128 v[10:13], v22
	ds_load_b128 v[14:17], v22 offset:256
	ds_load_2addr_stride64_b32 v[28:29], v6 offset0:2 offset1:3
	ds_load_b128 v[18:21], v22 offset:512
	ds_load_b128 v[22:25], v22 offset:768
	v_add_nc_u32_e32 v6, 0x400, v6
	s_waitcnt lgkmcnt(4)
	v_fma_f32 v9, -v26, v10, v9
	v_fma_f32 v8, -v26, v11, v8
	v_fma_f32 v1, -v26, v12, v1
	v_fma_f32 v2, -v26, v13, v2
	s_waitcnt lgkmcnt(3)
	v_fma_f32 v9, -v27, v14, v9
	v_fma_f32 v8, -v27, v15, v8
	v_fma_f32 v1, -v27, v16, v1
	v_fma_f32 v2, -v27, v17, v2
	;; [unrolled: 5-line block ×4, first 2 shown]
	s_cbranch_scc0 .LBB45_23
.LBB45_24:                              ;   in Loop: Header=BB45_21 Depth=1
	s_mul_i32 s11, s5, 0x104
	s_delay_alu instid0(SALU_CYCLE_1)
	v_dual_mov_b32 v16, s11 :: v_dual_add_nc_u32 v5, 0x4000, v5
	s_add_i32 s10, s10, s5
	s_add_i32 s4, s4, 16
	s_lshl_b32 s10, s10, 2
	ds_load_b128 v[10:13], v16
	ds_load_2addr_b32 v[14:15], v16 offset0:65 offset1:66
	s_waitcnt lgkmcnt(1)
	v_div_scale_f32 v17, null, v10, v10, v9
	v_div_scale_f32 v20, vcc_lo, v9, v10, v9
	s_delay_alu instid0(VALU_DEP_2) | instskip(SKIP_2) | instid1(VALU_DEP_1)
	v_rcp_f32_e32 v18, v17
	s_waitcnt_depctr 0xfff
	v_fma_f32 v19, -v17, v18, 1.0
	v_fmac_f32_e32 v18, v19, v18
	s_delay_alu instid0(VALU_DEP_1) | instskip(NEXT) | instid1(VALU_DEP_1)
	v_dual_mul_f32 v19, v20, v18 :: v_dual_add_nc_u32 v4, 0x4000, v4
	v_fma_f32 v21, -v17, v19, v20
	s_delay_alu instid0(VALU_DEP_1) | instskip(NEXT) | instid1(VALU_DEP_1)
	v_dual_fmac_f32 v19, v21, v18 :: v_dual_add_nc_u32 v6, 0x4200, v7
	v_fma_f32 v17, -v17, v19, v20
	s_delay_alu instid0(VALU_DEP_1) | instskip(NEXT) | instid1(VALU_DEP_1)
	v_div_fmas_f32 v17, v17, v18, v19
	v_div_fixup_f32 v10, v17, v10, v9
	s_delay_alu instid0(VALU_DEP_1)
	v_fma_f32 v11, -v10, v11, v8
	v_fma_f32 v1, -v10, v12, v1
	;; [unrolled: 1-line block ×3, first 2 shown]
	ds_load_b32 v12, v16 offset:780
	s_waitcnt lgkmcnt(1)
	v_div_scale_f32 v17, null, v14, v14, v11
	v_div_scale_f32 v19, vcc_lo, v11, v14, v11
	s_delay_alu instid0(VALU_DEP_2) | instskip(SKIP_2) | instid1(VALU_DEP_1)
	v_rcp_f32_e32 v18, v17
	s_waitcnt_depctr 0xfff
	v_fma_f32 v8, -v17, v18, 1.0
	v_dual_fmac_f32 v18, v8, v18 :: v_dual_add_nc_u32 v7, 0x4300, v7
	s_delay_alu instid0(VALU_DEP_1) | instskip(NEXT) | instid1(VALU_DEP_1)
	v_mul_f32_e32 v20, v19, v18
	v_fma_f32 v8, -v17, v20, v19
	s_delay_alu instid0(VALU_DEP_1) | instskip(SKIP_2) | instid1(VALU_DEP_1)
	v_fmac_f32_e32 v20, v8, v18
	ds_load_b64 v[8:9], v16 offset:520
	v_fma_f32 v17, -v17, v20, v19
	v_div_fmas_f32 v17, v17, v18, v20
	s_delay_alu instid0(VALU_DEP_1) | instskip(NEXT) | instid1(VALU_DEP_1)
	v_div_fixup_f32 v11, v17, v14, v11
	v_fma_f32 v1, -v11, v15, v1
	s_waitcnt lgkmcnt(0)
	s_delay_alu instid0(VALU_DEP_1) | instskip(SKIP_1) | instid1(VALU_DEP_2)
	v_div_scale_f32 v14, null, v8, v8, v1
	v_div_scale_f32 v17, vcc_lo, v1, v8, v1
	v_rcp_f32_e32 v15, v14
	s_waitcnt_depctr 0xfff
	v_fma_f32 v16, -v14, v15, 1.0
	s_delay_alu instid0(VALU_DEP_1) | instskip(SKIP_2) | instid1(SALU_CYCLE_1)
	v_dual_fmac_f32 v15, v16, v15 :: v_dual_mov_b32 v16, s10
	s_add_i32 s10, s5, 4
	s_add_i32 s5, s5, 7
	s_cmp_ge_i32 s5, s20
	s_delay_alu instid0(VALU_DEP_1) | instskip(SKIP_2) | instid1(VALU_DEP_1)
	v_mul_f32_e32 v18, v17, v15
	ds_load_b32 v16, v16 offset:12
	v_fma_f32 v19, -v14, v18, v17
	v_fmac_f32_e32 v18, v19, v15
	s_delay_alu instid0(VALU_DEP_1) | instskip(NEXT) | instid1(VALU_DEP_1)
	v_fma_f32 v14, -v14, v18, v17
	v_div_fmas_f32 v13, v14, v15, v18
	s_waitcnt lgkmcnt(0)
	v_fma_f32 v2, -v11, v16, v2
	s_delay_alu instid0(VALU_DEP_2) | instskip(NEXT) | instid1(VALU_DEP_1)
	v_div_fixup_f32 v1, v13, v8, v1
	v_fma_f32 v2, -v1, v9, v2
	s_delay_alu instid0(VALU_DEP_1) | instskip(SKIP_1) | instid1(VALU_DEP_2)
	v_div_scale_f32 v8, null, v12, v12, v2
	v_div_scale_f32 v14, vcc_lo, v2, v12, v2
	v_rcp_f32_e32 v9, v8
	s_waitcnt_depctr 0xfff
	v_fma_f32 v13, -v8, v9, 1.0
	s_delay_alu instid0(VALU_DEP_1) | instskip(NEXT) | instid1(VALU_DEP_1)
	v_fmac_f32_e32 v9, v13, v9
	v_mul_f32_e32 v13, v14, v9
	s_delay_alu instid0(VALU_DEP_1) | instskip(NEXT) | instid1(VALU_DEP_1)
	v_fma_f32 v15, -v8, v13, v14
	v_fmac_f32_e32 v13, v15, v9
	s_delay_alu instid0(VALU_DEP_1) | instskip(NEXT) | instid1(VALU_DEP_1)
	v_fma_f32 v8, -v8, v13, v14
	v_div_fmas_f32 v8, v8, v9, v13
	s_delay_alu instid0(VALU_DEP_1)
	v_div_fixup_f32 v2, v8, v12, v2
	ds_store_b32 v4, v10
	ds_store_b32 v5, v11
	;; [unrolled: 1-line block ×4, first 2 shown]
	s_cbranch_scc1 .LBB45_26
; %bb.25:                               ;   in Loop: Header=BB45_21 Depth=1
	s_mov_b32 s5, s10
	s_branch .LBB45_21
.LBB45_26:
	s_cmp_ge_i32 s10, s20
	s_cbranch_scc1 .LBB45_37
; %bb.27:
	v_lshl_or_b32 v1, v0, 2, 0x4000
	v_lshlrev_b32_e32 v2, 2, v0
	s_add_i32 s4, s10, -1
	s_lshl_b32 s5, s10, 2
	s_mov_b32 s11, 0
	s_mov_b32 s13, s10
	s_branch .LBB45_29
.LBB45_28:                              ;   in Loop: Header=BB45_29 Depth=1
	s_mul_i32 s14, s10, 0x104
	s_delay_alu instid0(SALU_CYCLE_1)
	v_dual_mov_b32 v5, s14 :: v_dual_add_nc_u32 v4, 0x4000, v4
	s_add_i32 s10, s10, 1
	s_add_i32 s11, s11, 1
	;; [unrolled: 1-line block ×3, first 2 shown]
	s_cmp_ge_i32 s10, s20
	ds_load_b32 v5, v5
	s_waitcnt lgkmcnt(0)
	v_div_scale_f32 v6, null, v5, v5, v3
	v_div_scale_f32 v9, vcc_lo, v3, v5, v3
	s_delay_alu instid0(VALU_DEP_2) | instskip(SKIP_2) | instid1(VALU_DEP_1)
	v_rcp_f32_e32 v7, v6
	s_waitcnt_depctr 0xfff
	v_fma_f32 v8, -v6, v7, 1.0
	v_fmac_f32_e32 v7, v8, v7
	s_delay_alu instid0(VALU_DEP_1) | instskip(NEXT) | instid1(VALU_DEP_1)
	v_mul_f32_e32 v8, v9, v7
	v_fma_f32 v10, -v6, v8, v9
	s_delay_alu instid0(VALU_DEP_1) | instskip(NEXT) | instid1(VALU_DEP_1)
	v_fmac_f32_e32 v8, v10, v7
	v_fma_f32 v6, -v6, v8, v9
	s_delay_alu instid0(VALU_DEP_1) | instskip(SKIP_1) | instid1(VALU_DEP_2)
	v_div_fmas_f32 v6, v6, v7, v8
	v_add_nc_u16 v7, s13, 1
	v_div_fixup_f32 v3, v6, v5, v3
	s_delay_alu instid0(VALU_DEP_2)
	v_readfirstlane_b32 s13, v7
	ds_store_b32 v4, v3
	s_cbranch_scc1 .LBB45_37
.LBB45_29:                              ; =>This Loop Header: Depth=1
                                        ;     Child Loop BB45_32 Depth 2
                                        ;     Child Loop BB45_36 Depth 2
	v_lshl_or_b32 v4, s10, 8, v2
	s_cmp_eq_u32 s10, 0
	ds_load_b32 v3, v4 offset:16384
	s_cbranch_scc1 .LBB45_28
; %bb.30:                               ;   in Loop: Header=BB45_29 Depth=1
	s_add_i32 s14, s4, s11
	s_delay_alu instid0(SALU_CYCLE_1)
	s_cmp_lt_u32 s14, 7
	s_cbranch_scc1 .LBB45_34
; %bb.31:                               ;   in Loop: Header=BB45_29 Depth=1
	v_mov_b32_e32 v5, v1
	s_and_b32 s14, s10, -8
	s_mov_b32 s15, 0
	s_mov_b32 s16, s5
	s_set_inst_prefetch_distance 0x1
	.p2align	6
.LBB45_32:                              ;   Parent Loop BB45_29 Depth=1
                                        ; =>  This Inner Loop Header: Depth=2
	v_mov_b32_e32 v20, s16
	s_add_i32 s15, s15, 8
	s_addk_i32 s16, 0x800
	s_cmp_eq_u32 s14, s15
	ds_load_2addr_stride64_b32 v[6:7], v5 offset1:1
	ds_load_2addr_stride64_b32 v[8:9], v20 offset1:1
	ds_load_2addr_stride64_b32 v[10:11], v5 offset0:2 offset1:3
	ds_load_2addr_stride64_b32 v[12:13], v20 offset0:2 offset1:3
	;; [unrolled: 1-line block ×6, first 2 shown]
	v_add_nc_u32_e32 v5, 0x800, v5
	s_waitcnt lgkmcnt(6)
	v_fma_f32 v3, -v6, v8, v3
	s_delay_alu instid0(VALU_DEP_1) | instskip(SKIP_1) | instid1(VALU_DEP_1)
	v_fma_f32 v3, -v7, v9, v3
	s_waitcnt lgkmcnt(4)
	v_fma_f32 v3, -v10, v12, v3
	s_delay_alu instid0(VALU_DEP_1) | instskip(SKIP_1) | instid1(VALU_DEP_1)
	v_fma_f32 v3, -v11, v13, v3
	;; [unrolled: 4-line block ×3, first 2 shown]
	s_waitcnt lgkmcnt(0)
	v_fma_f32 v3, -v16, v20, v3
	s_delay_alu instid0(VALU_DEP_1)
	v_fma_f32 v3, -v17, v21, v3
	s_cbranch_scc0 .LBB45_32
; %bb.33:                               ;   in Loop: Header=BB45_29 Depth=1
	s_set_inst_prefetch_distance 0x2
	s_and_b32 s15, s10, 7
	s_delay_alu instid0(SALU_CYCLE_1)
	s_cmp_eq_u32 s15, 0
	s_cbranch_scc0 .LBB45_35
	s_branch .LBB45_28
.LBB45_34:                              ;   in Loop: Header=BB45_29 Depth=1
	s_mov_b32 s14, 0
	s_and_b32 s15, s10, 7
	s_delay_alu instid0(SALU_CYCLE_1)
	s_cmp_eq_u32 s15, 0
	s_cbranch_scc1 .LBB45_28
.LBB45_35:                              ;   in Loop: Header=BB45_29 Depth=1
	s_and_b32 s15, s13, 7
	s_lshl_b32 s14, s14, 8
.LBB45_36:                              ;   Parent Loop BB45_29 Depth=1
                                        ; =>  This Inner Loop Header: Depth=2
	s_delay_alu instid0(SALU_CYCLE_1) | instskip(NEXT) | instid1(SALU_CYCLE_1)
	s_add_i32 s16, s5, s14
	v_dual_mov_b32 v6, s16 :: v_dual_add_nc_u32 v5, s14, v1
	s_add_i32 s15, s15, -1
	s_addk_i32 s14, 0x100
	s_cmp_lg_u32 s15, 0
	ds_load_b32 v5, v5
	ds_load_b32 v6, v6
	s_waitcnt lgkmcnt(0)
	v_fma_f32 v3, -v5, v6, v3
	s_cbranch_scc1 .LBB45_36
	s_branch .LBB45_28
.LBB45_37:
	s_mov_b32 s4, 0
.LBB45_38:
	s_delay_alu instid0(SALU_CYCLE_1)
	s_and_b32 vcc_lo, exec_lo, s4
	s_cbranch_vccz .LBB45_58
; %bb.39:
	s_and_not1_b32 vcc_lo, exec_lo, s1
	s_mov_b32 s10, s28
	s_cbranch_vccnz .LBB45_45
; %bb.40:
	v_lshlrev_b32_e32 v1, 2, v0
	s_mul_i32 s4, s20, 0x104
	s_mov_b32 s5, s28
	s_addk_i32 s4, 0xfbf0
	s_delay_alu instid0(VALU_DEP_1) | instskip(NEXT) | instid1(VALU_DEP_1)
	v_lshl_or_b32 v2, s20, 8, v1
	v_add_nc_u32_e32 v2, 0x3c00, v2
.LBB45_41:                              ; =>This Loop Header: Depth=1
                                        ;     Child Loop BB45_42 Depth 2
	s_add_i32 s15, s5, -1
	s_lshl_b32 s13, s5, 6
	s_lshl_b32 s14, s15, 6
	v_or_b32_e32 v3, s13, v0
	s_add_i32 s10, s13, 0xffffff80
	v_or_b32_e32 v4, s14, v0
	v_or_b32_e32 v5, s10, v0
	s_add_i32 s11, s5, -3
	v_lshlrev_b32_e32 v7, 2, v3
	v_lshl_or_b32 v10, s11, 8, v1
	v_dual_mov_b32 v11, v2 :: v_dual_lshlrev_b32 v8, 2, v4
	v_lshlrev_b32_e32 v9, 2, v5
	ds_load_b32 v6, v7 offset:16384
	ds_load_b32 v5, v8 offset:16384
	;; [unrolled: 1-line block ×4, first 2 shown]
	s_cmp_le_i32 s28, s5
	s_mov_b32 s16, s4
	s_mov_b32 s17, s28
	s_cbranch_scc1 .LBB45_43
.LBB45_42:                              ;   Parent Loop BB45_41 Depth=1
                                        ; =>  This Inner Loop Header: Depth=2
	v_mov_b32_e32 v30, s16
	s_add_i32 s17, s17, -4
	s_addk_i32 s16, 0xfc00
	s_cmp_le_i32 s17, s5
	ds_load_2addr_stride64_b32 v[12:13], v11 offset0:2 offset1:3
	ds_load_2addr_b32 v[14:15], v30 offset0:194 offset1:195
	ds_load_2addr_b32 v[16:17], v30 offset0:192 offset1:193
	;; [unrolled: 1-line block ×4, first 2 shown]
	ds_load_2addr_stride64_b32 v[22:23], v11 offset1:1
	ds_load_2addr_b32 v[24:25], v30 offset0:66 offset1:67
	ds_load_2addr_b32 v[26:27], v30 offset0:64 offset1:65
	;; [unrolled: 1-line block ×3, first 2 shown]
	ds_load_2addr_b32 v[30:31], v30 offset1:1
	v_add_nc_u32_e32 v11, 0xfffffc00, v11
	s_waitcnt lgkmcnt(8)
	v_fma_f32 v6, -v13, v15, v6
	v_fma_f32 v5, -v13, v14, v5
	s_waitcnt lgkmcnt(7)
	v_fma_f32 v4, -v13, v17, v4
	v_fma_f32 v3, -v13, v16, v3
	;; [unrolled: 3-line block ×8, first 2 shown]
	s_cbranch_scc0 .LBB45_42
.LBB45_43:                              ;   in Loop: Header=BB45_41 Depth=1
	s_add_i32 s15, s13, s15
	s_add_i32 s14, s14, s11
	s_lshl_b32 s15, s15, 2
	s_delay_alu instid0(SALU_CYCLE_1)
	v_dual_mov_b32 v11, s15 :: v_dual_add_nc_u32 v8, 0x4000, v8
	s_mul_i32 s15, s5, 0x104
	s_lshl_b32 s14, s14, 2
	s_add_i32 s13, s13, s11
	s_add_i32 s16, s15, 0xfffffefc
	ds_load_2addr_b32 v[11:12], v11 offset1:1
	s_lshl_b32 s13, s13, 2
	v_dual_mov_b32 v13, s16 :: v_dual_add_nc_u32 v10, 0x4000, v10
	v_dual_mov_b32 v14, s13 :: v_dual_add_nc_u32 v7, 0x4000, v7
	s_add_i32 s10, s10, s11
	s_add_i32 s4, s4, -16
	s_lshl_b32 s10, s10, 2
	s_waitcnt lgkmcnt(0)
	v_div_scale_f32 v18, null, v12, v12, v6
	v_div_scale_f32 v21, vcc_lo, v6, v12, v6
	s_delay_alu instid0(VALU_DEP_2) | instskip(SKIP_2) | instid1(VALU_DEP_1)
	v_rcp_f32_e32 v19, v18
	s_waitcnt_depctr 0xfff
	v_fma_f32 v20, -v18, v19, 1.0
	v_fmac_f32_e32 v19, v20, v19
	s_delay_alu instid0(VALU_DEP_1) | instskip(NEXT) | instid1(VALU_DEP_1)
	v_dual_mul_f32 v20, v21, v19 :: v_dual_add_nc_u32 v9, 0x4000, v9
	v_fma_f32 v22, -v18, v20, v21
	s_delay_alu instid0(VALU_DEP_1) | instskip(SKIP_4) | instid1(VALU_DEP_1)
	v_dual_mov_b32 v15, s14 :: v_dual_fmac_f32 v20, v22, v19
	ds_load_b32 v17, v13
	ds_load_2addr_b32 v[13:14], v14 offset1:1
	ds_load_2addr_b32 v[15:16], v15 offset1:1
	v_fma_f32 v18, -v18, v20, v21
	v_div_fmas_f32 v18, v18, v19, v20
	s_delay_alu instid0(VALU_DEP_1) | instskip(NEXT) | instid1(VALU_DEP_1)
	v_div_fixup_f32 v12, v18, v12, v6
	v_fma_f32 v11, -v12, v11, v5
	s_waitcnt lgkmcnt(1)
	v_fma_f32 v4, -v12, v14, v4
	v_fma_f32 v3, -v12, v13, v3
	s_delay_alu instid0(VALU_DEP_3) | instskip(SKIP_1) | instid1(VALU_DEP_2)
	v_div_scale_f32 v5, null, v17, v17, v11
	v_div_scale_f32 v19, vcc_lo, v11, v17, v11
	v_rcp_f32_e32 v18, v5
	s_waitcnt_depctr 0xfff
	v_fma_f32 v6, -v5, v18, 1.0
	s_delay_alu instid0(VALU_DEP_1) | instskip(NEXT) | instid1(VALU_DEP_1)
	v_fmac_f32_e32 v18, v6, v18
	v_mul_f32_e32 v20, v19, v18
	s_delay_alu instid0(VALU_DEP_1) | instskip(NEXT) | instid1(VALU_DEP_1)
	v_fma_f32 v6, -v5, v20, v19
	v_fmac_f32_e32 v20, v6, v18
	v_mov_b32_e32 v6, s10
	s_add_i32 s10, s15, 0xfffffcf4
	s_delay_alu instid0(SALU_CYCLE_1) | instskip(NEXT) | instid1(VALU_DEP_3)
	v_mov_b32_e32 v14, s10
	v_fma_f32 v19, -v5, v20, v19
	ds_load_2addr_b32 v[5:6], v6 offset1:1
	s_add_i32 s10, s5, -4
	s_cmp_lt_i32 s5, 7
	ds_load_b32 v14, v14
	v_div_fmas_f32 v18, v19, v18, v20
	s_delay_alu instid0(VALU_DEP_1) | instskip(SKIP_1) | instid1(VALU_DEP_1)
	v_div_fixup_f32 v11, v18, v17, v11
	s_waitcnt lgkmcnt(2)
	v_fma_f32 v4, -v11, v16, v4
	v_fma_f32 v3, -v11, v15, v3
	s_waitcnt lgkmcnt(1)
	s_delay_alu instid0(VALU_DEP_2) | instskip(SKIP_1) | instid1(VALU_DEP_2)
	v_div_scale_f32 v16, null, v6, v6, v4
	v_div_scale_f32 v19, vcc_lo, v4, v6, v4
	v_rcp_f32_e32 v17, v16
	s_waitcnt_depctr 0xfff
	v_fma_f32 v18, -v16, v17, 1.0
	s_delay_alu instid0(VALU_DEP_1) | instskip(NEXT) | instid1(VALU_DEP_1)
	v_fmac_f32_e32 v17, v18, v17
	v_mul_f32_e32 v18, v19, v17
	s_delay_alu instid0(VALU_DEP_1) | instskip(NEXT) | instid1(VALU_DEP_1)
	v_fma_f32 v20, -v16, v18, v19
	v_fmac_f32_e32 v18, v20, v17
	s_delay_alu instid0(VALU_DEP_1) | instskip(NEXT) | instid1(VALU_DEP_1)
	v_fma_f32 v16, -v16, v18, v19
	v_div_fmas_f32 v13, v16, v17, v18
	s_delay_alu instid0(VALU_DEP_1) | instskip(NEXT) | instid1(VALU_DEP_1)
	v_div_fixup_f32 v4, v13, v6, v4
	v_fma_f32 v3, -v4, v5, v3
	s_waitcnt lgkmcnt(0)
	s_delay_alu instid0(VALU_DEP_1) | instskip(SKIP_1) | instid1(VALU_DEP_2)
	v_div_scale_f32 v5, null, v14, v14, v3
	v_div_scale_f32 v15, vcc_lo, v3, v14, v3
	v_rcp_f32_e32 v6, v5
	s_waitcnt_depctr 0xfff
	v_fma_f32 v13, -v5, v6, 1.0
	s_delay_alu instid0(VALU_DEP_1) | instskip(NEXT) | instid1(VALU_DEP_1)
	v_fmac_f32_e32 v6, v13, v6
	v_mul_f32_e32 v13, v15, v6
	s_delay_alu instid0(VALU_DEP_1) | instskip(NEXT) | instid1(VALU_DEP_1)
	v_fma_f32 v16, -v5, v13, v15
	v_fmac_f32_e32 v13, v16, v6
	s_delay_alu instid0(VALU_DEP_1) | instskip(NEXT) | instid1(VALU_DEP_1)
	v_fma_f32 v5, -v5, v13, v15
	v_div_fmas_f32 v5, v5, v6, v13
	s_delay_alu instid0(VALU_DEP_1)
	v_div_fixup_f32 v3, v5, v14, v3
	ds_store_b32 v7, v12
	ds_store_b32 v8, v11
	;; [unrolled: 1-line block ×4, first 2 shown]
	s_cbranch_scc1 .LBB45_45
; %bb.44:                               ;   in Loop: Header=BB45_41 Depth=1
	s_mov_b32 s5, s10
	s_branch .LBB45_41
.LBB45_45:
	s_cmp_lt_i32 s10, 0
	s_cbranch_scc1 .LBB45_58
; %bb.46:
	s_bitcmp1_b32 s10, 0
	s_cselect_b32 s4, -1, 0
	s_delay_alu instid0(SALU_CYCLE_1)
	s_and_b32 vcc_lo, exec_lo, s4
	s_mov_b32 s4, s10
	s_cbranch_vccnz .LBB45_51
; %bb.47:
	v_lshlrev_b32_e32 v1, 2, v0
	s_cmp_le_i32 s28, s10
	s_delay_alu instid0(VALU_DEP_1)
	v_lshl_or_b32 v2, s10, 8, v1
	ds_load_b32 v1, v2 offset:16384
	s_cbranch_scc1 .LBB45_50
; %bb.48:
	s_lshl_b32 s4, s20, 8
	s_lshl_b32 s5, s10, 2
	v_lshl_or_b32 v3, v0, 2, s4
	s_add_i32 s4, s4, s5
	s_mov_b32 s5, s28
	s_addk_i32 s4, 0xff00
	s_delay_alu instid0(VALU_DEP_1)
	v_add_nc_u32_e32 v3, 0x3f00, v3
.LBB45_49:                              ; =>This Inner Loop Header: Depth=1
	v_mov_b32_e32 v4, s4
	s_add_i32 s5, s5, -1
	s_addk_i32 s4, 0xff00
	s_cmp_gt_i32 s5, s10
	ds_load_b32 v5, v3
	ds_load_b32 v4, v4
	v_add_nc_u32_e32 v3, 0xffffff00, v3
	s_waitcnt lgkmcnt(0)
	v_fma_f32 v1, -v5, v4, v1
	s_cbranch_scc1 .LBB45_49
.LBB45_50:
	s_mul_i32 s4, s10, 0x104
	s_delay_alu instid0(SALU_CYCLE_1) | instskip(SKIP_4) | instid1(VALU_DEP_1)
	v_dual_mov_b32 v3, s4 :: v_dual_add_nc_u32 v2, 0x4000, v2
	s_add_i32 s4, s10, -1
	ds_load_b32 v3, v3
	s_waitcnt lgkmcnt(0)
	v_div_scale_f32 v4, null, v3, v3, v1
	v_rcp_f32_e32 v5, v4
	s_waitcnt_depctr 0xfff
	v_fma_f32 v6, -v4, v5, 1.0
	s_delay_alu instid0(VALU_DEP_1) | instskip(SKIP_1) | instid1(VALU_DEP_1)
	v_fmac_f32_e32 v5, v6, v5
	v_div_scale_f32 v6, vcc_lo, v1, v3, v1
	v_mul_f32_e32 v7, v6, v5
	s_delay_alu instid0(VALU_DEP_1) | instskip(NEXT) | instid1(VALU_DEP_1)
	v_fma_f32 v8, -v4, v7, v6
	v_fmac_f32_e32 v7, v8, v5
	s_delay_alu instid0(VALU_DEP_1) | instskip(NEXT) | instid1(VALU_DEP_1)
	v_fma_f32 v4, -v4, v7, v6
	v_div_fmas_f32 v4, v4, v5, v7
	s_delay_alu instid0(VALU_DEP_1)
	v_div_fixup_f32 v1, v4, v3, v1
	ds_store_b32 v2, v1
.LBB45_51:
	s_cmp_eq_u32 s10, 0
	s_cbranch_scc1 .LBB45_58
; %bb.52:
	s_lshl_b32 s5, s20, 8
	s_lshl_b32 s10, s4, 2
	v_lshl_or_b32 v1, v0, 2, s5
	v_lshlrev_b32_e32 v2, 2, v0
	s_add_i32 s10, s5, s10
	s_delay_alu instid0(SALU_CYCLE_1) | instskip(NEXT) | instid1(VALU_DEP_2)
	s_add_i32 s5, s10, 0xffffff00
	v_add_nc_u32_e32 v1, 0x3f00, v1
	s_addk_i32 s10, 0xfefc
	s_branch .LBB45_54
.LBB45_53:                              ;   in Loop: Header=BB45_54 Depth=1
	s_addk_i32 s11, 0xfefc
	v_add_nc_u32_e32 v3, 0x4000, v5
	v_mov_b32_e32 v5, s11
	s_add_i32 s11, s4, -2
	s_add_i32 s5, s5, -8
	;; [unrolled: 1-line block ×3, first 2 shown]
	s_cmp_lt_i32 s4, 2
	ds_load_b32 v5, v5
	s_mov_b32 s4, s11
	s_waitcnt lgkmcnt(0)
	v_div_scale_f32 v6, null, v5, v5, v4
	v_div_scale_f32 v9, vcc_lo, v4, v5, v4
	s_delay_alu instid0(VALU_DEP_2) | instskip(SKIP_2) | instid1(VALU_DEP_1)
	v_rcp_f32_e32 v7, v6
	s_waitcnt_depctr 0xfff
	v_fma_f32 v8, -v6, v7, 1.0
	v_fmac_f32_e32 v7, v8, v7
	s_delay_alu instid0(VALU_DEP_1) | instskip(NEXT) | instid1(VALU_DEP_1)
	v_mul_f32_e32 v8, v9, v7
	v_fma_f32 v10, -v6, v8, v9
	s_delay_alu instid0(VALU_DEP_1) | instskip(NEXT) | instid1(VALU_DEP_1)
	v_fmac_f32_e32 v8, v10, v7
	v_fma_f32 v6, -v6, v8, v9
	s_delay_alu instid0(VALU_DEP_1) | instskip(NEXT) | instid1(VALU_DEP_1)
	v_div_fmas_f32 v6, v6, v7, v8
	v_div_fixup_f32 v4, v6, v5, v4
	ds_store_b32 v3, v4
	s_cbranch_scc1 .LBB45_58
.LBB45_54:                              ; =>This Loop Header: Depth=1
                                        ;     Child Loop BB45_55 Depth 2
                                        ;     Child Loop BB45_57 Depth 2
	v_lshl_or_b32 v4, s4, 8, v2
	s_delay_alu instid0(VALU_DEP_2)
	v_mov_b32_e32 v5, v1
	s_cmp_le_i32 s28, s4
	s_mov_b32 s11, s5
	s_mov_b32 s13, s28
	ds_load_b32 v3, v4 offset:16384
	s_cbranch_scc1 .LBB45_56
.LBB45_55:                              ;   Parent Loop BB45_54 Depth=1
                                        ; =>  This Inner Loop Header: Depth=2
	v_mov_b32_e32 v6, s11
	s_add_i32 s13, s13, -1
	s_addk_i32 s11, 0xff00
	s_cmp_le_i32 s13, s4
	ds_load_b32 v7, v5
	ds_load_b32 v6, v6
	v_add_nc_u32_e32 v5, 0xffffff00, v5
	s_waitcnt lgkmcnt(0)
	v_fma_f32 v3, -v7, v6, v3
	s_cbranch_scc0 .LBB45_55
.LBB45_56:                              ;   in Loop: Header=BB45_54 Depth=1
	s_mul_i32 s11, s4, 0x104
	v_add_nc_u32_e32 v6, 0x4000, v4
	v_mov_b32_e32 v4, s11
	s_lshl_b32 s13, s4, 8
	s_mov_b32 s14, s20
	s_addk_i32 s13, 0xff00
	s_cmp_lt_i32 s28, s4
	ds_load_b32 v7, v4
	v_lshl_or_b32 v5, v0, 2, s13
	s_mov_b32 s13, s10
	ds_load_b32 v4, v5 offset:16384
	s_waitcnt lgkmcnt(1)
	v_div_scale_f32 v8, null, v7, v7, v3
	s_delay_alu instid0(VALU_DEP_1) | instskip(SKIP_2) | instid1(VALU_DEP_1)
	v_rcp_f32_e32 v9, v8
	s_waitcnt_depctr 0xfff
	v_fma_f32 v10, -v8, v9, 1.0
	v_fmac_f32_e32 v9, v10, v9
	v_div_scale_f32 v10, vcc_lo, v3, v7, v3
	s_delay_alu instid0(VALU_DEP_1) | instskip(NEXT) | instid1(VALU_DEP_1)
	v_mul_f32_e32 v11, v10, v9
	v_fma_f32 v12, -v8, v11, v10
	s_delay_alu instid0(VALU_DEP_1) | instskip(NEXT) | instid1(VALU_DEP_1)
	v_fmac_f32_e32 v11, v12, v9
	v_fma_f32 v8, -v8, v11, v10
	s_delay_alu instid0(VALU_DEP_1) | instskip(NEXT) | instid1(VALU_DEP_1)
	v_div_fmas_f32 v8, v8, v9, v11
	v_div_fixup_f32 v7, v8, v7, v3
	v_mov_b32_e32 v3, v1
	ds_store_b32 v6, v7
	s_cbranch_scc1 .LBB45_53
.LBB45_57:                              ;   Parent Loop BB45_54 Depth=1
                                        ; =>  This Inner Loop Header: Depth=2
	v_mov_b32_e32 v6, s13
	s_add_i32 s14, s14, -1
	s_addk_i32 s13, 0xff00
	s_cmp_gt_i32 s14, s4
	ds_load_b32 v7, v3
	ds_load_b32 v6, v6
	v_add_nc_u32_e32 v3, 0xffffff00, v3
	s_waitcnt lgkmcnt(0)
	v_fma_f32 v4, -v7, v6, v4
	s_cbranch_scc1 .LBB45_57
	s_branch .LBB45_53
.LBB45_58:
	s_mov_b32 s4, 0
.LBB45_59:
	s_delay_alu instid0(SALU_CYCLE_1)
	s_and_not1_b32 vcc_lo, exec_lo, s4
	s_cbranch_vccnz .LBB45_79
; %bb.60:
	s_and_not1_b32 vcc_lo, exec_lo, s1
	s_mov_b32 s5, s28
	s_cbranch_vccnz .LBB45_66
; %bb.61:
	v_lshlrev_b32_e32 v1, 2, v0
	s_mul_i32 s1, s20, 0x104
	s_mov_b32 s4, s28
	s_addk_i32 s1, 0xfbf0
	s_delay_alu instid0(VALU_DEP_1) | instskip(NEXT) | instid1(VALU_DEP_1)
	v_lshl_or_b32 v2, s20, 8, v1
	v_add_nc_u32_e32 v2, 0x3c00, v2
.LBB45_62:                              ; =>This Loop Header: Depth=1
                                        ;     Child Loop BB45_63 Depth 2
	s_lshl_b32 s5, s4, 6
	s_add_i32 s10, s4, -1
	v_or_b32_e32 v3, s5, v0
	s_add_i32 s11, s5, 0xffffff80
	s_addk_i32 s5, 0xff40
	v_or_b32_e32 v4, s11, v0
	v_or_b32_e32 v5, s5, v0
	v_lshlrev_b32_e32 v7, 2, v3
	v_lshl_or_b32 v8, s10, 8, v1
	v_mov_b32_e32 v11, v2
	v_lshlrev_b32_e32 v9, 2, v4
	v_lshlrev_b32_e32 v10, 2, v5
	ds_load_b32 v6, v7 offset:16384
	ds_load_b32 v5, v8 offset:16384
	;; [unrolled: 1-line block ×4, first 2 shown]
	s_cmp_le_i32 s28, s4
	s_mov_b32 s13, s1
	s_mov_b32 s14, s28
	s_cbranch_scc1 .LBB45_64
.LBB45_63:                              ;   Parent Loop BB45_62 Depth=1
                                        ; =>  This Inner Loop Header: Depth=2
	v_mov_b32_e32 v30, s13
	s_add_i32 s14, s14, -4
	s_add_i32 s13, s13, -16
	s_cmp_le_i32 s14, s4
	ds_load_2addr_stride64_b32 v[12:13], v11 offset0:2 offset1:3
	ds_load_2addr_b32 v[14:15], v30 offset0:194 offset1:195
	ds_load_2addr_b32 v[16:17], v30 offset0:130 offset1:131
	;; [unrolled: 1-line block ×4, first 2 shown]
	ds_load_2addr_stride64_b32 v[22:23], v11 offset1:1
	ds_load_2addr_b32 v[24:25], v30 offset0:192 offset1:193
	ds_load_2addr_b32 v[26:27], v30 offset0:128 offset1:129
	ds_load_2addr_b32 v[28:29], v30 offset0:64 offset1:65
	ds_load_2addr_b32 v[30:31], v30 offset1:1
	v_add_nc_u32_e32 v11, 0xfffffc00, v11
	s_waitcnt lgkmcnt(8)
	v_fma_f32 v6, -v13, v15, v6
	s_waitcnt lgkmcnt(7)
	v_fma_f32 v5, -v13, v17, v5
	;; [unrolled: 2-line block ×4, first 2 shown]
	v_fma_f32 v6, -v12, v14, v6
	v_fma_f32 v5, -v12, v16, v5
	;; [unrolled: 1-line block ×3, first 2 shown]
	s_delay_alu instid0(VALU_DEP_4)
	v_fma_f32 v3, -v12, v20, v3
	s_waitcnt lgkmcnt(3)
	v_fma_f32 v6, -v23, v25, v6
	s_waitcnt lgkmcnt(2)
	;; [unrolled: 2-line block ×4, first 2 shown]
	v_fma_f32 v3, -v23, v31, v3
	v_fma_f32 v6, -v22, v24, v6
	;; [unrolled: 1-line block ×4, first 2 shown]
	s_delay_alu instid0(VALU_DEP_4)
	v_fma_f32 v3, -v22, v30, v3
	s_cbranch_scc0 .LBB45_63
.LBB45_64:                              ;   in Loop: Header=BB45_62 Depth=1
	s_mul_i32 s13, s4, 0x104
	s_delay_alu instid0(SALU_CYCLE_1)
	v_dual_mov_b32 v11, s13 :: v_dual_add_nc_u32 v8, 0x4000, v8
	s_add_i32 s11, s11, s4
	s_add_i32 s14, s13, 0xfffffefc
	s_lshl_b32 s11, s11, 2
	v_add_nc_u32_e32 v10, 0x4000, v10
	ds_load_b32 v15, v11
	v_mov_b32_e32 v11, s14
	s_add_i32 s15, s13, 0xfffffdf8
	v_mov_b32_e32 v13, s11
	v_dual_mov_b32 v14, s15 :: v_dual_add_nc_u32 v7, 0x4000, v7
	ds_load_2addr_b32 v[11:12], v11 offset1:1
	ds_load_b32 v16, v13
	ds_load_2addr_b32 v[13:14], v14 offset1:1
	s_add_i32 s5, s5, s10
	s_addk_i32 s1, 0xfc00
	s_lshl_b32 s5, s5, 2
	s_waitcnt lgkmcnt(3)
	v_div_scale_f32 v17, null, v15, v15, v6
	v_div_scale_f32 v20, vcc_lo, v6, v15, v6
	s_delay_alu instid0(VALU_DEP_2) | instskip(SKIP_2) | instid1(VALU_DEP_1)
	v_rcp_f32_e32 v18, v17
	s_waitcnt_depctr 0xfff
	v_fma_f32 v19, -v17, v18, 1.0
	v_dual_fmac_f32 v18, v19, v18 :: v_dual_add_nc_u32 v9, 0x4000, v9
	s_delay_alu instid0(VALU_DEP_1) | instskip(NEXT) | instid1(VALU_DEP_1)
	v_mul_f32_e32 v19, v20, v18
	v_fma_f32 v21, -v17, v19, v20
	s_delay_alu instid0(VALU_DEP_1) | instskip(NEXT) | instid1(VALU_DEP_1)
	v_fmac_f32_e32 v19, v21, v18
	v_fma_f32 v17, -v17, v19, v20
	s_delay_alu instid0(VALU_DEP_1) | instskip(NEXT) | instid1(VALU_DEP_1)
	v_div_fmas_f32 v17, v17, v18, v19
	v_div_fixup_f32 v6, v17, v15, v6
	s_waitcnt lgkmcnt(2)
	s_delay_alu instid0(VALU_DEP_1) | instskip(SKIP_2) | instid1(VALU_DEP_2)
	v_fma_f32 v5, -v6, v12, v5
	s_waitcnt lgkmcnt(1)
	v_fma_f32 v4, -v6, v16, v4
	v_div_scale_f32 v12, null, v11, v11, v5
	v_div_scale_f32 v18, vcc_lo, v5, v11, v5
	s_delay_alu instid0(VALU_DEP_2) | instskip(SKIP_2) | instid1(VALU_DEP_1)
	v_rcp_f32_e32 v15, v12
	s_waitcnt_depctr 0xfff
	v_fma_f32 v17, -v12, v15, 1.0
	v_fmac_f32_e32 v15, v17, v15
	s_delay_alu instid0(VALU_DEP_1) | instskip(NEXT) | instid1(VALU_DEP_1)
	v_mul_f32_e32 v17, v18, v15
	v_fma_f32 v19, -v12, v17, v18
	s_delay_alu instid0(VALU_DEP_1) | instskip(NEXT) | instid1(VALU_DEP_1)
	v_fmac_f32_e32 v17, v19, v15
	v_fma_f32 v12, -v12, v17, v18
	s_delay_alu instid0(VALU_DEP_1) | instskip(NEXT) | instid1(VALU_DEP_1)
	v_div_fmas_f32 v12, v12, v15, v17
	v_div_fixup_f32 v15, v12, v11, v5
	v_mov_b32_e32 v5, s5
	s_add_i32 s5, s13, 0xfffffcf4
	s_delay_alu instid0(SALU_CYCLE_1)
	v_mov_b32_e32 v11, s5
	s_waitcnt lgkmcnt(0)
	v_fma_f32 v14, -v15, v14, v4
	s_add_i32 s5, s4, -4
	s_cmp_lt_i32 s4, 7
	ds_load_2addr_b32 v[11:12], v11 offset1:1
	v_div_scale_f32 v16, null, v13, v13, v14
	v_div_scale_f32 v18, vcc_lo, v14, v13, v14
	s_delay_alu instid0(VALU_DEP_2) | instskip(SKIP_2) | instid1(VALU_DEP_1)
	v_rcp_f32_e32 v17, v16
	s_waitcnt_depctr 0xfff
	v_fma_f32 v4, -v16, v17, 1.0
	v_fmac_f32_e32 v17, v4, v17
	ds_load_2addr_b32 v[4:5], v5 offset1:1
	v_mul_f32_e32 v19, v18, v17
	s_delay_alu instid0(VALU_DEP_1) | instskip(NEXT) | instid1(VALU_DEP_1)
	v_fma_f32 v20, -v16, v19, v18
	v_fmac_f32_e32 v19, v20, v17
	s_delay_alu instid0(VALU_DEP_1) | instskip(SKIP_2) | instid1(VALU_DEP_2)
	v_fma_f32 v16, -v16, v19, v18
	s_waitcnt lgkmcnt(0)
	v_fma_f32 v3, -v6, v5, v3
	v_div_fmas_f32 v5, v16, v17, v19
	s_delay_alu instid0(VALU_DEP_2) | instskip(NEXT) | instid1(VALU_DEP_2)
	v_fma_f32 v3, -v15, v4, v3
	v_div_fixup_f32 v4, v5, v13, v14
	s_delay_alu instid0(VALU_DEP_1) | instskip(NEXT) | instid1(VALU_DEP_1)
	v_fma_f32 v3, -v4, v12, v3
	v_div_scale_f32 v5, null, v11, v11, v3
	v_div_scale_f32 v14, vcc_lo, v3, v11, v3
	s_delay_alu instid0(VALU_DEP_2) | instskip(SKIP_2) | instid1(VALU_DEP_1)
	v_rcp_f32_e32 v12, v5
	s_waitcnt_depctr 0xfff
	v_fma_f32 v13, -v5, v12, 1.0
	v_fmac_f32_e32 v12, v13, v12
	s_delay_alu instid0(VALU_DEP_1) | instskip(NEXT) | instid1(VALU_DEP_1)
	v_mul_f32_e32 v13, v14, v12
	v_fma_f32 v16, -v5, v13, v14
	s_delay_alu instid0(VALU_DEP_1) | instskip(NEXT) | instid1(VALU_DEP_1)
	v_fmac_f32_e32 v13, v16, v12
	v_fma_f32 v5, -v5, v13, v14
	s_delay_alu instid0(VALU_DEP_1) | instskip(NEXT) | instid1(VALU_DEP_1)
	v_div_fmas_f32 v5, v5, v12, v13
	v_div_fixup_f32 v3, v5, v11, v3
	ds_store_b32 v7, v6
	ds_store_b32 v8, v15
	;; [unrolled: 1-line block ×4, first 2 shown]
	s_cbranch_scc1 .LBB45_66
; %bb.65:                               ;   in Loop: Header=BB45_62 Depth=1
	s_mov_b32 s4, s5
	s_branch .LBB45_62
.LBB45_66:
	s_cmp_lt_i32 s5, 0
	s_cbranch_scc1 .LBB45_79
; %bb.67:
	s_bitcmp1_b32 s5, 0
	s_cselect_b32 s1, -1, 0
	s_delay_alu instid0(SALU_CYCLE_1)
	s_and_b32 vcc_lo, exec_lo, s1
	s_mov_b32 s1, s5
	s_cbranch_vccnz .LBB45_72
; %bb.68:
	v_lshlrev_b32_e32 v3, 2, v0
	s_cmp_le_i32 s28, s5
	s_delay_alu instid0(VALU_DEP_1)
	v_lshl_or_b32 v2, s5, 8, v3
	ds_load_b32 v1, v2 offset:16384
	s_cbranch_scc1 .LBB45_71
; %bb.69:
	v_lshl_or_b32 v3, s20, 8, v3
	s_lshl_b32 s1, s5, 8
	s_lshl_b32 s4, s20, 2
	s_delay_alu instid0(SALU_CYCLE_1) | instskip(NEXT) | instid1(VALU_DEP_1)
	s_add_i32 s1, s1, s4
	v_add_nc_u32_e32 v3, 0x3f00, v3
	s_add_i32 s1, s1, -4
	s_mov_b32 s4, s28
.LBB45_70:                              ; =>This Inner Loop Header: Depth=1
	v_mov_b32_e32 v4, s1
	s_add_i32 s4, s4, -1
	s_add_i32 s1, s1, -4
	s_cmp_gt_i32 s4, s5
	ds_load_b32 v5, v3
	ds_load_b32 v4, v4
	v_add_nc_u32_e32 v3, 0xffffff00, v3
	s_waitcnt lgkmcnt(0)
	v_fma_f32 v1, -v5, v4, v1
	s_cbranch_scc1 .LBB45_70
.LBB45_71:
	s_mul_i32 s1, s5, 0x104
	s_delay_alu instid0(SALU_CYCLE_1) | instskip(SKIP_4) | instid1(VALU_DEP_1)
	v_dual_mov_b32 v3, s1 :: v_dual_add_nc_u32 v2, 0x4000, v2
	s_add_i32 s1, s5, -1
	ds_load_b32 v3, v3
	s_waitcnt lgkmcnt(0)
	v_div_scale_f32 v4, null, v3, v3, v1
	v_rcp_f32_e32 v5, v4
	s_waitcnt_depctr 0xfff
	v_fma_f32 v6, -v4, v5, 1.0
	s_delay_alu instid0(VALU_DEP_1) | instskip(SKIP_1) | instid1(VALU_DEP_1)
	v_fmac_f32_e32 v5, v6, v5
	v_div_scale_f32 v6, vcc_lo, v1, v3, v1
	v_mul_f32_e32 v7, v6, v5
	s_delay_alu instid0(VALU_DEP_1) | instskip(NEXT) | instid1(VALU_DEP_1)
	v_fma_f32 v8, -v4, v7, v6
	v_fmac_f32_e32 v7, v8, v5
	s_delay_alu instid0(VALU_DEP_1) | instskip(NEXT) | instid1(VALU_DEP_1)
	v_fma_f32 v4, -v4, v7, v6
	v_div_fmas_f32 v4, v4, v5, v7
	s_delay_alu instid0(VALU_DEP_1)
	v_div_fixup_f32 v1, v4, v3, v1
	ds_store_b32 v2, v1
.LBB45_72:
	s_cmp_eq_u32 s5, 0
	s_cbranch_scc1 .LBB45_79
; %bb.73:
	v_lshlrev_b32_e32 v1, 2, v0
	s_lshl_b32 s4, s1, 8
	s_lshl_b32 s5, s20, 2
	s_delay_alu instid0(SALU_CYCLE_1) | instskip(NEXT) | instid1(VALU_DEP_1)
	s_add_i32 s5, s4, s5
	v_lshl_or_b32 v2, s20, 8, v1
	s_add_i32 s4, s5, -4
	s_addk_i32 s5, 0xfefc
	s_delay_alu instid0(VALU_DEP_1)
	v_add_nc_u32_e32 v2, 0x3f00, v2
	s_branch .LBB45_75
.LBB45_74:                              ;   in Loop: Header=BB45_75 Depth=1
	s_addk_i32 s10, 0xfefc
	v_add_nc_u32_e32 v3, 0x4000, v5
	v_mov_b32_e32 v5, s10
	s_add_i32 s10, s1, -2
	s_addk_i32 s4, 0xfe00
	s_addk_i32 s5, 0xfe00
	s_cmp_lt_i32 s1, 2
	ds_load_b32 v5, v5
	s_mov_b32 s1, s10
	s_waitcnt lgkmcnt(0)
	v_div_scale_f32 v6, null, v5, v5, v4
	v_div_scale_f32 v9, vcc_lo, v4, v5, v4
	s_delay_alu instid0(VALU_DEP_2) | instskip(SKIP_2) | instid1(VALU_DEP_1)
	v_rcp_f32_e32 v7, v6
	s_waitcnt_depctr 0xfff
	v_fma_f32 v8, -v6, v7, 1.0
	v_fmac_f32_e32 v7, v8, v7
	s_delay_alu instid0(VALU_DEP_1) | instskip(NEXT) | instid1(VALU_DEP_1)
	v_mul_f32_e32 v8, v9, v7
	v_fma_f32 v10, -v6, v8, v9
	s_delay_alu instid0(VALU_DEP_1) | instskip(NEXT) | instid1(VALU_DEP_1)
	v_fmac_f32_e32 v8, v10, v7
	v_fma_f32 v6, -v6, v8, v9
	s_delay_alu instid0(VALU_DEP_1) | instskip(NEXT) | instid1(VALU_DEP_1)
	v_div_fmas_f32 v6, v6, v7, v8
	v_div_fixup_f32 v4, v6, v5, v4
	ds_store_b32 v3, v4
	s_cbranch_scc1 .LBB45_79
.LBB45_75:                              ; =>This Loop Header: Depth=1
                                        ;     Child Loop BB45_76 Depth 2
                                        ;     Child Loop BB45_78 Depth 2
	v_lshl_or_b32 v4, s1, 8, v1
	s_delay_alu instid0(VALU_DEP_2)
	v_mov_b32_e32 v5, v2
	s_cmp_le_i32 s28, s1
	s_mov_b32 s10, s4
	s_mov_b32 s11, s28
	ds_load_b32 v3, v4 offset:16384
	s_cbranch_scc1 .LBB45_77
.LBB45_76:                              ;   Parent Loop BB45_75 Depth=1
                                        ; =>  This Inner Loop Header: Depth=2
	v_mov_b32_e32 v6, s10
	s_add_i32 s11, s11, -1
	s_add_i32 s10, s10, -4
	s_cmp_le_i32 s11, s1
	ds_load_b32 v7, v5
	ds_load_b32 v6, v6
	v_add_nc_u32_e32 v5, 0xffffff00, v5
	s_waitcnt lgkmcnt(0)
	v_fma_f32 v3, -v7, v6, v3
	s_cbranch_scc0 .LBB45_76
.LBB45_77:                              ;   in Loop: Header=BB45_75 Depth=1
	s_mul_i32 s10, s1, 0x104
	v_add_nc_u32_e32 v6, 0x4000, v4
	v_mov_b32_e32 v4, s10
	s_lshl_b32 s11, s1, 8
	s_mov_b32 s13, s20
	s_addk_i32 s11, 0xff00
	s_cmp_lt_i32 s28, s1
	ds_load_b32 v7, v4
	v_lshl_or_b32 v5, v0, 2, s11
	s_mov_b32 s11, s5
	ds_load_b32 v4, v5 offset:16384
	s_waitcnt lgkmcnt(1)
	v_div_scale_f32 v8, null, v7, v7, v3
	s_delay_alu instid0(VALU_DEP_1) | instskip(SKIP_2) | instid1(VALU_DEP_1)
	v_rcp_f32_e32 v9, v8
	s_waitcnt_depctr 0xfff
	v_fma_f32 v10, -v8, v9, 1.0
	v_fmac_f32_e32 v9, v10, v9
	v_div_scale_f32 v10, vcc_lo, v3, v7, v3
	s_delay_alu instid0(VALU_DEP_1) | instskip(NEXT) | instid1(VALU_DEP_1)
	v_mul_f32_e32 v11, v10, v9
	v_fma_f32 v12, -v8, v11, v10
	s_delay_alu instid0(VALU_DEP_1) | instskip(NEXT) | instid1(VALU_DEP_1)
	v_fmac_f32_e32 v11, v12, v9
	v_fma_f32 v8, -v8, v11, v10
	s_delay_alu instid0(VALU_DEP_1) | instskip(NEXT) | instid1(VALU_DEP_1)
	v_div_fmas_f32 v8, v8, v9, v11
	v_div_fixup_f32 v7, v8, v7, v3
	v_mov_b32_e32 v3, v2
	ds_store_b32 v6, v7
	s_cbranch_scc1 .LBB45_74
.LBB45_78:                              ;   Parent Loop BB45_75 Depth=1
                                        ; =>  This Inner Loop Header: Depth=2
	v_mov_b32_e32 v6, s11
	s_add_i32 s13, s13, -1
	s_add_i32 s11, s11, -4
	s_cmp_gt_i32 s13, s1
	ds_load_b32 v7, v3
	ds_load_b32 v6, v6
	v_add_nc_u32_e32 v3, 0xffffff00, v3
	s_waitcnt lgkmcnt(0)
	v_fma_f32 v4, -v7, v6, v4
	s_cbranch_scc1 .LBB45_78
	s_branch .LBB45_74
.LBB45_79:
	s_mov_b32 s10, 0
.LBB45_80:
	s_delay_alu instid0(SALU_CYCLE_1)
	s_and_not1_b32 vcc_lo, exec_lo, s10
	s_cbranch_vccnz .LBB45_99
; %bb.81:
	s_cmp_lt_i32 s12, 4
	s_mov_b32 s5, 0
	s_cbranch_scc1 .LBB45_88
; %bb.82:
	v_lshl_or_b32 v1, v0, 2, 0x4000
	s_mov_b32 s1, 0
	s_mov_b32 s4, 0
.LBB45_83:                              ; =>This Loop Header: Depth=1
                                        ;     Child Loop BB45_85 Depth 2
	s_delay_alu instid0(SALU_CYCLE_1) | instskip(NEXT) | instid1(SALU_CYCLE_1)
	s_lshl_b32 s5, s4, 6
	s_or_b32 s11, s5, 64
	v_or_b32_e32 v2, s5, v0
	s_or_b32 s10, s5, 0x80
	v_or_b32_e32 v3, s11, v0
	;; [unrolled: 2-line block ×3, first 2 shown]
	v_or_b32_e32 v5, s5, v0
	v_lshlrev_b32_e32 v6, 2, v2
	v_lshlrev_b32_e32 v7, 2, v3
	s_cmp_eq_u32 s4, 0
	v_lshlrev_b32_e32 v8, 2, v4
	v_lshlrev_b32_e32 v9, 2, v5
	ds_load_b32 v5, v6 offset:16384
	ds_load_b32 v4, v7 offset:16384
	;; [unrolled: 1-line block ×4, first 2 shown]
	s_cbranch_scc1 .LBB45_86
; %bb.84:                               ;   in Loop: Header=BB45_83 Depth=1
	v_mov_b32_e32 v10, v1
	s_mov_b32 s13, 0
	s_mov_b32 s14, s1
.LBB45_85:                              ;   Parent Loop BB45_83 Depth=1
                                        ; =>  This Inner Loop Header: Depth=2
	s_delay_alu instid0(SALU_CYCLE_1)
	v_mov_b32_e32 v23, s14
	s_add_i32 s13, s13, 4
	s_add_i32 s14, s14, 16
	s_cmp_ge_u32 s13, s4
	ds_load_2addr_stride64_b32 v[27:28], v10 offset1:1
	ds_load_b128 v[11:14], v23
	ds_load_b128 v[15:18], v23 offset:256
	ds_load_b128 v[19:22], v23 offset:512
	;; [unrolled: 1-line block ×3, first 2 shown]
	ds_load_2addr_stride64_b32 v[29:30], v10 offset0:2 offset1:3
	v_add_nc_u32_e32 v10, 0x400, v10
	s_waitcnt lgkmcnt(4)
	v_fma_f32 v5, -v27, v11, v5
	s_waitcnt lgkmcnt(3)
	v_fma_f32 v4, -v27, v15, v4
	;; [unrolled: 2-line block ×4, first 2 shown]
	v_fma_f32 v5, -v28, v12, v5
	v_fma_f32 v4, -v28, v16, v4
	;; [unrolled: 1-line block ×3, first 2 shown]
	s_delay_alu instid0(VALU_DEP_4)
	v_fma_f32 v2, -v28, v24, v2
	s_waitcnt lgkmcnt(0)
	v_fma_f32 v5, -v29, v13, v5
	v_fma_f32 v4, -v29, v17, v4
	;; [unrolled: 1-line block ×4, first 2 shown]
	s_delay_alu instid0(VALU_DEP_4) | instskip(NEXT) | instid1(VALU_DEP_4)
	v_fma_f32 v5, -v30, v14, v5
	v_fma_f32 v4, -v30, v18, v4
	s_delay_alu instid0(VALU_DEP_4) | instskip(NEXT) | instid1(VALU_DEP_4)
	v_fma_f32 v3, -v30, v22, v3
	v_fma_f32 v2, -v30, v26, v2
	s_cbranch_scc0 .LBB45_85
.LBB45_86:                              ;   in Loop: Header=BB45_83 Depth=1
	s_mul_i32 s13, s4, 0x104
	s_delay_alu instid0(SALU_CYCLE_1)
	v_dual_mov_b32 v10, s13 :: v_dual_add_nc_u32 v7, 0x4000, v7
	s_add_i32 s11, s11, s4
	s_add_i32 s10, s10, s4
	s_lshl_b32 s11, s11, 2
	s_lshl_b32 s10, s10, 2
	ds_load_b32 v15, v10
	s_add_i32 s5, s5, s4
	v_dual_mov_b32 v10, s11 :: v_dual_add_nc_u32 v9, 0x4000, v9
	s_lshl_b32 s5, s5, 2
	v_mov_b32_e32 v12, s10
	ds_load_b64 v[10:11], v10
	ds_load_b96 v[12:14], v12
	s_addk_i32 s1, 0x400
	s_waitcnt lgkmcnt(2)
	v_div_scale_f32 v16, null, v15, v15, v5
	v_div_scale_f32 v19, vcc_lo, v5, v15, v5
	s_delay_alu instid0(VALU_DEP_2) | instskip(SKIP_2) | instid1(VALU_DEP_1)
	v_rcp_f32_e32 v17, v16
	s_waitcnt_depctr 0xfff
	v_fma_f32 v18, -v16, v17, 1.0
	v_dual_fmac_f32 v17, v18, v17 :: v_dual_add_nc_u32 v6, 0x4000, v6
	s_delay_alu instid0(VALU_DEP_1) | instskip(NEXT) | instid1(VALU_DEP_1)
	v_mul_f32_e32 v18, v19, v17
	v_fma_f32 v20, -v16, v18, v19
	s_delay_alu instid0(VALU_DEP_1) | instskip(NEXT) | instid1(VALU_DEP_1)
	v_fmac_f32_e32 v18, v20, v17
	v_fma_f32 v16, -v16, v18, v19
	s_delay_alu instid0(VALU_DEP_1) | instskip(NEXT) | instid1(VALU_DEP_1)
	v_div_fmas_f32 v16, v16, v17, v18
	v_div_fixup_f32 v5, v16, v15, v5
	s_waitcnt lgkmcnt(1)
	s_delay_alu instid0(VALU_DEP_1) | instskip(SKIP_2) | instid1(VALU_DEP_2)
	v_fma_f32 v4, -v5, v10, v4
	s_waitcnt lgkmcnt(0)
	v_fma_f32 v3, -v5, v12, v3
	v_div_scale_f32 v10, null, v11, v11, v4
	v_div_scale_f32 v17, vcc_lo, v4, v11, v4
	s_delay_alu instid0(VALU_DEP_2) | instskip(SKIP_2) | instid1(VALU_DEP_1)
	v_rcp_f32_e32 v15, v10
	s_waitcnt_depctr 0xfff
	v_fma_f32 v16, -v10, v15, 1.0
	v_dual_fmac_f32 v15, v16, v15 :: v_dual_add_nc_u32 v8, 0x4000, v8
	s_delay_alu instid0(VALU_DEP_1) | instskip(NEXT) | instid1(VALU_DEP_1)
	v_mul_f32_e32 v16, v17, v15
	v_fma_f32 v18, -v10, v16, v17
	s_delay_alu instid0(VALU_DEP_1) | instskip(NEXT) | instid1(VALU_DEP_1)
	v_fmac_f32_e32 v16, v18, v15
	v_fma_f32 v10, -v10, v16, v17
	s_delay_alu instid0(VALU_DEP_1) | instskip(NEXT) | instid1(VALU_DEP_1)
	v_div_fmas_f32 v10, v10, v15, v16
	v_div_fixup_f32 v4, v10, v11, v4
	v_mov_b32_e32 v11, s5
	s_add_i32 s5, s4, 4
	s_add_i32 s4, s4, 7
	s_delay_alu instid0(SALU_CYCLE_1) | instskip(SKIP_1) | instid1(VALU_DEP_1)
	s_cmp_ge_i32 s4, s20
	v_fma_f32 v3, -v4, v13, v3
	v_div_scale_f32 v15, null, v14, v14, v3
	v_div_scale_f32 v17, vcc_lo, v3, v14, v3
	s_delay_alu instid0(VALU_DEP_2) | instskip(SKIP_2) | instid1(VALU_DEP_1)
	v_rcp_f32_e32 v16, v15
	s_waitcnt_depctr 0xfff
	v_fma_f32 v10, -v15, v16, 1.0
	v_fmac_f32_e32 v16, v10, v16
	ds_load_b128 v[10:13], v11
	v_mul_f32_e32 v18, v17, v16
	s_delay_alu instid0(VALU_DEP_1) | instskip(NEXT) | instid1(VALU_DEP_1)
	v_fma_f32 v19, -v15, v18, v17
	v_fmac_f32_e32 v18, v19, v16
	s_delay_alu instid0(VALU_DEP_1) | instskip(SKIP_2) | instid1(VALU_DEP_2)
	v_fma_f32 v15, -v15, v18, v17
	s_waitcnt lgkmcnt(0)
	v_fma_f32 v2, -v5, v10, v2
	v_div_fmas_f32 v10, v15, v16, v18
	s_delay_alu instid0(VALU_DEP_2) | instskip(NEXT) | instid1(VALU_DEP_2)
	v_fma_f32 v2, -v4, v11, v2
	v_div_fixup_f32 v3, v10, v14, v3
	s_delay_alu instid0(VALU_DEP_1) | instskip(NEXT) | instid1(VALU_DEP_1)
	v_fma_f32 v2, -v3, v12, v2
	v_div_scale_f32 v10, null, v13, v13, v2
	v_div_scale_f32 v14, vcc_lo, v2, v13, v2
	s_delay_alu instid0(VALU_DEP_2) | instskip(SKIP_2) | instid1(VALU_DEP_1)
	v_rcp_f32_e32 v11, v10
	s_waitcnt_depctr 0xfff
	v_fma_f32 v12, -v10, v11, 1.0
	v_fmac_f32_e32 v11, v12, v11
	s_delay_alu instid0(VALU_DEP_1) | instskip(NEXT) | instid1(VALU_DEP_1)
	v_mul_f32_e32 v12, v14, v11
	v_fma_f32 v15, -v10, v12, v14
	s_delay_alu instid0(VALU_DEP_1) | instskip(NEXT) | instid1(VALU_DEP_1)
	v_fmac_f32_e32 v12, v15, v11
	v_fma_f32 v10, -v10, v12, v14
	s_delay_alu instid0(VALU_DEP_1) | instskip(NEXT) | instid1(VALU_DEP_1)
	v_div_fmas_f32 v10, v10, v11, v12
	v_div_fixup_f32 v2, v10, v13, v2
	ds_store_b32 v6, v5
	ds_store_b32 v7, v4
	;; [unrolled: 1-line block ×4, first 2 shown]
	s_cbranch_scc1 .LBB45_88
; %bb.87:                               ;   in Loop: Header=BB45_83 Depth=1
	s_mov_b32 s4, s5
	s_branch .LBB45_83
.LBB45_88:
	s_cmp_ge_i32 s5, s20
	s_cbranch_scc1 .LBB45_99
; %bb.89:
	v_lshl_or_b32 v1, v0, 2, 0x4000
	v_lshlrev_b32_e32 v2, 2, v0
	s_add_i32 s1, s5, -1
	s_lshl_b32 s4, s5, 8
	s_mov_b32 s10, 0
	s_mov_b32 s11, s5
	s_branch .LBB45_91
.LBB45_90:                              ;   in Loop: Header=BB45_91 Depth=1
	s_mul_i32 s13, s5, 0x104
	s_delay_alu instid0(SALU_CYCLE_1)
	v_dual_mov_b32 v5, s13 :: v_dual_add_nc_u32 v4, 0x4000, v4
	s_add_i32 s5, s5, 1
	s_add_i32 s10, s10, 1
	s_addk_i32 s4, 0x100
	s_cmp_ge_i32 s5, s20
	ds_load_b32 v5, v5
	s_waitcnt lgkmcnt(0)
	v_div_scale_f32 v6, null, v5, v5, v3
	v_div_scale_f32 v9, vcc_lo, v3, v5, v3
	s_delay_alu instid0(VALU_DEP_2) | instskip(SKIP_2) | instid1(VALU_DEP_1)
	v_rcp_f32_e32 v7, v6
	s_waitcnt_depctr 0xfff
	v_fma_f32 v8, -v6, v7, 1.0
	v_fmac_f32_e32 v7, v8, v7
	s_delay_alu instid0(VALU_DEP_1) | instskip(NEXT) | instid1(VALU_DEP_1)
	v_mul_f32_e32 v8, v9, v7
	v_fma_f32 v10, -v6, v8, v9
	s_delay_alu instid0(VALU_DEP_1) | instskip(NEXT) | instid1(VALU_DEP_1)
	v_fmac_f32_e32 v8, v10, v7
	v_fma_f32 v6, -v6, v8, v9
	s_delay_alu instid0(VALU_DEP_1) | instskip(SKIP_1) | instid1(VALU_DEP_2)
	v_div_fmas_f32 v6, v6, v7, v8
	v_add_nc_u16 v7, s11, 1
	v_div_fixup_f32 v3, v6, v5, v3
	s_delay_alu instid0(VALU_DEP_2)
	v_readfirstlane_b32 s11, v7
	ds_store_b32 v4, v3
	s_cbranch_scc1 .LBB45_99
.LBB45_91:                              ; =>This Loop Header: Depth=1
                                        ;     Child Loop BB45_94 Depth 2
                                        ;     Child Loop BB45_98 Depth 2
	v_lshl_or_b32 v4, s5, 8, v2
	s_cmp_eq_u32 s5, 0
	ds_load_b32 v3, v4 offset:16384
	s_cbranch_scc1 .LBB45_90
; %bb.92:                               ;   in Loop: Header=BB45_91 Depth=1
	s_add_i32 s13, s1, s10
	s_delay_alu instid0(SALU_CYCLE_1)
	s_cmp_lt_u32 s13, 7
	s_cbranch_scc1 .LBB45_96
; %bb.93:                               ;   in Loop: Header=BB45_91 Depth=1
	v_mov_b32_e32 v5, v1
	s_and_b32 s13, s5, -8
	s_mov_b32 s14, 0
	s_mov_b32 s15, s4
	s_set_inst_prefetch_distance 0x1
	.p2align	6
.LBB45_94:                              ;   Parent Loop BB45_91 Depth=1
                                        ; =>  This Inner Loop Header: Depth=2
	v_mov_b32_e32 v10, s15
	s_add_i32 s14, s14, 8
	s_add_i32 s15, s15, 32
	s_cmp_eq_u32 s13, s14
	ds_load_2addr_stride64_b32 v[14:15], v5 offset1:1
	ds_load_b128 v[6:9], v10
	ds_load_2addr_stride64_b32 v[16:17], v5 offset0:2 offset1:3
	ds_load_2addr_stride64_b32 v[18:19], v5 offset0:4 offset1:5
	;; [unrolled: 1-line block ×3, first 2 shown]
	ds_load_b128 v[10:13], v10 offset:16
	v_add_nc_u32_e32 v5, 0x800, v5
	s_waitcnt lgkmcnt(4)
	v_fma_f32 v3, -v14, v6, v3
	s_delay_alu instid0(VALU_DEP_1) | instskip(SKIP_1) | instid1(VALU_DEP_1)
	v_fma_f32 v3, -v15, v7, v3
	s_waitcnt lgkmcnt(3)
	v_fma_f32 v3, -v16, v8, v3
	s_delay_alu instid0(VALU_DEP_1) | instskip(SKIP_1) | instid1(VALU_DEP_1)
	v_fma_f32 v3, -v17, v9, v3
	s_waitcnt lgkmcnt(0)
	v_fma_f32 v3, -v18, v10, v3
	s_delay_alu instid0(VALU_DEP_1) | instskip(NEXT) | instid1(VALU_DEP_1)
	v_fma_f32 v3, -v19, v11, v3
	v_fma_f32 v3, -v20, v12, v3
	s_delay_alu instid0(VALU_DEP_1)
	v_fma_f32 v3, -v21, v13, v3
	s_cbranch_scc0 .LBB45_94
; %bb.95:                               ;   in Loop: Header=BB45_91 Depth=1
	s_set_inst_prefetch_distance 0x2
	s_and_b32 s14, s5, 7
	s_delay_alu instid0(SALU_CYCLE_1)
	s_cmp_eq_u32 s14, 0
	s_cbranch_scc0 .LBB45_97
	s_branch .LBB45_90
.LBB45_96:                              ;   in Loop: Header=BB45_91 Depth=1
	s_mov_b32 s13, 0
	s_and_b32 s14, s5, 7
	s_delay_alu instid0(SALU_CYCLE_1)
	s_cmp_eq_u32 s14, 0
	s_cbranch_scc1 .LBB45_90
.LBB45_97:                              ;   in Loop: Header=BB45_91 Depth=1
	v_lshl_add_u32 v5, s13, 8, v1
	s_and_b32 s14, s11, 7
	s_lshl_b32 s13, s13, 2
.LBB45_98:                              ;   Parent Loop BB45_91 Depth=1
                                        ; =>  This Inner Loop Header: Depth=2
	s_delay_alu instid0(SALU_CYCLE_1)
	s_add_i32 s15, s4, s13
	s_add_i32 s14, s14, -1
	v_mov_b32_e32 v6, s15
	s_add_i32 s13, s13, 4
	s_cmp_lg_u32 s14, 0
	ds_load_b32 v7, v5
	ds_load_b32 v6, v6
	v_add_nc_u32_e32 v5, 0x100, v5
	s_waitcnt lgkmcnt(0)
	v_fma_f32 v3, -v7, v6, v3
	s_cbranch_scc1 .LBB45_98
	s_branch .LBB45_90
.LBB45_99:
	s_and_saveexec_b32 s1, s21
	s_cbranch_execz .LBB45_106
; %bb.100:
	v_lshlrev_b32_e32 v3, 2, v0
	s_ashr_i32 s1, s0, 31
	s_cmp_lt_u32 s12, 4
	s_mov_b32 s13, 0
	s_cbranch_scc1 .LBB45_103
; %bb.101:
	v_add_co_u32 v1, s4, s18, v3
	s_delay_alu instid0(VALU_DEP_1)
	v_add_co_ci_u32_e64 v2, null, s19, 0, s4
	v_lshl_or_b32 v0, v0, 2, 0x4000
	s_and_b32 s13, s12, 0x7ffffffc
	s_mul_hi_i32 s16, s0, 12
	s_mul_i32 s17, s0, 12
	s_lshl_b64 s[4:5], s[0:1], 4
	s_lshl_b64 s[10:11], s[0:1], 3
	;; [unrolled: 1-line block ×3, first 2 shown]
	s_mov_b32 s18, 0
	.p2align	6
.LBB45_102:                             ; =>This Inner Loop Header: Depth=1
	ds_load_2addr_stride64_b32 v[4:5], v0 offset1:1
	ds_load_2addr_stride64_b32 v[6:7], v0 offset0:2 offset1:3
	v_add_co_u32 v8, vcc_lo, v1, s14
	v_add_co_ci_u32_e32 v9, vcc_lo, s15, v2, vcc_lo
	v_add_co_u32 v10, vcc_lo, v1, s10
	v_add_co_ci_u32_e32 v11, vcc_lo, s11, v2, vcc_lo
	;; [unrolled: 2-line block ×3, first 2 shown]
	v_add_nc_u32_e32 v0, 0x400, v0
	s_add_i32 s18, s18, 4
	s_delay_alu instid0(SALU_CYCLE_1)
	s_cmp_lg_u32 s13, s18
	s_waitcnt lgkmcnt(1)
	global_store_b32 v[1:2], v4, off
	v_add_co_u32 v1, vcc_lo, v1, s4
	v_add_co_ci_u32_e32 v2, vcc_lo, s5, v2, vcc_lo
	global_store_b32 v[8:9], v5, off
	s_waitcnt lgkmcnt(0)
	s_clause 0x1
	global_store_b32 v[10:11], v6, off
	global_store_b32 v[12:13], v7, off
	s_cbranch_scc1 .LBB45_102
.LBB45_103:
	s_and_b32 s4, s12, 3
	s_delay_alu instid0(SALU_CYCLE_1)
	s_cmp_eq_u32 s4, 0
	s_cbranch_scc1 .LBB45_106
; %bb.104:
	s_mul_hi_i32 s11, s0, s13
	s_mul_i32 s10, s0, s13
	v_lshl_or_b32 v2, s13, 8, v3
	s_lshl_b64 s[10:11], s[10:11], 2
	s_delay_alu instid0(SALU_CYCLE_1)
	s_add_u32 s5, s10, s6
	s_addc_u32 s6, s11, s7
	s_add_u32 s5, s5, s8
	s_addc_u32 s6, s6, s9
	;; [unrolled: 2-line block ×3, first 2 shown]
	v_add_co_u32 v0, s2, s2, v3
	s_delay_alu instid0(VALU_DEP_1)
	v_add_co_ci_u32_e64 v1, null, s3, 0, s2
	v_add_nc_u32_e32 v2, 0x4000, v2
	s_lshl_b64 s[0:1], s[0:1], 2
.LBB45_105:                             ; =>This Inner Loop Header: Depth=1
	ds_load_b32 v3, v2
	v_add_nc_u32_e32 v2, 0x100, v2
	s_add_i32 s4, s4, -1
	s_delay_alu instid0(SALU_CYCLE_1)
	s_cmp_lg_u32 s4, 0
	s_waitcnt lgkmcnt(0)
	global_store_b32 v[0:1], v3, off
	v_add_co_u32 v0, vcc_lo, v0, s0
	v_add_co_ci_u32_e32 v1, vcc_lo, s1, v1, vcc_lo
	s_cbranch_scc1 .LBB45_105
.LBB45_106:
	s_nop 0
	s_sendmsg sendmsg(MSG_DEALLOC_VGPRS)
	s_endpgm
	.section	.rodata,"a",@progbits
	.p2align	6, 0x0
	.amdhsa_kernel _ZL31rocblas_trsm_small_right_deviceIffPKPKfPKPfLi64EEv13rocblas_fill_18rocblas_operation_17rocblas_diagonal_iiT0_T1_lilT2_lili
		.amdhsa_group_segment_fixed_size 32768
		.amdhsa_private_segment_fixed_size 0
		.amdhsa_kernarg_size 352
		.amdhsa_user_sgpr_count 14
		.amdhsa_user_sgpr_dispatch_ptr 0
		.amdhsa_user_sgpr_queue_ptr 0
		.amdhsa_user_sgpr_kernarg_segment_ptr 1
		.amdhsa_user_sgpr_dispatch_id 0
		.amdhsa_user_sgpr_private_segment_size 0
		.amdhsa_wavefront_size32 1
		.amdhsa_uses_dynamic_stack 0
		.amdhsa_enable_private_segment 0
		.amdhsa_system_sgpr_workgroup_id_x 1
		.amdhsa_system_sgpr_workgroup_id_y 0
		.amdhsa_system_sgpr_workgroup_id_z 1
		.amdhsa_system_sgpr_workgroup_info 0
		.amdhsa_system_vgpr_workitem_id 0
		.amdhsa_next_free_vgpr 32
		.amdhsa_next_free_sgpr 32
		.amdhsa_reserve_vcc 1
		.amdhsa_float_round_mode_32 0
		.amdhsa_float_round_mode_16_64 0
		.amdhsa_float_denorm_mode_32 3
		.amdhsa_float_denorm_mode_16_64 3
		.amdhsa_dx10_clamp 1
		.amdhsa_ieee_mode 1
		.amdhsa_fp16_overflow 0
		.amdhsa_workgroup_processor_mode 1
		.amdhsa_memory_ordered 1
		.amdhsa_forward_progress 0
		.amdhsa_shared_vgpr_count 0
		.amdhsa_exception_fp_ieee_invalid_op 0
		.amdhsa_exception_fp_denorm_src 0
		.amdhsa_exception_fp_ieee_div_zero 0
		.amdhsa_exception_fp_ieee_overflow 0
		.amdhsa_exception_fp_ieee_underflow 0
		.amdhsa_exception_fp_ieee_inexact 0
		.amdhsa_exception_int_div_zero 0
	.end_amdhsa_kernel
	.section	.text._ZL31rocblas_trsm_small_right_deviceIffPKPKfPKPfLi64EEv13rocblas_fill_18rocblas_operation_17rocblas_diagonal_iiT0_T1_lilT2_lili,"axG",@progbits,_ZL31rocblas_trsm_small_right_deviceIffPKPKfPKPfLi64EEv13rocblas_fill_18rocblas_operation_17rocblas_diagonal_iiT0_T1_lilT2_lili,comdat
.Lfunc_end45:
	.size	_ZL31rocblas_trsm_small_right_deviceIffPKPKfPKPfLi64EEv13rocblas_fill_18rocblas_operation_17rocblas_diagonal_iiT0_T1_lilT2_lili, .Lfunc_end45-_ZL31rocblas_trsm_small_right_deviceIffPKPKfPKPfLi64EEv13rocblas_fill_18rocblas_operation_17rocblas_diagonal_iiT0_T1_lilT2_lili
                                        ; -- End function
	.section	.AMDGPU.csdata,"",@progbits
; Kernel info:
; codeLenInByte = 8556
; NumSgprs: 34
; NumVgprs: 32
; ScratchSize: 0
; MemoryBound: 0
; FloatMode: 240
; IeeeMode: 1
; LDSByteSize: 32768 bytes/workgroup (compile time only)
; SGPRBlocks: 4
; VGPRBlocks: 3
; NumSGPRsForWavesPerEU: 34
; NumVGPRsForWavesPerEU: 32
; Occupancy: 2
; WaveLimiterHint : 0
; COMPUTE_PGM_RSRC2:SCRATCH_EN: 0
; COMPUTE_PGM_RSRC2:USER_SGPR: 14
; COMPUTE_PGM_RSRC2:TRAP_HANDLER: 0
; COMPUTE_PGM_RSRC2:TGID_X_EN: 1
; COMPUTE_PGM_RSRC2:TGID_Y_EN: 0
; COMPUTE_PGM_RSRC2:TGID_Z_EN: 1
; COMPUTE_PGM_RSRC2:TIDIG_COMP_CNT: 0
	.section	.text._ZL39rocblas_trsm_block_forward_substitutionIffPKPKfPKPfLb0ELb0ELb0EEv18rocblas_operation_llT0_T1_lllT2_lllib,"axG",@progbits,_ZL39rocblas_trsm_block_forward_substitutionIffPKPKfPKPfLb0ELb0ELb0EEv18rocblas_operation_llT0_T1_lllT2_lllib,comdat
	.globl	_ZL39rocblas_trsm_block_forward_substitutionIffPKPKfPKPfLb0ELb0ELb0EEv18rocblas_operation_llT0_T1_lllT2_lllib ; -- Begin function _ZL39rocblas_trsm_block_forward_substitutionIffPKPKfPKPfLb0ELb0ELb0EEv18rocblas_operation_llT0_T1_lllT2_lllib
	.p2align	8
	.type	_ZL39rocblas_trsm_block_forward_substitutionIffPKPKfPKPfLb0ELb0ELb0EEv18rocblas_operation_llT0_T1_lllT2_lllib,@function
_ZL39rocblas_trsm_block_forward_substitutionIffPKPKfPKPfLb0ELb0ELb0EEv18rocblas_operation_llT0_T1_lllT2_lllib: ; @_ZL39rocblas_trsm_block_forward_substitutionIffPKPKfPKPfLb0ELb0ELb0EEv18rocblas_operation_llT0_T1_lllT2_lllib
; %bb.0:
	s_mov_b32 s4, s15
	s_clause 0x2
	s_load_b32 s3, s[0:1], 0x64
	s_load_b128 s[16:19], s[0:1], 0x20
	s_load_b32 s15, s[0:1], 0x74
	s_mov_b32 s5, 0
	s_load_b64 s[12:13], s[0:1], 0x30
	v_and_b32_e32 v1, 0x3ff, v0
	v_bfe_u32 v0, v0, 10, 10
	s_waitcnt lgkmcnt(0)
	s_bitcmp1_b32 s3, 0
	s_cselect_b32 s2, -1, 0
	s_lshl_b64 s[20:21], s[4:5], 3
	s_delay_alu instid0(SALU_CYCLE_1)
	s_add_u32 s4, s16, s20
	s_addc_u32 s5, s17, s21
	s_load_b64 s[16:17], s[4:5], 0x0
	s_clause 0x1
	s_load_b128 s[8:11], s[0:1], 0x40
	s_load_b128 s[4:7], s[0:1], 0x8
	s_lshl_b64 s[18:19], s[18:19], 2
	s_waitcnt lgkmcnt(0)
	s_add_u32 s16, s16, s18
	s_addc_u32 s17, s17, s19
	s_add_u32 s8, s8, s20
	s_addc_u32 s9, s9, s21
	s_load_b64 s[18:19], s[0:1], 0x50
	s_load_b64 s[8:9], s[8:9], 0x0
	s_add_u32 s20, s0, 0x68
	s_addc_u32 s21, s1, 0
	s_lshr_b32 s15, s15, 16
	s_bitcmp0_b32 s3, 0
	s_cbranch_scc1 .LBB46_13
; %bb.1:
	v_cmp_lt_i64_e64 s3, s[4:5], 1
	s_lshl_b32 s22, s15, 2
	s_delay_alu instid0(SALU_CYCLE_1) | instskip(NEXT) | instid1(VALU_DEP_1)
	s_add_i32 s22, s22, 0
	s_and_b32 vcc_lo, exec_lo, s3
	s_cbranch_vccnz .LBB46_12
; %bb.2:
	v_mad_u64_u32 v[5:6], null, v1, s12, 0
	s_delay_alu instid0(VALU_DEP_1) | instskip(NEXT) | instid1(VALU_DEP_1)
	v_dual_mov_b32 v2, v6 :: v_dual_lshlrev_b32 v9, 2, v1
	v_mad_u64_u32 v[3:4], null, v1, s13, v[2:3]
	v_mov_b32_e32 v2, 0
	s_delay_alu instid0(VALU_DEP_3) | instskip(NEXT) | instid1(VALU_DEP_2)
	v_add_nc_u32_e32 v4, s22, v9
	v_cmp_le_u64_e32 vcc_lo, s[4:5], v[1:2]
	s_delay_alu instid0(VALU_DEP_4) | instskip(NEXT) | instid1(VALU_DEP_1)
	v_mov_b32_e32 v6, v3
	v_lshlrev_b64 v[7:8], 2, v[5:6]
	v_add_co_u32 v5, s3, s16, v9
	s_delay_alu instid0(VALU_DEP_1) | instskip(SKIP_1) | instid1(VALU_DEP_2)
	v_add_co_ci_u32_e64 v6, null, s17, 0, s3
	s_mov_b32 s16, s15
	v_add_co_u32 v2, s3, v5, v7
	v_mov_b32_e32 v7, v0
	s_delay_alu instid0(VALU_DEP_3)
	v_add_co_ci_u32_e64 v3, s3, v6, v8, s3
	s_xor_b32 s3, vcc_lo, -1
	s_branch .LBB46_4
.LBB46_3:                               ;   in Loop: Header=BB46_4 Depth=1
	s_or_b32 exec_lo, exec_lo, s23
	s_ashr_i32 s17, s16, 31
	v_add_nc_u32_e32 v7, s15, v7
	v_cmp_ge_i64_e64 s17, s[16:17], s[4:5]
	s_add_i32 s16, s16, s15
	s_delay_alu instid0(VALU_DEP_1)
	s_and_b32 vcc_lo, exec_lo, s17
	s_cbranch_vccnz .LBB46_12
.LBB46_4:                               ; =>This Inner Loop Header: Depth=1
	s_delay_alu instid0(VALU_DEP_2) | instskip(SKIP_2) | instid1(SALU_CYCLE_1)
	v_cmp_gt_i32_e32 vcc_lo, v1, v7
	s_mov_b32 s17, 0
                                        ; implicit-def: $vgpr8
	s_and_b32 s23, s3, vcc_lo
	s_and_saveexec_b32 s24, s23
	s_delay_alu instid0(SALU_CYCLE_1)
	s_xor_b32 s23, exec_lo, s24
	s_cbranch_execnz .LBB46_7
; %bb.5:                                ;   in Loop: Header=BB46_4 Depth=1
	s_or_saveexec_b32 s23, s23
	v_mov_b32_e32 v9, v7
	s_xor_b32 exec_lo, exec_lo, s23
	s_cbranch_execnz .LBB46_8
.LBB46_6:                               ;   in Loop: Header=BB46_4 Depth=1
	s_or_b32 exec_lo, exec_lo, s23
	s_and_saveexec_b32 s23, s17
	s_cbranch_execz .LBB46_3
	s_branch .LBB46_11
.LBB46_7:                               ;   in Loop: Header=BB46_4 Depth=1
	v_ashrrev_i32_e32 v10, 31, v7
	v_mul_lo_u32 v11, v7, s13
	s_waitcnt vmcnt(0)
	v_mad_u64_u32 v[8:9], null, v7, s12, 0
	s_mov_b32 s17, exec_lo
	v_mul_lo_u32 v10, v10, s12
	s_delay_alu instid0(VALU_DEP_1) | instskip(NEXT) | instid1(VALU_DEP_1)
	v_add3_u32 v9, v9, v11, v10
	v_lshlrev_b64 v[8:9], 2, v[8:9]
	s_delay_alu instid0(VALU_DEP_1) | instskip(NEXT) | instid1(VALU_DEP_2)
	v_add_co_u32 v8, vcc_lo, v5, v8
	v_add_co_ci_u32_e32 v9, vcc_lo, v6, v9, vcc_lo
	global_load_b32 v8, v[8:9], off
	s_or_saveexec_b32 s23, s23
	v_mov_b32_e32 v9, v7
	s_xor_b32 exec_lo, exec_lo, s23
	s_cbranch_execz .LBB46_6
.LBB46_8:                               ;   in Loop: Header=BB46_4 Depth=1
	v_cmp_eq_u32_e32 vcc_lo, v1, v7
	s_mov_b32 s25, s17
                                        ; implicit-def: $vgpr8
	s_and_b32 s26, s3, vcc_lo
	s_delay_alu instid0(SALU_CYCLE_1)
	s_and_saveexec_b32 s24, s26
	s_cbranch_execz .LBB46_10
; %bb.9:                                ;   in Loop: Header=BB46_4 Depth=1
	global_load_b32 v8, v[2:3], off
	s_or_b32 s25, s17, exec_lo
	s_waitcnt vmcnt(0)
	v_div_scale_f32 v9, null, v8, v8, 1.0
	s_delay_alu instid0(VALU_DEP_1) | instskip(SKIP_2) | instid1(VALU_DEP_1)
	v_rcp_f32_e32 v10, v9
	s_waitcnt_depctr 0xfff
	v_fma_f32 v11, -v9, v10, 1.0
	v_fmac_f32_e32 v10, v11, v10
	v_div_scale_f32 v11, vcc_lo, 1.0, v8, 1.0
	s_delay_alu instid0(VALU_DEP_1) | instskip(NEXT) | instid1(VALU_DEP_1)
	v_mul_f32_e32 v12, v11, v10
	v_fma_f32 v13, -v9, v12, v11
	s_delay_alu instid0(VALU_DEP_1) | instskip(NEXT) | instid1(VALU_DEP_1)
	v_fmac_f32_e32 v12, v13, v10
	v_fma_f32 v9, -v9, v12, v11
	s_delay_alu instid0(VALU_DEP_1) | instskip(NEXT) | instid1(VALU_DEP_1)
	v_div_fmas_f32 v9, v9, v10, v12
	v_div_fixup_f32 v8, v9, v8, 1.0
.LBB46_10:                              ;   in Loop: Header=BB46_4 Depth=1
	s_or_b32 exec_lo, exec_lo, s24
	v_mov_b32_e32 v9, v1
	s_and_not1_b32 s17, s17, exec_lo
	s_and_b32 s24, s25, exec_lo
	s_delay_alu instid0(SALU_CYCLE_1)
	s_or_b32 s17, s17, s24
	s_or_b32 exec_lo, exec_lo, s23
	s_and_saveexec_b32 s23, s17
	s_cbranch_execz .LBB46_3
.LBB46_11:                              ;   in Loop: Header=BB46_4 Depth=1
	s_load_b32 s17, s[20:21], 0xc
	s_waitcnt lgkmcnt(0)
	s_and_b32 s17, s17, 0xffff
	s_delay_alu instid0(SALU_CYCLE_1) | instskip(NEXT) | instid1(VALU_DEP_1)
	v_mul_lo_u32 v9, v9, s17
	v_lshl_add_u32 v9, v9, 2, v4
	s_waitcnt vmcnt(0)
	ds_store_b32 v9, v8
	s_branch .LBB46_3
.LBB46_12:
	s_load_b32 s3, s[20:21], 0xc
	s_mov_b64 s[16:17], src_shared_base
	s_mov_b32 s13, 0
	s_mov_b32 s23, s17
	s_delay_alu instid0(SALU_CYCLE_1)
	s_mov_b64 s[16:17], s[22:23]
	s_waitcnt lgkmcnt(0)
	s_and_b32 s12, s3, 0xffff
.LBB46_13:
	v_mad_u64_u32 v[3:4], null, s14, s15, v[0:1]
	v_mov_b32_e32 v4, 0
	s_mov_b32 s3, exec_lo
	s_delay_alu instid0(VALU_DEP_1)
	v_cmpx_gt_i64_e64 s[6:7], v[3:4]
	s_cbranch_execz .LBB46_25
; %bb.14:
	v_mov_b32_e32 v2, v4
	s_delay_alu instid0(VALU_DEP_1)
	v_cmp_gt_i64_e32 vcc_lo, s[4:5], v[1:2]
	s_and_b32 exec_lo, exec_lo, vcc_lo
	s_cbranch_execz .LBB46_25
; %bb.15:
	s_waitcnt lgkmcnt(0)
	v_mad_u64_u32 v[4:5], null, v3, s18, 0
	s_lshl_b64 s[6:7], s[10:11], 2
	s_delay_alu instid0(SALU_CYCLE_1) | instskip(SKIP_1) | instid1(VALU_DEP_1)
	s_add_u32 s3, s8, s6
	s_addc_u32 s6, s9, s7
	v_mad_u64_u32 v[6:7], null, v3, s19, v[5:6]
	v_lshlrev_b32_e32 v7, 2, v1
	s_delay_alu instid0(VALU_DEP_2) | instskip(NEXT) | instid1(VALU_DEP_1)
	v_mov_b32_e32 v5, v6
	v_lshlrev_b64 v[3:4], 2, v[4:5]
	s_delay_alu instid0(VALU_DEP_1) | instskip(NEXT) | instid1(VALU_DEP_2)
	v_add_co_u32 v3, vcc_lo, s3, v3
	v_add_co_ci_u32_e32 v4, vcc_lo, s6, v4, vcc_lo
	s_load_b32 s3, s[0:1], 0x18
	s_delay_alu instid0(VALU_DEP_2) | instskip(NEXT) | instid1(VALU_DEP_2)
	v_add_co_u32 v3, vcc_lo, v3, v7
	v_add_co_ci_u32_e32 v4, vcc_lo, 0, v4, vcc_lo
	v_cmp_lt_u64_e64 s6, s[4:5], 2
	s_add_u32 s0, s4, -1
	s_addc_u32 s1, s5, -1
	global_load_b32 v5, v[3:4], off
	s_and_b32 vcc_lo, exec_lo, s6
	s_waitcnt vmcnt(0) lgkmcnt(0)
	v_mul_f32_e32 v9, s3, v5
	s_cbranch_vccnz .LBB46_22
; %bb.16:
	v_mad_u64_u32 v[5:6], null, v1, s12, v[1:2]
	v_lshl_add_u32 v0, v0, 2, 0
	s_lshl_b64 s[4:5], s[12:13], 2
	s_mov_b64 s[6:7], 0
	s_delay_alu instid0(VALU_DEP_2) | instskip(SKIP_1) | instid1(VALU_DEP_1)
	v_mad_u64_u32 v[10:11], null, v1, s13, v[6:7]
	v_add_co_u32 v7, s3, s16, v7
	v_add_co_ci_u32_e64 v8, null, s17, 0, s3
	s_delay_alu instid0(VALU_DEP_3) | instskip(NEXT) | instid1(VALU_DEP_1)
	v_mov_b32_e32 v6, v10
	v_lshlrev_b64 v[5:6], 2, v[5:6]
	s_delay_alu instid0(VALU_DEP_1) | instskip(NEXT) | instid1(VALU_DEP_2)
	v_add_co_u32 v5, vcc_lo, s16, v5
	v_add_co_ci_u32_e32 v6, vcc_lo, s17, v6, vcc_lo
	s_branch .LBB46_18
.LBB46_17:                              ;   in Loop: Header=BB46_18 Depth=1
	s_or_b32 exec_lo, exec_lo, s3
	v_add_co_u32 v7, vcc_lo, v7, s4
	s_add_u32 s6, s6, 1
	v_add_co_ci_u32_e32 v8, vcc_lo, s5, v8, vcc_lo
	s_addc_u32 s7, s7, 0
	s_delay_alu instid0(SALU_CYCLE_1)
	s_cmp_eq_u64 s[0:1], s[6:7]
	s_cbranch_scc1 .LBB46_22
.LBB46_18:                              ; =>This Inner Loop Header: Depth=1
	s_mov_b32 s3, exec_lo
	s_barrier
	buffer_gl0_inv
	v_cmpx_eq_u64_e64 s[6:7], v[1:2]
	s_cbranch_execz .LBB46_20
; %bb.19:                               ;   in Loop: Header=BB46_18 Depth=1
	flat_load_b32 v10, v[5:6]
	s_waitcnt vmcnt(0) lgkmcnt(0)
	v_div_scale_f32 v11, null, v10, v10, 1.0
	s_delay_alu instid0(VALU_DEP_1) | instskip(SKIP_2) | instid1(VALU_DEP_1)
	v_rcp_f32_e32 v12, v11
	s_waitcnt_depctr 0xfff
	v_fma_f32 v13, -v11, v12, 1.0
	v_fmac_f32_e32 v12, v13, v12
	v_div_scale_f32 v13, vcc_lo, 1.0, v10, 1.0
	s_delay_alu instid0(VALU_DEP_1) | instskip(NEXT) | instid1(VALU_DEP_1)
	v_mul_f32_e32 v14, v13, v12
	v_fma_f32 v15, -v11, v14, v13
	s_delay_alu instid0(VALU_DEP_1) | instskip(NEXT) | instid1(VALU_DEP_1)
	v_fmac_f32_e32 v14, v15, v12
	v_fma_f32 v11, -v11, v14, v13
	s_delay_alu instid0(VALU_DEP_1) | instskip(NEXT) | instid1(VALU_DEP_1)
	v_div_fmas_f32 v11, v11, v12, v14
	v_div_fixup_f32 v11, v11, v10, 1.0
	s_delay_alu instid0(VALU_DEP_1) | instskip(NEXT) | instid1(VALU_DEP_1)
	v_cndmask_b32_e64 v10, v11, v10, s2
	v_mul_f32_e32 v9, v9, v10
	ds_store_b32 v0, v9
.LBB46_20:                              ;   in Loop: Header=BB46_18 Depth=1
	s_or_b32 exec_lo, exec_lo, s3
	s_delay_alu instid0(SALU_CYCLE_1)
	s_mov_b32 s3, exec_lo
	s_waitcnt lgkmcnt(0)
	s_barrier
	buffer_gl0_inv
	v_cmpx_lt_u64_e64 s[6:7], v[1:2]
	s_cbranch_execz .LBB46_17
; %bb.21:                               ;   in Loop: Header=BB46_18 Depth=1
	flat_load_b32 v10, v[7:8]
	ds_load_b32 v11, v0
	s_waitcnt vmcnt(0) lgkmcnt(0)
	v_fma_f32 v9, -v10, v11, v9
	s_branch .LBB46_17
.LBB46_22:
	v_cmp_eq_u64_e32 vcc_lo, s[0:1], v[1:2]
	s_and_saveexec_b32 s0, vcc_lo
	s_cbranch_execz .LBB46_24
; %bb.23:
	v_mad_u64_u32 v[5:6], null, v1, s12, v[1:2]
	s_delay_alu instid0(VALU_DEP_1) | instskip(NEXT) | instid1(VALU_DEP_1)
	v_mov_b32_e32 v0, v6
	v_mad_u64_u32 v[6:7], null, v1, s13, v[0:1]
	s_delay_alu instid0(VALU_DEP_1) | instskip(NEXT) | instid1(VALU_DEP_1)
	v_lshlrev_b64 v[0:1], 2, v[5:6]
	v_add_co_u32 v0, vcc_lo, s16, v0
	s_delay_alu instid0(VALU_DEP_2) | instskip(SKIP_3) | instid1(VALU_DEP_1)
	v_add_co_ci_u32_e32 v1, vcc_lo, s17, v1, vcc_lo
	flat_load_b32 v0, v[0:1]
	s_waitcnt vmcnt(0) lgkmcnt(0)
	v_div_scale_f32 v1, null, v0, v0, 1.0
	v_rcp_f32_e32 v2, v1
	s_waitcnt_depctr 0xfff
	v_fma_f32 v5, -v1, v2, 1.0
	s_delay_alu instid0(VALU_DEP_1) | instskip(SKIP_1) | instid1(VALU_DEP_1)
	v_fmac_f32_e32 v2, v5, v2
	v_div_scale_f32 v5, vcc_lo, 1.0, v0, 1.0
	v_mul_f32_e32 v6, v5, v2
	s_delay_alu instid0(VALU_DEP_1) | instskip(NEXT) | instid1(VALU_DEP_1)
	v_fma_f32 v7, -v1, v6, v5
	v_fmac_f32_e32 v6, v7, v2
	s_delay_alu instid0(VALU_DEP_1) | instskip(NEXT) | instid1(VALU_DEP_1)
	v_fma_f32 v1, -v1, v6, v5
	v_div_fmas_f32 v1, v1, v2, v6
	s_delay_alu instid0(VALU_DEP_1) | instskip(NEXT) | instid1(VALU_DEP_1)
	v_div_fixup_f32 v1, v1, v0, 1.0
	v_cndmask_b32_e64 v0, v1, v0, s2
	s_delay_alu instid0(VALU_DEP_1)
	v_mul_f32_e32 v9, v9, v0
.LBB46_24:
	s_or_b32 exec_lo, exec_lo, s0
	global_store_b32 v[3:4], v9, off
.LBB46_25:
	s_nop 0
	s_sendmsg sendmsg(MSG_DEALLOC_VGPRS)
	s_endpgm
	.section	.rodata,"a",@progbits
	.p2align	6, 0x0
	.amdhsa_kernel _ZL39rocblas_trsm_block_forward_substitutionIffPKPKfPKPfLb0ELb0ELb0EEv18rocblas_operation_llT0_T1_lllT2_lllib
		.amdhsa_group_segment_fixed_size 0
		.amdhsa_private_segment_fixed_size 0
		.amdhsa_kernarg_size 360
		.amdhsa_user_sgpr_count 13
		.amdhsa_user_sgpr_dispatch_ptr 0
		.amdhsa_user_sgpr_queue_ptr 0
		.amdhsa_user_sgpr_kernarg_segment_ptr 1
		.amdhsa_user_sgpr_dispatch_id 0
		.amdhsa_user_sgpr_private_segment_size 0
		.amdhsa_wavefront_size32 1
		.amdhsa_uses_dynamic_stack 0
		.amdhsa_enable_private_segment 0
		.amdhsa_system_sgpr_workgroup_id_x 1
		.amdhsa_system_sgpr_workgroup_id_y 1
		.amdhsa_system_sgpr_workgroup_id_z 1
		.amdhsa_system_sgpr_workgroup_info 0
		.amdhsa_system_vgpr_workitem_id 1
		.amdhsa_next_free_vgpr 16
		.amdhsa_next_free_sgpr 27
		.amdhsa_reserve_vcc 1
		.amdhsa_float_round_mode_32 0
		.amdhsa_float_round_mode_16_64 0
		.amdhsa_float_denorm_mode_32 3
		.amdhsa_float_denorm_mode_16_64 3
		.amdhsa_dx10_clamp 1
		.amdhsa_ieee_mode 1
		.amdhsa_fp16_overflow 0
		.amdhsa_workgroup_processor_mode 1
		.amdhsa_memory_ordered 1
		.amdhsa_forward_progress 0
		.amdhsa_shared_vgpr_count 0
		.amdhsa_exception_fp_ieee_invalid_op 0
		.amdhsa_exception_fp_denorm_src 0
		.amdhsa_exception_fp_ieee_div_zero 0
		.amdhsa_exception_fp_ieee_overflow 0
		.amdhsa_exception_fp_ieee_underflow 0
		.amdhsa_exception_fp_ieee_inexact 0
		.amdhsa_exception_int_div_zero 0
	.end_amdhsa_kernel
	.section	.text._ZL39rocblas_trsm_block_forward_substitutionIffPKPKfPKPfLb0ELb0ELb0EEv18rocblas_operation_llT0_T1_lllT2_lllib,"axG",@progbits,_ZL39rocblas_trsm_block_forward_substitutionIffPKPKfPKPfLb0ELb0ELb0EEv18rocblas_operation_llT0_T1_lllT2_lllib,comdat
.Lfunc_end46:
	.size	_ZL39rocblas_trsm_block_forward_substitutionIffPKPKfPKPfLb0ELb0ELb0EEv18rocblas_operation_llT0_T1_lllT2_lllib, .Lfunc_end46-_ZL39rocblas_trsm_block_forward_substitutionIffPKPKfPKPfLb0ELb0ELb0EEv18rocblas_operation_llT0_T1_lllT2_lllib
                                        ; -- End function
	.section	.AMDGPU.csdata,"",@progbits
; Kernel info:
; codeLenInByte = 1532
; NumSgprs: 29
; NumVgprs: 16
; ScratchSize: 0
; MemoryBound: 0
; FloatMode: 240
; IeeeMode: 1
; LDSByteSize: 0 bytes/workgroup (compile time only)
; SGPRBlocks: 3
; VGPRBlocks: 1
; NumSGPRsForWavesPerEU: 29
; NumVGPRsForWavesPerEU: 16
; Occupancy: 16
; WaveLimiterHint : 1
; COMPUTE_PGM_RSRC2:SCRATCH_EN: 0
; COMPUTE_PGM_RSRC2:USER_SGPR: 13
; COMPUTE_PGM_RSRC2:TRAP_HANDLER: 0
; COMPUTE_PGM_RSRC2:TGID_X_EN: 1
; COMPUTE_PGM_RSRC2:TGID_Y_EN: 1
; COMPUTE_PGM_RSRC2:TGID_Z_EN: 1
; COMPUTE_PGM_RSRC2:TIDIG_COMP_CNT: 1
	.section	.text._ZL40rocblas_trsm_block_backward_substitutionIffPKPKfPKPfLb0ELb0ELb0EEv18rocblas_operation_llT0_T1_lllT2_lllib,"axG",@progbits,_ZL40rocblas_trsm_block_backward_substitutionIffPKPKfPKPfLb0ELb0ELb0EEv18rocblas_operation_llT0_T1_lllT2_lllib,comdat
	.globl	_ZL40rocblas_trsm_block_backward_substitutionIffPKPKfPKPfLb0ELb0ELb0EEv18rocblas_operation_llT0_T1_lllT2_lllib ; -- Begin function _ZL40rocblas_trsm_block_backward_substitutionIffPKPKfPKPfLb0ELb0ELb0EEv18rocblas_operation_llT0_T1_lllT2_lllib
	.p2align	8
	.type	_ZL40rocblas_trsm_block_backward_substitutionIffPKPKfPKPfLb0ELb0ELb0EEv18rocblas_operation_llT0_T1_lllT2_lllib,@function
_ZL40rocblas_trsm_block_backward_substitutionIffPKPKfPKPfLb0ELb0ELb0EEv18rocblas_operation_llT0_T1_lllT2_lllib: ; @_ZL40rocblas_trsm_block_backward_substitutionIffPKPKfPKPfLb0ELb0ELb0EEv18rocblas_operation_llT0_T1_lllT2_lllib
; %bb.0:
	s_mov_b32 s4, s15
	s_clause 0x2
	s_load_b32 s3, s[0:1], 0x64
	s_load_b128 s[16:19], s[0:1], 0x20
	s_load_b32 s15, s[0:1], 0x74
	s_mov_b32 s5, 0
	s_load_b64 s[26:27], s[0:1], 0x30
	v_and_b32_e32 v1, 0x3ff, v0
	v_bfe_u32 v0, v0, 10, 10
	s_waitcnt lgkmcnt(0)
	s_bitcmp1_b32 s3, 0
	s_cselect_b32 s2, -1, 0
	s_lshl_b64 s[12:13], s[4:5], 3
	s_delay_alu instid0(SALU_CYCLE_1)
	s_add_u32 s4, s16, s12
	s_addc_u32 s5, s17, s13
	s_load_b64 s[16:17], s[4:5], 0x0
	s_clause 0x1
	s_load_b128 s[4:7], s[0:1], 0x40
	s_load_b128 s[8:11], s[0:1], 0x8
	s_lshl_b64 s[18:19], s[18:19], 2
	s_waitcnt lgkmcnt(0)
	s_add_u32 s16, s16, s18
	s_addc_u32 s17, s17, s19
	s_add_u32 s4, s4, s12
	s_addc_u32 s5, s5, s13
	s_load_b64 s[20:21], s[0:1], 0x50
	s_load_b64 s[18:19], s[4:5], 0x0
	s_add_u32 s22, s0, 0x68
	s_addc_u32 s23, s1, 0
	s_lshr_b32 s15, s15, 16
	s_bitcmp0_b32 s3, 0
	s_mov_b64 s[4:5], 1
	s_cbranch_scc1 .LBB47_14
; %bb.1:
	v_cmp_lt_i64_e64 s3, s[8:9], 1
	s_lshl_b32 s4, s15, 2
	s_mov_b64 s[12:13], 1
	s_add_i32 s24, s4, 0
	s_delay_alu instid0(VALU_DEP_1)
	s_and_b32 vcc_lo, exec_lo, s3
	s_cbranch_vccnz .LBB47_15
; %bb.2:
	v_mad_u64_u32 v[3:4], null, v1, s26, 0
	s_delay_alu instid0(VALU_DEP_1) | instskip(NEXT) | instid1(VALU_DEP_1)
	v_mov_b32_e32 v2, v4
	v_mad_u64_u32 v[4:5], null, v1, s27, v[2:3]
	v_dual_mov_b32 v2, 0 :: v_dual_lshlrev_b32 v5, 2, v1
	s_delay_alu instid0(VALU_DEP_1) | instskip(NEXT) | instid1(VALU_DEP_3)
	v_add_nc_u32_e32 v6, s24, v5
	v_lshlrev_b64 v[3:4], 2, v[3:4]
	s_delay_alu instid0(VALU_DEP_3) | instskip(SKIP_1) | instid1(VALU_DEP_3)
	v_cmp_le_u64_e64 s5, s[8:9], v[1:2]
	v_cmp_gt_u64_e64 s3, s[8:9], v[1:2]
	v_add_co_u32 v7, vcc_lo, s16, v3
	s_delay_alu instid0(VALU_DEP_4) | instskip(SKIP_1) | instid1(VALU_DEP_3)
	v_add_co_ci_u32_e32 v8, vcc_lo, s17, v4, vcc_lo
	v_mov_b32_e32 v4, v0
	v_add_co_u32 v2, vcc_lo, v7, v5
	s_delay_alu instid0(VALU_DEP_3)
	v_add_co_ci_u32_e32 v3, vcc_lo, 0, v8, vcc_lo
	s_xor_b32 s25, s5, -1
	s_mov_b32 s16, s15
	s_branch .LBB47_4
.LBB47_3:                               ;   in Loop: Header=BB47_4 Depth=1
	s_or_b32 exec_lo, exec_lo, s17
	s_ashr_i32 s17, s16, 31
	v_add_nc_u32_e32 v4, s15, v4
	v_cmp_ge_i64_e64 s4, s[16:17], s[8:9]
	s_add_i32 s16, s16, s15
	s_delay_alu instid0(VALU_DEP_1)
	s_and_b32 vcc_lo, exec_lo, s4
	s_cbranch_vccnz .LBB47_15
.LBB47_4:                               ; =>This Inner Loop Header: Depth=1
	s_mov_b32 s26, s5
	s_mov_b32 s4, 0
                                        ; implicit-def: $vgpr9
                                        ; implicit-def: $vgpr5
	s_and_saveexec_b32 s17, s3
	s_cbranch_execnz .LBB47_7
; %bb.5:                                ;   in Loop: Header=BB47_4 Depth=1
	s_or_b32 exec_lo, exec_lo, s17
	s_and_saveexec_b32 s17, s26
	s_cbranch_execnz .LBB47_10
.LBB47_6:                               ;   in Loop: Header=BB47_4 Depth=1
	s_or_b32 exec_lo, exec_lo, s17
	s_and_saveexec_b32 s17, s4
	s_cbranch_execz .LBB47_3
	s_branch .LBB47_13
.LBB47_7:                               ;   in Loop: Header=BB47_4 Depth=1
	v_ashrrev_i32_e32 v5, 31, v4
	v_cmp_lt_i32_e64 s4, v1, v4
	s_mov_b32 s26, -1
                                        ; implicit-def: $vgpr9
	s_delay_alu instid0(VALU_DEP_2) | instskip(NEXT) | instid1(VALU_DEP_2)
	v_cmp_gt_i64_e32 vcc_lo, s[8:9], v[4:5]
	s_and_b32 s28, s4, vcc_lo
	s_mov_b32 s4, 0
	s_and_saveexec_b32 s27, s28
	s_cbranch_execz .LBB47_9
; %bb.8:                                ;   in Loop: Header=BB47_4 Depth=1
	s_waitcnt vmcnt(0)
	v_lshlrev_b64 v[9:10], 2, v[4:5]
	s_mov_b32 s4, exec_lo
	s_xor_b32 s26, exec_lo, -1
	s_delay_alu instid0(VALU_DEP_1) | instskip(NEXT) | instid1(VALU_DEP_2)
	v_add_co_u32 v9, vcc_lo, v7, v9
	v_add_co_ci_u32_e32 v10, vcc_lo, v8, v10, vcc_lo
	global_load_b32 v9, v[9:10], off
.LBB47_9:                               ;   in Loop: Header=BB47_4 Depth=1
	s_or_b32 exec_lo, exec_lo, s27
	v_mov_b32_e32 v5, v4
	s_and_not1_b32 s27, s5, exec_lo
	s_and_b32 s26, s26, exec_lo
	s_and_b32 s4, s4, exec_lo
	s_or_b32 s26, s27, s26
	s_or_b32 exec_lo, exec_lo, s17
	s_and_saveexec_b32 s17, s26
	s_cbranch_execz .LBB47_6
.LBB47_10:                              ;   in Loop: Header=BB47_4 Depth=1
	v_cmp_eq_u32_e32 vcc_lo, v1, v4
	s_mov_b32 s27, s4
                                        ; implicit-def: $vgpr9
	s_and_b32 s28, s25, vcc_lo
	s_delay_alu instid0(SALU_CYCLE_1)
	s_and_saveexec_b32 s26, s28
	s_cbranch_execz .LBB47_12
; %bb.11:                               ;   in Loop: Header=BB47_4 Depth=1
	global_load_b32 v5, v[2:3], off
	s_or_b32 s27, s4, exec_lo
	s_waitcnt vmcnt(0)
	v_div_scale_f32 v9, null, v5, v5, 1.0
	s_delay_alu instid0(VALU_DEP_1) | instskip(SKIP_2) | instid1(VALU_DEP_1)
	v_rcp_f32_e32 v10, v9
	s_waitcnt_depctr 0xfff
	v_fma_f32 v11, -v9, v10, 1.0
	v_fmac_f32_e32 v10, v11, v10
	v_div_scale_f32 v11, vcc_lo, 1.0, v5, 1.0
	s_delay_alu instid0(VALU_DEP_1) | instskip(NEXT) | instid1(VALU_DEP_1)
	v_mul_f32_e32 v12, v11, v10
	v_fma_f32 v13, -v9, v12, v11
	s_delay_alu instid0(VALU_DEP_1) | instskip(NEXT) | instid1(VALU_DEP_1)
	v_fmac_f32_e32 v12, v13, v10
	v_fma_f32 v9, -v9, v12, v11
	s_delay_alu instid0(VALU_DEP_1) | instskip(NEXT) | instid1(VALU_DEP_1)
	v_div_fmas_f32 v9, v9, v10, v12
	v_div_fixup_f32 v9, v9, v5, 1.0
.LBB47_12:                              ;   in Loop: Header=BB47_4 Depth=1
	s_or_b32 exec_lo, exec_lo, s26
	v_mov_b32_e32 v5, v1
	s_and_not1_b32 s4, s4, exec_lo
	s_and_b32 s26, s27, exec_lo
	s_delay_alu instid0(SALU_CYCLE_1)
	s_or_b32 s4, s4, s26
	s_or_b32 exec_lo, exec_lo, s17
	s_and_saveexec_b32 s17, s4
	s_cbranch_execz .LBB47_3
.LBB47_13:                              ;   in Loop: Header=BB47_4 Depth=1
	s_load_b32 s4, s[22:23], 0xc
	s_waitcnt lgkmcnt(0)
	s_and_b32 s4, s4, 0xffff
	s_delay_alu instid0(SALU_CYCLE_1) | instskip(NEXT) | instid1(VALU_DEP_1)
	v_mul_lo_u32 v5, v5, s4
	v_lshl_add_u32 v5, v5, 2, v6
	s_waitcnt vmcnt(0)
	ds_store_b32 v5, v9
	s_branch .LBB47_3
.LBB47_14:
	s_mov_b64 s[12:13], s[26:27]
	s_branch .LBB47_16
.LBB47_15:
	s_load_b32 s3, s[22:23], 0xc
	s_mov_b64 s[16:17], src_shared_base
	s_mov_b32 s5, 0
	s_mov_b32 s25, s17
	s_delay_alu instid0(SALU_CYCLE_1)
	s_mov_b64 s[16:17], s[24:25]
	s_waitcnt lgkmcnt(0)
	s_and_b32 s4, s3, 0xffff
.LBB47_16:
	v_mad_u64_u32 v[3:4], null, s14, s15, v[0:1]
	v_mov_b32_e32 v4, 0
	s_mov_b32 s3, exec_lo
	s_delay_alu instid0(VALU_DEP_1)
	v_cmpx_gt_i64_e64 s[10:11], v[3:4]
	s_cbranch_execz .LBB47_29
; %bb.17:
	v_mov_b32_e32 v2, v4
	s_delay_alu instid0(VALU_DEP_1)
	v_cmp_gt_i64_e32 vcc_lo, s[8:9], v[1:2]
	s_and_b32 exec_lo, exec_lo, vcc_lo
	s_cbranch_execz .LBB47_29
; %bb.18:
	s_waitcnt lgkmcnt(0)
	v_mad_u64_u32 v[5:6], null, v1, s20, 0
	s_load_b32 s0, s[0:1], 0x18
	s_lshl_b64 s[6:7], s[6:7], 2
	v_lshlrev_b64 v[3:4], 2, v[3:4]
	s_add_u32 s3, s18, s6
	s_addc_u32 s6, s19, s7
	v_cmp_lt_u64_e64 s1, s[8:9], 2
	s_delay_alu instid0(VALU_DEP_3) | instskip(NEXT) | instid1(VALU_DEP_1)
	v_mad_u64_u32 v[7:8], null, v1, s21, v[6:7]
	v_mov_b32_e32 v6, v7
	s_delay_alu instid0(VALU_DEP_1) | instskip(NEXT) | instid1(VALU_DEP_1)
	v_lshlrev_b64 v[5:6], 2, v[5:6]
	v_add_co_u32 v5, vcc_lo, s3, v5
	s_delay_alu instid0(VALU_DEP_2) | instskip(NEXT) | instid1(VALU_DEP_2)
	v_add_co_ci_u32_e32 v6, vcc_lo, s6, v6, vcc_lo
	v_add_co_u32 v3, vcc_lo, v5, v3
	s_delay_alu instid0(VALU_DEP_2)
	v_add_co_ci_u32_e32 v4, vcc_lo, v6, v4, vcc_lo
	s_and_b32 vcc_lo, exec_lo, s1
	global_load_b32 v5, v[3:4], off
	s_waitcnt vmcnt(0) lgkmcnt(0)
	v_mul_f32_e32 v9, s0, v5
	s_cbranch_vccnz .LBB47_26
; %bb.19:
	s_add_u32 s0, s4, s12
	v_mad_u64_u32 v[5:6], null, s12, v1, 0
	v_mad_u64_u32 v[7:8], null, s0, v1, 0
	s_addc_u32 s3, s5, s13
	s_add_u32 s0, s8, -1
	s_addc_u32 s1, s9, -1
	s_mul_i32 s6, s4, s0
	s_mul_i32 s7, s4, s1
	v_lshl_add_u32 v0, v0, 2, 0
	s_delay_alu instid0(VALU_DEP_2) | instskip(SKIP_2) | instid1(SALU_CYCLE_1)
	v_mad_u64_u32 v[10:11], null, s13, v1, v[6:7]
	v_mad_u64_u32 v[11:12], null, s3, v1, v[8:9]
	s_mul_hi_u32 s3, s4, s0
	s_add_i32 s7, s3, s7
	s_delay_alu instid0(VALU_DEP_2) | instskip(SKIP_1) | instid1(VALU_DEP_2)
	v_mov_b32_e32 v6, v10
	s_lshl_b64 s[6:7], s[6:7], 2
	v_mov_b32_e32 v8, v11
	s_add_u32 s3, s16, s6
	s_addc_u32 s6, s17, s7
	v_lshlrev_b64 v[5:6], 2, v[5:6]
	s_delay_alu instid0(VALU_DEP_2) | instskip(NEXT) | instid1(VALU_DEP_2)
	v_lshlrev_b64 v[7:8], 2, v[7:8]
	v_add_co_u32 v5, vcc_lo, s3, v5
	s_delay_alu instid0(VALU_DEP_3) | instskip(NEXT) | instid1(VALU_DEP_3)
	v_add_co_ci_u32_e32 v6, vcc_lo, s6, v6, vcc_lo
	v_add_co_u32 v7, vcc_lo, s16, v7
	s_delay_alu instid0(VALU_DEP_4) | instskip(SKIP_1) | instid1(SALU_CYCLE_1)
	v_add_co_ci_u32_e32 v8, vcc_lo, s17, v8, vcc_lo
	s_lshl_b32 s3, s4, 2
	s_sub_u32 s3, 0, s3
	s_subb_u32 s8, 0, 0
.LBB47_20:                              ; =>This Inner Loop Header: Depth=1
	s_mov_b32 s6, exec_lo
	s_barrier
	buffer_gl0_inv
	v_cmpx_eq_u64_e64 s[0:1], v[1:2]
	s_cbranch_execz .LBB47_22
; %bb.21:                               ;   in Loop: Header=BB47_20 Depth=1
	flat_load_b32 v10, v[7:8]
	s_waitcnt vmcnt(0) lgkmcnt(0)
	v_div_scale_f32 v11, null, v10, v10, 1.0
	s_delay_alu instid0(VALU_DEP_1) | instskip(SKIP_2) | instid1(VALU_DEP_1)
	v_rcp_f32_e32 v12, v11
	s_waitcnt_depctr 0xfff
	v_fma_f32 v13, -v11, v12, 1.0
	v_fmac_f32_e32 v12, v13, v12
	v_div_scale_f32 v13, vcc_lo, 1.0, v10, 1.0
	s_delay_alu instid0(VALU_DEP_1) | instskip(NEXT) | instid1(VALU_DEP_1)
	v_mul_f32_e32 v14, v13, v12
	v_fma_f32 v15, -v11, v14, v13
	s_delay_alu instid0(VALU_DEP_1) | instskip(NEXT) | instid1(VALU_DEP_1)
	v_fmac_f32_e32 v14, v15, v12
	v_fma_f32 v11, -v11, v14, v13
	s_delay_alu instid0(VALU_DEP_1) | instskip(NEXT) | instid1(VALU_DEP_1)
	v_div_fmas_f32 v11, v11, v12, v14
	v_div_fixup_f32 v11, v11, v10, 1.0
	s_delay_alu instid0(VALU_DEP_1) | instskip(NEXT) | instid1(VALU_DEP_1)
	v_cndmask_b32_e64 v10, v11, v10, s2
	v_mul_f32_e32 v9, v9, v10
	ds_store_b32 v0, v9
.LBB47_22:                              ;   in Loop: Header=BB47_20 Depth=1
	s_or_b32 exec_lo, exec_lo, s6
	s_delay_alu instid0(SALU_CYCLE_1)
	s_mov_b32 s6, exec_lo
	s_waitcnt lgkmcnt(0)
	s_barrier
	buffer_gl0_inv
	v_cmpx_gt_i64_e64 s[0:1], v[1:2]
	s_cbranch_execz .LBB47_24
; %bb.23:                               ;   in Loop: Header=BB47_20 Depth=1
	flat_load_b32 v10, v[5:6]
	ds_load_b32 v11, v0
	s_waitcnt vmcnt(0) lgkmcnt(0)
	v_fma_f32 v9, -v10, v11, v9
.LBB47_24:                              ;   in Loop: Header=BB47_20 Depth=1
	s_or_b32 exec_lo, exec_lo, s6
	s_add_u32 s6, s0, -1
	s_addc_u32 s7, s1, -1
	s_add_u32 s0, s0, 1
	s_addc_u32 s1, s1, 0
	v_add_co_u32 v5, vcc_lo, v5, s3
	v_cmp_lt_u64_e64 s0, s[0:1], 3
	v_add_co_ci_u32_e32 v6, vcc_lo, s8, v6, vcc_lo
	s_delay_alu instid0(VALU_DEP_2)
	s_and_b32 vcc_lo, exec_lo, s0
	s_cbranch_vccnz .LBB47_26
; %bb.25:                               ;   in Loop: Header=BB47_20 Depth=1
	s_mov_b64 s[0:1], s[6:7]
	s_branch .LBB47_20
.LBB47_26:
	s_mov_b32 s0, exec_lo
	v_cmpx_eq_u32_e32 0, v1
	s_cbranch_execz .LBB47_28
; %bb.27:
	s_add_u32 s1, s4, s12
	s_delay_alu instid0(SALU_CYCLE_1) | instskip(SKIP_1) | instid1(VALU_DEP_1)
	v_mad_u64_u32 v[5:6], null, s1, v1, 0
	s_addc_u32 s1, s5, s13
	v_mov_b32_e32 v0, v6
	s_delay_alu instid0(VALU_DEP_1) | instskip(NEXT) | instid1(VALU_DEP_1)
	v_mad_u64_u32 v[6:7], null, s1, v1, v[0:1]
	v_lshlrev_b64 v[0:1], 2, v[5:6]
	s_delay_alu instid0(VALU_DEP_1) | instskip(NEXT) | instid1(VALU_DEP_2)
	v_add_co_u32 v0, vcc_lo, s16, v0
	v_add_co_ci_u32_e32 v1, vcc_lo, s17, v1, vcc_lo
	flat_load_b32 v0, v[0:1]
	s_waitcnt vmcnt(0) lgkmcnt(0)
	v_div_scale_f32 v1, null, v0, v0, 1.0
	s_delay_alu instid0(VALU_DEP_1) | instskip(SKIP_2) | instid1(VALU_DEP_1)
	v_rcp_f32_e32 v2, v1
	s_waitcnt_depctr 0xfff
	v_fma_f32 v5, -v1, v2, 1.0
	v_fmac_f32_e32 v2, v5, v2
	v_div_scale_f32 v5, vcc_lo, 1.0, v0, 1.0
	s_delay_alu instid0(VALU_DEP_1) | instskip(NEXT) | instid1(VALU_DEP_1)
	v_mul_f32_e32 v6, v5, v2
	v_fma_f32 v7, -v1, v6, v5
	s_delay_alu instid0(VALU_DEP_1) | instskip(NEXT) | instid1(VALU_DEP_1)
	v_fmac_f32_e32 v6, v7, v2
	v_fma_f32 v1, -v1, v6, v5
	s_delay_alu instid0(VALU_DEP_1) | instskip(NEXT) | instid1(VALU_DEP_1)
	v_div_fmas_f32 v1, v1, v2, v6
	v_div_fixup_f32 v1, v1, v0, 1.0
	s_delay_alu instid0(VALU_DEP_1) | instskip(NEXT) | instid1(VALU_DEP_1)
	v_cndmask_b32_e64 v0, v1, v0, s2
	v_mul_f32_e32 v9, v9, v0
.LBB47_28:
	s_or_b32 exec_lo, exec_lo, s0
	global_store_b32 v[3:4], v9, off
.LBB47_29:
	s_nop 0
	s_sendmsg sendmsg(MSG_DEALLOC_VGPRS)
	s_endpgm
	.section	.rodata,"a",@progbits
	.p2align	6, 0x0
	.amdhsa_kernel _ZL40rocblas_trsm_block_backward_substitutionIffPKPKfPKPfLb0ELb0ELb0EEv18rocblas_operation_llT0_T1_lllT2_lllib
		.amdhsa_group_segment_fixed_size 0
		.amdhsa_private_segment_fixed_size 0
		.amdhsa_kernarg_size 360
		.amdhsa_user_sgpr_count 13
		.amdhsa_user_sgpr_dispatch_ptr 0
		.amdhsa_user_sgpr_queue_ptr 0
		.amdhsa_user_sgpr_kernarg_segment_ptr 1
		.amdhsa_user_sgpr_dispatch_id 0
		.amdhsa_user_sgpr_private_segment_size 0
		.amdhsa_wavefront_size32 1
		.amdhsa_uses_dynamic_stack 0
		.amdhsa_enable_private_segment 0
		.amdhsa_system_sgpr_workgroup_id_x 1
		.amdhsa_system_sgpr_workgroup_id_y 1
		.amdhsa_system_sgpr_workgroup_id_z 1
		.amdhsa_system_sgpr_workgroup_info 0
		.amdhsa_system_vgpr_workitem_id 1
		.amdhsa_next_free_vgpr 16
		.amdhsa_next_free_sgpr 29
		.amdhsa_reserve_vcc 1
		.amdhsa_float_round_mode_32 0
		.amdhsa_float_round_mode_16_64 0
		.amdhsa_float_denorm_mode_32 3
		.amdhsa_float_denorm_mode_16_64 3
		.amdhsa_dx10_clamp 1
		.amdhsa_ieee_mode 1
		.amdhsa_fp16_overflow 0
		.amdhsa_workgroup_processor_mode 1
		.amdhsa_memory_ordered 1
		.amdhsa_forward_progress 0
		.amdhsa_shared_vgpr_count 0
		.amdhsa_exception_fp_ieee_invalid_op 0
		.amdhsa_exception_fp_denorm_src 0
		.amdhsa_exception_fp_ieee_div_zero 0
		.amdhsa_exception_fp_ieee_overflow 0
		.amdhsa_exception_fp_ieee_underflow 0
		.amdhsa_exception_fp_ieee_inexact 0
		.amdhsa_exception_int_div_zero 0
	.end_amdhsa_kernel
	.section	.text._ZL40rocblas_trsm_block_backward_substitutionIffPKPKfPKPfLb0ELb0ELb0EEv18rocblas_operation_llT0_T1_lllT2_lllib,"axG",@progbits,_ZL40rocblas_trsm_block_backward_substitutionIffPKPKfPKPfLb0ELb0ELb0EEv18rocblas_operation_llT0_T1_lllT2_lllib,comdat
.Lfunc_end47:
	.size	_ZL40rocblas_trsm_block_backward_substitutionIffPKPKfPKPfLb0ELb0ELb0EEv18rocblas_operation_llT0_T1_lllT2_lllib, .Lfunc_end47-_ZL40rocblas_trsm_block_backward_substitutionIffPKPKfPKPfLb0ELb0ELb0EEv18rocblas_operation_llT0_T1_lllT2_lllib
                                        ; -- End function
	.section	.AMDGPU.csdata,"",@progbits
; Kernel info:
; codeLenInByte = 1652
; NumSgprs: 31
; NumVgprs: 16
; ScratchSize: 0
; MemoryBound: 0
; FloatMode: 240
; IeeeMode: 1
; LDSByteSize: 0 bytes/workgroup (compile time only)
; SGPRBlocks: 3
; VGPRBlocks: 1
; NumSGPRsForWavesPerEU: 31
; NumVGPRsForWavesPerEU: 16
; Occupancy: 16
; WaveLimiterHint : 1
; COMPUTE_PGM_RSRC2:SCRATCH_EN: 0
; COMPUTE_PGM_RSRC2:USER_SGPR: 13
; COMPUTE_PGM_RSRC2:TRAP_HANDLER: 0
; COMPUTE_PGM_RSRC2:TGID_X_EN: 1
; COMPUTE_PGM_RSRC2:TGID_Y_EN: 1
; COMPUTE_PGM_RSRC2:TGID_Z_EN: 1
; COMPUTE_PGM_RSRC2:TIDIG_COMP_CNT: 1
	.section	.text._ZL39rocblas_trsm_block_forward_substitutionIffPKPKfPKPfLb0ELb0ELb1EEv18rocblas_operation_llT0_T1_lllT2_lllib,"axG",@progbits,_ZL39rocblas_trsm_block_forward_substitutionIffPKPKfPKPfLb0ELb0ELb1EEv18rocblas_operation_llT0_T1_lllT2_lllib,comdat
	.globl	_ZL39rocblas_trsm_block_forward_substitutionIffPKPKfPKPfLb0ELb0ELb1EEv18rocblas_operation_llT0_T1_lllT2_lllib ; -- Begin function _ZL39rocblas_trsm_block_forward_substitutionIffPKPKfPKPfLb0ELb0ELb1EEv18rocblas_operation_llT0_T1_lllT2_lllib
	.p2align	8
	.type	_ZL39rocblas_trsm_block_forward_substitutionIffPKPKfPKPfLb0ELb0ELb1EEv18rocblas_operation_llT0_T1_lllT2_lllib,@function
_ZL39rocblas_trsm_block_forward_substitutionIffPKPKfPKPfLb0ELb0ELb1EEv18rocblas_operation_llT0_T1_lllT2_lllib: ; @_ZL39rocblas_trsm_block_forward_substitutionIffPKPKfPKPfLb0ELb0ELb1EEv18rocblas_operation_llT0_T1_lllT2_lllib
; %bb.0:
	s_clause 0x1
	s_load_b128 s[16:19], s[0:1], 0x20
	s_load_b64 s[12:13], s[0:1], 0x30
	s_mov_b32 s2, s15
	s_mov_b32 s3, 0
	v_and_b32_e32 v1, 0x3ff, v0
	s_lshl_b64 s[2:3], s[2:3], 3
	v_bfe_u32 v0, v0, 10, 10
	s_waitcnt lgkmcnt(0)
	s_add_u32 s4, s16, s2
	s_addc_u32 s5, s17, s3
	s_lshl_b64 s[18:19], s[18:19], 2
	s_load_b64 s[16:17], s[4:5], 0x0
	s_clause 0x3
	s_load_b128 s[8:11], s[0:1], 0x40
	s_load_b128 s[4:7], s[0:1], 0x8
	s_load_b32 s15, s[0:1], 0x64
	s_load_b32 s22, s[0:1], 0x74
	s_waitcnt lgkmcnt(0)
	s_add_u32 s18, s16, s18
	s_addc_u32 s19, s17, s19
	s_add_u32 s2, s8, s2
	s_addc_u32 s3, s9, s3
	s_load_b64 s[16:17], s[0:1], 0x50
	s_load_b64 s[8:9], s[2:3], 0x0
	s_add_u32 s20, s0, 0x68
	s_addc_u32 s21, s1, 0
	s_lshr_b32 s3, s22, 16
	s_bitcmp0_b32 s15, 0
	s_cbranch_scc1 .LBB48_7
; %bb.1:
	v_cmp_lt_i64_e64 s2, s[4:5], 1
	s_lshl_b32 s15, s3, 2
	s_delay_alu instid0(SALU_CYCLE_1) | instskip(NEXT) | instid1(VALU_DEP_1)
	s_add_i32 s22, s15, 0
	s_and_b32 vcc_lo, exec_lo, s2
	s_cbranch_vccnz .LBB48_6
; %bb.2:
	v_lshlrev_b32_e32 v4, 2, v1
	s_delay_alu instid0(VALU_DEP_1) | instskip(NEXT) | instid1(VALU_DEP_1)
	v_dual_mov_b32 v2, 0 :: v_dual_add_nc_u32 v3, s22, v4
	v_cmp_gt_u64_e64 s2, s[4:5], v[1:2]
	v_add_co_u32 v2, s15, s18, v4
	s_delay_alu instid0(VALU_DEP_1)
	v_add_co_ci_u32_e64 v4, null, s19, 0, s15
	s_mov_b32 s18, 0
	s_set_inst_prefetch_distance 0x1
	s_branch .LBB48_4
	.p2align	6
.LBB48_3:                               ;   in Loop: Header=BB48_4 Depth=1
	s_or_b32 exec_lo, exec_lo, s15
	s_add_i32 s18, s18, s3
	s_delay_alu instid0(SALU_CYCLE_1) | instskip(NEXT) | instid1(SALU_CYCLE_1)
	s_ashr_i32 s19, s18, 31
	v_cmp_ge_i64_e64 s15, s[18:19], s[4:5]
	s_delay_alu instid0(VALU_DEP_1)
	s_and_b32 vcc_lo, exec_lo, s15
	s_cbranch_vccnz .LBB48_6
.LBB48_4:                               ; =>This Inner Loop Header: Depth=1
	v_add_nc_u32_e32 v5, s18, v0
	s_delay_alu instid0(VALU_DEP_1) | instskip(SKIP_1) | instid1(SALU_CYCLE_1)
	v_cmp_gt_i32_e32 vcc_lo, v1, v5
	s_and_b32 s19, s2, vcc_lo
	s_and_saveexec_b32 s15, s19
	s_cbranch_execz .LBB48_3
; %bb.5:                                ;   in Loop: Header=BB48_4 Depth=1
	v_ashrrev_i32_e32 v8, 31, v5
	v_mul_lo_u32 v9, v5, s13
	v_mad_u64_u32 v[6:7], null, v5, s12, 0
	s_load_b32 s19, s[20:21], 0xc
	s_delay_alu instid0(VALU_DEP_3) | instskip(NEXT) | instid1(VALU_DEP_1)
	v_mul_lo_u32 v8, v8, s12
	v_add3_u32 v7, v7, v9, v8
	s_delay_alu instid0(VALU_DEP_1) | instskip(SKIP_2) | instid1(VALU_DEP_1)
	v_lshlrev_b64 v[6:7], 2, v[6:7]
	s_waitcnt lgkmcnt(0)
	s_and_b32 s19, s19, 0xffff
	v_add_co_u32 v6, vcc_lo, v2, v6
	s_delay_alu instid0(VALU_DEP_2)
	v_add_co_ci_u32_e32 v7, vcc_lo, v4, v7, vcc_lo
	v_mul_lo_u32 v5, v5, s19
	global_load_b32 v6, v[6:7], off
	v_lshl_add_u32 v5, v5, 2, v3
	s_waitcnt vmcnt(0)
	ds_store_b32 v5, v6
	s_branch .LBB48_3
.LBB48_6:
	s_set_inst_prefetch_distance 0x2
	s_load_b32 s2, s[20:21], 0xc
	s_mov_b64 s[18:19], src_shared_base
	s_mov_b32 s13, 0
	s_mov_b32 s23, s19
	s_delay_alu instid0(SALU_CYCLE_1)
	s_mov_b64 s[18:19], s[22:23]
	s_waitcnt lgkmcnt(0)
	s_and_b32 s12, s2, 0xffff
.LBB48_7:
	v_mad_u64_u32 v[3:4], null, s14, s3, v[0:1]
	v_mov_b32_e32 v4, 0
	s_mov_b32 s2, exec_lo
	s_delay_alu instid0(VALU_DEP_1)
	v_cmpx_gt_i64_e64 s[6:7], v[3:4]
	s_cbranch_execz .LBB48_17
; %bb.8:
	v_mov_b32_e32 v2, v4
	s_delay_alu instid0(VALU_DEP_1)
	v_cmp_gt_i64_e32 vcc_lo, s[4:5], v[1:2]
	s_and_b32 exec_lo, exec_lo, vcc_lo
	s_cbranch_execz .LBB48_17
; %bb.9:
	s_waitcnt lgkmcnt(0)
	v_mad_u64_u32 v[4:5], null, v3, s16, 0
	s_lshl_b64 s[2:3], s[10:11], 2
	s_load_b32 s0, s[0:1], 0x18
	s_add_u32 s2, s8, s2
	s_addc_u32 s3, s9, s3
	v_cmp_lt_u64_e64 s1, s[4:5], 2
	s_delay_alu instid0(VALU_DEP_2) | instskip(NEXT) | instid1(VALU_DEP_1)
	v_mad_u64_u32 v[6:7], null, v3, s17, v[5:6]
	v_mov_b32_e32 v5, v6
	s_delay_alu instid0(VALU_DEP_1) | instskip(SKIP_1) | instid1(VALU_DEP_2)
	v_lshlrev_b64 v[3:4], 2, v[4:5]
	v_lshlrev_b32_e32 v5, 2, v1
	v_add_co_u32 v3, vcc_lo, s2, v3
	s_delay_alu instid0(VALU_DEP_3) | instskip(NEXT) | instid1(VALU_DEP_2)
	v_add_co_ci_u32_e32 v4, vcc_lo, s3, v4, vcc_lo
	v_add_co_u32 v3, vcc_lo, v3, v5
	s_delay_alu instid0(VALU_DEP_2)
	v_add_co_ci_u32_e32 v4, vcc_lo, 0, v4, vcc_lo
	s_and_b32 vcc_lo, exec_lo, s1
	global_load_b32 v6, v[3:4], off
	s_waitcnt vmcnt(0) lgkmcnt(0)
	v_mul_f32_e32 v7, s0, v6
	s_cbranch_vccnz .LBB48_16
; %bb.10:
	v_add_co_u32 v5, s1, s18, v5
	v_lshl_add_u32 v0, v0, 2, 0
	v_add_co_ci_u32_e64 v6, null, s19, 0, s1
	s_add_u32 s0, s4, -1
	s_addc_u32 s1, s5, -1
	s_lshl_b64 s[2:3], s[12:13], 2
	s_mov_b64 s[4:5], 0
	s_set_inst_prefetch_distance 0x1
	s_branch .LBB48_12
	.p2align	6
.LBB48_11:                              ;   in Loop: Header=BB48_12 Depth=1
	s_or_b32 exec_lo, exec_lo, s6
	v_add_co_u32 v5, vcc_lo, v5, s2
	s_add_u32 s4, s4, 1
	v_add_co_ci_u32_e32 v6, vcc_lo, s3, v6, vcc_lo
	s_addc_u32 s5, s5, 0
	s_delay_alu instid0(SALU_CYCLE_1)
	s_cmp_eq_u64 s[0:1], s[4:5]
	s_cbranch_scc1 .LBB48_16
.LBB48_12:                              ; =>This Inner Loop Header: Depth=1
	s_mov_b32 s6, exec_lo
	s_barrier
	buffer_gl0_inv
	v_cmpx_eq_u64_e64 s[4:5], v[1:2]
	s_cbranch_execz .LBB48_14
; %bb.13:                               ;   in Loop: Header=BB48_12 Depth=1
	ds_store_b32 v0, v7
.LBB48_14:                              ;   in Loop: Header=BB48_12 Depth=1
	s_or_b32 exec_lo, exec_lo, s6
	s_delay_alu instid0(SALU_CYCLE_1)
	s_mov_b32 s6, exec_lo
	s_waitcnt lgkmcnt(0)
	s_barrier
	buffer_gl0_inv
	v_cmpx_lt_u64_e64 s[4:5], v[1:2]
	s_cbranch_execz .LBB48_11
; %bb.15:                               ;   in Loop: Header=BB48_12 Depth=1
	flat_load_b32 v8, v[5:6]
	ds_load_b32 v9, v0
	s_waitcnt vmcnt(0) lgkmcnt(0)
	v_fma_f32 v7, -v8, v9, v7
	s_branch .LBB48_11
.LBB48_16:
	s_set_inst_prefetch_distance 0x2
	global_store_b32 v[3:4], v7, off
.LBB48_17:
	s_nop 0
	s_sendmsg sendmsg(MSG_DEALLOC_VGPRS)
	s_endpgm
	.section	.rodata,"a",@progbits
	.p2align	6, 0x0
	.amdhsa_kernel _ZL39rocblas_trsm_block_forward_substitutionIffPKPKfPKPfLb0ELb0ELb1EEv18rocblas_operation_llT0_T1_lllT2_lllib
		.amdhsa_group_segment_fixed_size 0
		.amdhsa_private_segment_fixed_size 0
		.amdhsa_kernarg_size 360
		.amdhsa_user_sgpr_count 13
		.amdhsa_user_sgpr_dispatch_ptr 0
		.amdhsa_user_sgpr_queue_ptr 0
		.amdhsa_user_sgpr_kernarg_segment_ptr 1
		.amdhsa_user_sgpr_dispatch_id 0
		.amdhsa_user_sgpr_private_segment_size 0
		.amdhsa_wavefront_size32 1
		.amdhsa_uses_dynamic_stack 0
		.amdhsa_enable_private_segment 0
		.amdhsa_system_sgpr_workgroup_id_x 1
		.amdhsa_system_sgpr_workgroup_id_y 1
		.amdhsa_system_sgpr_workgroup_id_z 1
		.amdhsa_system_sgpr_workgroup_info 0
		.amdhsa_system_vgpr_workitem_id 1
		.amdhsa_next_free_vgpr 10
		.amdhsa_next_free_sgpr 24
		.amdhsa_reserve_vcc 1
		.amdhsa_float_round_mode_32 0
		.amdhsa_float_round_mode_16_64 0
		.amdhsa_float_denorm_mode_32 3
		.amdhsa_float_denorm_mode_16_64 3
		.amdhsa_dx10_clamp 1
		.amdhsa_ieee_mode 1
		.amdhsa_fp16_overflow 0
		.amdhsa_workgroup_processor_mode 1
		.amdhsa_memory_ordered 1
		.amdhsa_forward_progress 0
		.amdhsa_shared_vgpr_count 0
		.amdhsa_exception_fp_ieee_invalid_op 0
		.amdhsa_exception_fp_denorm_src 0
		.amdhsa_exception_fp_ieee_div_zero 0
		.amdhsa_exception_fp_ieee_overflow 0
		.amdhsa_exception_fp_ieee_underflow 0
		.amdhsa_exception_fp_ieee_inexact 0
		.amdhsa_exception_int_div_zero 0
	.end_amdhsa_kernel
	.section	.text._ZL39rocblas_trsm_block_forward_substitutionIffPKPKfPKPfLb0ELb0ELb1EEv18rocblas_operation_llT0_T1_lllT2_lllib,"axG",@progbits,_ZL39rocblas_trsm_block_forward_substitutionIffPKPKfPKPfLb0ELb0ELb1EEv18rocblas_operation_llT0_T1_lllT2_lllib,comdat
.Lfunc_end48:
	.size	_ZL39rocblas_trsm_block_forward_substitutionIffPKPKfPKPfLb0ELb0ELb1EEv18rocblas_operation_llT0_T1_lllT2_lllib, .Lfunc_end48-_ZL39rocblas_trsm_block_forward_substitutionIffPKPKfPKPfLb0ELb0ELb1EEv18rocblas_operation_llT0_T1_lllT2_lllib
                                        ; -- End function
	.section	.AMDGPU.csdata,"",@progbits
; Kernel info:
; codeLenInByte = 880
; NumSgprs: 26
; NumVgprs: 10
; ScratchSize: 0
; MemoryBound: 0
; FloatMode: 240
; IeeeMode: 1
; LDSByteSize: 0 bytes/workgroup (compile time only)
; SGPRBlocks: 3
; VGPRBlocks: 1
; NumSGPRsForWavesPerEU: 26
; NumVGPRsForWavesPerEU: 10
; Occupancy: 16
; WaveLimiterHint : 1
; COMPUTE_PGM_RSRC2:SCRATCH_EN: 0
; COMPUTE_PGM_RSRC2:USER_SGPR: 13
; COMPUTE_PGM_RSRC2:TRAP_HANDLER: 0
; COMPUTE_PGM_RSRC2:TGID_X_EN: 1
; COMPUTE_PGM_RSRC2:TGID_Y_EN: 1
; COMPUTE_PGM_RSRC2:TGID_Z_EN: 1
; COMPUTE_PGM_RSRC2:TIDIG_COMP_CNT: 1
	.section	.text._ZL40rocblas_trsm_block_backward_substitutionIffPKPKfPKPfLb0ELb0ELb1EEv18rocblas_operation_llT0_T1_lllT2_lllib,"axG",@progbits,_ZL40rocblas_trsm_block_backward_substitutionIffPKPKfPKPfLb0ELb0ELb1EEv18rocblas_operation_llT0_T1_lllT2_lllib,comdat
	.globl	_ZL40rocblas_trsm_block_backward_substitutionIffPKPKfPKPfLb0ELb0ELb1EEv18rocblas_operation_llT0_T1_lllT2_lllib ; -- Begin function _ZL40rocblas_trsm_block_backward_substitutionIffPKPKfPKPfLb0ELb0ELb1EEv18rocblas_operation_llT0_T1_lllT2_lllib
	.p2align	8
	.type	_ZL40rocblas_trsm_block_backward_substitutionIffPKPKfPKPfLb0ELb0ELb1EEv18rocblas_operation_llT0_T1_lllT2_lllib,@function
_ZL40rocblas_trsm_block_backward_substitutionIffPKPKfPKPfLb0ELb0ELb1EEv18rocblas_operation_llT0_T1_lllT2_lllib: ; @_ZL40rocblas_trsm_block_backward_substitutionIffPKPKfPKPfLb0ELb0ELb1EEv18rocblas_operation_llT0_T1_lllT2_lllib
; %bb.0:
	s_clause 0x1
	s_load_b128 s[16:19], s[0:1], 0x20
	s_load_b64 s[24:25], s[0:1], 0x30
	s_mov_b32 s2, s15
	s_mov_b32 s3, 0
	v_and_b32_e32 v1, 0x3ff, v0
	s_lshl_b64 s[2:3], s[2:3], 3
	v_bfe_u32 v0, v0, 10, 10
	s_waitcnt lgkmcnt(0)
	s_add_u32 s4, s16, s2
	s_addc_u32 s5, s17, s3
	s_lshl_b64 s[16:17], s[18:19], 2
	s_load_b64 s[12:13], s[4:5], 0x0
	s_clause 0x1
	s_load_b128 s[8:11], s[0:1], 0x40
	s_load_b128 s[4:7], s[0:1], 0x8
	s_waitcnt lgkmcnt(0)
	s_add_u32 s12, s12, s16
	s_addc_u32 s13, s13, s17
	s_clause 0x1
	s_load_b32 s16, s[0:1], 0x64
	s_load_b32 s15, s[0:1], 0x74
	s_add_u32 s2, s8, s2
	s_addc_u32 s3, s9, s3
	s_load_b64 s[18:19], s[0:1], 0x50
	s_load_b64 s[8:9], s[2:3], 0x0
	s_add_u32 s20, s0, 0x68
	s_addc_u32 s21, s1, 0
	s_mov_b64 s[2:3], 1
	s_waitcnt lgkmcnt(0)
	s_lshr_b32 s15, s15, 16
	s_bitcmp0_b32 s16, 0
	s_cbranch_scc1 .LBB49_6
; %bb.1:
	v_cmp_lt_i64_e64 s2, s[4:5], 1
	s_lshl_b32 s3, s15, 2
	s_mov_b64 s[16:17], 1
	s_add_i32 s22, s3, 0
	s_delay_alu instid0(VALU_DEP_1)
	s_and_b32 vcc_lo, exec_lo, s2
	s_cbranch_vccnz .LBB49_7
; %bb.2:
	v_mad_u64_u32 v[3:4], null, v1, s24, 0
	s_delay_alu instid0(VALU_DEP_1) | instskip(NEXT) | instid1(VALU_DEP_1)
	v_mov_b32_e32 v2, v4
	v_mad_u64_u32 v[4:5], null, v1, s25, v[2:3]
	v_mov_b32_e32 v2, 0
	s_delay_alu instid0(VALU_DEP_1) | instskip(NEXT) | instid1(VALU_DEP_3)
	v_cmp_gt_u64_e64 s2, s[4:5], v[1:2]
	v_lshlrev_b64 v[5:6], 2, v[3:4]
	v_lshl_add_u32 v4, v1, 2, s22
	s_delay_alu instid0(VALU_DEP_2) | instskip(NEXT) | instid1(VALU_DEP_3)
	v_add_co_u32 v5, vcc_lo, s12, v5
	v_add_co_ci_u32_e32 v6, vcc_lo, s13, v6, vcc_lo
	s_mov_b32 s12, 0
	s_set_inst_prefetch_distance 0x1
	s_branch .LBB49_4
	.p2align	6
.LBB49_3:                               ;   in Loop: Header=BB49_4 Depth=1
	s_or_b32 exec_lo, exec_lo, s3
	s_add_i32 s12, s12, s15
	s_delay_alu instid0(SALU_CYCLE_1) | instskip(NEXT) | instid1(SALU_CYCLE_1)
	s_ashr_i32 s13, s12, 31
	v_cmp_ge_i64_e64 s3, s[12:13], s[4:5]
	s_delay_alu instid0(VALU_DEP_1)
	s_and_b32 vcc_lo, exec_lo, s3
	s_cbranch_vccnz .LBB49_7
.LBB49_4:                               ; =>This Inner Loop Header: Depth=1
	v_add_nc_u32_e32 v2, s12, v0
	s_delay_alu instid0(VALU_DEP_1) | instskip(SKIP_1) | instid1(VALU_DEP_2)
	v_ashrrev_i32_e32 v3, 31, v2
	v_cmp_lt_i32_e64 s3, v1, v2
	v_cmp_gt_i64_e32 vcc_lo, s[4:5], v[2:3]
	s_delay_alu instid0(VALU_DEP_2) | instskip(NEXT) | instid1(SALU_CYCLE_1)
	s_and_b32 s3, s3, vcc_lo
	s_and_b32 s13, s2, s3
	s_delay_alu instid0(SALU_CYCLE_1)
	s_and_saveexec_b32 s3, s13
	s_cbranch_execz .LBB49_3
; %bb.5:                                ;   in Loop: Header=BB49_4 Depth=1
	v_lshlrev_b64 v[7:8], 2, v[2:3]
	s_load_b32 s13, s[20:21], 0xc
	s_delay_alu instid0(VALU_DEP_1) | instskip(NEXT) | instid1(VALU_DEP_2)
	v_add_co_u32 v7, vcc_lo, v5, v7
	v_add_co_ci_u32_e32 v8, vcc_lo, v6, v8, vcc_lo
	global_load_b32 v3, v[7:8], off
	s_waitcnt lgkmcnt(0)
	s_and_b32 s13, s13, 0xffff
	s_delay_alu instid0(SALU_CYCLE_1) | instskip(NEXT) | instid1(VALU_DEP_1)
	v_mul_lo_u32 v2, v2, s13
	v_lshl_add_u32 v2, v2, 2, v4
	s_waitcnt vmcnt(0)
	ds_store_b32 v2, v3
	s_branch .LBB49_3
.LBB49_6:
	s_mov_b64 s[16:17], s[24:25]
	s_branch .LBB49_8
.LBB49_7:
	s_set_inst_prefetch_distance 0x2
	s_load_b32 s12, s[20:21], 0xc
	s_mov_b64 s[2:3], src_shared_base
	s_delay_alu instid0(SALU_CYCLE_1)
	s_mov_b32 s23, s3
	s_waitcnt lgkmcnt(0)
	s_and_b32 s2, s12, 0xffff
	s_mov_b64 s[12:13], s[22:23]
.LBB49_8:
	v_mad_u64_u32 v[3:4], null, s14, s15, v[0:1]
	v_mov_b32_e32 v4, 0
	s_mov_b32 s3, exec_lo
	s_delay_alu instid0(VALU_DEP_1)
	v_cmpx_gt_i64_e64 s[6:7], v[3:4]
	s_cbranch_execz .LBB49_19
; %bb.9:
	v_mov_b32_e32 v2, v4
	s_delay_alu instid0(VALU_DEP_1)
	v_cmp_gt_i64_e32 vcc_lo, s[4:5], v[1:2]
	s_and_b32 exec_lo, exec_lo, vcc_lo
	s_cbranch_execz .LBB49_19
; %bb.10:
	v_mad_u64_u32 v[5:6], null, v1, s18, 0
	s_load_b32 s0, s[0:1], 0x18
	s_lshl_b64 s[6:7], s[10:11], 2
	v_lshlrev_b64 v[3:4], 2, v[3:4]
	s_add_u32 s3, s8, s6
	s_addc_u32 s6, s9, s7
	v_cmp_lt_u64_e64 s1, s[4:5], 2
	s_delay_alu instid0(VALU_DEP_3) | instskip(NEXT) | instid1(VALU_DEP_1)
	v_mad_u64_u32 v[7:8], null, v1, s19, v[6:7]
	v_mov_b32_e32 v6, v7
	s_delay_alu instid0(VALU_DEP_1) | instskip(NEXT) | instid1(VALU_DEP_1)
	v_lshlrev_b64 v[5:6], 2, v[5:6]
	v_add_co_u32 v5, vcc_lo, s3, v5
	s_delay_alu instid0(VALU_DEP_2) | instskip(NEXT) | instid1(VALU_DEP_2)
	v_add_co_ci_u32_e32 v6, vcc_lo, s6, v6, vcc_lo
	v_add_co_u32 v3, vcc_lo, v5, v3
	s_delay_alu instid0(VALU_DEP_2)
	v_add_co_ci_u32_e32 v4, vcc_lo, v6, v4, vcc_lo
	s_and_b32 vcc_lo, exec_lo, s1
	global_load_b32 v5, v[3:4], off
	s_waitcnt vmcnt(0) lgkmcnt(0)
	v_mul_f32_e32 v7, s0, v5
	s_cbranch_vccnz .LBB49_18
; %bb.11:
	v_mad_u64_u32 v[5:6], null, s16, v1, 0
	s_add_u32 s0, s4, -1
	s_addc_u32 s1, s5, -1
	s_mul_hi_u32 s3, s2, s0
	s_mul_i32 s5, s2, s1
	s_mul_i32 s4, s2, s0
	s_add_i32 s5, s3, s5
	s_delay_alu instid0(VALU_DEP_1)
	v_mad_u64_u32 v[8:9], null, s17, v1, v[6:7]
	s_lshl_b64 s[4:5], s[4:5], 2
	v_lshl_add_u32 v0, v0, 2, 0
	s_add_u32 s3, s12, s4
	s_addc_u32 s4, s13, s5
	s_lshl_b32 s2, s2, 2
	s_delay_alu instid0(VALU_DEP_2) | instskip(NEXT) | instid1(VALU_DEP_1)
	v_mov_b32_e32 v6, v8
	v_lshlrev_b64 v[5:6], 2, v[5:6]
	s_delay_alu instid0(VALU_DEP_1) | instskip(NEXT) | instid1(VALU_DEP_2)
	v_add_co_u32 v5, vcc_lo, s3, v5
	v_add_co_ci_u32_e32 v6, vcc_lo, s4, v6, vcc_lo
	s_sub_u32 s4, 0, s2
	s_subb_u32 s5, 0, 0
	s_set_inst_prefetch_distance 0x1
	.p2align	6
.LBB49_12:                              ; =>This Inner Loop Header: Depth=1
	s_mov_b32 s2, exec_lo
	s_barrier
	buffer_gl0_inv
	v_cmpx_eq_u64_e64 s[0:1], v[1:2]
	s_cbranch_execz .LBB49_14
; %bb.13:                               ;   in Loop: Header=BB49_12 Depth=1
	ds_store_b32 v0, v7
.LBB49_14:                              ;   in Loop: Header=BB49_12 Depth=1
	s_or_b32 exec_lo, exec_lo, s2
	s_delay_alu instid0(SALU_CYCLE_1)
	s_mov_b32 s2, exec_lo
	s_waitcnt lgkmcnt(0)
	s_barrier
	buffer_gl0_inv
	v_cmpx_gt_i64_e64 s[0:1], v[1:2]
	s_cbranch_execz .LBB49_16
; %bb.15:                               ;   in Loop: Header=BB49_12 Depth=1
	flat_load_b32 v8, v[5:6]
	ds_load_b32 v9, v0
	s_waitcnt vmcnt(0) lgkmcnt(0)
	v_fma_f32 v7, -v8, v9, v7
.LBB49_16:                              ;   in Loop: Header=BB49_12 Depth=1
	s_or_b32 exec_lo, exec_lo, s2
	s_add_u32 s2, s0, -1
	s_addc_u32 s3, s1, -1
	s_add_u32 s0, s0, 1
	s_addc_u32 s1, s1, 0
	v_add_co_u32 v5, vcc_lo, v5, s4
	v_cmp_lt_u64_e64 s0, s[0:1], 3
	v_add_co_ci_u32_e32 v6, vcc_lo, s5, v6, vcc_lo
	s_delay_alu instid0(VALU_DEP_2)
	s_and_b32 vcc_lo, exec_lo, s0
	s_cbranch_vccnz .LBB49_18
; %bb.17:                               ;   in Loop: Header=BB49_12 Depth=1
	s_mov_b64 s[0:1], s[2:3]
	s_branch .LBB49_12
.LBB49_18:
	s_set_inst_prefetch_distance 0x2
	global_store_b32 v[3:4], v7, off
.LBB49_19:
	s_nop 0
	s_sendmsg sendmsg(MSG_DEALLOC_VGPRS)
	s_endpgm
	.section	.rodata,"a",@progbits
	.p2align	6, 0x0
	.amdhsa_kernel _ZL40rocblas_trsm_block_backward_substitutionIffPKPKfPKPfLb0ELb0ELb1EEv18rocblas_operation_llT0_T1_lllT2_lllib
		.amdhsa_group_segment_fixed_size 0
		.amdhsa_private_segment_fixed_size 0
		.amdhsa_kernarg_size 360
		.amdhsa_user_sgpr_count 13
		.amdhsa_user_sgpr_dispatch_ptr 0
		.amdhsa_user_sgpr_queue_ptr 0
		.amdhsa_user_sgpr_kernarg_segment_ptr 1
		.amdhsa_user_sgpr_dispatch_id 0
		.amdhsa_user_sgpr_private_segment_size 0
		.amdhsa_wavefront_size32 1
		.amdhsa_uses_dynamic_stack 0
		.amdhsa_enable_private_segment 0
		.amdhsa_system_sgpr_workgroup_id_x 1
		.amdhsa_system_sgpr_workgroup_id_y 1
		.amdhsa_system_sgpr_workgroup_id_z 1
		.amdhsa_system_sgpr_workgroup_info 0
		.amdhsa_system_vgpr_workitem_id 1
		.amdhsa_next_free_vgpr 10
		.amdhsa_next_free_sgpr 26
		.amdhsa_reserve_vcc 1
		.amdhsa_float_round_mode_32 0
		.amdhsa_float_round_mode_16_64 0
		.amdhsa_float_denorm_mode_32 3
		.amdhsa_float_denorm_mode_16_64 3
		.amdhsa_dx10_clamp 1
		.amdhsa_ieee_mode 1
		.amdhsa_fp16_overflow 0
		.amdhsa_workgroup_processor_mode 1
		.amdhsa_memory_ordered 1
		.amdhsa_forward_progress 0
		.amdhsa_shared_vgpr_count 0
		.amdhsa_exception_fp_ieee_invalid_op 0
		.amdhsa_exception_fp_denorm_src 0
		.amdhsa_exception_fp_ieee_div_zero 0
		.amdhsa_exception_fp_ieee_overflow 0
		.amdhsa_exception_fp_ieee_underflow 0
		.amdhsa_exception_fp_ieee_inexact 0
		.amdhsa_exception_int_div_zero 0
	.end_amdhsa_kernel
	.section	.text._ZL40rocblas_trsm_block_backward_substitutionIffPKPKfPKPfLb0ELb0ELb1EEv18rocblas_operation_llT0_T1_lllT2_lllib,"axG",@progbits,_ZL40rocblas_trsm_block_backward_substitutionIffPKPKfPKPfLb0ELb0ELb1EEv18rocblas_operation_llT0_T1_lllT2_lllib,comdat
.Lfunc_end49:
	.size	_ZL40rocblas_trsm_block_backward_substitutionIffPKPKfPKPfLb0ELb0ELb1EEv18rocblas_operation_llT0_T1_lllT2_lllib, .Lfunc_end49-_ZL40rocblas_trsm_block_backward_substitutionIffPKPKfPKPfLb0ELb0ELb1EEv18rocblas_operation_llT0_T1_lllT2_lllib
                                        ; -- End function
	.section	.AMDGPU.csdata,"",@progbits
; Kernel info:
; codeLenInByte = 996
; NumSgprs: 28
; NumVgprs: 10
; ScratchSize: 0
; MemoryBound: 0
; FloatMode: 240
; IeeeMode: 1
; LDSByteSize: 0 bytes/workgroup (compile time only)
; SGPRBlocks: 3
; VGPRBlocks: 1
; NumSGPRsForWavesPerEU: 28
; NumVGPRsForWavesPerEU: 10
; Occupancy: 16
; WaveLimiterHint : 1
; COMPUTE_PGM_RSRC2:SCRATCH_EN: 0
; COMPUTE_PGM_RSRC2:USER_SGPR: 13
; COMPUTE_PGM_RSRC2:TRAP_HANDLER: 0
; COMPUTE_PGM_RSRC2:TGID_X_EN: 1
; COMPUTE_PGM_RSRC2:TGID_Y_EN: 1
; COMPUTE_PGM_RSRC2:TGID_Z_EN: 1
; COMPUTE_PGM_RSRC2:TIDIG_COMP_CNT: 1
	.section	.text._ZL39rocblas_trsm_block_forward_substitutionIffPKPKfPKPfLb0ELb1ELb0EEv18rocblas_operation_llT0_T1_lllT2_lllib,"axG",@progbits,_ZL39rocblas_trsm_block_forward_substitutionIffPKPKfPKPfLb0ELb1ELb0EEv18rocblas_operation_llT0_T1_lllT2_lllib,comdat
	.globl	_ZL39rocblas_trsm_block_forward_substitutionIffPKPKfPKPfLb0ELb1ELb0EEv18rocblas_operation_llT0_T1_lllT2_lllib ; -- Begin function _ZL39rocblas_trsm_block_forward_substitutionIffPKPKfPKPfLb0ELb1ELb0EEv18rocblas_operation_llT0_T1_lllT2_lllib
	.p2align	8
	.type	_ZL39rocblas_trsm_block_forward_substitutionIffPKPKfPKPfLb0ELb1ELb0EEv18rocblas_operation_llT0_T1_lllT2_lllib,@function
_ZL39rocblas_trsm_block_forward_substitutionIffPKPKfPKPfLb0ELb1ELb0EEv18rocblas_operation_llT0_T1_lllT2_lllib: ; @_ZL39rocblas_trsm_block_forward_substitutionIffPKPKfPKPfLb0ELb1ELb0EEv18rocblas_operation_llT0_T1_lllT2_lllib
; %bb.0:
	s_mov_b32 s4, s15
	s_clause 0x2
	s_load_b32 s3, s[0:1], 0x64
	s_load_b128 s[16:19], s[0:1], 0x20
	s_load_b32 s15, s[0:1], 0x74
	s_mov_b32 s5, 0
	s_load_b64 s[12:13], s[0:1], 0x30
	v_and_b32_e32 v1, 0x3ff, v0
	v_bfe_u32 v0, v0, 10, 10
	s_waitcnt lgkmcnt(0)
	s_bitcmp1_b32 s3, 0
	s_cselect_b32 s2, -1, 0
	s_lshl_b64 s[20:21], s[4:5], 3
	s_delay_alu instid0(SALU_CYCLE_1)
	s_add_u32 s4, s16, s20
	s_addc_u32 s5, s17, s21
	s_load_b64 s[16:17], s[4:5], 0x0
	s_clause 0x1
	s_load_b128 s[8:11], s[0:1], 0x40
	s_load_b128 s[4:7], s[0:1], 0x8
	s_lshl_b64 s[18:19], s[18:19], 2
	s_waitcnt lgkmcnt(0)
	s_add_u32 s16, s16, s18
	s_addc_u32 s17, s17, s19
	s_add_u32 s8, s8, s20
	s_addc_u32 s9, s9, s21
	s_load_b64 s[18:19], s[0:1], 0x50
	s_load_b64 s[8:9], s[8:9], 0x0
	s_add_u32 s20, s0, 0x68
	s_addc_u32 s21, s1, 0
	s_lshr_b32 s15, s15, 16
	s_bitcmp0_b32 s3, 0
	s_cbranch_scc1 .LBB50_13
; %bb.1:
	v_cmp_lt_i64_e64 s3, s[4:5], 1
	s_lshl_b32 s22, s15, 2
	s_delay_alu instid0(SALU_CYCLE_1) | instskip(NEXT) | instid1(VALU_DEP_1)
	s_add_i32 s22, s22, 0
	s_and_b32 vcc_lo, exec_lo, s3
	s_cbranch_vccnz .LBB50_12
; %bb.2:
	v_mad_u64_u32 v[5:6], null, v1, s12, 0
	s_delay_alu instid0(VALU_DEP_1) | instskip(NEXT) | instid1(VALU_DEP_1)
	v_dual_mov_b32 v2, v6 :: v_dual_lshlrev_b32 v9, 2, v1
	v_mad_u64_u32 v[3:4], null, v1, s13, v[2:3]
	v_mov_b32_e32 v2, 0
	s_delay_alu instid0(VALU_DEP_3) | instskip(NEXT) | instid1(VALU_DEP_2)
	v_add_nc_u32_e32 v4, s22, v9
	v_cmp_le_u64_e32 vcc_lo, s[4:5], v[1:2]
	s_delay_alu instid0(VALU_DEP_4) | instskip(NEXT) | instid1(VALU_DEP_1)
	v_mov_b32_e32 v6, v3
	v_lshlrev_b64 v[7:8], 2, v[5:6]
	v_add_co_u32 v5, s3, s16, v9
	s_delay_alu instid0(VALU_DEP_1) | instskip(SKIP_1) | instid1(VALU_DEP_2)
	v_add_co_ci_u32_e64 v6, null, s17, 0, s3
	s_mov_b32 s16, s15
	v_add_co_u32 v2, s3, v5, v7
	v_mov_b32_e32 v7, v0
	s_delay_alu instid0(VALU_DEP_3)
	v_add_co_ci_u32_e64 v3, s3, v6, v8, s3
	s_xor_b32 s3, vcc_lo, -1
	s_branch .LBB50_4
.LBB50_3:                               ;   in Loop: Header=BB50_4 Depth=1
	s_or_b32 exec_lo, exec_lo, s23
	s_ashr_i32 s17, s16, 31
	v_add_nc_u32_e32 v7, s15, v7
	v_cmp_ge_i64_e64 s17, s[16:17], s[4:5]
	s_add_i32 s16, s16, s15
	s_delay_alu instid0(VALU_DEP_1)
	s_and_b32 vcc_lo, exec_lo, s17
	s_cbranch_vccnz .LBB50_12
.LBB50_4:                               ; =>This Inner Loop Header: Depth=1
	s_delay_alu instid0(VALU_DEP_2) | instskip(SKIP_2) | instid1(SALU_CYCLE_1)
	v_cmp_gt_i32_e32 vcc_lo, v1, v7
	s_mov_b32 s17, 0
                                        ; implicit-def: $vgpr8
	s_and_b32 s23, s3, vcc_lo
	s_and_saveexec_b32 s24, s23
	s_delay_alu instid0(SALU_CYCLE_1)
	s_xor_b32 s23, exec_lo, s24
	s_cbranch_execnz .LBB50_7
; %bb.5:                                ;   in Loop: Header=BB50_4 Depth=1
	s_or_saveexec_b32 s23, s23
	v_mov_b32_e32 v9, v7
	s_xor_b32 exec_lo, exec_lo, s23
	s_cbranch_execnz .LBB50_8
.LBB50_6:                               ;   in Loop: Header=BB50_4 Depth=1
	s_or_b32 exec_lo, exec_lo, s23
	s_and_saveexec_b32 s23, s17
	s_cbranch_execz .LBB50_3
	s_branch .LBB50_11
.LBB50_7:                               ;   in Loop: Header=BB50_4 Depth=1
	v_ashrrev_i32_e32 v10, 31, v7
	v_mul_lo_u32 v11, v7, s13
	s_waitcnt vmcnt(0)
	v_mad_u64_u32 v[8:9], null, v7, s12, 0
	s_mov_b32 s17, exec_lo
	v_mul_lo_u32 v10, v10, s12
	s_delay_alu instid0(VALU_DEP_1) | instskip(NEXT) | instid1(VALU_DEP_1)
	v_add3_u32 v9, v9, v11, v10
	v_lshlrev_b64 v[8:9], 2, v[8:9]
	s_delay_alu instid0(VALU_DEP_1) | instskip(NEXT) | instid1(VALU_DEP_2)
	v_add_co_u32 v8, vcc_lo, v5, v8
	v_add_co_ci_u32_e32 v9, vcc_lo, v6, v9, vcc_lo
	global_load_b32 v8, v[8:9], off
	s_or_saveexec_b32 s23, s23
	v_mov_b32_e32 v9, v7
	s_xor_b32 exec_lo, exec_lo, s23
	s_cbranch_execz .LBB50_6
.LBB50_8:                               ;   in Loop: Header=BB50_4 Depth=1
	v_cmp_eq_u32_e32 vcc_lo, v1, v7
	s_mov_b32 s25, s17
                                        ; implicit-def: $vgpr8
	s_and_b32 s26, s3, vcc_lo
	s_delay_alu instid0(SALU_CYCLE_1)
	s_and_saveexec_b32 s24, s26
	s_cbranch_execz .LBB50_10
; %bb.9:                                ;   in Loop: Header=BB50_4 Depth=1
	global_load_b32 v8, v[2:3], off
	s_or_b32 s25, s17, exec_lo
	s_waitcnt vmcnt(0)
	v_div_scale_f32 v9, null, v8, v8, 1.0
	s_delay_alu instid0(VALU_DEP_1) | instskip(SKIP_2) | instid1(VALU_DEP_1)
	v_rcp_f32_e32 v10, v9
	s_waitcnt_depctr 0xfff
	v_fma_f32 v11, -v9, v10, 1.0
	v_fmac_f32_e32 v10, v11, v10
	v_div_scale_f32 v11, vcc_lo, 1.0, v8, 1.0
	s_delay_alu instid0(VALU_DEP_1) | instskip(NEXT) | instid1(VALU_DEP_1)
	v_mul_f32_e32 v12, v11, v10
	v_fma_f32 v13, -v9, v12, v11
	s_delay_alu instid0(VALU_DEP_1) | instskip(NEXT) | instid1(VALU_DEP_1)
	v_fmac_f32_e32 v12, v13, v10
	v_fma_f32 v9, -v9, v12, v11
	s_delay_alu instid0(VALU_DEP_1) | instskip(NEXT) | instid1(VALU_DEP_1)
	v_div_fmas_f32 v9, v9, v10, v12
	v_div_fixup_f32 v8, v9, v8, 1.0
.LBB50_10:                              ;   in Loop: Header=BB50_4 Depth=1
	s_or_b32 exec_lo, exec_lo, s24
	v_mov_b32_e32 v9, v1
	s_and_not1_b32 s17, s17, exec_lo
	s_and_b32 s24, s25, exec_lo
	s_delay_alu instid0(SALU_CYCLE_1)
	s_or_b32 s17, s17, s24
	s_or_b32 exec_lo, exec_lo, s23
	s_and_saveexec_b32 s23, s17
	s_cbranch_execz .LBB50_3
.LBB50_11:                              ;   in Loop: Header=BB50_4 Depth=1
	s_load_b32 s17, s[20:21], 0xc
	s_waitcnt lgkmcnt(0)
	s_and_b32 s17, s17, 0xffff
	s_delay_alu instid0(SALU_CYCLE_1) | instskip(NEXT) | instid1(VALU_DEP_1)
	v_mul_lo_u32 v9, v9, s17
	v_lshl_add_u32 v9, v9, 2, v4
	s_waitcnt vmcnt(0)
	ds_store_b32 v9, v8
	s_branch .LBB50_3
.LBB50_12:
	s_load_b32 s3, s[20:21], 0xc
	s_mov_b64 s[16:17], src_shared_base
	s_mov_b32 s13, 0
	s_mov_b32 s23, s17
	s_delay_alu instid0(SALU_CYCLE_1)
	s_mov_b64 s[16:17], s[22:23]
	s_waitcnt lgkmcnt(0)
	s_and_b32 s12, s3, 0xffff
.LBB50_13:
	v_mad_u64_u32 v[3:4], null, s14, s15, v[0:1]
	v_mov_b32_e32 v4, 0
	s_mov_b32 s3, exec_lo
	s_delay_alu instid0(VALU_DEP_1)
	v_cmpx_gt_i64_e64 s[6:7], v[3:4]
	s_cbranch_execz .LBB50_25
; %bb.14:
	v_mov_b32_e32 v2, v4
	s_delay_alu instid0(VALU_DEP_1)
	v_cmp_gt_i64_e32 vcc_lo, s[4:5], v[1:2]
	s_and_b32 exec_lo, exec_lo, vcc_lo
	s_cbranch_execz .LBB50_25
; %bb.15:
	s_waitcnt lgkmcnt(0)
	v_mad_u64_u32 v[5:6], null, v1, s18, 0
	s_lshl_b64 s[6:7], s[10:11], 2
	v_lshlrev_b64 v[3:4], 2, v[3:4]
	s_add_u32 s3, s8, s6
	s_addc_u32 s6, s9, s7
	s_waitcnt vmcnt(0)
	s_delay_alu instid0(VALU_DEP_2) | instskip(NEXT) | instid1(VALU_DEP_1)
	v_mad_u64_u32 v[7:8], null, v1, s19, v[6:7]
	v_mov_b32_e32 v6, v7
	s_delay_alu instid0(VALU_DEP_1) | instskip(NEXT) | instid1(VALU_DEP_1)
	v_lshlrev_b64 v[5:6], 2, v[5:6]
	v_add_co_u32 v5, vcc_lo, s3, v5
	s_delay_alu instid0(VALU_DEP_2) | instskip(SKIP_1) | instid1(VALU_DEP_2)
	v_add_co_ci_u32_e32 v6, vcc_lo, s6, v6, vcc_lo
	s_load_b32 s3, s[0:1], 0x18
	v_add_co_u32 v3, vcc_lo, v5, v3
	s_delay_alu instid0(VALU_DEP_2)
	v_add_co_ci_u32_e32 v4, vcc_lo, v6, v4, vcc_lo
	v_cmp_lt_u64_e64 s6, s[4:5], 2
	s_add_u32 s0, s4, -1
	s_addc_u32 s1, s5, -1
	global_load_b32 v5, v[3:4], off
	s_and_b32 vcc_lo, exec_lo, s6
	s_waitcnt vmcnt(0) lgkmcnt(0)
	v_mul_f32_e32 v9, s3, v5
	s_cbranch_vccnz .LBB50_22
; %bb.16:
	v_mad_u64_u32 v[5:6], null, v1, s12, v[1:2]
	v_lshl_add_u32 v0, v0, 2, 0
	s_lshl_b64 s[4:5], s[12:13], 2
	s_mov_b64 s[6:7], 0
	s_delay_alu instid0(VALU_DEP_2) | instskip(NEXT) | instid1(VALU_DEP_1)
	v_mad_u64_u32 v[7:8], null, v1, s13, v[6:7]
	v_dual_mov_b32 v6, v7 :: v_dual_lshlrev_b32 v7, 2, v1
	s_delay_alu instid0(VALU_DEP_1) | instskip(NEXT) | instid1(VALU_DEP_2)
	v_lshlrev_b64 v[5:6], 2, v[5:6]
	v_add_co_u32 v7, s3, s16, v7
	s_delay_alu instid0(VALU_DEP_1) | instskip(NEXT) | instid1(VALU_DEP_3)
	v_add_co_ci_u32_e64 v8, null, s17, 0, s3
	v_add_co_u32 v5, vcc_lo, s16, v5
	s_delay_alu instid0(VALU_DEP_4)
	v_add_co_ci_u32_e32 v6, vcc_lo, s17, v6, vcc_lo
	s_branch .LBB50_18
.LBB50_17:                              ;   in Loop: Header=BB50_18 Depth=1
	s_or_b32 exec_lo, exec_lo, s3
	v_add_co_u32 v7, vcc_lo, v7, s4
	s_add_u32 s6, s6, 1
	v_add_co_ci_u32_e32 v8, vcc_lo, s5, v8, vcc_lo
	s_addc_u32 s7, s7, 0
	s_delay_alu instid0(SALU_CYCLE_1)
	s_cmp_eq_u64 s[0:1], s[6:7]
	s_cbranch_scc1 .LBB50_22
.LBB50_18:                              ; =>This Inner Loop Header: Depth=1
	s_mov_b32 s3, exec_lo
	s_barrier
	buffer_gl0_inv
	v_cmpx_eq_u64_e64 s[6:7], v[1:2]
	s_cbranch_execz .LBB50_20
; %bb.19:                               ;   in Loop: Header=BB50_18 Depth=1
	flat_load_b32 v10, v[5:6]
	s_waitcnt vmcnt(0) lgkmcnt(0)
	v_div_scale_f32 v11, null, v10, v10, 1.0
	s_delay_alu instid0(VALU_DEP_1) | instskip(SKIP_2) | instid1(VALU_DEP_1)
	v_rcp_f32_e32 v12, v11
	s_waitcnt_depctr 0xfff
	v_fma_f32 v13, -v11, v12, 1.0
	v_fmac_f32_e32 v12, v13, v12
	v_div_scale_f32 v13, vcc_lo, 1.0, v10, 1.0
	s_delay_alu instid0(VALU_DEP_1) | instskip(NEXT) | instid1(VALU_DEP_1)
	v_mul_f32_e32 v14, v13, v12
	v_fma_f32 v15, -v11, v14, v13
	s_delay_alu instid0(VALU_DEP_1) | instskip(NEXT) | instid1(VALU_DEP_1)
	v_fmac_f32_e32 v14, v15, v12
	v_fma_f32 v11, -v11, v14, v13
	s_delay_alu instid0(VALU_DEP_1) | instskip(NEXT) | instid1(VALU_DEP_1)
	v_div_fmas_f32 v11, v11, v12, v14
	v_div_fixup_f32 v11, v11, v10, 1.0
	s_delay_alu instid0(VALU_DEP_1) | instskip(NEXT) | instid1(VALU_DEP_1)
	v_cndmask_b32_e64 v10, v11, v10, s2
	v_mul_f32_e32 v9, v9, v10
	ds_store_b32 v0, v9
.LBB50_20:                              ;   in Loop: Header=BB50_18 Depth=1
	s_or_b32 exec_lo, exec_lo, s3
	s_delay_alu instid0(SALU_CYCLE_1)
	s_mov_b32 s3, exec_lo
	s_waitcnt lgkmcnt(0)
	s_barrier
	buffer_gl0_inv
	v_cmpx_lt_u64_e64 s[6:7], v[1:2]
	s_cbranch_execz .LBB50_17
; %bb.21:                               ;   in Loop: Header=BB50_18 Depth=1
	flat_load_b32 v10, v[7:8]
	ds_load_b32 v11, v0
	s_waitcnt vmcnt(0) lgkmcnt(0)
	v_fma_f32 v9, -v10, v11, v9
	s_branch .LBB50_17
.LBB50_22:
	v_cmp_eq_u64_e32 vcc_lo, s[0:1], v[1:2]
	s_and_saveexec_b32 s0, vcc_lo
	s_cbranch_execz .LBB50_24
; %bb.23:
	v_mad_u64_u32 v[5:6], null, v1, s12, v[1:2]
	s_delay_alu instid0(VALU_DEP_1) | instskip(NEXT) | instid1(VALU_DEP_1)
	v_mov_b32_e32 v0, v6
	v_mad_u64_u32 v[6:7], null, v1, s13, v[0:1]
	s_delay_alu instid0(VALU_DEP_1) | instskip(NEXT) | instid1(VALU_DEP_1)
	v_lshlrev_b64 v[0:1], 2, v[5:6]
	v_add_co_u32 v0, vcc_lo, s16, v0
	s_delay_alu instid0(VALU_DEP_2) | instskip(SKIP_3) | instid1(VALU_DEP_1)
	v_add_co_ci_u32_e32 v1, vcc_lo, s17, v1, vcc_lo
	flat_load_b32 v0, v[0:1]
	s_waitcnt vmcnt(0) lgkmcnt(0)
	v_div_scale_f32 v1, null, v0, v0, 1.0
	v_rcp_f32_e32 v2, v1
	s_waitcnt_depctr 0xfff
	v_fma_f32 v5, -v1, v2, 1.0
	s_delay_alu instid0(VALU_DEP_1) | instskip(SKIP_1) | instid1(VALU_DEP_1)
	v_fmac_f32_e32 v2, v5, v2
	v_div_scale_f32 v5, vcc_lo, 1.0, v0, 1.0
	v_mul_f32_e32 v6, v5, v2
	s_delay_alu instid0(VALU_DEP_1) | instskip(NEXT) | instid1(VALU_DEP_1)
	v_fma_f32 v7, -v1, v6, v5
	v_fmac_f32_e32 v6, v7, v2
	s_delay_alu instid0(VALU_DEP_1) | instskip(NEXT) | instid1(VALU_DEP_1)
	v_fma_f32 v1, -v1, v6, v5
	v_div_fmas_f32 v1, v1, v2, v6
	s_delay_alu instid0(VALU_DEP_1) | instskip(NEXT) | instid1(VALU_DEP_1)
	v_div_fixup_f32 v1, v1, v0, 1.0
	v_cndmask_b32_e64 v0, v1, v0, s2
	s_delay_alu instid0(VALU_DEP_1)
	v_mul_f32_e32 v9, v9, v0
.LBB50_24:
	s_or_b32 exec_lo, exec_lo, s0
	global_store_b32 v[3:4], v9, off
.LBB50_25:
	s_nop 0
	s_sendmsg sendmsg(MSG_DEALLOC_VGPRS)
	s_endpgm
	.section	.rodata,"a",@progbits
	.p2align	6, 0x0
	.amdhsa_kernel _ZL39rocblas_trsm_block_forward_substitutionIffPKPKfPKPfLb0ELb1ELb0EEv18rocblas_operation_llT0_T1_lllT2_lllib
		.amdhsa_group_segment_fixed_size 0
		.amdhsa_private_segment_fixed_size 0
		.amdhsa_kernarg_size 360
		.amdhsa_user_sgpr_count 13
		.amdhsa_user_sgpr_dispatch_ptr 0
		.amdhsa_user_sgpr_queue_ptr 0
		.amdhsa_user_sgpr_kernarg_segment_ptr 1
		.amdhsa_user_sgpr_dispatch_id 0
		.amdhsa_user_sgpr_private_segment_size 0
		.amdhsa_wavefront_size32 1
		.amdhsa_uses_dynamic_stack 0
		.amdhsa_enable_private_segment 0
		.amdhsa_system_sgpr_workgroup_id_x 1
		.amdhsa_system_sgpr_workgroup_id_y 1
		.amdhsa_system_sgpr_workgroup_id_z 1
		.amdhsa_system_sgpr_workgroup_info 0
		.amdhsa_system_vgpr_workitem_id 1
		.amdhsa_next_free_vgpr 16
		.amdhsa_next_free_sgpr 27
		.amdhsa_reserve_vcc 1
		.amdhsa_float_round_mode_32 0
		.amdhsa_float_round_mode_16_64 0
		.amdhsa_float_denorm_mode_32 3
		.amdhsa_float_denorm_mode_16_64 3
		.amdhsa_dx10_clamp 1
		.amdhsa_ieee_mode 1
		.amdhsa_fp16_overflow 0
		.amdhsa_workgroup_processor_mode 1
		.amdhsa_memory_ordered 1
		.amdhsa_forward_progress 0
		.amdhsa_shared_vgpr_count 0
		.amdhsa_exception_fp_ieee_invalid_op 0
		.amdhsa_exception_fp_denorm_src 0
		.amdhsa_exception_fp_ieee_div_zero 0
		.amdhsa_exception_fp_ieee_overflow 0
		.amdhsa_exception_fp_ieee_underflow 0
		.amdhsa_exception_fp_ieee_inexact 0
		.amdhsa_exception_int_div_zero 0
	.end_amdhsa_kernel
	.section	.text._ZL39rocblas_trsm_block_forward_substitutionIffPKPKfPKPfLb0ELb1ELb0EEv18rocblas_operation_llT0_T1_lllT2_lllib,"axG",@progbits,_ZL39rocblas_trsm_block_forward_substitutionIffPKPKfPKPfLb0ELb1ELb0EEv18rocblas_operation_llT0_T1_lllT2_lllib,comdat
.Lfunc_end50:
	.size	_ZL39rocblas_trsm_block_forward_substitutionIffPKPKfPKPfLb0ELb1ELb0EEv18rocblas_operation_llT0_T1_lllT2_lllib, .Lfunc_end50-_ZL39rocblas_trsm_block_forward_substitutionIffPKPKfPKPfLb0ELb1ELb0EEv18rocblas_operation_llT0_T1_lllT2_lllib
                                        ; -- End function
	.section	.AMDGPU.csdata,"",@progbits
; Kernel info:
; codeLenInByte = 1548
; NumSgprs: 29
; NumVgprs: 16
; ScratchSize: 0
; MemoryBound: 0
; FloatMode: 240
; IeeeMode: 1
; LDSByteSize: 0 bytes/workgroup (compile time only)
; SGPRBlocks: 3
; VGPRBlocks: 1
; NumSGPRsForWavesPerEU: 29
; NumVGPRsForWavesPerEU: 16
; Occupancy: 16
; WaveLimiterHint : 1
; COMPUTE_PGM_RSRC2:SCRATCH_EN: 0
; COMPUTE_PGM_RSRC2:USER_SGPR: 13
; COMPUTE_PGM_RSRC2:TRAP_HANDLER: 0
; COMPUTE_PGM_RSRC2:TGID_X_EN: 1
; COMPUTE_PGM_RSRC2:TGID_Y_EN: 1
; COMPUTE_PGM_RSRC2:TGID_Z_EN: 1
; COMPUTE_PGM_RSRC2:TIDIG_COMP_CNT: 1
	.section	.text._ZL40rocblas_trsm_block_backward_substitutionIffPKPKfPKPfLb0ELb1ELb0EEv18rocblas_operation_llT0_T1_lllT2_lllib,"axG",@progbits,_ZL40rocblas_trsm_block_backward_substitutionIffPKPKfPKPfLb0ELb1ELb0EEv18rocblas_operation_llT0_T1_lllT2_lllib,comdat
	.globl	_ZL40rocblas_trsm_block_backward_substitutionIffPKPKfPKPfLb0ELb1ELb0EEv18rocblas_operation_llT0_T1_lllT2_lllib ; -- Begin function _ZL40rocblas_trsm_block_backward_substitutionIffPKPKfPKPfLb0ELb1ELb0EEv18rocblas_operation_llT0_T1_lllT2_lllib
	.p2align	8
	.type	_ZL40rocblas_trsm_block_backward_substitutionIffPKPKfPKPfLb0ELb1ELb0EEv18rocblas_operation_llT0_T1_lllT2_lllib,@function
_ZL40rocblas_trsm_block_backward_substitutionIffPKPKfPKPfLb0ELb1ELb0EEv18rocblas_operation_llT0_T1_lllT2_lllib: ; @_ZL40rocblas_trsm_block_backward_substitutionIffPKPKfPKPfLb0ELb1ELb0EEv18rocblas_operation_llT0_T1_lllT2_lllib
; %bb.0:
	s_mov_b32 s4, s15
	s_clause 0x2
	s_load_b32 s3, s[0:1], 0x64
	s_load_b128 s[16:19], s[0:1], 0x20
	s_load_b32 s15, s[0:1], 0x74
	s_mov_b32 s5, 0
	s_load_b64 s[26:27], s[0:1], 0x30
	v_and_b32_e32 v1, 0x3ff, v0
	v_bfe_u32 v0, v0, 10, 10
	s_waitcnt lgkmcnt(0)
	s_bitcmp1_b32 s3, 0
	s_cselect_b32 s2, -1, 0
	s_lshl_b64 s[12:13], s[4:5], 3
	s_delay_alu instid0(SALU_CYCLE_1)
	s_add_u32 s4, s16, s12
	s_addc_u32 s5, s17, s13
	s_load_b64 s[16:17], s[4:5], 0x0
	s_clause 0x1
	s_load_b128 s[4:7], s[0:1], 0x40
	s_load_b128 s[8:11], s[0:1], 0x8
	s_lshl_b64 s[18:19], s[18:19], 2
	s_waitcnt lgkmcnt(0)
	s_add_u32 s16, s16, s18
	s_addc_u32 s17, s17, s19
	s_add_u32 s4, s4, s12
	s_addc_u32 s5, s5, s13
	s_load_b64 s[20:21], s[0:1], 0x50
	s_load_b64 s[18:19], s[4:5], 0x0
	s_add_u32 s22, s0, 0x68
	s_addc_u32 s23, s1, 0
	s_lshr_b32 s15, s15, 16
	s_bitcmp0_b32 s3, 0
	s_mov_b64 s[4:5], 1
	s_cbranch_scc1 .LBB51_14
; %bb.1:
	v_cmp_lt_i64_e64 s3, s[8:9], 1
	s_lshl_b32 s4, s15, 2
	s_mov_b64 s[12:13], 1
	s_add_i32 s24, s4, 0
	s_delay_alu instid0(VALU_DEP_1)
	s_and_b32 vcc_lo, exec_lo, s3
	s_cbranch_vccnz .LBB51_15
; %bb.2:
	v_mad_u64_u32 v[3:4], null, v1, s26, 0
	s_delay_alu instid0(VALU_DEP_1) | instskip(NEXT) | instid1(VALU_DEP_1)
	v_mov_b32_e32 v2, v4
	v_mad_u64_u32 v[4:5], null, v1, s27, v[2:3]
	v_dual_mov_b32 v2, 0 :: v_dual_lshlrev_b32 v5, 2, v1
	s_delay_alu instid0(VALU_DEP_1) | instskip(NEXT) | instid1(VALU_DEP_3)
	v_add_nc_u32_e32 v6, s24, v5
	v_lshlrev_b64 v[3:4], 2, v[3:4]
	s_delay_alu instid0(VALU_DEP_3) | instskip(SKIP_1) | instid1(VALU_DEP_3)
	v_cmp_le_u64_e64 s5, s[8:9], v[1:2]
	v_cmp_gt_u64_e64 s3, s[8:9], v[1:2]
	v_add_co_u32 v7, vcc_lo, s16, v3
	s_delay_alu instid0(VALU_DEP_4) | instskip(SKIP_1) | instid1(VALU_DEP_3)
	v_add_co_ci_u32_e32 v8, vcc_lo, s17, v4, vcc_lo
	v_mov_b32_e32 v4, v0
	v_add_co_u32 v2, vcc_lo, v7, v5
	s_delay_alu instid0(VALU_DEP_3)
	v_add_co_ci_u32_e32 v3, vcc_lo, 0, v8, vcc_lo
	s_xor_b32 s25, s5, -1
	s_mov_b32 s16, s15
	s_branch .LBB51_4
.LBB51_3:                               ;   in Loop: Header=BB51_4 Depth=1
	s_or_b32 exec_lo, exec_lo, s17
	s_ashr_i32 s17, s16, 31
	v_add_nc_u32_e32 v4, s15, v4
	v_cmp_ge_i64_e64 s4, s[16:17], s[8:9]
	s_add_i32 s16, s16, s15
	s_delay_alu instid0(VALU_DEP_1)
	s_and_b32 vcc_lo, exec_lo, s4
	s_cbranch_vccnz .LBB51_15
.LBB51_4:                               ; =>This Inner Loop Header: Depth=1
	s_mov_b32 s26, s5
	s_mov_b32 s4, 0
                                        ; implicit-def: $vgpr9
                                        ; implicit-def: $vgpr5
	s_and_saveexec_b32 s17, s3
	s_cbranch_execnz .LBB51_7
; %bb.5:                                ;   in Loop: Header=BB51_4 Depth=1
	s_or_b32 exec_lo, exec_lo, s17
	s_and_saveexec_b32 s17, s26
	s_cbranch_execnz .LBB51_10
.LBB51_6:                               ;   in Loop: Header=BB51_4 Depth=1
	s_or_b32 exec_lo, exec_lo, s17
	s_and_saveexec_b32 s17, s4
	s_cbranch_execz .LBB51_3
	s_branch .LBB51_13
.LBB51_7:                               ;   in Loop: Header=BB51_4 Depth=1
	v_ashrrev_i32_e32 v5, 31, v4
	v_cmp_lt_i32_e64 s4, v1, v4
	s_mov_b32 s26, -1
                                        ; implicit-def: $vgpr9
	s_delay_alu instid0(VALU_DEP_2) | instskip(NEXT) | instid1(VALU_DEP_2)
	v_cmp_gt_i64_e32 vcc_lo, s[8:9], v[4:5]
	s_and_b32 s28, s4, vcc_lo
	s_mov_b32 s4, 0
	s_and_saveexec_b32 s27, s28
	s_cbranch_execz .LBB51_9
; %bb.8:                                ;   in Loop: Header=BB51_4 Depth=1
	s_waitcnt vmcnt(0)
	v_lshlrev_b64 v[9:10], 2, v[4:5]
	s_mov_b32 s4, exec_lo
	s_xor_b32 s26, exec_lo, -1
	s_delay_alu instid0(VALU_DEP_1) | instskip(NEXT) | instid1(VALU_DEP_2)
	v_add_co_u32 v9, vcc_lo, v7, v9
	v_add_co_ci_u32_e32 v10, vcc_lo, v8, v10, vcc_lo
	global_load_b32 v9, v[9:10], off
.LBB51_9:                               ;   in Loop: Header=BB51_4 Depth=1
	s_or_b32 exec_lo, exec_lo, s27
	v_mov_b32_e32 v5, v4
	s_and_not1_b32 s27, s5, exec_lo
	s_and_b32 s26, s26, exec_lo
	s_and_b32 s4, s4, exec_lo
	s_or_b32 s26, s27, s26
	s_or_b32 exec_lo, exec_lo, s17
	s_and_saveexec_b32 s17, s26
	s_cbranch_execz .LBB51_6
.LBB51_10:                              ;   in Loop: Header=BB51_4 Depth=1
	v_cmp_eq_u32_e32 vcc_lo, v1, v4
	s_mov_b32 s27, s4
                                        ; implicit-def: $vgpr9
	s_and_b32 s28, s25, vcc_lo
	s_delay_alu instid0(SALU_CYCLE_1)
	s_and_saveexec_b32 s26, s28
	s_cbranch_execz .LBB51_12
; %bb.11:                               ;   in Loop: Header=BB51_4 Depth=1
	global_load_b32 v5, v[2:3], off
	s_or_b32 s27, s4, exec_lo
	s_waitcnt vmcnt(0)
	v_div_scale_f32 v9, null, v5, v5, 1.0
	s_delay_alu instid0(VALU_DEP_1) | instskip(SKIP_2) | instid1(VALU_DEP_1)
	v_rcp_f32_e32 v10, v9
	s_waitcnt_depctr 0xfff
	v_fma_f32 v11, -v9, v10, 1.0
	v_fmac_f32_e32 v10, v11, v10
	v_div_scale_f32 v11, vcc_lo, 1.0, v5, 1.0
	s_delay_alu instid0(VALU_DEP_1) | instskip(NEXT) | instid1(VALU_DEP_1)
	v_mul_f32_e32 v12, v11, v10
	v_fma_f32 v13, -v9, v12, v11
	s_delay_alu instid0(VALU_DEP_1) | instskip(NEXT) | instid1(VALU_DEP_1)
	v_fmac_f32_e32 v12, v13, v10
	v_fma_f32 v9, -v9, v12, v11
	s_delay_alu instid0(VALU_DEP_1) | instskip(NEXT) | instid1(VALU_DEP_1)
	v_div_fmas_f32 v9, v9, v10, v12
	v_div_fixup_f32 v9, v9, v5, 1.0
.LBB51_12:                              ;   in Loop: Header=BB51_4 Depth=1
	s_or_b32 exec_lo, exec_lo, s26
	v_mov_b32_e32 v5, v1
	s_and_not1_b32 s4, s4, exec_lo
	s_and_b32 s26, s27, exec_lo
	s_delay_alu instid0(SALU_CYCLE_1)
	s_or_b32 s4, s4, s26
	s_or_b32 exec_lo, exec_lo, s17
	s_and_saveexec_b32 s17, s4
	s_cbranch_execz .LBB51_3
.LBB51_13:                              ;   in Loop: Header=BB51_4 Depth=1
	s_load_b32 s4, s[22:23], 0xc
	s_waitcnt lgkmcnt(0)
	s_and_b32 s4, s4, 0xffff
	s_delay_alu instid0(SALU_CYCLE_1) | instskip(NEXT) | instid1(VALU_DEP_1)
	v_mul_lo_u32 v5, v5, s4
	v_lshl_add_u32 v5, v5, 2, v6
	s_waitcnt vmcnt(0)
	ds_store_b32 v5, v9
	s_branch .LBB51_3
.LBB51_14:
	s_mov_b64 s[12:13], s[26:27]
	s_branch .LBB51_16
.LBB51_15:
	s_load_b32 s3, s[22:23], 0xc
	s_mov_b64 s[16:17], src_shared_base
	s_mov_b32 s5, 0
	s_mov_b32 s25, s17
	s_delay_alu instid0(SALU_CYCLE_1)
	s_mov_b64 s[16:17], s[24:25]
	s_waitcnt lgkmcnt(0)
	s_and_b32 s4, s3, 0xffff
.LBB51_16:
	v_mad_u64_u32 v[3:4], null, s14, s15, v[0:1]
	v_mov_b32_e32 v4, 0
	s_mov_b32 s3, exec_lo
	s_delay_alu instid0(VALU_DEP_1)
	v_cmpx_gt_i64_e64 s[10:11], v[3:4]
	s_cbranch_execz .LBB51_29
; %bb.17:
	v_mov_b32_e32 v2, v4
	s_delay_alu instid0(VALU_DEP_1)
	v_cmp_gt_i64_e32 vcc_lo, s[8:9], v[1:2]
	s_and_b32 exec_lo, exec_lo, vcc_lo
	s_cbranch_execz .LBB51_29
; %bb.18:
	s_waitcnt lgkmcnt(0)
	v_mad_u64_u32 v[4:5], null, v3, s20, 0
	s_lshl_b64 s[6:7], s[6:7], 2
	s_load_b32 s0, s[0:1], 0x18
	s_add_u32 s3, s18, s6
	s_addc_u32 s6, s19, s7
	v_cmp_lt_u64_e64 s1, s[8:9], 2
	s_delay_alu instid0(VALU_DEP_2) | instskip(NEXT) | instid1(VALU_DEP_1)
	v_mad_u64_u32 v[6:7], null, v3, s21, v[5:6]
	v_mov_b32_e32 v5, v6
	s_delay_alu instid0(VALU_DEP_1) | instskip(SKIP_1) | instid1(VALU_DEP_2)
	v_lshlrev_b64 v[3:4], 2, v[4:5]
	v_lshlrev_b32_e32 v5, 2, v1
	v_add_co_u32 v3, vcc_lo, s3, v3
	s_delay_alu instid0(VALU_DEP_3) | instskip(NEXT) | instid1(VALU_DEP_2)
	v_add_co_ci_u32_e32 v4, vcc_lo, s6, v4, vcc_lo
	v_add_co_u32 v3, vcc_lo, v3, v5
	s_delay_alu instid0(VALU_DEP_2)
	v_add_co_ci_u32_e32 v4, vcc_lo, 0, v4, vcc_lo
	s_and_b32 vcc_lo, exec_lo, s1
	global_load_b32 v5, v[3:4], off
	s_waitcnt vmcnt(0) lgkmcnt(0)
	v_mul_f32_e32 v9, s0, v5
	s_cbranch_vccnz .LBB51_26
; %bb.19:
	s_add_u32 s0, s4, s12
	v_mad_u64_u32 v[5:6], null, s12, v1, 0
	v_mad_u64_u32 v[7:8], null, s0, v1, 0
	s_addc_u32 s3, s5, s13
	s_add_u32 s0, s8, -1
	s_addc_u32 s1, s9, -1
	s_mul_i32 s6, s4, s0
	s_mul_i32 s7, s4, s1
	v_lshl_add_u32 v0, v0, 2, 0
	s_delay_alu instid0(VALU_DEP_2) | instskip(SKIP_2) | instid1(SALU_CYCLE_1)
	v_mad_u64_u32 v[10:11], null, s13, v1, v[6:7]
	v_mad_u64_u32 v[11:12], null, s3, v1, v[8:9]
	s_mul_hi_u32 s3, s4, s0
	s_add_i32 s7, s3, s7
	s_delay_alu instid0(VALU_DEP_2) | instskip(SKIP_1) | instid1(VALU_DEP_2)
	v_mov_b32_e32 v6, v10
	s_lshl_b64 s[6:7], s[6:7], 2
	v_mov_b32_e32 v8, v11
	s_add_u32 s3, s16, s6
	s_addc_u32 s6, s17, s7
	v_lshlrev_b64 v[5:6], 2, v[5:6]
	s_delay_alu instid0(VALU_DEP_2) | instskip(NEXT) | instid1(VALU_DEP_2)
	v_lshlrev_b64 v[7:8], 2, v[7:8]
	v_add_co_u32 v5, vcc_lo, s3, v5
	s_delay_alu instid0(VALU_DEP_3) | instskip(NEXT) | instid1(VALU_DEP_3)
	v_add_co_ci_u32_e32 v6, vcc_lo, s6, v6, vcc_lo
	v_add_co_u32 v7, vcc_lo, s16, v7
	s_delay_alu instid0(VALU_DEP_4) | instskip(SKIP_1) | instid1(SALU_CYCLE_1)
	v_add_co_ci_u32_e32 v8, vcc_lo, s17, v8, vcc_lo
	s_lshl_b32 s3, s4, 2
	s_sub_u32 s3, 0, s3
	s_subb_u32 s8, 0, 0
.LBB51_20:                              ; =>This Inner Loop Header: Depth=1
	s_mov_b32 s6, exec_lo
	s_barrier
	buffer_gl0_inv
	v_cmpx_eq_u64_e64 s[0:1], v[1:2]
	s_cbranch_execz .LBB51_22
; %bb.21:                               ;   in Loop: Header=BB51_20 Depth=1
	flat_load_b32 v10, v[7:8]
	s_waitcnt vmcnt(0) lgkmcnt(0)
	v_div_scale_f32 v11, null, v10, v10, 1.0
	s_delay_alu instid0(VALU_DEP_1) | instskip(SKIP_2) | instid1(VALU_DEP_1)
	v_rcp_f32_e32 v12, v11
	s_waitcnt_depctr 0xfff
	v_fma_f32 v13, -v11, v12, 1.0
	v_fmac_f32_e32 v12, v13, v12
	v_div_scale_f32 v13, vcc_lo, 1.0, v10, 1.0
	s_delay_alu instid0(VALU_DEP_1) | instskip(NEXT) | instid1(VALU_DEP_1)
	v_mul_f32_e32 v14, v13, v12
	v_fma_f32 v15, -v11, v14, v13
	s_delay_alu instid0(VALU_DEP_1) | instskip(NEXT) | instid1(VALU_DEP_1)
	v_fmac_f32_e32 v14, v15, v12
	v_fma_f32 v11, -v11, v14, v13
	s_delay_alu instid0(VALU_DEP_1) | instskip(NEXT) | instid1(VALU_DEP_1)
	v_div_fmas_f32 v11, v11, v12, v14
	v_div_fixup_f32 v11, v11, v10, 1.0
	s_delay_alu instid0(VALU_DEP_1) | instskip(NEXT) | instid1(VALU_DEP_1)
	v_cndmask_b32_e64 v10, v11, v10, s2
	v_mul_f32_e32 v9, v9, v10
	ds_store_b32 v0, v9
.LBB51_22:                              ;   in Loop: Header=BB51_20 Depth=1
	s_or_b32 exec_lo, exec_lo, s6
	s_delay_alu instid0(SALU_CYCLE_1)
	s_mov_b32 s6, exec_lo
	s_waitcnt lgkmcnt(0)
	s_barrier
	buffer_gl0_inv
	v_cmpx_gt_i64_e64 s[0:1], v[1:2]
	s_cbranch_execz .LBB51_24
; %bb.23:                               ;   in Loop: Header=BB51_20 Depth=1
	flat_load_b32 v10, v[5:6]
	ds_load_b32 v11, v0
	s_waitcnt vmcnt(0) lgkmcnt(0)
	v_fma_f32 v9, -v10, v11, v9
.LBB51_24:                              ;   in Loop: Header=BB51_20 Depth=1
	s_or_b32 exec_lo, exec_lo, s6
	s_add_u32 s6, s0, -1
	s_addc_u32 s7, s1, -1
	s_add_u32 s0, s0, 1
	s_addc_u32 s1, s1, 0
	v_add_co_u32 v5, vcc_lo, v5, s3
	v_cmp_lt_u64_e64 s0, s[0:1], 3
	v_add_co_ci_u32_e32 v6, vcc_lo, s8, v6, vcc_lo
	s_delay_alu instid0(VALU_DEP_2)
	s_and_b32 vcc_lo, exec_lo, s0
	s_cbranch_vccnz .LBB51_26
; %bb.25:                               ;   in Loop: Header=BB51_20 Depth=1
	s_mov_b64 s[0:1], s[6:7]
	s_branch .LBB51_20
.LBB51_26:
	s_mov_b32 s0, exec_lo
	v_cmpx_eq_u32_e32 0, v1
	s_cbranch_execz .LBB51_28
; %bb.27:
	s_add_u32 s1, s4, s12
	s_delay_alu instid0(SALU_CYCLE_1) | instskip(SKIP_1) | instid1(VALU_DEP_1)
	v_mad_u64_u32 v[5:6], null, s1, v1, 0
	s_addc_u32 s1, s5, s13
	v_mov_b32_e32 v0, v6
	s_delay_alu instid0(VALU_DEP_1) | instskip(NEXT) | instid1(VALU_DEP_1)
	v_mad_u64_u32 v[6:7], null, s1, v1, v[0:1]
	v_lshlrev_b64 v[0:1], 2, v[5:6]
	s_delay_alu instid0(VALU_DEP_1) | instskip(NEXT) | instid1(VALU_DEP_2)
	v_add_co_u32 v0, vcc_lo, s16, v0
	v_add_co_ci_u32_e32 v1, vcc_lo, s17, v1, vcc_lo
	flat_load_b32 v0, v[0:1]
	s_waitcnt vmcnt(0) lgkmcnt(0)
	v_div_scale_f32 v1, null, v0, v0, 1.0
	s_delay_alu instid0(VALU_DEP_1) | instskip(SKIP_2) | instid1(VALU_DEP_1)
	v_rcp_f32_e32 v2, v1
	s_waitcnt_depctr 0xfff
	v_fma_f32 v5, -v1, v2, 1.0
	v_fmac_f32_e32 v2, v5, v2
	v_div_scale_f32 v5, vcc_lo, 1.0, v0, 1.0
	s_delay_alu instid0(VALU_DEP_1) | instskip(NEXT) | instid1(VALU_DEP_1)
	v_mul_f32_e32 v6, v5, v2
	v_fma_f32 v7, -v1, v6, v5
	s_delay_alu instid0(VALU_DEP_1) | instskip(NEXT) | instid1(VALU_DEP_1)
	v_fmac_f32_e32 v6, v7, v2
	v_fma_f32 v1, -v1, v6, v5
	s_delay_alu instid0(VALU_DEP_1) | instskip(NEXT) | instid1(VALU_DEP_1)
	v_div_fmas_f32 v1, v1, v2, v6
	v_div_fixup_f32 v1, v1, v0, 1.0
	s_delay_alu instid0(VALU_DEP_1) | instskip(NEXT) | instid1(VALU_DEP_1)
	v_cndmask_b32_e64 v0, v1, v0, s2
	v_mul_f32_e32 v9, v9, v0
.LBB51_28:
	s_or_b32 exec_lo, exec_lo, s0
	global_store_b32 v[3:4], v9, off
.LBB51_29:
	s_nop 0
	s_sendmsg sendmsg(MSG_DEALLOC_VGPRS)
	s_endpgm
	.section	.rodata,"a",@progbits
	.p2align	6, 0x0
	.amdhsa_kernel _ZL40rocblas_trsm_block_backward_substitutionIffPKPKfPKPfLb0ELb1ELb0EEv18rocblas_operation_llT0_T1_lllT2_lllib
		.amdhsa_group_segment_fixed_size 0
		.amdhsa_private_segment_fixed_size 0
		.amdhsa_kernarg_size 360
		.amdhsa_user_sgpr_count 13
		.amdhsa_user_sgpr_dispatch_ptr 0
		.amdhsa_user_sgpr_queue_ptr 0
		.amdhsa_user_sgpr_kernarg_segment_ptr 1
		.amdhsa_user_sgpr_dispatch_id 0
		.amdhsa_user_sgpr_private_segment_size 0
		.amdhsa_wavefront_size32 1
		.amdhsa_uses_dynamic_stack 0
		.amdhsa_enable_private_segment 0
		.amdhsa_system_sgpr_workgroup_id_x 1
		.amdhsa_system_sgpr_workgroup_id_y 1
		.amdhsa_system_sgpr_workgroup_id_z 1
		.amdhsa_system_sgpr_workgroup_info 0
		.amdhsa_system_vgpr_workitem_id 1
		.amdhsa_next_free_vgpr 16
		.amdhsa_next_free_sgpr 29
		.amdhsa_reserve_vcc 1
		.amdhsa_float_round_mode_32 0
		.amdhsa_float_round_mode_16_64 0
		.amdhsa_float_denorm_mode_32 3
		.amdhsa_float_denorm_mode_16_64 3
		.amdhsa_dx10_clamp 1
		.amdhsa_ieee_mode 1
		.amdhsa_fp16_overflow 0
		.amdhsa_workgroup_processor_mode 1
		.amdhsa_memory_ordered 1
		.amdhsa_forward_progress 0
		.amdhsa_shared_vgpr_count 0
		.amdhsa_exception_fp_ieee_invalid_op 0
		.amdhsa_exception_fp_denorm_src 0
		.amdhsa_exception_fp_ieee_div_zero 0
		.amdhsa_exception_fp_ieee_overflow 0
		.amdhsa_exception_fp_ieee_underflow 0
		.amdhsa_exception_fp_ieee_inexact 0
		.amdhsa_exception_int_div_zero 0
	.end_amdhsa_kernel
	.section	.text._ZL40rocblas_trsm_block_backward_substitutionIffPKPKfPKPfLb0ELb1ELb0EEv18rocblas_operation_llT0_T1_lllT2_lllib,"axG",@progbits,_ZL40rocblas_trsm_block_backward_substitutionIffPKPKfPKPfLb0ELb1ELb0EEv18rocblas_operation_llT0_T1_lllT2_lllib,comdat
.Lfunc_end51:
	.size	_ZL40rocblas_trsm_block_backward_substitutionIffPKPKfPKPfLb0ELb1ELb0EEv18rocblas_operation_llT0_T1_lllT2_lllib, .Lfunc_end51-_ZL40rocblas_trsm_block_backward_substitutionIffPKPKfPKPfLb0ELb1ELb0EEv18rocblas_operation_llT0_T1_lllT2_lllib
                                        ; -- End function
	.section	.AMDGPU.csdata,"",@progbits
; Kernel info:
; codeLenInByte = 1648
; NumSgprs: 31
; NumVgprs: 16
; ScratchSize: 0
; MemoryBound: 0
; FloatMode: 240
; IeeeMode: 1
; LDSByteSize: 0 bytes/workgroup (compile time only)
; SGPRBlocks: 3
; VGPRBlocks: 1
; NumSGPRsForWavesPerEU: 31
; NumVGPRsForWavesPerEU: 16
; Occupancy: 16
; WaveLimiterHint : 1
; COMPUTE_PGM_RSRC2:SCRATCH_EN: 0
; COMPUTE_PGM_RSRC2:USER_SGPR: 13
; COMPUTE_PGM_RSRC2:TRAP_HANDLER: 0
; COMPUTE_PGM_RSRC2:TGID_X_EN: 1
; COMPUTE_PGM_RSRC2:TGID_Y_EN: 1
; COMPUTE_PGM_RSRC2:TGID_Z_EN: 1
; COMPUTE_PGM_RSRC2:TIDIG_COMP_CNT: 1
	.section	.text._ZL39rocblas_trsm_block_forward_substitutionIffPKPKfPKPfLb0ELb1ELb1EEv18rocblas_operation_llT0_T1_lllT2_lllib,"axG",@progbits,_ZL39rocblas_trsm_block_forward_substitutionIffPKPKfPKPfLb0ELb1ELb1EEv18rocblas_operation_llT0_T1_lllT2_lllib,comdat
	.globl	_ZL39rocblas_trsm_block_forward_substitutionIffPKPKfPKPfLb0ELb1ELb1EEv18rocblas_operation_llT0_T1_lllT2_lllib ; -- Begin function _ZL39rocblas_trsm_block_forward_substitutionIffPKPKfPKPfLb0ELb1ELb1EEv18rocblas_operation_llT0_T1_lllT2_lllib
	.p2align	8
	.type	_ZL39rocblas_trsm_block_forward_substitutionIffPKPKfPKPfLb0ELb1ELb1EEv18rocblas_operation_llT0_T1_lllT2_lllib,@function
_ZL39rocblas_trsm_block_forward_substitutionIffPKPKfPKPfLb0ELb1ELb1EEv18rocblas_operation_llT0_T1_lllT2_lllib: ; @_ZL39rocblas_trsm_block_forward_substitutionIffPKPKfPKPfLb0ELb1ELb1EEv18rocblas_operation_llT0_T1_lllT2_lllib
; %bb.0:
	s_clause 0x1
	s_load_b128 s[16:19], s[0:1], 0x20
	s_load_b64 s[12:13], s[0:1], 0x30
	s_mov_b32 s2, s15
	s_mov_b32 s3, 0
	v_and_b32_e32 v1, 0x3ff, v0
	s_lshl_b64 s[2:3], s[2:3], 3
	v_bfe_u32 v0, v0, 10, 10
	s_waitcnt lgkmcnt(0)
	s_add_u32 s4, s16, s2
	s_addc_u32 s5, s17, s3
	s_lshl_b64 s[18:19], s[18:19], 2
	s_load_b64 s[16:17], s[4:5], 0x0
	s_clause 0x3
	s_load_b128 s[8:11], s[0:1], 0x40
	s_load_b128 s[4:7], s[0:1], 0x8
	s_load_b32 s15, s[0:1], 0x64
	s_load_b32 s22, s[0:1], 0x74
	s_waitcnt lgkmcnt(0)
	s_add_u32 s18, s16, s18
	s_addc_u32 s19, s17, s19
	s_add_u32 s2, s8, s2
	s_addc_u32 s3, s9, s3
	s_load_b64 s[16:17], s[0:1], 0x50
	s_load_b64 s[8:9], s[2:3], 0x0
	s_add_u32 s20, s0, 0x68
	s_addc_u32 s21, s1, 0
	s_lshr_b32 s3, s22, 16
	s_bitcmp0_b32 s15, 0
	s_cbranch_scc1 .LBB52_7
; %bb.1:
	v_cmp_lt_i64_e64 s2, s[4:5], 1
	s_lshl_b32 s15, s3, 2
	s_delay_alu instid0(SALU_CYCLE_1) | instskip(NEXT) | instid1(VALU_DEP_1)
	s_add_i32 s22, s15, 0
	s_and_b32 vcc_lo, exec_lo, s2
	s_cbranch_vccnz .LBB52_6
; %bb.2:
	v_lshlrev_b32_e32 v4, 2, v1
	s_delay_alu instid0(VALU_DEP_1) | instskip(NEXT) | instid1(VALU_DEP_1)
	v_dual_mov_b32 v2, 0 :: v_dual_add_nc_u32 v3, s22, v4
	v_cmp_gt_u64_e64 s2, s[4:5], v[1:2]
	v_add_co_u32 v2, s15, s18, v4
	s_delay_alu instid0(VALU_DEP_1)
	v_add_co_ci_u32_e64 v4, null, s19, 0, s15
	s_mov_b32 s18, 0
	s_set_inst_prefetch_distance 0x1
	s_branch .LBB52_4
	.p2align	6
.LBB52_3:                               ;   in Loop: Header=BB52_4 Depth=1
	s_or_b32 exec_lo, exec_lo, s15
	s_add_i32 s18, s18, s3
	s_delay_alu instid0(SALU_CYCLE_1) | instskip(NEXT) | instid1(SALU_CYCLE_1)
	s_ashr_i32 s19, s18, 31
	v_cmp_ge_i64_e64 s15, s[18:19], s[4:5]
	s_delay_alu instid0(VALU_DEP_1)
	s_and_b32 vcc_lo, exec_lo, s15
	s_cbranch_vccnz .LBB52_6
.LBB52_4:                               ; =>This Inner Loop Header: Depth=1
	v_add_nc_u32_e32 v5, s18, v0
	s_delay_alu instid0(VALU_DEP_1) | instskip(SKIP_1) | instid1(SALU_CYCLE_1)
	v_cmp_gt_i32_e32 vcc_lo, v1, v5
	s_and_b32 s19, s2, vcc_lo
	s_and_saveexec_b32 s15, s19
	s_cbranch_execz .LBB52_3
; %bb.5:                                ;   in Loop: Header=BB52_4 Depth=1
	v_ashrrev_i32_e32 v8, 31, v5
	v_mul_lo_u32 v9, v5, s13
	v_mad_u64_u32 v[6:7], null, v5, s12, 0
	s_load_b32 s19, s[20:21], 0xc
	s_delay_alu instid0(VALU_DEP_3) | instskip(NEXT) | instid1(VALU_DEP_1)
	v_mul_lo_u32 v8, v8, s12
	v_add3_u32 v7, v7, v9, v8
	s_delay_alu instid0(VALU_DEP_1) | instskip(SKIP_2) | instid1(VALU_DEP_1)
	v_lshlrev_b64 v[6:7], 2, v[6:7]
	s_waitcnt lgkmcnt(0)
	s_and_b32 s19, s19, 0xffff
	v_add_co_u32 v6, vcc_lo, v2, v6
	s_delay_alu instid0(VALU_DEP_2)
	v_add_co_ci_u32_e32 v7, vcc_lo, v4, v7, vcc_lo
	v_mul_lo_u32 v5, v5, s19
	global_load_b32 v6, v[6:7], off
	v_lshl_add_u32 v5, v5, 2, v3
	s_waitcnt vmcnt(0)
	ds_store_b32 v5, v6
	s_branch .LBB52_3
.LBB52_6:
	s_set_inst_prefetch_distance 0x2
	s_load_b32 s2, s[20:21], 0xc
	s_mov_b64 s[18:19], src_shared_base
	s_mov_b32 s13, 0
	s_mov_b32 s23, s19
	s_delay_alu instid0(SALU_CYCLE_1)
	s_mov_b64 s[18:19], s[22:23]
	s_waitcnt lgkmcnt(0)
	s_and_b32 s12, s2, 0xffff
.LBB52_7:
	v_mad_u64_u32 v[3:4], null, s14, s3, v[0:1]
	v_mov_b32_e32 v4, 0
	s_mov_b32 s2, exec_lo
	s_delay_alu instid0(VALU_DEP_1)
	v_cmpx_gt_i64_e64 s[6:7], v[3:4]
	s_cbranch_execz .LBB52_17
; %bb.8:
	v_mov_b32_e32 v2, v4
	s_delay_alu instid0(VALU_DEP_1)
	v_cmp_gt_i64_e32 vcc_lo, s[4:5], v[1:2]
	s_and_b32 exec_lo, exec_lo, vcc_lo
	s_cbranch_execz .LBB52_17
; %bb.9:
	s_waitcnt lgkmcnt(0)
	v_mad_u64_u32 v[5:6], null, v1, s16, 0
	s_load_b32 s0, s[0:1], 0x18
	s_lshl_b64 s[2:3], s[10:11], 2
	v_lshlrev_b64 v[3:4], 2, v[3:4]
	s_add_u32 s2, s8, s2
	s_addc_u32 s3, s9, s3
	v_cmp_lt_u64_e64 s1, s[4:5], 2
	s_delay_alu instid0(VALU_DEP_3) | instskip(NEXT) | instid1(VALU_DEP_1)
	v_mad_u64_u32 v[7:8], null, v1, s17, v[6:7]
	v_mov_b32_e32 v6, v7
	s_delay_alu instid0(VALU_DEP_1) | instskip(NEXT) | instid1(VALU_DEP_1)
	v_lshlrev_b64 v[5:6], 2, v[5:6]
	v_add_co_u32 v5, vcc_lo, s2, v5
	s_delay_alu instid0(VALU_DEP_2) | instskip(NEXT) | instid1(VALU_DEP_2)
	v_add_co_ci_u32_e32 v6, vcc_lo, s3, v6, vcc_lo
	v_add_co_u32 v3, vcc_lo, v5, v3
	s_delay_alu instid0(VALU_DEP_2)
	v_add_co_ci_u32_e32 v4, vcc_lo, v6, v4, vcc_lo
	s_and_b32 vcc_lo, exec_lo, s1
	global_load_b32 v5, v[3:4], off
	s_waitcnt vmcnt(0) lgkmcnt(0)
	v_mul_f32_e32 v7, s0, v5
	s_cbranch_vccnz .LBB52_16
; %bb.10:
	v_lshlrev_b32_e32 v5, 2, v1
	v_lshl_add_u32 v0, v0, 2, 0
	s_add_u32 s0, s4, -1
	s_delay_alu instid0(VALU_DEP_2) | instskip(NEXT) | instid1(VALU_DEP_1)
	v_add_co_u32 v5, s1, s18, v5
	v_add_co_ci_u32_e64 v6, null, s19, 0, s1
	s_addc_u32 s1, s5, -1
	s_lshl_b64 s[2:3], s[12:13], 2
	s_mov_b64 s[4:5], 0
	s_set_inst_prefetch_distance 0x1
	s_branch .LBB52_12
	.p2align	6
.LBB52_11:                              ;   in Loop: Header=BB52_12 Depth=1
	s_or_b32 exec_lo, exec_lo, s6
	v_add_co_u32 v5, vcc_lo, v5, s2
	s_add_u32 s4, s4, 1
	v_add_co_ci_u32_e32 v6, vcc_lo, s3, v6, vcc_lo
	s_addc_u32 s5, s5, 0
	s_delay_alu instid0(SALU_CYCLE_1)
	s_cmp_eq_u64 s[0:1], s[4:5]
	s_cbranch_scc1 .LBB52_16
.LBB52_12:                              ; =>This Inner Loop Header: Depth=1
	s_mov_b32 s6, exec_lo
	s_barrier
	buffer_gl0_inv
	v_cmpx_eq_u64_e64 s[4:5], v[1:2]
	s_cbranch_execz .LBB52_14
; %bb.13:                               ;   in Loop: Header=BB52_12 Depth=1
	ds_store_b32 v0, v7
.LBB52_14:                              ;   in Loop: Header=BB52_12 Depth=1
	s_or_b32 exec_lo, exec_lo, s6
	s_delay_alu instid0(SALU_CYCLE_1)
	s_mov_b32 s6, exec_lo
	s_waitcnt lgkmcnt(0)
	s_barrier
	buffer_gl0_inv
	v_cmpx_lt_u64_e64 s[4:5], v[1:2]
	s_cbranch_execz .LBB52_11
; %bb.15:                               ;   in Loop: Header=BB52_12 Depth=1
	flat_load_b32 v8, v[5:6]
	ds_load_b32 v9, v0
	s_waitcnt vmcnt(0) lgkmcnt(0)
	v_fma_f32 v7, -v8, v9, v7
	s_branch .LBB52_11
.LBB52_16:
	s_set_inst_prefetch_distance 0x2
	global_store_b32 v[3:4], v7, off
.LBB52_17:
	s_nop 0
	s_sendmsg sendmsg(MSG_DEALLOC_VGPRS)
	s_endpgm
	.section	.rodata,"a",@progbits
	.p2align	6, 0x0
	.amdhsa_kernel _ZL39rocblas_trsm_block_forward_substitutionIffPKPKfPKPfLb0ELb1ELb1EEv18rocblas_operation_llT0_T1_lllT2_lllib
		.amdhsa_group_segment_fixed_size 0
		.amdhsa_private_segment_fixed_size 0
		.amdhsa_kernarg_size 360
		.amdhsa_user_sgpr_count 13
		.amdhsa_user_sgpr_dispatch_ptr 0
		.amdhsa_user_sgpr_queue_ptr 0
		.amdhsa_user_sgpr_kernarg_segment_ptr 1
		.amdhsa_user_sgpr_dispatch_id 0
		.amdhsa_user_sgpr_private_segment_size 0
		.amdhsa_wavefront_size32 1
		.amdhsa_uses_dynamic_stack 0
		.amdhsa_enable_private_segment 0
		.amdhsa_system_sgpr_workgroup_id_x 1
		.amdhsa_system_sgpr_workgroup_id_y 1
		.amdhsa_system_sgpr_workgroup_id_z 1
		.amdhsa_system_sgpr_workgroup_info 0
		.amdhsa_system_vgpr_workitem_id 1
		.amdhsa_next_free_vgpr 10
		.amdhsa_next_free_sgpr 24
		.amdhsa_reserve_vcc 1
		.amdhsa_float_round_mode_32 0
		.amdhsa_float_round_mode_16_64 0
		.amdhsa_float_denorm_mode_32 3
		.amdhsa_float_denorm_mode_16_64 3
		.amdhsa_dx10_clamp 1
		.amdhsa_ieee_mode 1
		.amdhsa_fp16_overflow 0
		.amdhsa_workgroup_processor_mode 1
		.amdhsa_memory_ordered 1
		.amdhsa_forward_progress 0
		.amdhsa_shared_vgpr_count 0
		.amdhsa_exception_fp_ieee_invalid_op 0
		.amdhsa_exception_fp_denorm_src 0
		.amdhsa_exception_fp_ieee_div_zero 0
		.amdhsa_exception_fp_ieee_overflow 0
		.amdhsa_exception_fp_ieee_underflow 0
		.amdhsa_exception_fp_ieee_inexact 0
		.amdhsa_exception_int_div_zero 0
	.end_amdhsa_kernel
	.section	.text._ZL39rocblas_trsm_block_forward_substitutionIffPKPKfPKPfLb0ELb1ELb1EEv18rocblas_operation_llT0_T1_lllT2_lllib,"axG",@progbits,_ZL39rocblas_trsm_block_forward_substitutionIffPKPKfPKPfLb0ELb1ELb1EEv18rocblas_operation_llT0_T1_lllT2_lllib,comdat
.Lfunc_end52:
	.size	_ZL39rocblas_trsm_block_forward_substitutionIffPKPKfPKPfLb0ELb1ELb1EEv18rocblas_operation_llT0_T1_lllT2_lllib, .Lfunc_end52-_ZL39rocblas_trsm_block_forward_substitutionIffPKPKfPKPfLb0ELb1ELb1EEv18rocblas_operation_llT0_T1_lllT2_lllib
                                        ; -- End function
	.section	.AMDGPU.csdata,"",@progbits
; Kernel info:
; codeLenInByte = 892
; NumSgprs: 26
; NumVgprs: 10
; ScratchSize: 0
; MemoryBound: 0
; FloatMode: 240
; IeeeMode: 1
; LDSByteSize: 0 bytes/workgroup (compile time only)
; SGPRBlocks: 3
; VGPRBlocks: 1
; NumSGPRsForWavesPerEU: 26
; NumVGPRsForWavesPerEU: 10
; Occupancy: 16
; WaveLimiterHint : 1
; COMPUTE_PGM_RSRC2:SCRATCH_EN: 0
; COMPUTE_PGM_RSRC2:USER_SGPR: 13
; COMPUTE_PGM_RSRC2:TRAP_HANDLER: 0
; COMPUTE_PGM_RSRC2:TGID_X_EN: 1
; COMPUTE_PGM_RSRC2:TGID_Y_EN: 1
; COMPUTE_PGM_RSRC2:TGID_Z_EN: 1
; COMPUTE_PGM_RSRC2:TIDIG_COMP_CNT: 1
	.section	.text._ZL40rocblas_trsm_block_backward_substitutionIffPKPKfPKPfLb0ELb1ELb1EEv18rocblas_operation_llT0_T1_lllT2_lllib,"axG",@progbits,_ZL40rocblas_trsm_block_backward_substitutionIffPKPKfPKPfLb0ELb1ELb1EEv18rocblas_operation_llT0_T1_lllT2_lllib,comdat
	.globl	_ZL40rocblas_trsm_block_backward_substitutionIffPKPKfPKPfLb0ELb1ELb1EEv18rocblas_operation_llT0_T1_lllT2_lllib ; -- Begin function _ZL40rocblas_trsm_block_backward_substitutionIffPKPKfPKPfLb0ELb1ELb1EEv18rocblas_operation_llT0_T1_lllT2_lllib
	.p2align	8
	.type	_ZL40rocblas_trsm_block_backward_substitutionIffPKPKfPKPfLb0ELb1ELb1EEv18rocblas_operation_llT0_T1_lllT2_lllib,@function
_ZL40rocblas_trsm_block_backward_substitutionIffPKPKfPKPfLb0ELb1ELb1EEv18rocblas_operation_llT0_T1_lllT2_lllib: ; @_ZL40rocblas_trsm_block_backward_substitutionIffPKPKfPKPfLb0ELb1ELb1EEv18rocblas_operation_llT0_T1_lllT2_lllib
; %bb.0:
	s_clause 0x1
	s_load_b128 s[16:19], s[0:1], 0x20
	s_load_b64 s[24:25], s[0:1], 0x30
	s_mov_b32 s2, s15
	s_mov_b32 s3, 0
	v_and_b32_e32 v1, 0x3ff, v0
	s_lshl_b64 s[2:3], s[2:3], 3
	v_bfe_u32 v0, v0, 10, 10
	s_waitcnt lgkmcnt(0)
	s_add_u32 s4, s16, s2
	s_addc_u32 s5, s17, s3
	s_lshl_b64 s[16:17], s[18:19], 2
	s_load_b64 s[12:13], s[4:5], 0x0
	s_clause 0x1
	s_load_b128 s[8:11], s[0:1], 0x40
	s_load_b128 s[4:7], s[0:1], 0x8
	s_waitcnt lgkmcnt(0)
	s_add_u32 s12, s12, s16
	s_addc_u32 s13, s13, s17
	s_clause 0x1
	s_load_b32 s16, s[0:1], 0x64
	s_load_b32 s15, s[0:1], 0x74
	s_add_u32 s2, s8, s2
	s_addc_u32 s3, s9, s3
	s_load_b64 s[18:19], s[0:1], 0x50
	s_load_b64 s[8:9], s[2:3], 0x0
	s_add_u32 s20, s0, 0x68
	s_addc_u32 s21, s1, 0
	s_mov_b64 s[2:3], 1
	s_waitcnt lgkmcnt(0)
	s_lshr_b32 s15, s15, 16
	s_bitcmp0_b32 s16, 0
	s_cbranch_scc1 .LBB53_6
; %bb.1:
	v_cmp_lt_i64_e64 s2, s[4:5], 1
	s_lshl_b32 s3, s15, 2
	s_mov_b64 s[16:17], 1
	s_add_i32 s22, s3, 0
	s_delay_alu instid0(VALU_DEP_1)
	s_and_b32 vcc_lo, exec_lo, s2
	s_cbranch_vccnz .LBB53_7
; %bb.2:
	v_mad_u64_u32 v[3:4], null, v1, s24, 0
	s_delay_alu instid0(VALU_DEP_1) | instskip(NEXT) | instid1(VALU_DEP_1)
	v_mov_b32_e32 v2, v4
	v_mad_u64_u32 v[4:5], null, v1, s25, v[2:3]
	v_mov_b32_e32 v2, 0
	s_delay_alu instid0(VALU_DEP_1) | instskip(NEXT) | instid1(VALU_DEP_3)
	v_cmp_gt_u64_e64 s2, s[4:5], v[1:2]
	v_lshlrev_b64 v[5:6], 2, v[3:4]
	v_lshl_add_u32 v4, v1, 2, s22
	s_delay_alu instid0(VALU_DEP_2) | instskip(NEXT) | instid1(VALU_DEP_3)
	v_add_co_u32 v5, vcc_lo, s12, v5
	v_add_co_ci_u32_e32 v6, vcc_lo, s13, v6, vcc_lo
	s_mov_b32 s12, 0
	s_set_inst_prefetch_distance 0x1
	s_branch .LBB53_4
	.p2align	6
.LBB53_3:                               ;   in Loop: Header=BB53_4 Depth=1
	s_or_b32 exec_lo, exec_lo, s3
	s_add_i32 s12, s12, s15
	s_delay_alu instid0(SALU_CYCLE_1) | instskip(NEXT) | instid1(SALU_CYCLE_1)
	s_ashr_i32 s13, s12, 31
	v_cmp_ge_i64_e64 s3, s[12:13], s[4:5]
	s_delay_alu instid0(VALU_DEP_1)
	s_and_b32 vcc_lo, exec_lo, s3
	s_cbranch_vccnz .LBB53_7
.LBB53_4:                               ; =>This Inner Loop Header: Depth=1
	v_add_nc_u32_e32 v2, s12, v0
	s_delay_alu instid0(VALU_DEP_1) | instskip(SKIP_1) | instid1(VALU_DEP_2)
	v_ashrrev_i32_e32 v3, 31, v2
	v_cmp_lt_i32_e64 s3, v1, v2
	v_cmp_gt_i64_e32 vcc_lo, s[4:5], v[2:3]
	s_delay_alu instid0(VALU_DEP_2) | instskip(NEXT) | instid1(SALU_CYCLE_1)
	s_and_b32 s3, s3, vcc_lo
	s_and_b32 s13, s2, s3
	s_delay_alu instid0(SALU_CYCLE_1)
	s_and_saveexec_b32 s3, s13
	s_cbranch_execz .LBB53_3
; %bb.5:                                ;   in Loop: Header=BB53_4 Depth=1
	v_lshlrev_b64 v[7:8], 2, v[2:3]
	s_load_b32 s13, s[20:21], 0xc
	s_delay_alu instid0(VALU_DEP_1) | instskip(NEXT) | instid1(VALU_DEP_2)
	v_add_co_u32 v7, vcc_lo, v5, v7
	v_add_co_ci_u32_e32 v8, vcc_lo, v6, v8, vcc_lo
	global_load_b32 v3, v[7:8], off
	s_waitcnt lgkmcnt(0)
	s_and_b32 s13, s13, 0xffff
	s_delay_alu instid0(SALU_CYCLE_1) | instskip(NEXT) | instid1(VALU_DEP_1)
	v_mul_lo_u32 v2, v2, s13
	v_lshl_add_u32 v2, v2, 2, v4
	s_waitcnt vmcnt(0)
	ds_store_b32 v2, v3
	s_branch .LBB53_3
.LBB53_6:
	s_mov_b64 s[16:17], s[24:25]
	s_branch .LBB53_8
.LBB53_7:
	s_set_inst_prefetch_distance 0x2
	s_load_b32 s12, s[20:21], 0xc
	s_mov_b64 s[2:3], src_shared_base
	s_delay_alu instid0(SALU_CYCLE_1)
	s_mov_b32 s23, s3
	s_waitcnt lgkmcnt(0)
	s_and_b32 s2, s12, 0xffff
	s_mov_b64 s[12:13], s[22:23]
.LBB53_8:
	v_mad_u64_u32 v[3:4], null, s14, s15, v[0:1]
	v_mov_b32_e32 v4, 0
	s_mov_b32 s3, exec_lo
	s_delay_alu instid0(VALU_DEP_1)
	v_cmpx_gt_i64_e64 s[6:7], v[3:4]
	s_cbranch_execz .LBB53_19
; %bb.9:
	v_mov_b32_e32 v2, v4
	s_delay_alu instid0(VALU_DEP_1)
	v_cmp_gt_i64_e32 vcc_lo, s[4:5], v[1:2]
	s_and_b32 exec_lo, exec_lo, vcc_lo
	s_cbranch_execz .LBB53_19
; %bb.10:
	v_mad_u64_u32 v[4:5], null, v3, s18, 0
	s_lshl_b64 s[6:7], s[10:11], 2
	s_load_b32 s0, s[0:1], 0x18
	s_add_u32 s3, s8, s6
	s_addc_u32 s6, s9, s7
	v_cmp_lt_u64_e64 s1, s[4:5], 2
	s_delay_alu instid0(VALU_DEP_2) | instskip(NEXT) | instid1(VALU_DEP_1)
	v_mad_u64_u32 v[6:7], null, v3, s19, v[5:6]
	v_mov_b32_e32 v5, v6
	s_delay_alu instid0(VALU_DEP_1) | instskip(SKIP_1) | instid1(VALU_DEP_2)
	v_lshlrev_b64 v[3:4], 2, v[4:5]
	v_lshlrev_b32_e32 v5, 2, v1
	v_add_co_u32 v3, vcc_lo, s3, v3
	s_delay_alu instid0(VALU_DEP_3) | instskip(NEXT) | instid1(VALU_DEP_2)
	v_add_co_ci_u32_e32 v4, vcc_lo, s6, v4, vcc_lo
	v_add_co_u32 v3, vcc_lo, v3, v5
	s_delay_alu instid0(VALU_DEP_2)
	v_add_co_ci_u32_e32 v4, vcc_lo, 0, v4, vcc_lo
	s_and_b32 vcc_lo, exec_lo, s1
	global_load_b32 v5, v[3:4], off
	s_waitcnt vmcnt(0) lgkmcnt(0)
	v_mul_f32_e32 v7, s0, v5
	s_cbranch_vccnz .LBB53_18
; %bb.11:
	v_mad_u64_u32 v[5:6], null, s16, v1, 0
	s_add_u32 s0, s4, -1
	s_addc_u32 s1, s5, -1
	s_mul_hi_u32 s3, s2, s0
	s_mul_i32 s5, s2, s1
	s_mul_i32 s4, s2, s0
	s_add_i32 s5, s3, s5
	s_delay_alu instid0(VALU_DEP_1)
	v_mad_u64_u32 v[8:9], null, s17, v1, v[6:7]
	s_lshl_b64 s[4:5], s[4:5], 2
	v_lshl_add_u32 v0, v0, 2, 0
	s_add_u32 s3, s12, s4
	s_addc_u32 s4, s13, s5
	s_lshl_b32 s2, s2, 2
	s_delay_alu instid0(VALU_DEP_2) | instskip(NEXT) | instid1(VALU_DEP_1)
	v_mov_b32_e32 v6, v8
	v_lshlrev_b64 v[5:6], 2, v[5:6]
	s_delay_alu instid0(VALU_DEP_1) | instskip(NEXT) | instid1(VALU_DEP_2)
	v_add_co_u32 v5, vcc_lo, s3, v5
	v_add_co_ci_u32_e32 v6, vcc_lo, s4, v6, vcc_lo
	s_sub_u32 s4, 0, s2
	s_subb_u32 s5, 0, 0
	s_set_inst_prefetch_distance 0x1
	.p2align	6
.LBB53_12:                              ; =>This Inner Loop Header: Depth=1
	s_mov_b32 s2, exec_lo
	s_barrier
	buffer_gl0_inv
	v_cmpx_eq_u64_e64 s[0:1], v[1:2]
	s_cbranch_execz .LBB53_14
; %bb.13:                               ;   in Loop: Header=BB53_12 Depth=1
	ds_store_b32 v0, v7
.LBB53_14:                              ;   in Loop: Header=BB53_12 Depth=1
	s_or_b32 exec_lo, exec_lo, s2
	s_delay_alu instid0(SALU_CYCLE_1)
	s_mov_b32 s2, exec_lo
	s_waitcnt lgkmcnt(0)
	s_barrier
	buffer_gl0_inv
	v_cmpx_gt_i64_e64 s[0:1], v[1:2]
	s_cbranch_execz .LBB53_16
; %bb.15:                               ;   in Loop: Header=BB53_12 Depth=1
	flat_load_b32 v8, v[5:6]
	ds_load_b32 v9, v0
	s_waitcnt vmcnt(0) lgkmcnt(0)
	v_fma_f32 v7, -v8, v9, v7
.LBB53_16:                              ;   in Loop: Header=BB53_12 Depth=1
	s_or_b32 exec_lo, exec_lo, s2
	s_add_u32 s2, s0, -1
	s_addc_u32 s3, s1, -1
	s_add_u32 s0, s0, 1
	s_addc_u32 s1, s1, 0
	v_add_co_u32 v5, vcc_lo, v5, s4
	v_cmp_lt_u64_e64 s0, s[0:1], 3
	v_add_co_ci_u32_e32 v6, vcc_lo, s5, v6, vcc_lo
	s_delay_alu instid0(VALU_DEP_2)
	s_and_b32 vcc_lo, exec_lo, s0
	s_cbranch_vccnz .LBB53_18
; %bb.17:                               ;   in Loop: Header=BB53_12 Depth=1
	s_mov_b64 s[0:1], s[2:3]
	s_branch .LBB53_12
.LBB53_18:
	s_set_inst_prefetch_distance 0x2
	global_store_b32 v[3:4], v7, off
.LBB53_19:
	s_nop 0
	s_sendmsg sendmsg(MSG_DEALLOC_VGPRS)
	s_endpgm
	.section	.rodata,"a",@progbits
	.p2align	6, 0x0
	.amdhsa_kernel _ZL40rocblas_trsm_block_backward_substitutionIffPKPKfPKPfLb0ELb1ELb1EEv18rocblas_operation_llT0_T1_lllT2_lllib
		.amdhsa_group_segment_fixed_size 0
		.amdhsa_private_segment_fixed_size 0
		.amdhsa_kernarg_size 360
		.amdhsa_user_sgpr_count 13
		.amdhsa_user_sgpr_dispatch_ptr 0
		.amdhsa_user_sgpr_queue_ptr 0
		.amdhsa_user_sgpr_kernarg_segment_ptr 1
		.amdhsa_user_sgpr_dispatch_id 0
		.amdhsa_user_sgpr_private_segment_size 0
		.amdhsa_wavefront_size32 1
		.amdhsa_uses_dynamic_stack 0
		.amdhsa_enable_private_segment 0
		.amdhsa_system_sgpr_workgroup_id_x 1
		.amdhsa_system_sgpr_workgroup_id_y 1
		.amdhsa_system_sgpr_workgroup_id_z 1
		.amdhsa_system_sgpr_workgroup_info 0
		.amdhsa_system_vgpr_workitem_id 1
		.amdhsa_next_free_vgpr 10
		.amdhsa_next_free_sgpr 26
		.amdhsa_reserve_vcc 1
		.amdhsa_float_round_mode_32 0
		.amdhsa_float_round_mode_16_64 0
		.amdhsa_float_denorm_mode_32 3
		.amdhsa_float_denorm_mode_16_64 3
		.amdhsa_dx10_clamp 1
		.amdhsa_ieee_mode 1
		.amdhsa_fp16_overflow 0
		.amdhsa_workgroup_processor_mode 1
		.amdhsa_memory_ordered 1
		.amdhsa_forward_progress 0
		.amdhsa_shared_vgpr_count 0
		.amdhsa_exception_fp_ieee_invalid_op 0
		.amdhsa_exception_fp_denorm_src 0
		.amdhsa_exception_fp_ieee_div_zero 0
		.amdhsa_exception_fp_ieee_overflow 0
		.amdhsa_exception_fp_ieee_underflow 0
		.amdhsa_exception_fp_ieee_inexact 0
		.amdhsa_exception_int_div_zero 0
	.end_amdhsa_kernel
	.section	.text._ZL40rocblas_trsm_block_backward_substitutionIffPKPKfPKPfLb0ELb1ELb1EEv18rocblas_operation_llT0_T1_lllT2_lllib,"axG",@progbits,_ZL40rocblas_trsm_block_backward_substitutionIffPKPKfPKPfLb0ELb1ELb1EEv18rocblas_operation_llT0_T1_lllT2_lllib,comdat
.Lfunc_end53:
	.size	_ZL40rocblas_trsm_block_backward_substitutionIffPKPKfPKPfLb0ELb1ELb1EEv18rocblas_operation_llT0_T1_lllT2_lllib, .Lfunc_end53-_ZL40rocblas_trsm_block_backward_substitutionIffPKPKfPKPfLb0ELb1ELb1EEv18rocblas_operation_llT0_T1_lllT2_lllib
                                        ; -- End function
	.section	.AMDGPU.csdata,"",@progbits
; Kernel info:
; codeLenInByte = 992
; NumSgprs: 28
; NumVgprs: 10
; ScratchSize: 0
; MemoryBound: 0
; FloatMode: 240
; IeeeMode: 1
; LDSByteSize: 0 bytes/workgroup (compile time only)
; SGPRBlocks: 3
; VGPRBlocks: 1
; NumSGPRsForWavesPerEU: 28
; NumVGPRsForWavesPerEU: 10
; Occupancy: 16
; WaveLimiterHint : 1
; COMPUTE_PGM_RSRC2:SCRATCH_EN: 0
; COMPUTE_PGM_RSRC2:USER_SGPR: 13
; COMPUTE_PGM_RSRC2:TRAP_HANDLER: 0
; COMPUTE_PGM_RSRC2:TGID_X_EN: 1
; COMPUTE_PGM_RSRC2:TGID_Y_EN: 1
; COMPUTE_PGM_RSRC2:TGID_Z_EN: 1
; COMPUTE_PGM_RSRC2:TIDIG_COMP_CNT: 1
	.section	.text._ZL39rocblas_trsm_block_forward_substitutionIffPKPKfPKPfLb1ELb1ELb0EEv18rocblas_operation_llT0_T1_lllT2_lllib,"axG",@progbits,_ZL39rocblas_trsm_block_forward_substitutionIffPKPKfPKPfLb1ELb1ELb0EEv18rocblas_operation_llT0_T1_lllT2_lllib,comdat
	.globl	_ZL39rocblas_trsm_block_forward_substitutionIffPKPKfPKPfLb1ELb1ELb0EEv18rocblas_operation_llT0_T1_lllT2_lllib ; -- Begin function _ZL39rocblas_trsm_block_forward_substitutionIffPKPKfPKPfLb1ELb1ELb0EEv18rocblas_operation_llT0_T1_lllT2_lllib
	.p2align	8
	.type	_ZL39rocblas_trsm_block_forward_substitutionIffPKPKfPKPfLb1ELb1ELb0EEv18rocblas_operation_llT0_T1_lllT2_lllib,@function
_ZL39rocblas_trsm_block_forward_substitutionIffPKPKfPKPfLb1ELb1ELb0EEv18rocblas_operation_llT0_T1_lllT2_lllib: ; @_ZL39rocblas_trsm_block_forward_substitutionIffPKPKfPKPfLb1ELb1ELb0EEv18rocblas_operation_llT0_T1_lllT2_lllib
; %bb.0:
	s_mov_b32 s4, s15
	s_clause 0x2
	s_load_b32 s3, s[0:1], 0x64
	s_load_b128 s[16:19], s[0:1], 0x20
	s_load_b32 s15, s[0:1], 0x74
	s_mov_b32 s5, 0
	s_load_b64 s[26:27], s[0:1], 0x30
	v_and_b32_e32 v1, 0x3ff, v0
	v_bfe_u32 v0, v0, 10, 10
	s_waitcnt lgkmcnt(0)
	s_bitcmp1_b32 s3, 0
	s_cselect_b32 s2, -1, 0
	s_lshl_b64 s[20:21], s[4:5], 3
	s_delay_alu instid0(SALU_CYCLE_1)
	s_add_u32 s4, s16, s20
	s_addc_u32 s5, s17, s21
	s_load_b64 s[12:13], s[4:5], 0x0
	s_clause 0x1
	s_load_b128 s[8:11], s[0:1], 0x40
	s_load_b128 s[4:7], s[0:1], 0x8
	s_lshl_b64 s[16:17], s[18:19], 2
	s_waitcnt lgkmcnt(0)
	s_add_u32 s12, s12, s16
	s_addc_u32 s13, s13, s17
	s_add_u32 s8, s8, s20
	s_addc_u32 s9, s9, s21
	s_load_b64 s[18:19], s[0:1], 0x50
	s_load_b64 s[16:17], s[8:9], 0x0
	s_add_u32 s22, s0, 0x68
	s_addc_u32 s23, s1, 0
	s_lshr_b32 s15, s15, 16
	s_bitcmp0_b32 s3, 0
	s_mov_b64 s[20:21], 1
	s_cbranch_scc1 .LBB54_12
; %bb.1:
	v_cmp_lt_i64_e64 s3, s[4:5], 1
	s_lshl_b32 s8, s15, 2
	s_delay_alu instid0(SALU_CYCLE_1) | instskip(SKIP_1) | instid1(VALU_DEP_1)
	s_add_i32 s24, s8, 0
	s_mov_b64 s[8:9], 1
	s_and_b32 vcc_lo, exec_lo, s3
	s_cbranch_vccnz .LBB54_13
; %bb.2:
	v_mad_u64_u32 v[2:3], null, v1, s26, 0
	s_delay_alu instid0(VALU_DEP_1) | instskip(SKIP_1) | instid1(VALU_DEP_2)
	v_mad_u64_u32 v[4:5], null, v1, s27, v[3:4]
	v_lshlrev_b32_e32 v5, 2, v1
	v_mov_b32_e32 v3, v4
	s_delay_alu instid0(VALU_DEP_1) | instskip(SKIP_1) | instid1(VALU_DEP_2)
	v_lshlrev_b64 v[3:4], 2, v[2:3]
	v_mov_b32_e32 v2, 0
	v_add_co_u32 v7, vcc_lo, s12, v3
	s_delay_alu instid0(VALU_DEP_3) | instskip(NEXT) | instid1(VALU_DEP_3)
	v_add_co_ci_u32_e32 v8, vcc_lo, s13, v4, vcc_lo
	v_cmp_le_u64_e32 vcc_lo, s[4:5], v[1:2]
	v_mov_b32_e32 v4, v0
	s_delay_alu instid0(VALU_DEP_4)
	v_add_co_u32 v2, s3, v7, v5
	v_add_nc_u32_e32 v6, s24, v5
	v_add_co_ci_u32_e64 v3, s3, 0, v8, s3
	s_xor_b32 s3, vcc_lo, -1
	s_mov_b32 s12, s15
	s_branch .LBB54_4
.LBB54_3:                               ;   in Loop: Header=BB54_4 Depth=1
	s_or_b32 exec_lo, exec_lo, s20
	s_ashr_i32 s13, s12, 31
	v_add_nc_u32_e32 v4, s15, v4
	v_cmp_ge_i64_e64 s13, s[12:13], s[4:5]
	s_add_i32 s12, s12, s15
	s_delay_alu instid0(VALU_DEP_1)
	s_and_b32 vcc_lo, exec_lo, s13
	s_cbranch_vccnz .LBB54_13
.LBB54_4:                               ; =>This Inner Loop Header: Depth=1
	v_cmp_gt_i32_e32 vcc_lo, v1, v4
	s_mov_b32 s13, 0
                                        ; implicit-def: $vgpr5
	s_and_b32 s20, s3, vcc_lo
	s_delay_alu instid0(SALU_CYCLE_1) | instskip(NEXT) | instid1(SALU_CYCLE_1)
	s_and_saveexec_b32 s21, s20
	s_xor_b32 s20, exec_lo, s21
	s_cbranch_execnz .LBB54_7
; %bb.5:                                ;   in Loop: Header=BB54_4 Depth=1
	s_or_saveexec_b32 s20, s20
	v_mov_b32_e32 v9, v4
	s_xor_b32 exec_lo, exec_lo, s20
	s_cbranch_execnz .LBB54_8
.LBB54_6:                               ;   in Loop: Header=BB54_4 Depth=1
	s_or_b32 exec_lo, exec_lo, s20
	s_and_saveexec_b32 s20, s13
	s_cbranch_execz .LBB54_3
	s_branch .LBB54_11
.LBB54_7:                               ;   in Loop: Header=BB54_4 Depth=1
	s_waitcnt vmcnt(0)
	v_ashrrev_i32_e32 v5, 31, v4
	s_mov_b32 s13, exec_lo
	s_delay_alu instid0(VALU_DEP_1) | instskip(NEXT) | instid1(VALU_DEP_1)
	v_lshlrev_b64 v[9:10], 2, v[4:5]
	v_add_co_u32 v9, vcc_lo, v7, v9
	s_delay_alu instid0(VALU_DEP_2)
	v_add_co_ci_u32_e32 v10, vcc_lo, v8, v10, vcc_lo
	global_load_b32 v5, v[9:10], off
	s_or_saveexec_b32 s20, s20
	v_mov_b32_e32 v9, v4
	s_xor_b32 exec_lo, exec_lo, s20
	s_cbranch_execz .LBB54_6
.LBB54_8:                               ;   in Loop: Header=BB54_4 Depth=1
	v_cmp_eq_u32_e32 vcc_lo, v1, v4
	s_mov_b32 s25, s13
                                        ; implicit-def: $vgpr5
	s_and_b32 s26, s3, vcc_lo
	s_delay_alu instid0(SALU_CYCLE_1)
	s_and_saveexec_b32 s21, s26
	s_cbranch_execz .LBB54_10
; %bb.9:                                ;   in Loop: Header=BB54_4 Depth=1
	global_load_b32 v5, v[2:3], off
	s_or_b32 s25, s13, exec_lo
	s_waitcnt vmcnt(0)
	v_div_scale_f32 v9, null, v5, v5, 1.0
	s_delay_alu instid0(VALU_DEP_1) | instskip(SKIP_2) | instid1(VALU_DEP_1)
	v_rcp_f32_e32 v10, v9
	s_waitcnt_depctr 0xfff
	v_fma_f32 v11, -v9, v10, 1.0
	v_fmac_f32_e32 v10, v11, v10
	v_div_scale_f32 v11, vcc_lo, 1.0, v5, 1.0
	s_delay_alu instid0(VALU_DEP_1) | instskip(NEXT) | instid1(VALU_DEP_1)
	v_mul_f32_e32 v12, v11, v10
	v_fma_f32 v13, -v9, v12, v11
	s_delay_alu instid0(VALU_DEP_1) | instskip(NEXT) | instid1(VALU_DEP_1)
	v_fmac_f32_e32 v12, v13, v10
	v_fma_f32 v9, -v9, v12, v11
	s_delay_alu instid0(VALU_DEP_1) | instskip(NEXT) | instid1(VALU_DEP_1)
	v_div_fmas_f32 v9, v9, v10, v12
	v_div_fixup_f32 v5, v9, v5, 1.0
.LBB54_10:                              ;   in Loop: Header=BB54_4 Depth=1
	s_or_b32 exec_lo, exec_lo, s21
	v_mov_b32_e32 v9, v1
	s_and_not1_b32 s13, s13, exec_lo
	s_and_b32 s21, s25, exec_lo
	s_delay_alu instid0(SALU_CYCLE_1)
	s_or_b32 s13, s13, s21
	s_or_b32 exec_lo, exec_lo, s20
	s_and_saveexec_b32 s20, s13
	s_cbranch_execz .LBB54_3
.LBB54_11:                              ;   in Loop: Header=BB54_4 Depth=1
	s_load_b32 s13, s[22:23], 0xc
	s_waitcnt lgkmcnt(0)
	s_and_b32 s13, s13, 0xffff
	s_delay_alu instid0(SALU_CYCLE_1) | instskip(NEXT) | instid1(VALU_DEP_1)
	v_mul_lo_u32 v9, v9, s13
	v_lshl_add_u32 v9, v9, 2, v6
	s_waitcnt vmcnt(0)
	ds_store_b32 v9, v5
	s_branch .LBB54_3
.LBB54_12:
	s_mov_b64 s[8:9], s[26:27]
	s_branch .LBB54_14
.LBB54_13:
	s_load_b32 s3, s[22:23], 0xc
	s_mov_b64 s[12:13], src_shared_base
	s_mov_b32 s21, 0
	s_mov_b32 s25, s13
	s_delay_alu instid0(SALU_CYCLE_1)
	s_mov_b64 s[12:13], s[24:25]
	s_waitcnt lgkmcnt(0)
	s_and_b32 s20, s3, 0xffff
.LBB54_14:
	v_mad_u64_u32 v[3:4], null, s14, s15, v[0:1]
	v_mov_b32_e32 v4, 0
	s_mov_b32 s3, exec_lo
	s_delay_alu instid0(VALU_DEP_1)
	v_cmpx_gt_i64_e64 s[6:7], v[3:4]
	s_cbranch_execz .LBB54_26
; %bb.15:
	v_mov_b32_e32 v2, v4
	s_delay_alu instid0(VALU_DEP_1)
	v_cmp_gt_i64_e32 vcc_lo, s[4:5], v[1:2]
	s_and_b32 exec_lo, exec_lo, vcc_lo
	s_cbranch_execz .LBB54_26
; %bb.16:
	s_waitcnt vmcnt(0) lgkmcnt(0)
	v_mad_u64_u32 v[5:6], null, v1, s18, 0
	s_lshl_b64 s[6:7], s[10:11], 2
	v_lshlrev_b64 v[3:4], 2, v[3:4]
	s_add_u32 s3, s16, s6
	s_addc_u32 s6, s17, s7
	s_delay_alu instid0(VALU_DEP_2) | instskip(NEXT) | instid1(VALU_DEP_1)
	v_mad_u64_u32 v[7:8], null, v1, s19, v[6:7]
	v_mov_b32_e32 v6, v7
	s_delay_alu instid0(VALU_DEP_1) | instskip(NEXT) | instid1(VALU_DEP_1)
	v_lshlrev_b64 v[5:6], 2, v[5:6]
	v_add_co_u32 v5, vcc_lo, s3, v5
	s_delay_alu instid0(VALU_DEP_2) | instskip(SKIP_1) | instid1(VALU_DEP_2)
	v_add_co_ci_u32_e32 v6, vcc_lo, s6, v6, vcc_lo
	s_load_b32 s3, s[0:1], 0x18
	v_add_co_u32 v3, vcc_lo, v5, v3
	s_delay_alu instid0(VALU_DEP_2)
	v_add_co_ci_u32_e32 v4, vcc_lo, v6, v4, vcc_lo
	v_cmp_lt_u64_e64 s6, s[4:5], 2
	s_add_u32 s0, s4, -1
	s_addc_u32 s1, s5, -1
	global_load_b32 v5, v[3:4], off
	s_and_b32 vcc_lo, exec_lo, s6
	s_waitcnt vmcnt(0) lgkmcnt(0)
	v_mul_f32_e32 v9, s3, v5
	s_cbranch_vccnz .LBB54_23
; %bb.17:
	s_add_u32 s3, s20, s8
	v_mad_u64_u32 v[7:8], null, s8, v1, 0
	v_mad_u64_u32 v[5:6], null, s3, v1, 0
	s_addc_u32 s3, s21, s9
	v_lshl_add_u32 v0, v0, 2, 0
	s_mov_b64 s[4:5], 0
	s_delay_alu instid0(VALU_DEP_2) | instskip(NEXT) | instid1(VALU_DEP_4)
	v_mad_u64_u32 v[10:11], null, s3, v1, v[6:7]
	v_mad_u64_u32 v[11:12], null, s9, v1, v[8:9]
	s_lshl_b32 s3, s20, 2
	s_delay_alu instid0(VALU_DEP_2) | instskip(NEXT) | instid1(VALU_DEP_2)
	v_mov_b32_e32 v6, v10
	v_mov_b32_e32 v8, v11
	s_delay_alu instid0(VALU_DEP_2) | instskip(NEXT) | instid1(VALU_DEP_2)
	v_lshlrev_b64 v[5:6], 2, v[5:6]
	v_lshlrev_b64 v[7:8], 2, v[7:8]
	s_delay_alu instid0(VALU_DEP_2) | instskip(NEXT) | instid1(VALU_DEP_3)
	v_add_co_u32 v5, vcc_lo, s12, v5
	v_add_co_ci_u32_e32 v6, vcc_lo, s13, v6, vcc_lo
	s_delay_alu instid0(VALU_DEP_3) | instskip(NEXT) | instid1(VALU_DEP_4)
	v_add_co_u32 v7, vcc_lo, s12, v7
	v_add_co_ci_u32_e32 v8, vcc_lo, s13, v8, vcc_lo
	s_branch .LBB54_19
.LBB54_18:                              ;   in Loop: Header=BB54_19 Depth=1
	s_or_b32 exec_lo, exec_lo, s6
	v_add_co_u32 v7, vcc_lo, v7, s3
	s_add_u32 s4, s4, 1
	v_add_co_ci_u32_e32 v8, vcc_lo, 0, v8, vcc_lo
	s_addc_u32 s5, s5, 0
	s_delay_alu instid0(SALU_CYCLE_1)
	s_cmp_eq_u64 s[0:1], s[4:5]
	s_cbranch_scc1 .LBB54_23
.LBB54_19:                              ; =>This Inner Loop Header: Depth=1
	s_mov_b32 s6, exec_lo
	s_barrier
	buffer_gl0_inv
	v_cmpx_eq_u64_e64 s[4:5], v[1:2]
	s_cbranch_execz .LBB54_21
; %bb.20:                               ;   in Loop: Header=BB54_19 Depth=1
	flat_load_b32 v10, v[5:6]
	s_waitcnt vmcnt(0) lgkmcnt(0)
	v_div_scale_f32 v11, null, v10, v10, 1.0
	s_delay_alu instid0(VALU_DEP_1) | instskip(SKIP_2) | instid1(VALU_DEP_1)
	v_rcp_f32_e32 v12, v11
	s_waitcnt_depctr 0xfff
	v_fma_f32 v13, -v11, v12, 1.0
	v_fmac_f32_e32 v12, v13, v12
	v_div_scale_f32 v13, vcc_lo, 1.0, v10, 1.0
	s_delay_alu instid0(VALU_DEP_1) | instskip(NEXT) | instid1(VALU_DEP_1)
	v_mul_f32_e32 v14, v13, v12
	v_fma_f32 v15, -v11, v14, v13
	s_delay_alu instid0(VALU_DEP_1) | instskip(NEXT) | instid1(VALU_DEP_1)
	v_fmac_f32_e32 v14, v15, v12
	v_fma_f32 v11, -v11, v14, v13
	s_delay_alu instid0(VALU_DEP_1) | instskip(NEXT) | instid1(VALU_DEP_1)
	v_div_fmas_f32 v11, v11, v12, v14
	v_div_fixup_f32 v11, v11, v10, 1.0
	s_delay_alu instid0(VALU_DEP_1) | instskip(NEXT) | instid1(VALU_DEP_1)
	v_cndmask_b32_e64 v10, v11, v10, s2
	v_mul_f32_e32 v9, v9, v10
	ds_store_b32 v0, v9
.LBB54_21:                              ;   in Loop: Header=BB54_19 Depth=1
	s_or_b32 exec_lo, exec_lo, s6
	s_delay_alu instid0(SALU_CYCLE_1)
	s_mov_b32 s6, exec_lo
	s_waitcnt lgkmcnt(0)
	s_barrier
	buffer_gl0_inv
	v_cmpx_lt_u64_e64 s[4:5], v[1:2]
	s_cbranch_execz .LBB54_18
; %bb.22:                               ;   in Loop: Header=BB54_19 Depth=1
	flat_load_b32 v10, v[7:8]
	ds_load_b32 v11, v0
	s_waitcnt vmcnt(0) lgkmcnt(0)
	v_fma_f32 v9, -v10, v11, v9
	s_branch .LBB54_18
.LBB54_23:
	v_cmp_eq_u64_e32 vcc_lo, s[0:1], v[1:2]
	s_and_saveexec_b32 s0, vcc_lo
	s_cbranch_execz .LBB54_25
; %bb.24:
	s_add_u32 s1, s20, s8
	s_delay_alu instid0(SALU_CYCLE_1) | instskip(SKIP_1) | instid1(VALU_DEP_1)
	v_mad_u64_u32 v[5:6], null, s1, v1, 0
	s_addc_u32 s1, s21, s9
	v_mov_b32_e32 v0, v6
	s_delay_alu instid0(VALU_DEP_1) | instskip(NEXT) | instid1(VALU_DEP_1)
	v_mad_u64_u32 v[6:7], null, s1, v1, v[0:1]
	v_lshlrev_b64 v[0:1], 2, v[5:6]
	s_delay_alu instid0(VALU_DEP_1) | instskip(NEXT) | instid1(VALU_DEP_2)
	v_add_co_u32 v0, vcc_lo, s12, v0
	v_add_co_ci_u32_e32 v1, vcc_lo, s13, v1, vcc_lo
	flat_load_b32 v0, v[0:1]
	s_waitcnt vmcnt(0) lgkmcnt(0)
	v_div_scale_f32 v1, null, v0, v0, 1.0
	s_delay_alu instid0(VALU_DEP_1) | instskip(SKIP_2) | instid1(VALU_DEP_1)
	v_rcp_f32_e32 v2, v1
	s_waitcnt_depctr 0xfff
	v_fma_f32 v5, -v1, v2, 1.0
	v_fmac_f32_e32 v2, v5, v2
	v_div_scale_f32 v5, vcc_lo, 1.0, v0, 1.0
	s_delay_alu instid0(VALU_DEP_1) | instskip(NEXT) | instid1(VALU_DEP_1)
	v_mul_f32_e32 v6, v5, v2
	v_fma_f32 v7, -v1, v6, v5
	s_delay_alu instid0(VALU_DEP_1) | instskip(NEXT) | instid1(VALU_DEP_1)
	v_fmac_f32_e32 v6, v7, v2
	v_fma_f32 v1, -v1, v6, v5
	s_delay_alu instid0(VALU_DEP_1) | instskip(NEXT) | instid1(VALU_DEP_1)
	v_div_fmas_f32 v1, v1, v2, v6
	v_div_fixup_f32 v1, v1, v0, 1.0
	s_delay_alu instid0(VALU_DEP_1) | instskip(NEXT) | instid1(VALU_DEP_1)
	v_cndmask_b32_e64 v0, v1, v0, s2
	v_mul_f32_e32 v9, v9, v0
.LBB54_25:
	s_or_b32 exec_lo, exec_lo, s0
	global_store_b32 v[3:4], v9, off
.LBB54_26:
	s_nop 0
	s_sendmsg sendmsg(MSG_DEALLOC_VGPRS)
	s_endpgm
	.section	.rodata,"a",@progbits
	.p2align	6, 0x0
	.amdhsa_kernel _ZL39rocblas_trsm_block_forward_substitutionIffPKPKfPKPfLb1ELb1ELb0EEv18rocblas_operation_llT0_T1_lllT2_lllib
		.amdhsa_group_segment_fixed_size 0
		.amdhsa_private_segment_fixed_size 0
		.amdhsa_kernarg_size 360
		.amdhsa_user_sgpr_count 13
		.amdhsa_user_sgpr_dispatch_ptr 0
		.amdhsa_user_sgpr_queue_ptr 0
		.amdhsa_user_sgpr_kernarg_segment_ptr 1
		.amdhsa_user_sgpr_dispatch_id 0
		.amdhsa_user_sgpr_private_segment_size 0
		.amdhsa_wavefront_size32 1
		.amdhsa_uses_dynamic_stack 0
		.amdhsa_enable_private_segment 0
		.amdhsa_system_sgpr_workgroup_id_x 1
		.amdhsa_system_sgpr_workgroup_id_y 1
		.amdhsa_system_sgpr_workgroup_id_z 1
		.amdhsa_system_sgpr_workgroup_info 0
		.amdhsa_system_vgpr_workitem_id 1
		.amdhsa_next_free_vgpr 16
		.amdhsa_next_free_sgpr 28
		.amdhsa_reserve_vcc 1
		.amdhsa_float_round_mode_32 0
		.amdhsa_float_round_mode_16_64 0
		.amdhsa_float_denorm_mode_32 3
		.amdhsa_float_denorm_mode_16_64 3
		.amdhsa_dx10_clamp 1
		.amdhsa_ieee_mode 1
		.amdhsa_fp16_overflow 0
		.amdhsa_workgroup_processor_mode 1
		.amdhsa_memory_ordered 1
		.amdhsa_forward_progress 0
		.amdhsa_shared_vgpr_count 0
		.amdhsa_exception_fp_ieee_invalid_op 0
		.amdhsa_exception_fp_denorm_src 0
		.amdhsa_exception_fp_ieee_div_zero 0
		.amdhsa_exception_fp_ieee_overflow 0
		.amdhsa_exception_fp_ieee_underflow 0
		.amdhsa_exception_fp_ieee_inexact 0
		.amdhsa_exception_int_div_zero 0
	.end_amdhsa_kernel
	.section	.text._ZL39rocblas_trsm_block_forward_substitutionIffPKPKfPKPfLb1ELb1ELb0EEv18rocblas_operation_llT0_T1_lllT2_lllib,"axG",@progbits,_ZL39rocblas_trsm_block_forward_substitutionIffPKPKfPKPfLb1ELb1ELb0EEv18rocblas_operation_llT0_T1_lllT2_lllib,comdat
.Lfunc_end54:
	.size	_ZL39rocblas_trsm_block_forward_substitutionIffPKPKfPKPfLb1ELb1ELb0EEv18rocblas_operation_llT0_T1_lllT2_lllib, .Lfunc_end54-_ZL39rocblas_trsm_block_forward_substitutionIffPKPKfPKPfLb1ELb1ELb0EEv18rocblas_operation_llT0_T1_lllT2_lllib
                                        ; -- End function
	.section	.AMDGPU.csdata,"",@progbits
; Kernel info:
; codeLenInByte = 1552
; NumSgprs: 30
; NumVgprs: 16
; ScratchSize: 0
; MemoryBound: 0
; FloatMode: 240
; IeeeMode: 1
; LDSByteSize: 0 bytes/workgroup (compile time only)
; SGPRBlocks: 3
; VGPRBlocks: 1
; NumSGPRsForWavesPerEU: 30
; NumVGPRsForWavesPerEU: 16
; Occupancy: 16
; WaveLimiterHint : 1
; COMPUTE_PGM_RSRC2:SCRATCH_EN: 0
; COMPUTE_PGM_RSRC2:USER_SGPR: 13
; COMPUTE_PGM_RSRC2:TRAP_HANDLER: 0
; COMPUTE_PGM_RSRC2:TGID_X_EN: 1
; COMPUTE_PGM_RSRC2:TGID_Y_EN: 1
; COMPUTE_PGM_RSRC2:TGID_Z_EN: 1
; COMPUTE_PGM_RSRC2:TIDIG_COMP_CNT: 1
	.section	.text._ZL40rocblas_trsm_block_backward_substitutionIffPKPKfPKPfLb1ELb1ELb0EEv18rocblas_operation_llT0_T1_lllT2_lllib,"axG",@progbits,_ZL40rocblas_trsm_block_backward_substitutionIffPKPKfPKPfLb1ELb1ELb0EEv18rocblas_operation_llT0_T1_lllT2_lllib,comdat
	.globl	_ZL40rocblas_trsm_block_backward_substitutionIffPKPKfPKPfLb1ELb1ELb0EEv18rocblas_operation_llT0_T1_lllT2_lllib ; -- Begin function _ZL40rocblas_trsm_block_backward_substitutionIffPKPKfPKPfLb1ELb1ELb0EEv18rocblas_operation_llT0_T1_lllT2_lllib
	.p2align	8
	.type	_ZL40rocblas_trsm_block_backward_substitutionIffPKPKfPKPfLb1ELb1ELb0EEv18rocblas_operation_llT0_T1_lllT2_lllib,@function
_ZL40rocblas_trsm_block_backward_substitutionIffPKPKfPKPfLb1ELb1ELb0EEv18rocblas_operation_llT0_T1_lllT2_lllib: ; @_ZL40rocblas_trsm_block_backward_substitutionIffPKPKfPKPfLb1ELb1ELb0EEv18rocblas_operation_llT0_T1_lllT2_lllib
; %bb.0:
	s_mov_b32 s4, s15
	s_clause 0x2
	s_load_b32 s3, s[0:1], 0x64
	s_load_b128 s[16:19], s[0:1], 0x20
	s_load_b32 s15, s[0:1], 0x74
	s_mov_b32 s5, 0
	s_load_b64 s[12:13], s[0:1], 0x30
	v_and_b32_e32 v1, 0x3ff, v0
	v_bfe_u32 v0, v0, 10, 10
	s_waitcnt lgkmcnt(0)
	s_bitcmp1_b32 s3, 0
	s_cselect_b32 s2, -1, 0
	s_lshl_b64 s[22:23], s[4:5], 3
	s_delay_alu instid0(SALU_CYCLE_1)
	s_add_u32 s4, s16, s22
	s_addc_u32 s5, s17, s23
	s_load_b64 s[16:17], s[4:5], 0x0
	s_clause 0x1
	s_load_b128 s[4:7], s[0:1], 0x40
	s_load_b128 s[8:11], s[0:1], 0x8
	s_lshl_b64 s[18:19], s[18:19], 2
	s_waitcnt lgkmcnt(0)
	s_add_u32 s20, s16, s18
	s_addc_u32 s21, s17, s19
	s_add_u32 s4, s4, s22
	s_addc_u32 s5, s5, s23
	s_load_b64 s[18:19], s[0:1], 0x50
	s_load_b64 s[16:17], s[4:5], 0x0
	s_add_u32 s22, s0, 0x68
	s_addc_u32 s23, s1, 0
	s_lshr_b32 s5, s15, 16
	s_bitcmp0_b32 s3, 0
	s_cbranch_scc1 .LBB55_15
; %bb.1:
	v_cmp_lt_i64_e64 s3, s[8:9], 1
	s_lshl_b32 s4, s5, 2
	s_delay_alu instid0(SALU_CYCLE_1) | instskip(NEXT) | instid1(VALU_DEP_1)
	s_add_i32 s24, s4, 0
	s_and_b32 vcc_lo, exec_lo, s3
	s_cbranch_vccnz .LBB55_14
; %bb.2:
	v_mad_u64_u32 v[3:4], null, v1, s12, 0
	s_delay_alu instid0(VALU_DEP_1) | instskip(NEXT) | instid1(VALU_DEP_1)
	v_mov_b32_e32 v2, v4
	v_mad_u64_u32 v[4:5], null, v1, s13, v[2:3]
	v_dual_mov_b32 v2, 0 :: v_dual_lshlrev_b32 v5, 2, v1
	s_delay_alu instid0(VALU_DEP_1) | instskip(NEXT) | instid1(VALU_DEP_3)
	v_add_co_u32 v7, s3, s20, v5
	v_lshlrev_b64 v[3:4], 2, v[3:4]
	v_add_co_ci_u32_e64 v8, null, s21, 0, s3
	s_delay_alu instid0(VALU_DEP_4)
	v_cmp_le_u64_e64 s15, s[8:9], v[1:2]
	v_cmp_gt_u64_e64 s3, s[8:9], v[1:2]
	v_add_nc_u32_e32 v6, s24, v5
	v_add_co_u32 v2, vcc_lo, v7, v3
	v_add_co_ci_u32_e32 v3, vcc_lo, v8, v4, vcc_lo
	v_mov_b32_e32 v4, v0
	s_xor_b32 s25, s15, -1
	s_mov_b32 s20, s5
	s_branch .LBB55_4
.LBB55_3:                               ;   in Loop: Header=BB55_4 Depth=1
	s_or_b32 exec_lo, exec_lo, s21
	s_ashr_i32 s21, s20, 31
	v_add_nc_u32_e32 v4, s5, v4
	v_cmp_ge_i64_e64 s4, s[20:21], s[8:9]
	s_add_i32 s20, s20, s5
	s_delay_alu instid0(VALU_DEP_1)
	s_and_b32 vcc_lo, exec_lo, s4
	s_cbranch_vccnz .LBB55_14
.LBB55_4:                               ; =>This Inner Loop Header: Depth=1
	s_mov_b32 s26, s15
	s_mov_b32 s4, 0
                                        ; implicit-def: $vgpr9
                                        ; implicit-def: $vgpr5
	s_and_saveexec_b32 s21, s3
	s_cbranch_execnz .LBB55_7
; %bb.5:                                ;   in Loop: Header=BB55_4 Depth=1
	s_or_b32 exec_lo, exec_lo, s21
	s_and_saveexec_b32 s21, s26
	s_cbranch_execnz .LBB55_10
.LBB55_6:                               ;   in Loop: Header=BB55_4 Depth=1
	s_or_b32 exec_lo, exec_lo, s21
	s_and_saveexec_b32 s21, s4
	s_cbranch_execz .LBB55_3
	s_branch .LBB55_13
.LBB55_7:                               ;   in Loop: Header=BB55_4 Depth=1
	v_ashrrev_i32_e32 v5, 31, v4
	v_cmp_lt_i32_e64 s4, v1, v4
	s_mov_b32 s26, -1
                                        ; implicit-def: $vgpr9
	s_delay_alu instid0(VALU_DEP_2) | instskip(NEXT) | instid1(VALU_DEP_2)
	v_cmp_gt_i64_e32 vcc_lo, s[8:9], v[4:5]
	s_and_b32 s28, s4, vcc_lo
	s_mov_b32 s4, 0
	s_and_saveexec_b32 s27, s28
	s_cbranch_execz .LBB55_9
; %bb.8:                                ;   in Loop: Header=BB55_4 Depth=1
	v_mul_lo_u32 v5, v5, s12
	v_mul_lo_u32 v11, v4, s13
	s_waitcnt vmcnt(0)
	v_mad_u64_u32 v[9:10], null, v4, s12, 0
	s_mov_b32 s4, exec_lo
	s_xor_b32 s26, exec_lo, -1
	s_delay_alu instid0(VALU_DEP_1) | instskip(NEXT) | instid1(VALU_DEP_1)
	v_add3_u32 v10, v10, v11, v5
	v_lshlrev_b64 v[9:10], 2, v[9:10]
	s_delay_alu instid0(VALU_DEP_1) | instskip(NEXT) | instid1(VALU_DEP_2)
	v_add_co_u32 v9, vcc_lo, v7, v9
	v_add_co_ci_u32_e32 v10, vcc_lo, v8, v10, vcc_lo
	global_load_b32 v9, v[9:10], off
.LBB55_9:                               ;   in Loop: Header=BB55_4 Depth=1
	s_or_b32 exec_lo, exec_lo, s27
	v_mov_b32_e32 v5, v4
	s_and_not1_b32 s27, s15, exec_lo
	s_and_b32 s26, s26, exec_lo
	s_and_b32 s4, s4, exec_lo
	s_or_b32 s26, s27, s26
	s_or_b32 exec_lo, exec_lo, s21
	s_and_saveexec_b32 s21, s26
	s_cbranch_execz .LBB55_6
.LBB55_10:                              ;   in Loop: Header=BB55_4 Depth=1
	v_cmp_eq_u32_e32 vcc_lo, v1, v4
	s_mov_b32 s27, s4
                                        ; implicit-def: $vgpr9
	s_and_b32 s28, s25, vcc_lo
	s_delay_alu instid0(SALU_CYCLE_1)
	s_and_saveexec_b32 s26, s28
	s_cbranch_execz .LBB55_12
; %bb.11:                               ;   in Loop: Header=BB55_4 Depth=1
	global_load_b32 v5, v[2:3], off
	s_or_b32 s27, s4, exec_lo
	s_waitcnt vmcnt(0)
	v_div_scale_f32 v9, null, v5, v5, 1.0
	s_delay_alu instid0(VALU_DEP_1) | instskip(SKIP_2) | instid1(VALU_DEP_1)
	v_rcp_f32_e32 v10, v9
	s_waitcnt_depctr 0xfff
	v_fma_f32 v11, -v9, v10, 1.0
	v_fmac_f32_e32 v10, v11, v10
	v_div_scale_f32 v11, vcc_lo, 1.0, v5, 1.0
	s_delay_alu instid0(VALU_DEP_1) | instskip(NEXT) | instid1(VALU_DEP_1)
	v_mul_f32_e32 v12, v11, v10
	v_fma_f32 v13, -v9, v12, v11
	s_delay_alu instid0(VALU_DEP_1) | instskip(NEXT) | instid1(VALU_DEP_1)
	v_fmac_f32_e32 v12, v13, v10
	v_fma_f32 v9, -v9, v12, v11
	s_delay_alu instid0(VALU_DEP_1) | instskip(NEXT) | instid1(VALU_DEP_1)
	v_div_fmas_f32 v9, v9, v10, v12
	v_div_fixup_f32 v9, v9, v5, 1.0
.LBB55_12:                              ;   in Loop: Header=BB55_4 Depth=1
	s_or_b32 exec_lo, exec_lo, s26
	v_mov_b32_e32 v5, v1
	s_and_not1_b32 s4, s4, exec_lo
	s_and_b32 s26, s27, exec_lo
	s_delay_alu instid0(SALU_CYCLE_1)
	s_or_b32 s4, s4, s26
	s_or_b32 exec_lo, exec_lo, s21
	s_and_saveexec_b32 s21, s4
	s_cbranch_execz .LBB55_3
.LBB55_13:                              ;   in Loop: Header=BB55_4 Depth=1
	s_load_b32 s4, s[22:23], 0xc
	s_waitcnt lgkmcnt(0)
	s_and_b32 s4, s4, 0xffff
	s_delay_alu instid0(SALU_CYCLE_1) | instskip(NEXT) | instid1(VALU_DEP_1)
	v_mul_lo_u32 v5, v5, s4
	v_lshl_add_u32 v5, v5, 2, v6
	s_waitcnt vmcnt(0)
	ds_store_b32 v5, v9
	s_branch .LBB55_3
.LBB55_14:
	s_load_b32 s3, s[22:23], 0xc
	s_mov_b64 s[20:21], src_shared_base
	s_mov_b32 s13, 0
	s_mov_b32 s25, s21
	s_delay_alu instid0(SALU_CYCLE_1)
	s_mov_b64 s[20:21], s[24:25]
	s_waitcnt lgkmcnt(0)
	s_and_b32 s12, s3, 0xffff
.LBB55_15:
	v_mad_u64_u32 v[3:4], null, s14, s5, v[0:1]
	v_mov_b32_e32 v4, 0
	s_mov_b32 s3, exec_lo
	s_delay_alu instid0(VALU_DEP_1)
	v_cmpx_gt_i64_e64 s[10:11], v[3:4]
	s_cbranch_execz .LBB55_28
; %bb.16:
	v_mov_b32_e32 v2, v4
	s_delay_alu instid0(VALU_DEP_1)
	v_cmp_gt_i64_e32 vcc_lo, s[8:9], v[1:2]
	s_and_b32 exec_lo, exec_lo, vcc_lo
	s_cbranch_execz .LBB55_28
; %bb.17:
	s_waitcnt lgkmcnt(0)
	v_mad_u64_u32 v[4:5], null, v3, s18, 0
	s_lshl_b64 s[4:5], s[6:7], 2
	s_load_b32 s0, s[0:1], 0x18
	s_add_u32 s3, s16, s4
	s_addc_u32 s4, s17, s5
	v_cmp_lt_u64_e64 s1, s[8:9], 2
	s_delay_alu instid0(VALU_DEP_2) | instskip(NEXT) | instid1(VALU_DEP_1)
	v_mad_u64_u32 v[6:7], null, v3, s19, v[5:6]
	v_mov_b32_e32 v5, v6
	s_delay_alu instid0(VALU_DEP_1) | instskip(SKIP_1) | instid1(VALU_DEP_2)
	v_lshlrev_b64 v[3:4], 2, v[4:5]
	v_lshlrev_b32_e32 v5, 2, v1
	v_add_co_u32 v3, vcc_lo, s3, v3
	s_delay_alu instid0(VALU_DEP_3) | instskip(NEXT) | instid1(VALU_DEP_2)
	v_add_co_ci_u32_e32 v4, vcc_lo, s4, v4, vcc_lo
	v_add_co_u32 v3, vcc_lo, v3, v5
	s_delay_alu instid0(VALU_DEP_2)
	v_add_co_ci_u32_e32 v4, vcc_lo, 0, v4, vcc_lo
	s_and_b32 vcc_lo, exec_lo, s1
	global_load_b32 v6, v[3:4], off
	s_waitcnt vmcnt(0) lgkmcnt(0)
	v_mul_f32_e32 v9, s0, v6
	s_cbranch_vccnz .LBB55_25
; %bb.18:
	v_mad_u64_u32 v[6:7], null, v1, s12, v[1:2]
	s_add_u32 s0, s8, -1
	s_addc_u32 s1, s9, -1
	s_mul_hi_u32 s3, s12, s0
	s_mul_i32 s4, s12, s1
	s_mul_i32 s5, s13, s0
	s_add_i32 s3, s3, s4
	s_delay_alu instid0(VALU_DEP_1) | instskip(SKIP_4) | instid1(SALU_CYCLE_1)
	v_mad_u64_u32 v[10:11], null, v1, s13, v[7:8]
	s_mul_i32 s4, s12, s0
	s_add_i32 s5, s3, s5
	v_lshl_add_u32 v0, v0, 2, 0
	s_lshl_b64 s[4:5], s[4:5], 2
	s_add_u32 s3, s20, s4
	s_delay_alu instid0(VALU_DEP_2) | instskip(SKIP_2) | instid1(VALU_DEP_2)
	v_mov_b32_e32 v7, v10
	s_addc_u32 s4, s21, s5
	v_add_co_u32 v5, s3, s3, v5
	v_lshlrev_b64 v[7:8], 2, v[6:7]
	v_add_co_ci_u32_e64 v6, null, s4, 0, s3
	s_lshl_b64 s[4:5], s[12:13], 2
	s_delay_alu instid0(SALU_CYCLE_1) | instskip(NEXT) | instid1(VALU_DEP_2)
	s_sub_u32 s3, 0, s4
	v_add_co_u32 v7, vcc_lo, s20, v7
	s_delay_alu instid0(VALU_DEP_3)
	v_add_co_ci_u32_e32 v8, vcc_lo, s21, v8, vcc_lo
	s_subb_u32 s6, 0, s5
.LBB55_19:                              ; =>This Inner Loop Header: Depth=1
	s_mov_b32 s4, exec_lo
	s_barrier
	buffer_gl0_inv
	v_cmpx_eq_u64_e64 s[0:1], v[1:2]
	s_cbranch_execz .LBB55_21
; %bb.20:                               ;   in Loop: Header=BB55_19 Depth=1
	flat_load_b32 v10, v[7:8]
	s_waitcnt vmcnt(0) lgkmcnt(0)
	v_div_scale_f32 v11, null, v10, v10, 1.0
	s_delay_alu instid0(VALU_DEP_1) | instskip(SKIP_2) | instid1(VALU_DEP_1)
	v_rcp_f32_e32 v12, v11
	s_waitcnt_depctr 0xfff
	v_fma_f32 v13, -v11, v12, 1.0
	v_fmac_f32_e32 v12, v13, v12
	v_div_scale_f32 v13, vcc_lo, 1.0, v10, 1.0
	s_delay_alu instid0(VALU_DEP_1) | instskip(NEXT) | instid1(VALU_DEP_1)
	v_mul_f32_e32 v14, v13, v12
	v_fma_f32 v15, -v11, v14, v13
	s_delay_alu instid0(VALU_DEP_1) | instskip(NEXT) | instid1(VALU_DEP_1)
	v_fmac_f32_e32 v14, v15, v12
	v_fma_f32 v11, -v11, v14, v13
	s_delay_alu instid0(VALU_DEP_1) | instskip(NEXT) | instid1(VALU_DEP_1)
	v_div_fmas_f32 v11, v11, v12, v14
	v_div_fixup_f32 v11, v11, v10, 1.0
	s_delay_alu instid0(VALU_DEP_1) | instskip(NEXT) | instid1(VALU_DEP_1)
	v_cndmask_b32_e64 v10, v11, v10, s2
	v_mul_f32_e32 v9, v9, v10
	ds_store_b32 v0, v9
.LBB55_21:                              ;   in Loop: Header=BB55_19 Depth=1
	s_or_b32 exec_lo, exec_lo, s4
	s_delay_alu instid0(SALU_CYCLE_1)
	s_mov_b32 s4, exec_lo
	s_waitcnt lgkmcnt(0)
	s_barrier
	buffer_gl0_inv
	v_cmpx_gt_i64_e64 s[0:1], v[1:2]
	s_cbranch_execz .LBB55_23
; %bb.22:                               ;   in Loop: Header=BB55_19 Depth=1
	flat_load_b32 v10, v[5:6]
	ds_load_b32 v11, v0
	s_waitcnt vmcnt(0) lgkmcnt(0)
	v_fma_f32 v9, -v10, v11, v9
.LBB55_23:                              ;   in Loop: Header=BB55_19 Depth=1
	s_or_b32 exec_lo, exec_lo, s4
	s_add_u32 s4, s0, -1
	s_addc_u32 s5, s1, -1
	s_add_u32 s0, s0, 1
	s_addc_u32 s1, s1, 0
	v_add_co_u32 v5, vcc_lo, v5, s3
	v_cmp_lt_u64_e64 s0, s[0:1], 3
	v_add_co_ci_u32_e32 v6, vcc_lo, s6, v6, vcc_lo
	s_delay_alu instid0(VALU_DEP_2)
	s_and_b32 vcc_lo, exec_lo, s0
	s_cbranch_vccnz .LBB55_25
; %bb.24:                               ;   in Loop: Header=BB55_19 Depth=1
	s_mov_b64 s[0:1], s[4:5]
	s_branch .LBB55_19
.LBB55_25:
	s_mov_b32 s0, exec_lo
	v_cmpx_eq_u32_e32 0, v1
	s_cbranch_execz .LBB55_27
; %bb.26:
	v_mad_u64_u32 v[5:6], null, v1, s12, v[1:2]
	s_delay_alu instid0(VALU_DEP_1) | instskip(NEXT) | instid1(VALU_DEP_1)
	v_mov_b32_e32 v0, v6
	v_mad_u64_u32 v[6:7], null, v1, s13, v[0:1]
	s_delay_alu instid0(VALU_DEP_1) | instskip(NEXT) | instid1(VALU_DEP_1)
	v_lshlrev_b64 v[0:1], 2, v[5:6]
	v_add_co_u32 v0, vcc_lo, s20, v0
	s_delay_alu instid0(VALU_DEP_2) | instskip(SKIP_3) | instid1(VALU_DEP_1)
	v_add_co_ci_u32_e32 v1, vcc_lo, s21, v1, vcc_lo
	flat_load_b32 v0, v[0:1]
	s_waitcnt vmcnt(0) lgkmcnt(0)
	v_div_scale_f32 v1, null, v0, v0, 1.0
	v_rcp_f32_e32 v2, v1
	s_waitcnt_depctr 0xfff
	v_fma_f32 v5, -v1, v2, 1.0
	s_delay_alu instid0(VALU_DEP_1) | instskip(SKIP_1) | instid1(VALU_DEP_1)
	v_fmac_f32_e32 v2, v5, v2
	v_div_scale_f32 v5, vcc_lo, 1.0, v0, 1.0
	v_mul_f32_e32 v6, v5, v2
	s_delay_alu instid0(VALU_DEP_1) | instskip(NEXT) | instid1(VALU_DEP_1)
	v_fma_f32 v7, -v1, v6, v5
	v_fmac_f32_e32 v6, v7, v2
	s_delay_alu instid0(VALU_DEP_1) | instskip(NEXT) | instid1(VALU_DEP_1)
	v_fma_f32 v1, -v1, v6, v5
	v_div_fmas_f32 v1, v1, v2, v6
	s_delay_alu instid0(VALU_DEP_1) | instskip(NEXT) | instid1(VALU_DEP_1)
	v_div_fixup_f32 v1, v1, v0, 1.0
	v_cndmask_b32_e64 v0, v1, v0, s2
	s_delay_alu instid0(VALU_DEP_1)
	v_mul_f32_e32 v9, v9, v0
.LBB55_27:
	s_or_b32 exec_lo, exec_lo, s0
	global_store_b32 v[3:4], v9, off
.LBB55_28:
	s_nop 0
	s_sendmsg sendmsg(MSG_DEALLOC_VGPRS)
	s_endpgm
	.section	.rodata,"a",@progbits
	.p2align	6, 0x0
	.amdhsa_kernel _ZL40rocblas_trsm_block_backward_substitutionIffPKPKfPKPfLb1ELb1ELb0EEv18rocblas_operation_llT0_T1_lllT2_lllib
		.amdhsa_group_segment_fixed_size 0
		.amdhsa_private_segment_fixed_size 0
		.amdhsa_kernarg_size 360
		.amdhsa_user_sgpr_count 13
		.amdhsa_user_sgpr_dispatch_ptr 0
		.amdhsa_user_sgpr_queue_ptr 0
		.amdhsa_user_sgpr_kernarg_segment_ptr 1
		.amdhsa_user_sgpr_dispatch_id 0
		.amdhsa_user_sgpr_private_segment_size 0
		.amdhsa_wavefront_size32 1
		.amdhsa_uses_dynamic_stack 0
		.amdhsa_enable_private_segment 0
		.amdhsa_system_sgpr_workgroup_id_x 1
		.amdhsa_system_sgpr_workgroup_id_y 1
		.amdhsa_system_sgpr_workgroup_id_z 1
		.amdhsa_system_sgpr_workgroup_info 0
		.amdhsa_system_vgpr_workitem_id 1
		.amdhsa_next_free_vgpr 16
		.amdhsa_next_free_sgpr 29
		.amdhsa_reserve_vcc 1
		.amdhsa_float_round_mode_32 0
		.amdhsa_float_round_mode_16_64 0
		.amdhsa_float_denorm_mode_32 3
		.amdhsa_float_denorm_mode_16_64 3
		.amdhsa_dx10_clamp 1
		.amdhsa_ieee_mode 1
		.amdhsa_fp16_overflow 0
		.amdhsa_workgroup_processor_mode 1
		.amdhsa_memory_ordered 1
		.amdhsa_forward_progress 0
		.amdhsa_shared_vgpr_count 0
		.amdhsa_exception_fp_ieee_invalid_op 0
		.amdhsa_exception_fp_denorm_src 0
		.amdhsa_exception_fp_ieee_div_zero 0
		.amdhsa_exception_fp_ieee_overflow 0
		.amdhsa_exception_fp_ieee_underflow 0
		.amdhsa_exception_fp_ieee_inexact 0
		.amdhsa_exception_int_div_zero 0
	.end_amdhsa_kernel
	.section	.text._ZL40rocblas_trsm_block_backward_substitutionIffPKPKfPKPfLb1ELb1ELb0EEv18rocblas_operation_llT0_T1_lllT2_lllib,"axG",@progbits,_ZL40rocblas_trsm_block_backward_substitutionIffPKPKfPKPfLb1ELb1ELb0EEv18rocblas_operation_llT0_T1_lllT2_lllib,comdat
.Lfunc_end55:
	.size	_ZL40rocblas_trsm_block_backward_substitutionIffPKPKfPKPfLb1ELb1ELb0EEv18rocblas_operation_llT0_T1_lllT2_lllib, .Lfunc_end55-_ZL40rocblas_trsm_block_backward_substitutionIffPKPKfPKPfLb1ELb1ELb0EEv18rocblas_operation_llT0_T1_lllT2_lllib
                                        ; -- End function
	.section	.AMDGPU.csdata,"",@progbits
; Kernel info:
; codeLenInByte = 1628
; NumSgprs: 31
; NumVgprs: 16
; ScratchSize: 0
; MemoryBound: 0
; FloatMode: 240
; IeeeMode: 1
; LDSByteSize: 0 bytes/workgroup (compile time only)
; SGPRBlocks: 3
; VGPRBlocks: 1
; NumSGPRsForWavesPerEU: 31
; NumVGPRsForWavesPerEU: 16
; Occupancy: 16
; WaveLimiterHint : 1
; COMPUTE_PGM_RSRC2:SCRATCH_EN: 0
; COMPUTE_PGM_RSRC2:USER_SGPR: 13
; COMPUTE_PGM_RSRC2:TRAP_HANDLER: 0
; COMPUTE_PGM_RSRC2:TGID_X_EN: 1
; COMPUTE_PGM_RSRC2:TGID_Y_EN: 1
; COMPUTE_PGM_RSRC2:TGID_Z_EN: 1
; COMPUTE_PGM_RSRC2:TIDIG_COMP_CNT: 1
	.section	.text._ZL39rocblas_trsm_block_forward_substitutionIffPKPKfPKPfLb1ELb1ELb1EEv18rocblas_operation_llT0_T1_lllT2_lllib,"axG",@progbits,_ZL39rocblas_trsm_block_forward_substitutionIffPKPKfPKPfLb1ELb1ELb1EEv18rocblas_operation_llT0_T1_lllT2_lllib,comdat
	.globl	_ZL39rocblas_trsm_block_forward_substitutionIffPKPKfPKPfLb1ELb1ELb1EEv18rocblas_operation_llT0_T1_lllT2_lllib ; -- Begin function _ZL39rocblas_trsm_block_forward_substitutionIffPKPKfPKPfLb1ELb1ELb1EEv18rocblas_operation_llT0_T1_lllT2_lllib
	.p2align	8
	.type	_ZL39rocblas_trsm_block_forward_substitutionIffPKPKfPKPfLb1ELb1ELb1EEv18rocblas_operation_llT0_T1_lllT2_lllib,@function
_ZL39rocblas_trsm_block_forward_substitutionIffPKPKfPKPfLb1ELb1ELb1EEv18rocblas_operation_llT0_T1_lllT2_lllib: ; @_ZL39rocblas_trsm_block_forward_substitutionIffPKPKfPKPfLb1ELb1ELb1EEv18rocblas_operation_llT0_T1_lllT2_lllib
; %bb.0:
	s_clause 0x1
	s_load_b128 s[16:19], s[0:1], 0x20
	s_load_b64 s[24:25], s[0:1], 0x30
	s_mov_b32 s2, s15
	s_mov_b32 s3, 0
	v_and_b32_e32 v1, 0x3ff, v0
	s_lshl_b64 s[2:3], s[2:3], 3
	v_bfe_u32 v0, v0, 10, 10
	s_waitcnt lgkmcnt(0)
	s_add_u32 s4, s16, s2
	s_addc_u32 s5, s17, s3
	s_lshl_b64 s[16:17], s[18:19], 2
	s_load_b64 s[12:13], s[4:5], 0x0
	s_clause 0x3
	s_load_b128 s[8:11], s[0:1], 0x40
	s_load_b128 s[4:7], s[0:1], 0x8
	s_load_b32 s22, s[0:1], 0x64
	s_load_b32 s15, s[0:1], 0x74
	s_waitcnt lgkmcnt(0)
	s_add_u32 s16, s12, s16
	s_addc_u32 s17, s13, s17
	s_add_u32 s2, s8, s2
	s_addc_u32 s3, s9, s3
	s_load_b64 s[18:19], s[0:1], 0x50
	s_load_b64 s[12:13], s[2:3], 0x0
	s_add_u32 s20, s0, 0x68
	s_addc_u32 s21, s1, 0
	s_lshr_b32 s15, s15, 16
	s_bitcmp0_b32 s22, 0
	s_mov_b64 s[2:3], 1
	s_cbranch_scc1 .LBB56_6
; %bb.1:
	v_cmp_lt_i64_e64 s2, s[4:5], 1
	s_lshl_b32 s3, s15, 2
	s_mov_b64 s[8:9], 1
	s_add_i32 s22, s3, 0
	s_delay_alu instid0(VALU_DEP_1)
	s_and_b32 vcc_lo, exec_lo, s2
	s_cbranch_vccnz .LBB56_7
; %bb.2:
	v_mad_u64_u32 v[3:4], null, v1, s24, 0
	s_delay_alu instid0(VALU_DEP_1) | instskip(NEXT) | instid1(VALU_DEP_1)
	v_mov_b32_e32 v2, v4
	v_mad_u64_u32 v[4:5], null, v1, s25, v[2:3]
	v_mov_b32_e32 v2, 0
	s_delay_alu instid0(VALU_DEP_1) | instskip(NEXT) | instid1(VALU_DEP_3)
	v_cmp_gt_u64_e64 s2, s[4:5], v[1:2]
	v_lshlrev_b64 v[5:6], 2, v[3:4]
	v_lshl_add_u32 v4, v1, 2, s22
	s_delay_alu instid0(VALU_DEP_2) | instskip(NEXT) | instid1(VALU_DEP_3)
	v_add_co_u32 v5, vcc_lo, s16, v5
	v_add_co_ci_u32_e32 v6, vcc_lo, s17, v6, vcc_lo
	s_mov_b32 s16, 0
	s_set_inst_prefetch_distance 0x1
	s_branch .LBB56_4
	.p2align	6
.LBB56_3:                               ;   in Loop: Header=BB56_4 Depth=1
	s_or_b32 exec_lo, exec_lo, s3
	s_add_i32 s16, s16, s15
	s_delay_alu instid0(SALU_CYCLE_1) | instskip(NEXT) | instid1(SALU_CYCLE_1)
	s_ashr_i32 s17, s16, 31
	v_cmp_ge_i64_e64 s3, s[16:17], s[4:5]
	s_delay_alu instid0(VALU_DEP_1)
	s_and_b32 vcc_lo, exec_lo, s3
	s_cbranch_vccnz .LBB56_7
.LBB56_4:                               ; =>This Inner Loop Header: Depth=1
	v_add_nc_u32_e32 v2, s16, v0
	s_delay_alu instid0(VALU_DEP_1) | instskip(SKIP_1) | instid1(SALU_CYCLE_1)
	v_cmp_gt_i32_e32 vcc_lo, v1, v2
	s_and_b32 s17, s2, vcc_lo
	s_and_saveexec_b32 s3, s17
	s_cbranch_execz .LBB56_3
; %bb.5:                                ;   in Loop: Header=BB56_4 Depth=1
	v_ashrrev_i32_e32 v3, 31, v2
	s_load_b32 s17, s[20:21], 0xc
	s_delay_alu instid0(VALU_DEP_1) | instskip(NEXT) | instid1(VALU_DEP_1)
	v_lshlrev_b64 v[7:8], 2, v[2:3]
	v_add_co_u32 v7, vcc_lo, v5, v7
	s_delay_alu instid0(VALU_DEP_2) | instskip(SKIP_3) | instid1(SALU_CYCLE_1)
	v_add_co_ci_u32_e32 v8, vcc_lo, v6, v8, vcc_lo
	global_load_b32 v3, v[7:8], off
	s_waitcnt lgkmcnt(0)
	s_and_b32 s17, s17, 0xffff
	v_mul_lo_u32 v2, v2, s17
	s_delay_alu instid0(VALU_DEP_1)
	v_lshl_add_u32 v2, v2, 2, v4
	s_waitcnt vmcnt(0)
	ds_store_b32 v2, v3
	s_branch .LBB56_3
.LBB56_6:
	s_mov_b64 s[8:9], s[24:25]
	s_branch .LBB56_8
.LBB56_7:
	s_set_inst_prefetch_distance 0x2
	s_load_b32 s16, s[20:21], 0xc
	s_mov_b64 s[2:3], src_shared_base
	s_delay_alu instid0(SALU_CYCLE_1)
	s_mov_b32 s23, s3
	s_waitcnt lgkmcnt(0)
	s_and_b32 s2, s16, 0xffff
	s_mov_b64 s[16:17], s[22:23]
.LBB56_8:
	v_mad_u64_u32 v[3:4], null, s14, s15, v[0:1]
	v_mov_b32_e32 v4, 0
	s_mov_b32 s3, exec_lo
	s_delay_alu instid0(VALU_DEP_1)
	v_cmpx_gt_i64_e64 s[6:7], v[3:4]
	s_cbranch_execz .LBB56_18
; %bb.9:
	v_mov_b32_e32 v2, v4
	s_delay_alu instid0(VALU_DEP_1)
	v_cmp_gt_i64_e32 vcc_lo, s[4:5], v[1:2]
	s_and_b32 exec_lo, exec_lo, vcc_lo
	s_cbranch_execz .LBB56_18
; %bb.10:
	s_waitcnt lgkmcnt(0)
	v_mad_u64_u32 v[5:6], null, v1, s18, 0
	s_load_b32 s0, s[0:1], 0x18
	s_lshl_b64 s[6:7], s[10:11], 2
	v_lshlrev_b64 v[3:4], 2, v[3:4]
	s_add_u32 s3, s12, s6
	s_addc_u32 s6, s13, s7
	v_cmp_lt_u64_e64 s1, s[4:5], 2
	s_delay_alu instid0(VALU_DEP_3) | instskip(NEXT) | instid1(VALU_DEP_1)
	v_mad_u64_u32 v[7:8], null, v1, s19, v[6:7]
	v_mov_b32_e32 v6, v7
	s_delay_alu instid0(VALU_DEP_1) | instskip(NEXT) | instid1(VALU_DEP_1)
	v_lshlrev_b64 v[5:6], 2, v[5:6]
	v_add_co_u32 v5, vcc_lo, s3, v5
	s_delay_alu instid0(VALU_DEP_2) | instskip(NEXT) | instid1(VALU_DEP_2)
	v_add_co_ci_u32_e32 v6, vcc_lo, s6, v6, vcc_lo
	v_add_co_u32 v3, vcc_lo, v5, v3
	s_delay_alu instid0(VALU_DEP_2)
	v_add_co_ci_u32_e32 v4, vcc_lo, v6, v4, vcc_lo
	s_and_b32 vcc_lo, exec_lo, s1
	global_load_b32 v5, v[3:4], off
	s_waitcnt vmcnt(0) lgkmcnt(0)
	v_mul_f32_e32 v7, s0, v5
	s_cbranch_vccnz .LBB56_17
; %bb.11:
	v_mad_u64_u32 v[5:6], null, s8, v1, 0
	v_lshl_add_u32 v0, v0, 2, 0
	s_add_u32 s0, s4, -1
	s_addc_u32 s1, s5, -1
	s_lshl_b32 s4, s2, 2
	s_mov_b64 s[2:3], 0
	s_delay_alu instid0(VALU_DEP_2) | instskip(NEXT) | instid1(VALU_DEP_1)
	v_mad_u64_u32 v[8:9], null, s9, v1, v[6:7]
	v_mov_b32_e32 v6, v8
	s_delay_alu instid0(VALU_DEP_1) | instskip(NEXT) | instid1(VALU_DEP_1)
	v_lshlrev_b64 v[5:6], 2, v[5:6]
	v_add_co_u32 v5, vcc_lo, s16, v5
	s_delay_alu instid0(VALU_DEP_2)
	v_add_co_ci_u32_e32 v6, vcc_lo, s17, v6, vcc_lo
	s_set_inst_prefetch_distance 0x1
	s_branch .LBB56_13
	.p2align	6
.LBB56_12:                              ;   in Loop: Header=BB56_13 Depth=1
	s_or_b32 exec_lo, exec_lo, s5
	v_add_co_u32 v5, vcc_lo, v5, s4
	s_add_u32 s2, s2, 1
	v_add_co_ci_u32_e32 v6, vcc_lo, 0, v6, vcc_lo
	s_addc_u32 s3, s3, 0
	s_delay_alu instid0(SALU_CYCLE_1)
	s_cmp_eq_u64 s[0:1], s[2:3]
	s_cbranch_scc1 .LBB56_17
.LBB56_13:                              ; =>This Inner Loop Header: Depth=1
	s_mov_b32 s5, exec_lo
	s_barrier
	buffer_gl0_inv
	v_cmpx_eq_u64_e64 s[2:3], v[1:2]
	s_cbranch_execz .LBB56_15
; %bb.14:                               ;   in Loop: Header=BB56_13 Depth=1
	ds_store_b32 v0, v7
.LBB56_15:                              ;   in Loop: Header=BB56_13 Depth=1
	s_or_b32 exec_lo, exec_lo, s5
	s_delay_alu instid0(SALU_CYCLE_1)
	s_mov_b32 s5, exec_lo
	s_waitcnt lgkmcnt(0)
	s_barrier
	buffer_gl0_inv
	v_cmpx_lt_u64_e64 s[2:3], v[1:2]
	s_cbranch_execz .LBB56_12
; %bb.16:                               ;   in Loop: Header=BB56_13 Depth=1
	flat_load_b32 v8, v[5:6]
	ds_load_b32 v9, v0
	s_waitcnt vmcnt(0) lgkmcnt(0)
	v_fma_f32 v7, -v8, v9, v7
	s_branch .LBB56_12
.LBB56_17:
	s_set_inst_prefetch_distance 0x2
	global_store_b32 v[3:4], v7, off
.LBB56_18:
	s_nop 0
	s_sendmsg sendmsg(MSG_DEALLOC_VGPRS)
	s_endpgm
	.section	.rodata,"a",@progbits
	.p2align	6, 0x0
	.amdhsa_kernel _ZL39rocblas_trsm_block_forward_substitutionIffPKPKfPKPfLb1ELb1ELb1EEv18rocblas_operation_llT0_T1_lllT2_lllib
		.amdhsa_group_segment_fixed_size 0
		.amdhsa_private_segment_fixed_size 0
		.amdhsa_kernarg_size 360
		.amdhsa_user_sgpr_count 13
		.amdhsa_user_sgpr_dispatch_ptr 0
		.amdhsa_user_sgpr_queue_ptr 0
		.amdhsa_user_sgpr_kernarg_segment_ptr 1
		.amdhsa_user_sgpr_dispatch_id 0
		.amdhsa_user_sgpr_private_segment_size 0
		.amdhsa_wavefront_size32 1
		.amdhsa_uses_dynamic_stack 0
		.amdhsa_enable_private_segment 0
		.amdhsa_system_sgpr_workgroup_id_x 1
		.amdhsa_system_sgpr_workgroup_id_y 1
		.amdhsa_system_sgpr_workgroup_id_z 1
		.amdhsa_system_sgpr_workgroup_info 0
		.amdhsa_system_vgpr_workitem_id 1
		.amdhsa_next_free_vgpr 10
		.amdhsa_next_free_sgpr 26
		.amdhsa_reserve_vcc 1
		.amdhsa_float_round_mode_32 0
		.amdhsa_float_round_mode_16_64 0
		.amdhsa_float_denorm_mode_32 3
		.amdhsa_float_denorm_mode_16_64 3
		.amdhsa_dx10_clamp 1
		.amdhsa_ieee_mode 1
		.amdhsa_fp16_overflow 0
		.amdhsa_workgroup_processor_mode 1
		.amdhsa_memory_ordered 1
		.amdhsa_forward_progress 0
		.amdhsa_shared_vgpr_count 0
		.amdhsa_exception_fp_ieee_invalid_op 0
		.amdhsa_exception_fp_denorm_src 0
		.amdhsa_exception_fp_ieee_div_zero 0
		.amdhsa_exception_fp_ieee_overflow 0
		.amdhsa_exception_fp_ieee_underflow 0
		.amdhsa_exception_fp_ieee_inexact 0
		.amdhsa_exception_int_div_zero 0
	.end_amdhsa_kernel
	.section	.text._ZL39rocblas_trsm_block_forward_substitutionIffPKPKfPKPfLb1ELb1ELb1EEv18rocblas_operation_llT0_T1_lllT2_lllib,"axG",@progbits,_ZL39rocblas_trsm_block_forward_substitutionIffPKPKfPKPfLb1ELb1ELb1EEv18rocblas_operation_llT0_T1_lllT2_lllib,comdat
.Lfunc_end56:
	.size	_ZL39rocblas_trsm_block_forward_substitutionIffPKPKfPKPfLb1ELb1ELb1EEv18rocblas_operation_llT0_T1_lllT2_lllib, .Lfunc_end56-_ZL39rocblas_trsm_block_forward_substitutionIffPKPKfPKPfLb1ELb1ELb1EEv18rocblas_operation_llT0_T1_lllT2_lllib
                                        ; -- End function
	.section	.AMDGPU.csdata,"",@progbits
; Kernel info:
; codeLenInByte = 928
; NumSgprs: 28
; NumVgprs: 10
; ScratchSize: 0
; MemoryBound: 0
; FloatMode: 240
; IeeeMode: 1
; LDSByteSize: 0 bytes/workgroup (compile time only)
; SGPRBlocks: 3
; VGPRBlocks: 1
; NumSGPRsForWavesPerEU: 28
; NumVGPRsForWavesPerEU: 10
; Occupancy: 16
; WaveLimiterHint : 1
; COMPUTE_PGM_RSRC2:SCRATCH_EN: 0
; COMPUTE_PGM_RSRC2:USER_SGPR: 13
; COMPUTE_PGM_RSRC2:TRAP_HANDLER: 0
; COMPUTE_PGM_RSRC2:TGID_X_EN: 1
; COMPUTE_PGM_RSRC2:TGID_Y_EN: 1
; COMPUTE_PGM_RSRC2:TGID_Z_EN: 1
; COMPUTE_PGM_RSRC2:TIDIG_COMP_CNT: 1
	.section	.text._ZL40rocblas_trsm_block_backward_substitutionIffPKPKfPKPfLb1ELb1ELb1EEv18rocblas_operation_llT0_T1_lllT2_lllib,"axG",@progbits,_ZL40rocblas_trsm_block_backward_substitutionIffPKPKfPKPfLb1ELb1ELb1EEv18rocblas_operation_llT0_T1_lllT2_lllib,comdat
	.globl	_ZL40rocblas_trsm_block_backward_substitutionIffPKPKfPKPfLb1ELb1ELb1EEv18rocblas_operation_llT0_T1_lllT2_lllib ; -- Begin function _ZL40rocblas_trsm_block_backward_substitutionIffPKPKfPKPfLb1ELb1ELb1EEv18rocblas_operation_llT0_T1_lllT2_lllib
	.p2align	8
	.type	_ZL40rocblas_trsm_block_backward_substitutionIffPKPKfPKPfLb1ELb1ELb1EEv18rocblas_operation_llT0_T1_lllT2_lllib,@function
_ZL40rocblas_trsm_block_backward_substitutionIffPKPKfPKPfLb1ELb1ELb1EEv18rocblas_operation_llT0_T1_lllT2_lllib: ; @_ZL40rocblas_trsm_block_backward_substitutionIffPKPKfPKPfLb1ELb1ELb1EEv18rocblas_operation_llT0_T1_lllT2_lllib
; %bb.0:
	s_clause 0x1
	s_load_b128 s[16:19], s[0:1], 0x20
	s_load_b64 s[12:13], s[0:1], 0x30
	s_mov_b32 s2, s15
	s_mov_b32 s3, 0
	v_and_b32_e32 v1, 0x3ff, v0
	s_lshl_b64 s[2:3], s[2:3], 3
	v_bfe_u32 v0, v0, 10, 10
	s_waitcnt lgkmcnt(0)
	s_add_u32 s4, s16, s2
	s_addc_u32 s5, s17, s3
	s_lshl_b64 s[18:19], s[18:19], 2
	s_load_b64 s[16:17], s[4:5], 0x0
	s_clause 0x3
	s_load_b128 s[8:11], s[0:1], 0x40
	s_load_b128 s[4:7], s[0:1], 0x8
	s_load_b32 s22, s[0:1], 0x64
	s_load_b32 s15, s[0:1], 0x74
	s_waitcnt lgkmcnt(0)
	s_add_u32 s18, s16, s18
	s_addc_u32 s19, s17, s19
	s_add_u32 s2, s8, s2
	s_addc_u32 s3, s9, s3
	s_load_b64 s[16:17], s[0:1], 0x50
	s_load_b64 s[8:9], s[2:3], 0x0
	s_add_u32 s20, s0, 0x68
	s_addc_u32 s21, s1, 0
	s_lshr_b32 s15, s15, 16
	s_bitcmp0_b32 s22, 0
	s_cbranch_scc1 .LBB57_7
; %bb.1:
	v_cmp_lt_i64_e64 s2, s[4:5], 1
	s_lshl_b32 s3, s15, 2
	s_delay_alu instid0(SALU_CYCLE_1) | instskip(NEXT) | instid1(VALU_DEP_1)
	s_add_i32 s22, s3, 0
	s_and_b32 vcc_lo, exec_lo, s2
	s_cbranch_vccnz .LBB57_6
; %bb.2:
	v_dual_mov_b32 v2, 0 :: v_dual_lshlrev_b32 v3, 2, v1
	s_delay_alu instid0(VALU_DEP_1) | instskip(NEXT) | instid1(VALU_DEP_2)
	v_add_co_u32 v5, s3, s18, v3
	v_cmp_gt_u64_e64 s2, s[4:5], v[1:2]
	v_add_nc_u32_e32 v4, s22, v3
	v_add_co_ci_u32_e64 v6, null, s19, 0, s3
	s_mov_b32 s18, 0
	s_set_inst_prefetch_distance 0x1
	s_branch .LBB57_4
	.p2align	6
.LBB57_3:                               ;   in Loop: Header=BB57_4 Depth=1
	s_or_b32 exec_lo, exec_lo, s3
	s_add_i32 s18, s18, s15
	s_delay_alu instid0(SALU_CYCLE_1) | instskip(NEXT) | instid1(SALU_CYCLE_1)
	s_ashr_i32 s19, s18, 31
	v_cmp_ge_i64_e64 s3, s[18:19], s[4:5]
	s_delay_alu instid0(VALU_DEP_1)
	s_and_b32 vcc_lo, exec_lo, s3
	s_cbranch_vccnz .LBB57_6
.LBB57_4:                               ; =>This Inner Loop Header: Depth=1
	v_add_nc_u32_e32 v2, s18, v0
	s_delay_alu instid0(VALU_DEP_1) | instskip(SKIP_1) | instid1(VALU_DEP_2)
	v_ashrrev_i32_e32 v3, 31, v2
	v_cmp_lt_i32_e64 s3, v1, v2
	v_cmp_gt_i64_e32 vcc_lo, s[4:5], v[2:3]
	s_delay_alu instid0(VALU_DEP_2) | instskip(NEXT) | instid1(SALU_CYCLE_1)
	s_and_b32 s3, s3, vcc_lo
	s_and_b32 s19, s2, s3
	s_delay_alu instid0(SALU_CYCLE_1)
	s_and_saveexec_b32 s3, s19
	s_cbranch_execz .LBB57_3
; %bb.5:                                ;   in Loop: Header=BB57_4 Depth=1
	v_mul_lo_u32 v3, v3, s12
	v_mul_lo_u32 v9, v2, s13
	v_mad_u64_u32 v[7:8], null, v2, s12, 0
	s_load_b32 s19, s[20:21], 0xc
	s_delay_alu instid0(VALU_DEP_1) | instskip(NEXT) | instid1(VALU_DEP_1)
	v_add3_u32 v8, v8, v9, v3
	v_lshlrev_b64 v[7:8], 2, v[7:8]
	s_delay_alu instid0(VALU_DEP_1) | instskip(NEXT) | instid1(VALU_DEP_2)
	v_add_co_u32 v7, vcc_lo, v5, v7
	v_add_co_ci_u32_e32 v8, vcc_lo, v6, v8, vcc_lo
	s_waitcnt lgkmcnt(0)
	s_and_b32 s19, s19, 0xffff
	s_delay_alu instid0(SALU_CYCLE_1)
	v_mul_lo_u32 v2, v2, s19
	global_load_b32 v3, v[7:8], off
	v_lshl_add_u32 v2, v2, 2, v4
	s_waitcnt vmcnt(0)
	ds_store_b32 v2, v3
	s_branch .LBB57_3
.LBB57_6:
	s_set_inst_prefetch_distance 0x2
	s_load_b32 s12, s[20:21], 0xc
	s_mov_b64 s[2:3], src_shared_base
	s_mov_b32 s13, 0
	s_mov_b32 s23, s3
	s_delay_alu instid0(SALU_CYCLE_1)
	s_mov_b64 s[18:19], s[22:23]
	s_waitcnt lgkmcnt(0)
	s_and_b32 s12, s12, 0xffff
.LBB57_7:
	v_mad_u64_u32 v[3:4], null, s14, s15, v[0:1]
	v_mov_b32_e32 v4, 0
	s_mov_b32 s2, exec_lo
	s_delay_alu instid0(VALU_DEP_1)
	v_cmpx_gt_i64_e64 s[6:7], v[3:4]
	s_cbranch_execz .LBB57_18
; %bb.8:
	v_mov_b32_e32 v2, v4
	s_delay_alu instid0(VALU_DEP_1)
	v_cmp_gt_i64_e32 vcc_lo, s[4:5], v[1:2]
	s_and_b32 exec_lo, exec_lo, vcc_lo
	s_cbranch_execz .LBB57_18
; %bb.9:
	s_waitcnt lgkmcnt(0)
	v_mad_u64_u32 v[4:5], null, v3, s16, 0
	s_lshl_b64 s[2:3], s[10:11], 2
	s_load_b32 s0, s[0:1], 0x18
	s_add_u32 s2, s8, s2
	s_addc_u32 s3, s9, s3
	v_cmp_lt_u64_e64 s1, s[4:5], 2
	s_delay_alu instid0(VALU_DEP_2) | instskip(NEXT) | instid1(VALU_DEP_1)
	v_mad_u64_u32 v[6:7], null, v3, s17, v[5:6]
	v_mov_b32_e32 v5, v6
	s_delay_alu instid0(VALU_DEP_1) | instskip(SKIP_1) | instid1(VALU_DEP_2)
	v_lshlrev_b64 v[3:4], 2, v[4:5]
	v_lshlrev_b32_e32 v5, 2, v1
	v_add_co_u32 v3, vcc_lo, s2, v3
	s_delay_alu instid0(VALU_DEP_3) | instskip(NEXT) | instid1(VALU_DEP_2)
	v_add_co_ci_u32_e32 v4, vcc_lo, s3, v4, vcc_lo
	v_add_co_u32 v3, vcc_lo, v3, v5
	s_delay_alu instid0(VALU_DEP_2)
	v_add_co_ci_u32_e32 v4, vcc_lo, 0, v4, vcc_lo
	s_and_b32 vcc_lo, exec_lo, s1
	global_load_b32 v6, v[3:4], off
	s_waitcnt vmcnt(0) lgkmcnt(0)
	v_mul_f32_e32 v7, s0, v6
	s_cbranch_vccnz .LBB57_17
; %bb.10:
	s_add_u32 s0, s4, -1
	s_addc_u32 s1, s5, -1
	s_mul_hi_u32 s2, s12, s0
	s_mul_i32 s3, s12, s1
	s_mul_i32 s4, s13, s0
	s_add_i32 s3, s2, s3
	s_mul_i32 s2, s12, s0
	s_add_i32 s3, s3, s4
	v_lshl_add_u32 v0, v0, 2, 0
	s_lshl_b64 s[2:3], s[2:3], 2
	s_delay_alu instid0(SALU_CYCLE_1) | instskip(SKIP_2) | instid1(VALU_DEP_1)
	s_add_u32 s2, s18, s2
	s_addc_u32 s3, s19, s3
	v_add_co_u32 v5, s2, s2, v5
	v_add_co_ci_u32_e64 v6, null, s3, 0, s2
	s_lshl_b64 s[2:3], s[12:13], 2
	s_delay_alu instid0(SALU_CYCLE_1)
	s_sub_u32 s4, 0, s2
	s_subb_u32 s5, 0, s3
	s_set_inst_prefetch_distance 0x1
	.p2align	6
.LBB57_11:                              ; =>This Inner Loop Header: Depth=1
	s_mov_b32 s2, exec_lo
	s_barrier
	buffer_gl0_inv
	v_cmpx_eq_u64_e64 s[0:1], v[1:2]
	s_cbranch_execz .LBB57_13
; %bb.12:                               ;   in Loop: Header=BB57_11 Depth=1
	ds_store_b32 v0, v7
.LBB57_13:                              ;   in Loop: Header=BB57_11 Depth=1
	s_or_b32 exec_lo, exec_lo, s2
	s_delay_alu instid0(SALU_CYCLE_1)
	s_mov_b32 s2, exec_lo
	s_waitcnt lgkmcnt(0)
	s_barrier
	buffer_gl0_inv
	v_cmpx_gt_i64_e64 s[0:1], v[1:2]
	s_cbranch_execz .LBB57_15
; %bb.14:                               ;   in Loop: Header=BB57_11 Depth=1
	flat_load_b32 v8, v[5:6]
	ds_load_b32 v9, v0
	s_waitcnt vmcnt(0) lgkmcnt(0)
	v_fma_f32 v7, -v8, v9, v7
.LBB57_15:                              ;   in Loop: Header=BB57_11 Depth=1
	s_or_b32 exec_lo, exec_lo, s2
	s_add_u32 s2, s0, -1
	s_addc_u32 s3, s1, -1
	s_add_u32 s0, s0, 1
	s_addc_u32 s1, s1, 0
	v_add_co_u32 v5, vcc_lo, v5, s4
	v_cmp_lt_u64_e64 s0, s[0:1], 3
	v_add_co_ci_u32_e32 v6, vcc_lo, s5, v6, vcc_lo
	s_delay_alu instid0(VALU_DEP_2)
	s_and_b32 vcc_lo, exec_lo, s0
	s_cbranch_vccnz .LBB57_17
; %bb.16:                               ;   in Loop: Header=BB57_11 Depth=1
	s_mov_b64 s[0:1], s[2:3]
	s_branch .LBB57_11
.LBB57_17:
	s_set_inst_prefetch_distance 0x2
	global_store_b32 v[3:4], v7, off
.LBB57_18:
	s_nop 0
	s_sendmsg sendmsg(MSG_DEALLOC_VGPRS)
	s_endpgm
	.section	.rodata,"a",@progbits
	.p2align	6, 0x0
	.amdhsa_kernel _ZL40rocblas_trsm_block_backward_substitutionIffPKPKfPKPfLb1ELb1ELb1EEv18rocblas_operation_llT0_T1_lllT2_lllib
		.amdhsa_group_segment_fixed_size 0
		.amdhsa_private_segment_fixed_size 0
		.amdhsa_kernarg_size 360
		.amdhsa_user_sgpr_count 13
		.amdhsa_user_sgpr_dispatch_ptr 0
		.amdhsa_user_sgpr_queue_ptr 0
		.amdhsa_user_sgpr_kernarg_segment_ptr 1
		.amdhsa_user_sgpr_dispatch_id 0
		.amdhsa_user_sgpr_private_segment_size 0
		.amdhsa_wavefront_size32 1
		.amdhsa_uses_dynamic_stack 0
		.amdhsa_enable_private_segment 0
		.amdhsa_system_sgpr_workgroup_id_x 1
		.amdhsa_system_sgpr_workgroup_id_y 1
		.amdhsa_system_sgpr_workgroup_id_z 1
		.amdhsa_system_sgpr_workgroup_info 0
		.amdhsa_system_vgpr_workitem_id 1
		.amdhsa_next_free_vgpr 10
		.amdhsa_next_free_sgpr 24
		.amdhsa_reserve_vcc 1
		.amdhsa_float_round_mode_32 0
		.amdhsa_float_round_mode_16_64 0
		.amdhsa_float_denorm_mode_32 3
		.amdhsa_float_denorm_mode_16_64 3
		.amdhsa_dx10_clamp 1
		.amdhsa_ieee_mode 1
		.amdhsa_fp16_overflow 0
		.amdhsa_workgroup_processor_mode 1
		.amdhsa_memory_ordered 1
		.amdhsa_forward_progress 0
		.amdhsa_shared_vgpr_count 0
		.amdhsa_exception_fp_ieee_invalid_op 0
		.amdhsa_exception_fp_denorm_src 0
		.amdhsa_exception_fp_ieee_div_zero 0
		.amdhsa_exception_fp_ieee_overflow 0
		.amdhsa_exception_fp_ieee_underflow 0
		.amdhsa_exception_fp_ieee_inexact 0
		.amdhsa_exception_int_div_zero 0
	.end_amdhsa_kernel
	.section	.text._ZL40rocblas_trsm_block_backward_substitutionIffPKPKfPKPfLb1ELb1ELb1EEv18rocblas_operation_llT0_T1_lllT2_lllib,"axG",@progbits,_ZL40rocblas_trsm_block_backward_substitutionIffPKPKfPKPfLb1ELb1ELb1EEv18rocblas_operation_llT0_T1_lllT2_lllib,comdat
.Lfunc_end57:
	.size	_ZL40rocblas_trsm_block_backward_substitutionIffPKPKfPKPfLb1ELb1ELb1EEv18rocblas_operation_llT0_T1_lllT2_lllib, .Lfunc_end57-_ZL40rocblas_trsm_block_backward_substitutionIffPKPKfPKPfLb1ELb1ELb1EEv18rocblas_operation_llT0_T1_lllT2_lllib
                                        ; -- End function
	.section	.AMDGPU.csdata,"",@progbits
; Kernel info:
; codeLenInByte = 960
; NumSgprs: 26
; NumVgprs: 10
; ScratchSize: 0
; MemoryBound: 0
; FloatMode: 240
; IeeeMode: 1
; LDSByteSize: 0 bytes/workgroup (compile time only)
; SGPRBlocks: 3
; VGPRBlocks: 1
; NumSGPRsForWavesPerEU: 26
; NumVGPRsForWavesPerEU: 10
; Occupancy: 16
; WaveLimiterHint : 1
; COMPUTE_PGM_RSRC2:SCRATCH_EN: 0
; COMPUTE_PGM_RSRC2:USER_SGPR: 13
; COMPUTE_PGM_RSRC2:TRAP_HANDLER: 0
; COMPUTE_PGM_RSRC2:TGID_X_EN: 1
; COMPUTE_PGM_RSRC2:TGID_Y_EN: 1
; COMPUTE_PGM_RSRC2:TGID_Z_EN: 1
; COMPUTE_PGM_RSRC2:TIDIG_COMP_CNT: 1
	.section	.text._ZL39rocblas_trsm_block_forward_substitutionIffPKPKfPKPfLb1ELb0ELb0EEv18rocblas_operation_llT0_T1_lllT2_lllib,"axG",@progbits,_ZL39rocblas_trsm_block_forward_substitutionIffPKPKfPKPfLb1ELb0ELb0EEv18rocblas_operation_llT0_T1_lllT2_lllib,comdat
	.globl	_ZL39rocblas_trsm_block_forward_substitutionIffPKPKfPKPfLb1ELb0ELb0EEv18rocblas_operation_llT0_T1_lllT2_lllib ; -- Begin function _ZL39rocblas_trsm_block_forward_substitutionIffPKPKfPKPfLb1ELb0ELb0EEv18rocblas_operation_llT0_T1_lllT2_lllib
	.p2align	8
	.type	_ZL39rocblas_trsm_block_forward_substitutionIffPKPKfPKPfLb1ELb0ELb0EEv18rocblas_operation_llT0_T1_lllT2_lllib,@function
_ZL39rocblas_trsm_block_forward_substitutionIffPKPKfPKPfLb1ELb0ELb0EEv18rocblas_operation_llT0_T1_lllT2_lllib: ; @_ZL39rocblas_trsm_block_forward_substitutionIffPKPKfPKPfLb1ELb0ELb0EEv18rocblas_operation_llT0_T1_lllT2_lllib
; %bb.0:
	s_mov_b32 s4, s15
	s_clause 0x2
	s_load_b32 s3, s[0:1], 0x64
	s_load_b128 s[16:19], s[0:1], 0x20
	s_load_b32 s15, s[0:1], 0x74
	s_mov_b32 s5, 0
	s_load_b64 s[26:27], s[0:1], 0x30
	v_and_b32_e32 v1, 0x3ff, v0
	v_bfe_u32 v0, v0, 10, 10
	s_waitcnt lgkmcnt(0)
	s_bitcmp1_b32 s3, 0
	s_cselect_b32 s2, -1, 0
	s_lshl_b64 s[20:21], s[4:5], 3
	s_delay_alu instid0(SALU_CYCLE_1)
	s_add_u32 s4, s16, s20
	s_addc_u32 s5, s17, s21
	s_load_b64 s[12:13], s[4:5], 0x0
	s_clause 0x1
	s_load_b128 s[8:11], s[0:1], 0x40
	s_load_b128 s[4:7], s[0:1], 0x8
	s_lshl_b64 s[16:17], s[18:19], 2
	s_waitcnt lgkmcnt(0)
	s_add_u32 s12, s12, s16
	s_addc_u32 s13, s13, s17
	s_add_u32 s8, s8, s20
	s_addc_u32 s9, s9, s21
	s_load_b64 s[18:19], s[0:1], 0x50
	s_load_b64 s[16:17], s[8:9], 0x0
	s_add_u32 s22, s0, 0x68
	s_addc_u32 s23, s1, 0
	s_lshr_b32 s15, s15, 16
	s_bitcmp0_b32 s3, 0
	s_mov_b64 s[20:21], 1
	s_cbranch_scc1 .LBB58_12
; %bb.1:
	v_cmp_lt_i64_e64 s3, s[4:5], 1
	s_lshl_b32 s8, s15, 2
	s_delay_alu instid0(SALU_CYCLE_1) | instskip(SKIP_1) | instid1(VALU_DEP_1)
	s_add_i32 s24, s8, 0
	s_mov_b64 s[8:9], 1
	s_and_b32 vcc_lo, exec_lo, s3
	s_cbranch_vccnz .LBB58_13
; %bb.2:
	v_mad_u64_u32 v[2:3], null, v1, s26, 0
	s_delay_alu instid0(VALU_DEP_1) | instskip(SKIP_1) | instid1(VALU_DEP_2)
	v_mad_u64_u32 v[4:5], null, v1, s27, v[3:4]
	v_lshlrev_b32_e32 v5, 2, v1
	v_mov_b32_e32 v3, v4
	s_delay_alu instid0(VALU_DEP_1) | instskip(SKIP_1) | instid1(VALU_DEP_2)
	v_lshlrev_b64 v[3:4], 2, v[2:3]
	v_mov_b32_e32 v2, 0
	v_add_co_u32 v7, vcc_lo, s12, v3
	s_delay_alu instid0(VALU_DEP_3) | instskip(NEXT) | instid1(VALU_DEP_3)
	v_add_co_ci_u32_e32 v8, vcc_lo, s13, v4, vcc_lo
	v_cmp_le_u64_e32 vcc_lo, s[4:5], v[1:2]
	v_mov_b32_e32 v4, v0
	s_delay_alu instid0(VALU_DEP_4)
	v_add_co_u32 v2, s3, v7, v5
	v_add_nc_u32_e32 v6, s24, v5
	v_add_co_ci_u32_e64 v3, s3, 0, v8, s3
	s_xor_b32 s3, vcc_lo, -1
	s_mov_b32 s12, s15
	s_branch .LBB58_4
.LBB58_3:                               ;   in Loop: Header=BB58_4 Depth=1
	s_or_b32 exec_lo, exec_lo, s20
	s_ashr_i32 s13, s12, 31
	v_add_nc_u32_e32 v4, s15, v4
	v_cmp_ge_i64_e64 s13, s[12:13], s[4:5]
	s_add_i32 s12, s12, s15
	s_delay_alu instid0(VALU_DEP_1)
	s_and_b32 vcc_lo, exec_lo, s13
	s_cbranch_vccnz .LBB58_13
.LBB58_4:                               ; =>This Inner Loop Header: Depth=1
	v_cmp_gt_i32_e32 vcc_lo, v1, v4
	s_mov_b32 s13, 0
                                        ; implicit-def: $vgpr5
	s_and_b32 s20, s3, vcc_lo
	s_delay_alu instid0(SALU_CYCLE_1) | instskip(NEXT) | instid1(SALU_CYCLE_1)
	s_and_saveexec_b32 s21, s20
	s_xor_b32 s20, exec_lo, s21
	s_cbranch_execnz .LBB58_7
; %bb.5:                                ;   in Loop: Header=BB58_4 Depth=1
	s_or_saveexec_b32 s20, s20
	v_mov_b32_e32 v9, v4
	s_xor_b32 exec_lo, exec_lo, s20
	s_cbranch_execnz .LBB58_8
.LBB58_6:                               ;   in Loop: Header=BB58_4 Depth=1
	s_or_b32 exec_lo, exec_lo, s20
	s_and_saveexec_b32 s20, s13
	s_cbranch_execz .LBB58_3
	s_branch .LBB58_11
.LBB58_7:                               ;   in Loop: Header=BB58_4 Depth=1
	s_waitcnt vmcnt(0)
	v_ashrrev_i32_e32 v5, 31, v4
	s_mov_b32 s13, exec_lo
	s_delay_alu instid0(VALU_DEP_1) | instskip(NEXT) | instid1(VALU_DEP_1)
	v_lshlrev_b64 v[9:10], 2, v[4:5]
	v_add_co_u32 v9, vcc_lo, v7, v9
	s_delay_alu instid0(VALU_DEP_2)
	v_add_co_ci_u32_e32 v10, vcc_lo, v8, v10, vcc_lo
	global_load_b32 v5, v[9:10], off
	s_or_saveexec_b32 s20, s20
	v_mov_b32_e32 v9, v4
	s_xor_b32 exec_lo, exec_lo, s20
	s_cbranch_execz .LBB58_6
.LBB58_8:                               ;   in Loop: Header=BB58_4 Depth=1
	v_cmp_eq_u32_e32 vcc_lo, v1, v4
	s_mov_b32 s25, s13
                                        ; implicit-def: $vgpr5
	s_and_b32 s26, s3, vcc_lo
	s_delay_alu instid0(SALU_CYCLE_1)
	s_and_saveexec_b32 s21, s26
	s_cbranch_execz .LBB58_10
; %bb.9:                                ;   in Loop: Header=BB58_4 Depth=1
	global_load_b32 v5, v[2:3], off
	s_or_b32 s25, s13, exec_lo
	s_waitcnt vmcnt(0)
	v_div_scale_f32 v9, null, v5, v5, 1.0
	s_delay_alu instid0(VALU_DEP_1) | instskip(SKIP_2) | instid1(VALU_DEP_1)
	v_rcp_f32_e32 v10, v9
	s_waitcnt_depctr 0xfff
	v_fma_f32 v11, -v9, v10, 1.0
	v_fmac_f32_e32 v10, v11, v10
	v_div_scale_f32 v11, vcc_lo, 1.0, v5, 1.0
	s_delay_alu instid0(VALU_DEP_1) | instskip(NEXT) | instid1(VALU_DEP_1)
	v_mul_f32_e32 v12, v11, v10
	v_fma_f32 v13, -v9, v12, v11
	s_delay_alu instid0(VALU_DEP_1) | instskip(NEXT) | instid1(VALU_DEP_1)
	v_fmac_f32_e32 v12, v13, v10
	v_fma_f32 v9, -v9, v12, v11
	s_delay_alu instid0(VALU_DEP_1) | instskip(NEXT) | instid1(VALU_DEP_1)
	v_div_fmas_f32 v9, v9, v10, v12
	v_div_fixup_f32 v5, v9, v5, 1.0
.LBB58_10:                              ;   in Loop: Header=BB58_4 Depth=1
	s_or_b32 exec_lo, exec_lo, s21
	v_mov_b32_e32 v9, v1
	s_and_not1_b32 s13, s13, exec_lo
	s_and_b32 s21, s25, exec_lo
	s_delay_alu instid0(SALU_CYCLE_1)
	s_or_b32 s13, s13, s21
	s_or_b32 exec_lo, exec_lo, s20
	s_and_saveexec_b32 s20, s13
	s_cbranch_execz .LBB58_3
.LBB58_11:                              ;   in Loop: Header=BB58_4 Depth=1
	s_load_b32 s13, s[22:23], 0xc
	s_waitcnt lgkmcnt(0)
	s_and_b32 s13, s13, 0xffff
	s_delay_alu instid0(SALU_CYCLE_1) | instskip(NEXT) | instid1(VALU_DEP_1)
	v_mul_lo_u32 v9, v9, s13
	v_lshl_add_u32 v9, v9, 2, v6
	s_waitcnt vmcnt(0)
	ds_store_b32 v9, v5
	s_branch .LBB58_3
.LBB58_12:
	s_mov_b64 s[8:9], s[26:27]
	s_branch .LBB58_14
.LBB58_13:
	s_load_b32 s3, s[22:23], 0xc
	s_mov_b64 s[12:13], src_shared_base
	s_mov_b32 s21, 0
	s_mov_b32 s25, s13
	s_delay_alu instid0(SALU_CYCLE_1)
	s_mov_b64 s[12:13], s[24:25]
	s_waitcnt lgkmcnt(0)
	s_and_b32 s20, s3, 0xffff
.LBB58_14:
	v_mad_u64_u32 v[3:4], null, s14, s15, v[0:1]
	v_mov_b32_e32 v4, 0
	s_mov_b32 s3, exec_lo
	s_delay_alu instid0(VALU_DEP_1)
	v_cmpx_gt_i64_e64 s[6:7], v[3:4]
	s_cbranch_execz .LBB58_26
; %bb.15:
	v_mov_b32_e32 v2, v4
	s_delay_alu instid0(VALU_DEP_1)
	v_cmp_gt_i64_e32 vcc_lo, s[4:5], v[1:2]
	s_and_b32 exec_lo, exec_lo, vcc_lo
	s_cbranch_execz .LBB58_26
; %bb.16:
	s_waitcnt vmcnt(0) lgkmcnt(0)
	v_mad_u64_u32 v[4:5], null, v3, s18, 0
	s_lshl_b64 s[6:7], s[10:11], 2
	s_delay_alu instid0(SALU_CYCLE_1) | instskip(SKIP_1) | instid1(VALU_DEP_1)
	s_add_u32 s3, s16, s6
	s_addc_u32 s6, s17, s7
	v_mad_u64_u32 v[6:7], null, v3, s19, v[5:6]
	s_delay_alu instid0(VALU_DEP_1) | instskip(NEXT) | instid1(VALU_DEP_1)
	v_mov_b32_e32 v5, v6
	v_lshlrev_b64 v[3:4], 2, v[4:5]
	v_lshlrev_b32_e32 v5, 2, v1
	s_delay_alu instid0(VALU_DEP_2) | instskip(NEXT) | instid1(VALU_DEP_3)
	v_add_co_u32 v3, vcc_lo, s3, v3
	v_add_co_ci_u32_e32 v4, vcc_lo, s6, v4, vcc_lo
	s_load_b32 s3, s[0:1], 0x18
	s_delay_alu instid0(VALU_DEP_2) | instskip(NEXT) | instid1(VALU_DEP_2)
	v_add_co_u32 v3, vcc_lo, v3, v5
	v_add_co_ci_u32_e32 v4, vcc_lo, 0, v4, vcc_lo
	v_cmp_lt_u64_e64 s6, s[4:5], 2
	s_add_u32 s0, s4, -1
	s_addc_u32 s1, s5, -1
	global_load_b32 v5, v[3:4], off
	s_and_b32 vcc_lo, exec_lo, s6
	s_waitcnt vmcnt(0) lgkmcnt(0)
	v_mul_f32_e32 v9, s3, v5
	s_cbranch_vccnz .LBB58_23
; %bb.17:
	s_add_u32 s3, s20, s8
	v_mad_u64_u32 v[7:8], null, s8, v1, 0
	v_mad_u64_u32 v[5:6], null, s3, v1, 0
	s_addc_u32 s3, s21, s9
	v_lshl_add_u32 v0, v0, 2, 0
	s_mov_b64 s[4:5], 0
	s_delay_alu instid0(VALU_DEP_2) | instskip(NEXT) | instid1(VALU_DEP_4)
	v_mad_u64_u32 v[10:11], null, s3, v1, v[6:7]
	v_mad_u64_u32 v[11:12], null, s9, v1, v[8:9]
	s_lshl_b32 s3, s20, 2
	s_delay_alu instid0(VALU_DEP_2) | instskip(NEXT) | instid1(VALU_DEP_2)
	v_mov_b32_e32 v6, v10
	v_mov_b32_e32 v8, v11
	s_delay_alu instid0(VALU_DEP_2) | instskip(NEXT) | instid1(VALU_DEP_2)
	v_lshlrev_b64 v[5:6], 2, v[5:6]
	v_lshlrev_b64 v[7:8], 2, v[7:8]
	s_delay_alu instid0(VALU_DEP_2) | instskip(NEXT) | instid1(VALU_DEP_3)
	v_add_co_u32 v5, vcc_lo, s12, v5
	v_add_co_ci_u32_e32 v6, vcc_lo, s13, v6, vcc_lo
	s_delay_alu instid0(VALU_DEP_3) | instskip(NEXT) | instid1(VALU_DEP_4)
	v_add_co_u32 v7, vcc_lo, s12, v7
	v_add_co_ci_u32_e32 v8, vcc_lo, s13, v8, vcc_lo
	s_branch .LBB58_19
.LBB58_18:                              ;   in Loop: Header=BB58_19 Depth=1
	s_or_b32 exec_lo, exec_lo, s6
	v_add_co_u32 v7, vcc_lo, v7, s3
	s_add_u32 s4, s4, 1
	v_add_co_ci_u32_e32 v8, vcc_lo, 0, v8, vcc_lo
	s_addc_u32 s5, s5, 0
	s_delay_alu instid0(SALU_CYCLE_1)
	s_cmp_eq_u64 s[0:1], s[4:5]
	s_cbranch_scc1 .LBB58_23
.LBB58_19:                              ; =>This Inner Loop Header: Depth=1
	s_mov_b32 s6, exec_lo
	s_barrier
	buffer_gl0_inv
	v_cmpx_eq_u64_e64 s[4:5], v[1:2]
	s_cbranch_execz .LBB58_21
; %bb.20:                               ;   in Loop: Header=BB58_19 Depth=1
	flat_load_b32 v10, v[5:6]
	s_waitcnt vmcnt(0) lgkmcnt(0)
	v_div_scale_f32 v11, null, v10, v10, 1.0
	s_delay_alu instid0(VALU_DEP_1) | instskip(SKIP_2) | instid1(VALU_DEP_1)
	v_rcp_f32_e32 v12, v11
	s_waitcnt_depctr 0xfff
	v_fma_f32 v13, -v11, v12, 1.0
	v_fmac_f32_e32 v12, v13, v12
	v_div_scale_f32 v13, vcc_lo, 1.0, v10, 1.0
	s_delay_alu instid0(VALU_DEP_1) | instskip(NEXT) | instid1(VALU_DEP_1)
	v_mul_f32_e32 v14, v13, v12
	v_fma_f32 v15, -v11, v14, v13
	s_delay_alu instid0(VALU_DEP_1) | instskip(NEXT) | instid1(VALU_DEP_1)
	v_fmac_f32_e32 v14, v15, v12
	v_fma_f32 v11, -v11, v14, v13
	s_delay_alu instid0(VALU_DEP_1) | instskip(NEXT) | instid1(VALU_DEP_1)
	v_div_fmas_f32 v11, v11, v12, v14
	v_div_fixup_f32 v11, v11, v10, 1.0
	s_delay_alu instid0(VALU_DEP_1) | instskip(NEXT) | instid1(VALU_DEP_1)
	v_cndmask_b32_e64 v10, v11, v10, s2
	v_mul_f32_e32 v9, v9, v10
	ds_store_b32 v0, v9
.LBB58_21:                              ;   in Loop: Header=BB58_19 Depth=1
	s_or_b32 exec_lo, exec_lo, s6
	s_delay_alu instid0(SALU_CYCLE_1)
	s_mov_b32 s6, exec_lo
	s_waitcnt lgkmcnt(0)
	s_barrier
	buffer_gl0_inv
	v_cmpx_lt_u64_e64 s[4:5], v[1:2]
	s_cbranch_execz .LBB58_18
; %bb.22:                               ;   in Loop: Header=BB58_19 Depth=1
	flat_load_b32 v10, v[7:8]
	ds_load_b32 v11, v0
	s_waitcnt vmcnt(0) lgkmcnt(0)
	v_fma_f32 v9, -v10, v11, v9
	s_branch .LBB58_18
.LBB58_23:
	v_cmp_eq_u64_e32 vcc_lo, s[0:1], v[1:2]
	s_and_saveexec_b32 s0, vcc_lo
	s_cbranch_execz .LBB58_25
; %bb.24:
	s_add_u32 s1, s20, s8
	s_delay_alu instid0(SALU_CYCLE_1) | instskip(SKIP_1) | instid1(VALU_DEP_1)
	v_mad_u64_u32 v[5:6], null, s1, v1, 0
	s_addc_u32 s1, s21, s9
	v_mov_b32_e32 v0, v6
	s_delay_alu instid0(VALU_DEP_1) | instskip(NEXT) | instid1(VALU_DEP_1)
	v_mad_u64_u32 v[6:7], null, s1, v1, v[0:1]
	v_lshlrev_b64 v[0:1], 2, v[5:6]
	s_delay_alu instid0(VALU_DEP_1) | instskip(NEXT) | instid1(VALU_DEP_2)
	v_add_co_u32 v0, vcc_lo, s12, v0
	v_add_co_ci_u32_e32 v1, vcc_lo, s13, v1, vcc_lo
	flat_load_b32 v0, v[0:1]
	s_waitcnt vmcnt(0) lgkmcnt(0)
	v_div_scale_f32 v1, null, v0, v0, 1.0
	s_delay_alu instid0(VALU_DEP_1) | instskip(SKIP_2) | instid1(VALU_DEP_1)
	v_rcp_f32_e32 v2, v1
	s_waitcnt_depctr 0xfff
	v_fma_f32 v5, -v1, v2, 1.0
	v_fmac_f32_e32 v2, v5, v2
	v_div_scale_f32 v5, vcc_lo, 1.0, v0, 1.0
	s_delay_alu instid0(VALU_DEP_1) | instskip(NEXT) | instid1(VALU_DEP_1)
	v_mul_f32_e32 v6, v5, v2
	v_fma_f32 v7, -v1, v6, v5
	s_delay_alu instid0(VALU_DEP_1) | instskip(NEXT) | instid1(VALU_DEP_1)
	v_fmac_f32_e32 v6, v7, v2
	v_fma_f32 v1, -v1, v6, v5
	s_delay_alu instid0(VALU_DEP_1) | instskip(NEXT) | instid1(VALU_DEP_1)
	v_div_fmas_f32 v1, v1, v2, v6
	v_div_fixup_f32 v1, v1, v0, 1.0
	s_delay_alu instid0(VALU_DEP_1) | instskip(NEXT) | instid1(VALU_DEP_1)
	v_cndmask_b32_e64 v0, v1, v0, s2
	v_mul_f32_e32 v9, v9, v0
.LBB58_25:
	s_or_b32 exec_lo, exec_lo, s0
	global_store_b32 v[3:4], v9, off
.LBB58_26:
	s_nop 0
	s_sendmsg sendmsg(MSG_DEALLOC_VGPRS)
	s_endpgm
	.section	.rodata,"a",@progbits
	.p2align	6, 0x0
	.amdhsa_kernel _ZL39rocblas_trsm_block_forward_substitutionIffPKPKfPKPfLb1ELb0ELb0EEv18rocblas_operation_llT0_T1_lllT2_lllib
		.amdhsa_group_segment_fixed_size 0
		.amdhsa_private_segment_fixed_size 0
		.amdhsa_kernarg_size 360
		.amdhsa_user_sgpr_count 13
		.amdhsa_user_sgpr_dispatch_ptr 0
		.amdhsa_user_sgpr_queue_ptr 0
		.amdhsa_user_sgpr_kernarg_segment_ptr 1
		.amdhsa_user_sgpr_dispatch_id 0
		.amdhsa_user_sgpr_private_segment_size 0
		.amdhsa_wavefront_size32 1
		.amdhsa_uses_dynamic_stack 0
		.amdhsa_enable_private_segment 0
		.amdhsa_system_sgpr_workgroup_id_x 1
		.amdhsa_system_sgpr_workgroup_id_y 1
		.amdhsa_system_sgpr_workgroup_id_z 1
		.amdhsa_system_sgpr_workgroup_info 0
		.amdhsa_system_vgpr_workitem_id 1
		.amdhsa_next_free_vgpr 16
		.amdhsa_next_free_sgpr 28
		.amdhsa_reserve_vcc 1
		.amdhsa_float_round_mode_32 0
		.amdhsa_float_round_mode_16_64 0
		.amdhsa_float_denorm_mode_32 3
		.amdhsa_float_denorm_mode_16_64 3
		.amdhsa_dx10_clamp 1
		.amdhsa_ieee_mode 1
		.amdhsa_fp16_overflow 0
		.amdhsa_workgroup_processor_mode 1
		.amdhsa_memory_ordered 1
		.amdhsa_forward_progress 0
		.amdhsa_shared_vgpr_count 0
		.amdhsa_exception_fp_ieee_invalid_op 0
		.amdhsa_exception_fp_denorm_src 0
		.amdhsa_exception_fp_ieee_div_zero 0
		.amdhsa_exception_fp_ieee_overflow 0
		.amdhsa_exception_fp_ieee_underflow 0
		.amdhsa_exception_fp_ieee_inexact 0
		.amdhsa_exception_int_div_zero 0
	.end_amdhsa_kernel
	.section	.text._ZL39rocblas_trsm_block_forward_substitutionIffPKPKfPKPfLb1ELb0ELb0EEv18rocblas_operation_llT0_T1_lllT2_lllib,"axG",@progbits,_ZL39rocblas_trsm_block_forward_substitutionIffPKPKfPKPfLb1ELb0ELb0EEv18rocblas_operation_llT0_T1_lllT2_lllib,comdat
.Lfunc_end58:
	.size	_ZL39rocblas_trsm_block_forward_substitutionIffPKPKfPKPfLb1ELb0ELb0EEv18rocblas_operation_llT0_T1_lllT2_lllib, .Lfunc_end58-_ZL39rocblas_trsm_block_forward_substitutionIffPKPKfPKPfLb1ELb0ELb0EEv18rocblas_operation_llT0_T1_lllT2_lllib
                                        ; -- End function
	.section	.AMDGPU.csdata,"",@progbits
; Kernel info:
; codeLenInByte = 1548
; NumSgprs: 30
; NumVgprs: 16
; ScratchSize: 0
; MemoryBound: 0
; FloatMode: 240
; IeeeMode: 1
; LDSByteSize: 0 bytes/workgroup (compile time only)
; SGPRBlocks: 3
; VGPRBlocks: 1
; NumSGPRsForWavesPerEU: 30
; NumVGPRsForWavesPerEU: 16
; Occupancy: 16
; WaveLimiterHint : 1
; COMPUTE_PGM_RSRC2:SCRATCH_EN: 0
; COMPUTE_PGM_RSRC2:USER_SGPR: 13
; COMPUTE_PGM_RSRC2:TRAP_HANDLER: 0
; COMPUTE_PGM_RSRC2:TGID_X_EN: 1
; COMPUTE_PGM_RSRC2:TGID_Y_EN: 1
; COMPUTE_PGM_RSRC2:TGID_Z_EN: 1
; COMPUTE_PGM_RSRC2:TIDIG_COMP_CNT: 1
	.section	.text._ZL40rocblas_trsm_block_backward_substitutionIffPKPKfPKPfLb1ELb0ELb0EEv18rocblas_operation_llT0_T1_lllT2_lllib,"axG",@progbits,_ZL40rocblas_trsm_block_backward_substitutionIffPKPKfPKPfLb1ELb0ELb0EEv18rocblas_operation_llT0_T1_lllT2_lllib,comdat
	.globl	_ZL40rocblas_trsm_block_backward_substitutionIffPKPKfPKPfLb1ELb0ELb0EEv18rocblas_operation_llT0_T1_lllT2_lllib ; -- Begin function _ZL40rocblas_trsm_block_backward_substitutionIffPKPKfPKPfLb1ELb0ELb0EEv18rocblas_operation_llT0_T1_lllT2_lllib
	.p2align	8
	.type	_ZL40rocblas_trsm_block_backward_substitutionIffPKPKfPKPfLb1ELb0ELb0EEv18rocblas_operation_llT0_T1_lllT2_lllib,@function
_ZL40rocblas_trsm_block_backward_substitutionIffPKPKfPKPfLb1ELb0ELb0EEv18rocblas_operation_llT0_T1_lllT2_lllib: ; @_ZL40rocblas_trsm_block_backward_substitutionIffPKPKfPKPfLb1ELb0ELb0EEv18rocblas_operation_llT0_T1_lllT2_lllib
; %bb.0:
	s_mov_b32 s4, s15
	s_clause 0x2
	s_load_b32 s3, s[0:1], 0x64
	s_load_b128 s[16:19], s[0:1], 0x20
	s_load_b32 s15, s[0:1], 0x74
	s_mov_b32 s5, 0
	s_load_b64 s[12:13], s[0:1], 0x30
	v_and_b32_e32 v1, 0x3ff, v0
	v_bfe_u32 v0, v0, 10, 10
	s_waitcnt lgkmcnt(0)
	s_bitcmp1_b32 s3, 0
	s_cselect_b32 s2, -1, 0
	s_lshl_b64 s[22:23], s[4:5], 3
	s_delay_alu instid0(SALU_CYCLE_1)
	s_add_u32 s4, s16, s22
	s_addc_u32 s5, s17, s23
	s_load_b64 s[16:17], s[4:5], 0x0
	s_clause 0x1
	s_load_b128 s[4:7], s[0:1], 0x40
	s_load_b128 s[8:11], s[0:1], 0x8
	s_lshl_b64 s[18:19], s[18:19], 2
	s_waitcnt lgkmcnt(0)
	s_add_u32 s20, s16, s18
	s_addc_u32 s21, s17, s19
	s_add_u32 s4, s4, s22
	s_addc_u32 s5, s5, s23
	s_load_b64 s[18:19], s[0:1], 0x50
	s_load_b64 s[16:17], s[4:5], 0x0
	s_add_u32 s22, s0, 0x68
	s_addc_u32 s23, s1, 0
	s_lshr_b32 s5, s15, 16
	s_bitcmp0_b32 s3, 0
	s_cbranch_scc1 .LBB59_15
; %bb.1:
	v_cmp_lt_i64_e64 s3, s[8:9], 1
	s_lshl_b32 s4, s5, 2
	s_delay_alu instid0(SALU_CYCLE_1) | instskip(NEXT) | instid1(VALU_DEP_1)
	s_add_i32 s24, s4, 0
	s_and_b32 vcc_lo, exec_lo, s3
	s_cbranch_vccnz .LBB59_14
; %bb.2:
	v_mad_u64_u32 v[3:4], null, v1, s12, 0
	s_delay_alu instid0(VALU_DEP_1) | instskip(NEXT) | instid1(VALU_DEP_1)
	v_mov_b32_e32 v2, v4
	v_mad_u64_u32 v[4:5], null, v1, s13, v[2:3]
	v_dual_mov_b32 v2, 0 :: v_dual_lshlrev_b32 v5, 2, v1
	s_delay_alu instid0(VALU_DEP_1) | instskip(NEXT) | instid1(VALU_DEP_3)
	v_add_co_u32 v7, s3, s20, v5
	v_lshlrev_b64 v[3:4], 2, v[3:4]
	v_add_co_ci_u32_e64 v8, null, s21, 0, s3
	s_delay_alu instid0(VALU_DEP_4)
	v_cmp_le_u64_e64 s15, s[8:9], v[1:2]
	v_cmp_gt_u64_e64 s3, s[8:9], v[1:2]
	v_add_nc_u32_e32 v6, s24, v5
	v_add_co_u32 v2, vcc_lo, v7, v3
	v_add_co_ci_u32_e32 v3, vcc_lo, v8, v4, vcc_lo
	v_mov_b32_e32 v4, v0
	s_xor_b32 s25, s15, -1
	s_mov_b32 s20, s5
	s_branch .LBB59_4
.LBB59_3:                               ;   in Loop: Header=BB59_4 Depth=1
	s_or_b32 exec_lo, exec_lo, s21
	s_ashr_i32 s21, s20, 31
	v_add_nc_u32_e32 v4, s5, v4
	v_cmp_ge_i64_e64 s4, s[20:21], s[8:9]
	s_add_i32 s20, s20, s5
	s_delay_alu instid0(VALU_DEP_1)
	s_and_b32 vcc_lo, exec_lo, s4
	s_cbranch_vccnz .LBB59_14
.LBB59_4:                               ; =>This Inner Loop Header: Depth=1
	s_mov_b32 s26, s15
	s_mov_b32 s4, 0
                                        ; implicit-def: $vgpr9
                                        ; implicit-def: $vgpr5
	s_and_saveexec_b32 s21, s3
	s_cbranch_execnz .LBB59_7
; %bb.5:                                ;   in Loop: Header=BB59_4 Depth=1
	s_or_b32 exec_lo, exec_lo, s21
	s_and_saveexec_b32 s21, s26
	s_cbranch_execnz .LBB59_10
.LBB59_6:                               ;   in Loop: Header=BB59_4 Depth=1
	s_or_b32 exec_lo, exec_lo, s21
	s_and_saveexec_b32 s21, s4
	s_cbranch_execz .LBB59_3
	s_branch .LBB59_13
.LBB59_7:                               ;   in Loop: Header=BB59_4 Depth=1
	v_ashrrev_i32_e32 v5, 31, v4
	v_cmp_lt_i32_e64 s4, v1, v4
	s_mov_b32 s26, -1
                                        ; implicit-def: $vgpr9
	s_delay_alu instid0(VALU_DEP_2) | instskip(NEXT) | instid1(VALU_DEP_2)
	v_cmp_gt_i64_e32 vcc_lo, s[8:9], v[4:5]
	s_and_b32 s28, s4, vcc_lo
	s_mov_b32 s4, 0
	s_and_saveexec_b32 s27, s28
	s_cbranch_execz .LBB59_9
; %bb.8:                                ;   in Loop: Header=BB59_4 Depth=1
	v_mul_lo_u32 v5, v5, s12
	v_mul_lo_u32 v11, v4, s13
	s_waitcnt vmcnt(0)
	v_mad_u64_u32 v[9:10], null, v4, s12, 0
	s_mov_b32 s4, exec_lo
	s_xor_b32 s26, exec_lo, -1
	s_delay_alu instid0(VALU_DEP_1) | instskip(NEXT) | instid1(VALU_DEP_1)
	v_add3_u32 v10, v10, v11, v5
	v_lshlrev_b64 v[9:10], 2, v[9:10]
	s_delay_alu instid0(VALU_DEP_1) | instskip(NEXT) | instid1(VALU_DEP_2)
	v_add_co_u32 v9, vcc_lo, v7, v9
	v_add_co_ci_u32_e32 v10, vcc_lo, v8, v10, vcc_lo
	global_load_b32 v9, v[9:10], off
.LBB59_9:                               ;   in Loop: Header=BB59_4 Depth=1
	s_or_b32 exec_lo, exec_lo, s27
	v_mov_b32_e32 v5, v4
	s_and_not1_b32 s27, s15, exec_lo
	s_and_b32 s26, s26, exec_lo
	s_and_b32 s4, s4, exec_lo
	s_or_b32 s26, s27, s26
	s_or_b32 exec_lo, exec_lo, s21
	s_and_saveexec_b32 s21, s26
	s_cbranch_execz .LBB59_6
.LBB59_10:                              ;   in Loop: Header=BB59_4 Depth=1
	v_cmp_eq_u32_e32 vcc_lo, v1, v4
	s_mov_b32 s27, s4
                                        ; implicit-def: $vgpr9
	s_and_b32 s28, s25, vcc_lo
	s_delay_alu instid0(SALU_CYCLE_1)
	s_and_saveexec_b32 s26, s28
	s_cbranch_execz .LBB59_12
; %bb.11:                               ;   in Loop: Header=BB59_4 Depth=1
	global_load_b32 v5, v[2:3], off
	s_or_b32 s27, s4, exec_lo
	s_waitcnt vmcnt(0)
	v_div_scale_f32 v9, null, v5, v5, 1.0
	s_delay_alu instid0(VALU_DEP_1) | instskip(SKIP_2) | instid1(VALU_DEP_1)
	v_rcp_f32_e32 v10, v9
	s_waitcnt_depctr 0xfff
	v_fma_f32 v11, -v9, v10, 1.0
	v_fmac_f32_e32 v10, v11, v10
	v_div_scale_f32 v11, vcc_lo, 1.0, v5, 1.0
	s_delay_alu instid0(VALU_DEP_1) | instskip(NEXT) | instid1(VALU_DEP_1)
	v_mul_f32_e32 v12, v11, v10
	v_fma_f32 v13, -v9, v12, v11
	s_delay_alu instid0(VALU_DEP_1) | instskip(NEXT) | instid1(VALU_DEP_1)
	v_fmac_f32_e32 v12, v13, v10
	v_fma_f32 v9, -v9, v12, v11
	s_delay_alu instid0(VALU_DEP_1) | instskip(NEXT) | instid1(VALU_DEP_1)
	v_div_fmas_f32 v9, v9, v10, v12
	v_div_fixup_f32 v9, v9, v5, 1.0
.LBB59_12:                              ;   in Loop: Header=BB59_4 Depth=1
	s_or_b32 exec_lo, exec_lo, s26
	v_mov_b32_e32 v5, v1
	s_and_not1_b32 s4, s4, exec_lo
	s_and_b32 s26, s27, exec_lo
	s_delay_alu instid0(SALU_CYCLE_1)
	s_or_b32 s4, s4, s26
	s_or_b32 exec_lo, exec_lo, s21
	s_and_saveexec_b32 s21, s4
	s_cbranch_execz .LBB59_3
.LBB59_13:                              ;   in Loop: Header=BB59_4 Depth=1
	s_load_b32 s4, s[22:23], 0xc
	s_waitcnt lgkmcnt(0)
	s_and_b32 s4, s4, 0xffff
	s_delay_alu instid0(SALU_CYCLE_1) | instskip(NEXT) | instid1(VALU_DEP_1)
	v_mul_lo_u32 v5, v5, s4
	v_lshl_add_u32 v5, v5, 2, v6
	s_waitcnt vmcnt(0)
	ds_store_b32 v5, v9
	s_branch .LBB59_3
.LBB59_14:
	s_load_b32 s3, s[22:23], 0xc
	s_mov_b64 s[20:21], src_shared_base
	s_mov_b32 s13, 0
	s_mov_b32 s25, s21
	s_delay_alu instid0(SALU_CYCLE_1)
	s_mov_b64 s[20:21], s[24:25]
	s_waitcnt lgkmcnt(0)
	s_and_b32 s12, s3, 0xffff
.LBB59_15:
	v_mad_u64_u32 v[3:4], null, s14, s5, v[0:1]
	v_mov_b32_e32 v4, 0
	s_mov_b32 s3, exec_lo
	s_delay_alu instid0(VALU_DEP_1)
	v_cmpx_gt_i64_e64 s[10:11], v[3:4]
	s_cbranch_execz .LBB59_28
; %bb.16:
	v_mov_b32_e32 v2, v4
	s_delay_alu instid0(VALU_DEP_1)
	v_cmp_gt_i64_e32 vcc_lo, s[8:9], v[1:2]
	s_and_b32 exec_lo, exec_lo, vcc_lo
	s_cbranch_execz .LBB59_28
; %bb.17:
	s_waitcnt lgkmcnt(0)
	v_mad_u64_u32 v[5:6], null, v1, s18, 0
	s_load_b32 s0, s[0:1], 0x18
	s_lshl_b64 s[4:5], s[6:7], 2
	v_lshlrev_b64 v[3:4], 2, v[3:4]
	s_add_u32 s3, s16, s4
	s_addc_u32 s4, s17, s5
	v_cmp_lt_u64_e64 s1, s[8:9], 2
	s_delay_alu instid0(VALU_DEP_3) | instskip(NEXT) | instid1(VALU_DEP_1)
	v_mad_u64_u32 v[7:8], null, v1, s19, v[6:7]
	v_mov_b32_e32 v6, v7
	s_delay_alu instid0(VALU_DEP_1) | instskip(NEXT) | instid1(VALU_DEP_1)
	v_lshlrev_b64 v[5:6], 2, v[5:6]
	v_add_co_u32 v5, vcc_lo, s3, v5
	s_delay_alu instid0(VALU_DEP_2) | instskip(NEXT) | instid1(VALU_DEP_2)
	v_add_co_ci_u32_e32 v6, vcc_lo, s4, v6, vcc_lo
	v_add_co_u32 v3, vcc_lo, v5, v3
	s_delay_alu instid0(VALU_DEP_2)
	v_add_co_ci_u32_e32 v4, vcc_lo, v6, v4, vcc_lo
	s_and_b32 vcc_lo, exec_lo, s1
	global_load_b32 v5, v[3:4], off
	s_waitcnt vmcnt(0) lgkmcnt(0)
	v_mul_f32_e32 v9, s0, v5
	s_cbranch_vccnz .LBB59_25
; %bb.18:
	v_mad_u64_u32 v[5:6], null, v1, s12, v[1:2]
	s_add_u32 s0, s8, -1
	s_addc_u32 s1, s9, -1
	s_mul_hi_u32 s3, s12, s0
	s_mul_i32 s4, s12, s1
	s_mul_i32 s5, s13, s0
	s_add_i32 s3, s3, s4
	s_delay_alu instid0(VALU_DEP_1)
	v_mad_u64_u32 v[7:8], null, v1, s13, v[6:7]
	s_mul_i32 s4, s12, s0
	s_add_i32 s5, s3, s5
	v_lshlrev_b32_e32 v10, 2, v1
	s_lshl_b64 s[4:5], s[4:5], 2
	v_lshl_add_u32 v0, v0, 2, 0
	s_add_u32 s3, s20, s4
	s_delay_alu instid0(VALU_DEP_3) | instskip(SKIP_1) | instid1(VALU_DEP_1)
	v_mov_b32_e32 v6, v7
	s_addc_u32 s4, s21, s5
	v_lshlrev_b64 v[7:8], 2, v[5:6]
	v_add_co_u32 v5, s3, s3, v10
	s_delay_alu instid0(VALU_DEP_1) | instskip(SKIP_1) | instid1(VALU_DEP_3)
	v_add_co_ci_u32_e64 v6, null, s4, 0, s3
	s_lshl_b64 s[4:5], s[12:13], 2
	v_add_co_u32 v7, vcc_lo, s20, v7
	s_delay_alu instid0(VALU_DEP_4)
	v_add_co_ci_u32_e32 v8, vcc_lo, s21, v8, vcc_lo
	s_sub_u32 s3, 0, s4
	s_subb_u32 s6, 0, s5
.LBB59_19:                              ; =>This Inner Loop Header: Depth=1
	s_mov_b32 s4, exec_lo
	s_barrier
	buffer_gl0_inv
	v_cmpx_eq_u64_e64 s[0:1], v[1:2]
	s_cbranch_execz .LBB59_21
; %bb.20:                               ;   in Loop: Header=BB59_19 Depth=1
	flat_load_b32 v10, v[7:8]
	s_waitcnt vmcnt(0) lgkmcnt(0)
	v_div_scale_f32 v11, null, v10, v10, 1.0
	s_delay_alu instid0(VALU_DEP_1) | instskip(SKIP_2) | instid1(VALU_DEP_1)
	v_rcp_f32_e32 v12, v11
	s_waitcnt_depctr 0xfff
	v_fma_f32 v13, -v11, v12, 1.0
	v_fmac_f32_e32 v12, v13, v12
	v_div_scale_f32 v13, vcc_lo, 1.0, v10, 1.0
	s_delay_alu instid0(VALU_DEP_1) | instskip(NEXT) | instid1(VALU_DEP_1)
	v_mul_f32_e32 v14, v13, v12
	v_fma_f32 v15, -v11, v14, v13
	s_delay_alu instid0(VALU_DEP_1) | instskip(NEXT) | instid1(VALU_DEP_1)
	v_fmac_f32_e32 v14, v15, v12
	v_fma_f32 v11, -v11, v14, v13
	s_delay_alu instid0(VALU_DEP_1) | instskip(NEXT) | instid1(VALU_DEP_1)
	v_div_fmas_f32 v11, v11, v12, v14
	v_div_fixup_f32 v11, v11, v10, 1.0
	s_delay_alu instid0(VALU_DEP_1) | instskip(NEXT) | instid1(VALU_DEP_1)
	v_cndmask_b32_e64 v10, v11, v10, s2
	v_mul_f32_e32 v9, v9, v10
	ds_store_b32 v0, v9
.LBB59_21:                              ;   in Loop: Header=BB59_19 Depth=1
	s_or_b32 exec_lo, exec_lo, s4
	s_delay_alu instid0(SALU_CYCLE_1)
	s_mov_b32 s4, exec_lo
	s_waitcnt lgkmcnt(0)
	s_barrier
	buffer_gl0_inv
	v_cmpx_gt_i64_e64 s[0:1], v[1:2]
	s_cbranch_execz .LBB59_23
; %bb.22:                               ;   in Loop: Header=BB59_19 Depth=1
	flat_load_b32 v10, v[5:6]
	ds_load_b32 v11, v0
	s_waitcnt vmcnt(0) lgkmcnt(0)
	v_fma_f32 v9, -v10, v11, v9
.LBB59_23:                              ;   in Loop: Header=BB59_19 Depth=1
	s_or_b32 exec_lo, exec_lo, s4
	s_add_u32 s4, s0, -1
	s_addc_u32 s5, s1, -1
	s_add_u32 s0, s0, 1
	s_addc_u32 s1, s1, 0
	v_add_co_u32 v5, vcc_lo, v5, s3
	v_cmp_lt_u64_e64 s0, s[0:1], 3
	v_add_co_ci_u32_e32 v6, vcc_lo, s6, v6, vcc_lo
	s_delay_alu instid0(VALU_DEP_2)
	s_and_b32 vcc_lo, exec_lo, s0
	s_cbranch_vccnz .LBB59_25
; %bb.24:                               ;   in Loop: Header=BB59_19 Depth=1
	s_mov_b64 s[0:1], s[4:5]
	s_branch .LBB59_19
.LBB59_25:
	s_mov_b32 s0, exec_lo
	v_cmpx_eq_u32_e32 0, v1
	s_cbranch_execz .LBB59_27
; %bb.26:
	v_mad_u64_u32 v[5:6], null, v1, s12, v[1:2]
	s_delay_alu instid0(VALU_DEP_1) | instskip(NEXT) | instid1(VALU_DEP_1)
	v_mov_b32_e32 v0, v6
	v_mad_u64_u32 v[6:7], null, v1, s13, v[0:1]
	s_delay_alu instid0(VALU_DEP_1) | instskip(NEXT) | instid1(VALU_DEP_1)
	v_lshlrev_b64 v[0:1], 2, v[5:6]
	v_add_co_u32 v0, vcc_lo, s20, v0
	s_delay_alu instid0(VALU_DEP_2) | instskip(SKIP_3) | instid1(VALU_DEP_1)
	v_add_co_ci_u32_e32 v1, vcc_lo, s21, v1, vcc_lo
	flat_load_b32 v0, v[0:1]
	s_waitcnt vmcnt(0) lgkmcnt(0)
	v_div_scale_f32 v1, null, v0, v0, 1.0
	v_rcp_f32_e32 v2, v1
	s_waitcnt_depctr 0xfff
	v_fma_f32 v5, -v1, v2, 1.0
	s_delay_alu instid0(VALU_DEP_1) | instskip(SKIP_1) | instid1(VALU_DEP_1)
	v_fmac_f32_e32 v2, v5, v2
	v_div_scale_f32 v5, vcc_lo, 1.0, v0, 1.0
	v_mul_f32_e32 v6, v5, v2
	s_delay_alu instid0(VALU_DEP_1) | instskip(NEXT) | instid1(VALU_DEP_1)
	v_fma_f32 v7, -v1, v6, v5
	v_fmac_f32_e32 v6, v7, v2
	s_delay_alu instid0(VALU_DEP_1) | instskip(NEXT) | instid1(VALU_DEP_1)
	v_fma_f32 v1, -v1, v6, v5
	v_div_fmas_f32 v1, v1, v2, v6
	s_delay_alu instid0(VALU_DEP_1) | instskip(NEXT) | instid1(VALU_DEP_1)
	v_div_fixup_f32 v1, v1, v0, 1.0
	v_cndmask_b32_e64 v0, v1, v0, s2
	s_delay_alu instid0(VALU_DEP_1)
	v_mul_f32_e32 v9, v9, v0
.LBB59_27:
	s_or_b32 exec_lo, exec_lo, s0
	global_store_b32 v[3:4], v9, off
.LBB59_28:
	s_nop 0
	s_sendmsg sendmsg(MSG_DEALLOC_VGPRS)
	s_endpgm
	.section	.rodata,"a",@progbits
	.p2align	6, 0x0
	.amdhsa_kernel _ZL40rocblas_trsm_block_backward_substitutionIffPKPKfPKPfLb1ELb0ELb0EEv18rocblas_operation_llT0_T1_lllT2_lllib
		.amdhsa_group_segment_fixed_size 0
		.amdhsa_private_segment_fixed_size 0
		.amdhsa_kernarg_size 360
		.amdhsa_user_sgpr_count 13
		.amdhsa_user_sgpr_dispatch_ptr 0
		.amdhsa_user_sgpr_queue_ptr 0
		.amdhsa_user_sgpr_kernarg_segment_ptr 1
		.amdhsa_user_sgpr_dispatch_id 0
		.amdhsa_user_sgpr_private_segment_size 0
		.amdhsa_wavefront_size32 1
		.amdhsa_uses_dynamic_stack 0
		.amdhsa_enable_private_segment 0
		.amdhsa_system_sgpr_workgroup_id_x 1
		.amdhsa_system_sgpr_workgroup_id_y 1
		.amdhsa_system_sgpr_workgroup_id_z 1
		.amdhsa_system_sgpr_workgroup_info 0
		.amdhsa_system_vgpr_workitem_id 1
		.amdhsa_next_free_vgpr 16
		.amdhsa_next_free_sgpr 29
		.amdhsa_reserve_vcc 1
		.amdhsa_float_round_mode_32 0
		.amdhsa_float_round_mode_16_64 0
		.amdhsa_float_denorm_mode_32 3
		.amdhsa_float_denorm_mode_16_64 3
		.amdhsa_dx10_clamp 1
		.amdhsa_ieee_mode 1
		.amdhsa_fp16_overflow 0
		.amdhsa_workgroup_processor_mode 1
		.amdhsa_memory_ordered 1
		.amdhsa_forward_progress 0
		.amdhsa_shared_vgpr_count 0
		.amdhsa_exception_fp_ieee_invalid_op 0
		.amdhsa_exception_fp_denorm_src 0
		.amdhsa_exception_fp_ieee_div_zero 0
		.amdhsa_exception_fp_ieee_overflow 0
		.amdhsa_exception_fp_ieee_underflow 0
		.amdhsa_exception_fp_ieee_inexact 0
		.amdhsa_exception_int_div_zero 0
	.end_amdhsa_kernel
	.section	.text._ZL40rocblas_trsm_block_backward_substitutionIffPKPKfPKPfLb1ELb0ELb0EEv18rocblas_operation_llT0_T1_lllT2_lllib,"axG",@progbits,_ZL40rocblas_trsm_block_backward_substitutionIffPKPKfPKPfLb1ELb0ELb0EEv18rocblas_operation_llT0_T1_lllT2_lllib,comdat
.Lfunc_end59:
	.size	_ZL40rocblas_trsm_block_backward_substitutionIffPKPKfPKPfLb1ELb0ELb0EEv18rocblas_operation_llT0_T1_lllT2_lllib, .Lfunc_end59-_ZL40rocblas_trsm_block_backward_substitutionIffPKPKfPKPfLb1ELb0ELb0EEv18rocblas_operation_llT0_T1_lllT2_lllib
                                        ; -- End function
	.section	.AMDGPU.csdata,"",@progbits
; Kernel info:
; codeLenInByte = 1636
; NumSgprs: 31
; NumVgprs: 16
; ScratchSize: 0
; MemoryBound: 0
; FloatMode: 240
; IeeeMode: 1
; LDSByteSize: 0 bytes/workgroup (compile time only)
; SGPRBlocks: 3
; VGPRBlocks: 1
; NumSGPRsForWavesPerEU: 31
; NumVGPRsForWavesPerEU: 16
; Occupancy: 16
; WaveLimiterHint : 1
; COMPUTE_PGM_RSRC2:SCRATCH_EN: 0
; COMPUTE_PGM_RSRC2:USER_SGPR: 13
; COMPUTE_PGM_RSRC2:TRAP_HANDLER: 0
; COMPUTE_PGM_RSRC2:TGID_X_EN: 1
; COMPUTE_PGM_RSRC2:TGID_Y_EN: 1
; COMPUTE_PGM_RSRC2:TGID_Z_EN: 1
; COMPUTE_PGM_RSRC2:TIDIG_COMP_CNT: 1
	.section	.text._ZL39rocblas_trsm_block_forward_substitutionIffPKPKfPKPfLb1ELb0ELb1EEv18rocblas_operation_llT0_T1_lllT2_lllib,"axG",@progbits,_ZL39rocblas_trsm_block_forward_substitutionIffPKPKfPKPfLb1ELb0ELb1EEv18rocblas_operation_llT0_T1_lllT2_lllib,comdat
	.globl	_ZL39rocblas_trsm_block_forward_substitutionIffPKPKfPKPfLb1ELb0ELb1EEv18rocblas_operation_llT0_T1_lllT2_lllib ; -- Begin function _ZL39rocblas_trsm_block_forward_substitutionIffPKPKfPKPfLb1ELb0ELb1EEv18rocblas_operation_llT0_T1_lllT2_lllib
	.p2align	8
	.type	_ZL39rocblas_trsm_block_forward_substitutionIffPKPKfPKPfLb1ELb0ELb1EEv18rocblas_operation_llT0_T1_lllT2_lllib,@function
_ZL39rocblas_trsm_block_forward_substitutionIffPKPKfPKPfLb1ELb0ELb1EEv18rocblas_operation_llT0_T1_lllT2_lllib: ; @_ZL39rocblas_trsm_block_forward_substitutionIffPKPKfPKPfLb1ELb0ELb1EEv18rocblas_operation_llT0_T1_lllT2_lllib
; %bb.0:
	s_clause 0x1
	s_load_b128 s[16:19], s[0:1], 0x20
	s_load_b64 s[24:25], s[0:1], 0x30
	s_mov_b32 s2, s15
	s_mov_b32 s3, 0
	v_and_b32_e32 v1, 0x3ff, v0
	s_lshl_b64 s[2:3], s[2:3], 3
	v_bfe_u32 v0, v0, 10, 10
	s_waitcnt lgkmcnt(0)
	s_add_u32 s4, s16, s2
	s_addc_u32 s5, s17, s3
	s_lshl_b64 s[16:17], s[18:19], 2
	s_load_b64 s[12:13], s[4:5], 0x0
	s_clause 0x3
	s_load_b128 s[8:11], s[0:1], 0x40
	s_load_b128 s[4:7], s[0:1], 0x8
	s_load_b32 s22, s[0:1], 0x64
	s_load_b32 s15, s[0:1], 0x74
	s_waitcnt lgkmcnt(0)
	s_add_u32 s16, s12, s16
	s_addc_u32 s17, s13, s17
	s_add_u32 s2, s8, s2
	s_addc_u32 s3, s9, s3
	s_load_b64 s[18:19], s[0:1], 0x50
	s_load_b64 s[12:13], s[2:3], 0x0
	s_add_u32 s20, s0, 0x68
	s_addc_u32 s21, s1, 0
	s_lshr_b32 s15, s15, 16
	s_bitcmp0_b32 s22, 0
	s_mov_b64 s[2:3], 1
	s_cbranch_scc1 .LBB60_6
; %bb.1:
	v_cmp_lt_i64_e64 s2, s[4:5], 1
	s_lshl_b32 s3, s15, 2
	s_mov_b64 s[8:9], 1
	s_add_i32 s22, s3, 0
	s_delay_alu instid0(VALU_DEP_1)
	s_and_b32 vcc_lo, exec_lo, s2
	s_cbranch_vccnz .LBB60_7
; %bb.2:
	v_mad_u64_u32 v[3:4], null, v1, s24, 0
	s_delay_alu instid0(VALU_DEP_1) | instskip(NEXT) | instid1(VALU_DEP_1)
	v_mov_b32_e32 v2, v4
	v_mad_u64_u32 v[4:5], null, v1, s25, v[2:3]
	v_mov_b32_e32 v2, 0
	s_delay_alu instid0(VALU_DEP_1) | instskip(NEXT) | instid1(VALU_DEP_3)
	v_cmp_gt_u64_e64 s2, s[4:5], v[1:2]
	v_lshlrev_b64 v[5:6], 2, v[3:4]
	v_lshl_add_u32 v4, v1, 2, s22
	s_delay_alu instid0(VALU_DEP_2) | instskip(NEXT) | instid1(VALU_DEP_3)
	v_add_co_u32 v5, vcc_lo, s16, v5
	v_add_co_ci_u32_e32 v6, vcc_lo, s17, v6, vcc_lo
	s_mov_b32 s16, 0
	s_set_inst_prefetch_distance 0x1
	s_branch .LBB60_4
	.p2align	6
.LBB60_3:                               ;   in Loop: Header=BB60_4 Depth=1
	s_or_b32 exec_lo, exec_lo, s3
	s_add_i32 s16, s16, s15
	s_delay_alu instid0(SALU_CYCLE_1) | instskip(NEXT) | instid1(SALU_CYCLE_1)
	s_ashr_i32 s17, s16, 31
	v_cmp_ge_i64_e64 s3, s[16:17], s[4:5]
	s_delay_alu instid0(VALU_DEP_1)
	s_and_b32 vcc_lo, exec_lo, s3
	s_cbranch_vccnz .LBB60_7
.LBB60_4:                               ; =>This Inner Loop Header: Depth=1
	v_add_nc_u32_e32 v2, s16, v0
	s_delay_alu instid0(VALU_DEP_1) | instskip(SKIP_1) | instid1(SALU_CYCLE_1)
	v_cmp_gt_i32_e32 vcc_lo, v1, v2
	s_and_b32 s17, s2, vcc_lo
	s_and_saveexec_b32 s3, s17
	s_cbranch_execz .LBB60_3
; %bb.5:                                ;   in Loop: Header=BB60_4 Depth=1
	v_ashrrev_i32_e32 v3, 31, v2
	s_load_b32 s17, s[20:21], 0xc
	s_delay_alu instid0(VALU_DEP_1) | instskip(NEXT) | instid1(VALU_DEP_1)
	v_lshlrev_b64 v[7:8], 2, v[2:3]
	v_add_co_u32 v7, vcc_lo, v5, v7
	s_delay_alu instid0(VALU_DEP_2) | instskip(SKIP_3) | instid1(SALU_CYCLE_1)
	v_add_co_ci_u32_e32 v8, vcc_lo, v6, v8, vcc_lo
	global_load_b32 v3, v[7:8], off
	s_waitcnt lgkmcnt(0)
	s_and_b32 s17, s17, 0xffff
	v_mul_lo_u32 v2, v2, s17
	s_delay_alu instid0(VALU_DEP_1)
	v_lshl_add_u32 v2, v2, 2, v4
	s_waitcnt vmcnt(0)
	ds_store_b32 v2, v3
	s_branch .LBB60_3
.LBB60_6:
	s_mov_b64 s[8:9], s[24:25]
	s_branch .LBB60_8
.LBB60_7:
	s_set_inst_prefetch_distance 0x2
	s_load_b32 s16, s[20:21], 0xc
	s_mov_b64 s[2:3], src_shared_base
	s_delay_alu instid0(SALU_CYCLE_1)
	s_mov_b32 s23, s3
	s_waitcnt lgkmcnt(0)
	s_and_b32 s2, s16, 0xffff
	s_mov_b64 s[16:17], s[22:23]
.LBB60_8:
	v_mad_u64_u32 v[3:4], null, s14, s15, v[0:1]
	v_mov_b32_e32 v4, 0
	s_mov_b32 s3, exec_lo
	s_delay_alu instid0(VALU_DEP_1)
	v_cmpx_gt_i64_e64 s[6:7], v[3:4]
	s_cbranch_execz .LBB60_18
; %bb.9:
	v_mov_b32_e32 v2, v4
	s_delay_alu instid0(VALU_DEP_1)
	v_cmp_gt_i64_e32 vcc_lo, s[4:5], v[1:2]
	s_and_b32 exec_lo, exec_lo, vcc_lo
	s_cbranch_execz .LBB60_18
; %bb.10:
	s_waitcnt lgkmcnt(0)
	v_mad_u64_u32 v[4:5], null, v3, s18, 0
	s_lshl_b64 s[6:7], s[10:11], 2
	s_load_b32 s0, s[0:1], 0x18
	s_add_u32 s3, s12, s6
	s_addc_u32 s6, s13, s7
	v_cmp_lt_u64_e64 s1, s[4:5], 2
	s_delay_alu instid0(VALU_DEP_2) | instskip(NEXT) | instid1(VALU_DEP_1)
	v_mad_u64_u32 v[6:7], null, v3, s19, v[5:6]
	v_mov_b32_e32 v5, v6
	s_delay_alu instid0(VALU_DEP_1) | instskip(SKIP_1) | instid1(VALU_DEP_2)
	v_lshlrev_b64 v[3:4], 2, v[4:5]
	v_lshlrev_b32_e32 v5, 2, v1
	v_add_co_u32 v3, vcc_lo, s3, v3
	s_delay_alu instid0(VALU_DEP_3) | instskip(NEXT) | instid1(VALU_DEP_2)
	v_add_co_ci_u32_e32 v4, vcc_lo, s6, v4, vcc_lo
	v_add_co_u32 v3, vcc_lo, v3, v5
	s_delay_alu instid0(VALU_DEP_2)
	v_add_co_ci_u32_e32 v4, vcc_lo, 0, v4, vcc_lo
	s_and_b32 vcc_lo, exec_lo, s1
	global_load_b32 v5, v[3:4], off
	s_waitcnt vmcnt(0) lgkmcnt(0)
	v_mul_f32_e32 v7, s0, v5
	s_cbranch_vccnz .LBB60_17
; %bb.11:
	v_mad_u64_u32 v[5:6], null, s8, v1, 0
	v_lshl_add_u32 v0, v0, 2, 0
	s_add_u32 s0, s4, -1
	s_addc_u32 s1, s5, -1
	s_lshl_b32 s4, s2, 2
	s_mov_b64 s[2:3], 0
	s_delay_alu instid0(VALU_DEP_2) | instskip(NEXT) | instid1(VALU_DEP_1)
	v_mad_u64_u32 v[8:9], null, s9, v1, v[6:7]
	v_mov_b32_e32 v6, v8
	s_delay_alu instid0(VALU_DEP_1) | instskip(NEXT) | instid1(VALU_DEP_1)
	v_lshlrev_b64 v[5:6], 2, v[5:6]
	v_add_co_u32 v5, vcc_lo, s16, v5
	s_delay_alu instid0(VALU_DEP_2)
	v_add_co_ci_u32_e32 v6, vcc_lo, s17, v6, vcc_lo
	s_set_inst_prefetch_distance 0x1
	s_branch .LBB60_13
	.p2align	6
.LBB60_12:                              ;   in Loop: Header=BB60_13 Depth=1
	s_or_b32 exec_lo, exec_lo, s5
	v_add_co_u32 v5, vcc_lo, v5, s4
	s_add_u32 s2, s2, 1
	v_add_co_ci_u32_e32 v6, vcc_lo, 0, v6, vcc_lo
	s_addc_u32 s3, s3, 0
	s_delay_alu instid0(SALU_CYCLE_1)
	s_cmp_eq_u64 s[0:1], s[2:3]
	s_cbranch_scc1 .LBB60_17
.LBB60_13:                              ; =>This Inner Loop Header: Depth=1
	s_mov_b32 s5, exec_lo
	s_barrier
	buffer_gl0_inv
	v_cmpx_eq_u64_e64 s[2:3], v[1:2]
	s_cbranch_execz .LBB60_15
; %bb.14:                               ;   in Loop: Header=BB60_13 Depth=1
	ds_store_b32 v0, v7
.LBB60_15:                              ;   in Loop: Header=BB60_13 Depth=1
	s_or_b32 exec_lo, exec_lo, s5
	s_delay_alu instid0(SALU_CYCLE_1)
	s_mov_b32 s5, exec_lo
	s_waitcnt lgkmcnt(0)
	s_barrier
	buffer_gl0_inv
	v_cmpx_lt_u64_e64 s[2:3], v[1:2]
	s_cbranch_execz .LBB60_12
; %bb.16:                               ;   in Loop: Header=BB60_13 Depth=1
	flat_load_b32 v8, v[5:6]
	ds_load_b32 v9, v0
	s_waitcnt vmcnt(0) lgkmcnt(0)
	v_fma_f32 v7, -v8, v9, v7
	s_branch .LBB60_12
.LBB60_17:
	s_set_inst_prefetch_distance 0x2
	global_store_b32 v[3:4], v7, off
.LBB60_18:
	s_nop 0
	s_sendmsg sendmsg(MSG_DEALLOC_VGPRS)
	s_endpgm
	.section	.rodata,"a",@progbits
	.p2align	6, 0x0
	.amdhsa_kernel _ZL39rocblas_trsm_block_forward_substitutionIffPKPKfPKPfLb1ELb0ELb1EEv18rocblas_operation_llT0_T1_lllT2_lllib
		.amdhsa_group_segment_fixed_size 0
		.amdhsa_private_segment_fixed_size 0
		.amdhsa_kernarg_size 360
		.amdhsa_user_sgpr_count 13
		.amdhsa_user_sgpr_dispatch_ptr 0
		.amdhsa_user_sgpr_queue_ptr 0
		.amdhsa_user_sgpr_kernarg_segment_ptr 1
		.amdhsa_user_sgpr_dispatch_id 0
		.amdhsa_user_sgpr_private_segment_size 0
		.amdhsa_wavefront_size32 1
		.amdhsa_uses_dynamic_stack 0
		.amdhsa_enable_private_segment 0
		.amdhsa_system_sgpr_workgroup_id_x 1
		.amdhsa_system_sgpr_workgroup_id_y 1
		.amdhsa_system_sgpr_workgroup_id_z 1
		.amdhsa_system_sgpr_workgroup_info 0
		.amdhsa_system_vgpr_workitem_id 1
		.amdhsa_next_free_vgpr 10
		.amdhsa_next_free_sgpr 26
		.amdhsa_reserve_vcc 1
		.amdhsa_float_round_mode_32 0
		.amdhsa_float_round_mode_16_64 0
		.amdhsa_float_denorm_mode_32 3
		.amdhsa_float_denorm_mode_16_64 3
		.amdhsa_dx10_clamp 1
		.amdhsa_ieee_mode 1
		.amdhsa_fp16_overflow 0
		.amdhsa_workgroup_processor_mode 1
		.amdhsa_memory_ordered 1
		.amdhsa_forward_progress 0
		.amdhsa_shared_vgpr_count 0
		.amdhsa_exception_fp_ieee_invalid_op 0
		.amdhsa_exception_fp_denorm_src 0
		.amdhsa_exception_fp_ieee_div_zero 0
		.amdhsa_exception_fp_ieee_overflow 0
		.amdhsa_exception_fp_ieee_underflow 0
		.amdhsa_exception_fp_ieee_inexact 0
		.amdhsa_exception_int_div_zero 0
	.end_amdhsa_kernel
	.section	.text._ZL39rocblas_trsm_block_forward_substitutionIffPKPKfPKPfLb1ELb0ELb1EEv18rocblas_operation_llT0_T1_lllT2_lllib,"axG",@progbits,_ZL39rocblas_trsm_block_forward_substitutionIffPKPKfPKPfLb1ELb0ELb1EEv18rocblas_operation_llT0_T1_lllT2_lllib,comdat
.Lfunc_end60:
	.size	_ZL39rocblas_trsm_block_forward_substitutionIffPKPKfPKPfLb1ELb0ELb1EEv18rocblas_operation_llT0_T1_lllT2_lllib, .Lfunc_end60-_ZL39rocblas_trsm_block_forward_substitutionIffPKPKfPKPfLb1ELb0ELb1EEv18rocblas_operation_llT0_T1_lllT2_lllib
                                        ; -- End function
	.section	.AMDGPU.csdata,"",@progbits
; Kernel info:
; codeLenInByte = 924
; NumSgprs: 28
; NumVgprs: 10
; ScratchSize: 0
; MemoryBound: 0
; FloatMode: 240
; IeeeMode: 1
; LDSByteSize: 0 bytes/workgroup (compile time only)
; SGPRBlocks: 3
; VGPRBlocks: 1
; NumSGPRsForWavesPerEU: 28
; NumVGPRsForWavesPerEU: 10
; Occupancy: 16
; WaveLimiterHint : 1
; COMPUTE_PGM_RSRC2:SCRATCH_EN: 0
; COMPUTE_PGM_RSRC2:USER_SGPR: 13
; COMPUTE_PGM_RSRC2:TRAP_HANDLER: 0
; COMPUTE_PGM_RSRC2:TGID_X_EN: 1
; COMPUTE_PGM_RSRC2:TGID_Y_EN: 1
; COMPUTE_PGM_RSRC2:TGID_Z_EN: 1
; COMPUTE_PGM_RSRC2:TIDIG_COMP_CNT: 1
	.section	.text._ZL40rocblas_trsm_block_backward_substitutionIffPKPKfPKPfLb1ELb0ELb1EEv18rocblas_operation_llT0_T1_lllT2_lllib,"axG",@progbits,_ZL40rocblas_trsm_block_backward_substitutionIffPKPKfPKPfLb1ELb0ELb1EEv18rocblas_operation_llT0_T1_lllT2_lllib,comdat
	.globl	_ZL40rocblas_trsm_block_backward_substitutionIffPKPKfPKPfLb1ELb0ELb1EEv18rocblas_operation_llT0_T1_lllT2_lllib ; -- Begin function _ZL40rocblas_trsm_block_backward_substitutionIffPKPKfPKPfLb1ELb0ELb1EEv18rocblas_operation_llT0_T1_lllT2_lllib
	.p2align	8
	.type	_ZL40rocblas_trsm_block_backward_substitutionIffPKPKfPKPfLb1ELb0ELb1EEv18rocblas_operation_llT0_T1_lllT2_lllib,@function
_ZL40rocblas_trsm_block_backward_substitutionIffPKPKfPKPfLb1ELb0ELb1EEv18rocblas_operation_llT0_T1_lllT2_lllib: ; @_ZL40rocblas_trsm_block_backward_substitutionIffPKPKfPKPfLb1ELb0ELb1EEv18rocblas_operation_llT0_T1_lllT2_lllib
; %bb.0:
	s_clause 0x1
	s_load_b128 s[16:19], s[0:1], 0x20
	s_load_b64 s[12:13], s[0:1], 0x30
	s_mov_b32 s2, s15
	s_mov_b32 s3, 0
	v_and_b32_e32 v1, 0x3ff, v0
	s_lshl_b64 s[2:3], s[2:3], 3
	v_bfe_u32 v0, v0, 10, 10
	s_waitcnt lgkmcnt(0)
	s_add_u32 s4, s16, s2
	s_addc_u32 s5, s17, s3
	s_lshl_b64 s[18:19], s[18:19], 2
	s_load_b64 s[16:17], s[4:5], 0x0
	s_clause 0x3
	s_load_b128 s[8:11], s[0:1], 0x40
	s_load_b128 s[4:7], s[0:1], 0x8
	s_load_b32 s22, s[0:1], 0x64
	s_load_b32 s15, s[0:1], 0x74
	s_waitcnt lgkmcnt(0)
	s_add_u32 s18, s16, s18
	s_addc_u32 s19, s17, s19
	s_add_u32 s2, s8, s2
	s_addc_u32 s3, s9, s3
	s_load_b64 s[16:17], s[0:1], 0x50
	s_load_b64 s[8:9], s[2:3], 0x0
	s_add_u32 s20, s0, 0x68
	s_addc_u32 s21, s1, 0
	s_lshr_b32 s15, s15, 16
	s_bitcmp0_b32 s22, 0
	s_cbranch_scc1 .LBB61_7
; %bb.1:
	v_cmp_lt_i64_e64 s2, s[4:5], 1
	s_lshl_b32 s3, s15, 2
	s_delay_alu instid0(SALU_CYCLE_1) | instskip(NEXT) | instid1(VALU_DEP_1)
	s_add_i32 s22, s3, 0
	s_and_b32 vcc_lo, exec_lo, s2
	s_cbranch_vccnz .LBB61_6
; %bb.2:
	v_dual_mov_b32 v2, 0 :: v_dual_lshlrev_b32 v3, 2, v1
	s_delay_alu instid0(VALU_DEP_1) | instskip(NEXT) | instid1(VALU_DEP_2)
	v_add_co_u32 v5, s3, s18, v3
	v_cmp_gt_u64_e64 s2, s[4:5], v[1:2]
	v_add_nc_u32_e32 v4, s22, v3
	v_add_co_ci_u32_e64 v6, null, s19, 0, s3
	s_mov_b32 s18, 0
	s_set_inst_prefetch_distance 0x1
	s_branch .LBB61_4
	.p2align	6
.LBB61_3:                               ;   in Loop: Header=BB61_4 Depth=1
	s_or_b32 exec_lo, exec_lo, s3
	s_add_i32 s18, s18, s15
	s_delay_alu instid0(SALU_CYCLE_1) | instskip(NEXT) | instid1(SALU_CYCLE_1)
	s_ashr_i32 s19, s18, 31
	v_cmp_ge_i64_e64 s3, s[18:19], s[4:5]
	s_delay_alu instid0(VALU_DEP_1)
	s_and_b32 vcc_lo, exec_lo, s3
	s_cbranch_vccnz .LBB61_6
.LBB61_4:                               ; =>This Inner Loop Header: Depth=1
	v_add_nc_u32_e32 v2, s18, v0
	s_delay_alu instid0(VALU_DEP_1) | instskip(SKIP_1) | instid1(VALU_DEP_2)
	v_ashrrev_i32_e32 v3, 31, v2
	v_cmp_lt_i32_e64 s3, v1, v2
	v_cmp_gt_i64_e32 vcc_lo, s[4:5], v[2:3]
	s_delay_alu instid0(VALU_DEP_2) | instskip(NEXT) | instid1(SALU_CYCLE_1)
	s_and_b32 s3, s3, vcc_lo
	s_and_b32 s19, s2, s3
	s_delay_alu instid0(SALU_CYCLE_1)
	s_and_saveexec_b32 s3, s19
	s_cbranch_execz .LBB61_3
; %bb.5:                                ;   in Loop: Header=BB61_4 Depth=1
	v_mul_lo_u32 v3, v3, s12
	v_mul_lo_u32 v9, v2, s13
	v_mad_u64_u32 v[7:8], null, v2, s12, 0
	s_load_b32 s19, s[20:21], 0xc
	s_delay_alu instid0(VALU_DEP_1) | instskip(NEXT) | instid1(VALU_DEP_1)
	v_add3_u32 v8, v8, v9, v3
	v_lshlrev_b64 v[7:8], 2, v[7:8]
	s_delay_alu instid0(VALU_DEP_1) | instskip(NEXT) | instid1(VALU_DEP_2)
	v_add_co_u32 v7, vcc_lo, v5, v7
	v_add_co_ci_u32_e32 v8, vcc_lo, v6, v8, vcc_lo
	s_waitcnt lgkmcnt(0)
	s_and_b32 s19, s19, 0xffff
	s_delay_alu instid0(SALU_CYCLE_1)
	v_mul_lo_u32 v2, v2, s19
	global_load_b32 v3, v[7:8], off
	v_lshl_add_u32 v2, v2, 2, v4
	s_waitcnt vmcnt(0)
	ds_store_b32 v2, v3
	s_branch .LBB61_3
.LBB61_6:
	s_set_inst_prefetch_distance 0x2
	s_load_b32 s12, s[20:21], 0xc
	s_mov_b64 s[2:3], src_shared_base
	s_mov_b32 s13, 0
	s_mov_b32 s23, s3
	s_delay_alu instid0(SALU_CYCLE_1)
	s_mov_b64 s[18:19], s[22:23]
	s_waitcnt lgkmcnt(0)
	s_and_b32 s12, s12, 0xffff
.LBB61_7:
	v_mad_u64_u32 v[3:4], null, s14, s15, v[0:1]
	v_mov_b32_e32 v4, 0
	s_mov_b32 s2, exec_lo
	s_delay_alu instid0(VALU_DEP_1)
	v_cmpx_gt_i64_e64 s[6:7], v[3:4]
	s_cbranch_execz .LBB61_18
; %bb.8:
	v_mov_b32_e32 v2, v4
	s_delay_alu instid0(VALU_DEP_1)
	v_cmp_gt_i64_e32 vcc_lo, s[4:5], v[1:2]
	s_and_b32 exec_lo, exec_lo, vcc_lo
	s_cbranch_execz .LBB61_18
; %bb.9:
	s_waitcnt lgkmcnt(0)
	v_mad_u64_u32 v[5:6], null, v1, s16, 0
	s_load_b32 s0, s[0:1], 0x18
	s_lshl_b64 s[2:3], s[10:11], 2
	v_lshlrev_b64 v[3:4], 2, v[3:4]
	s_add_u32 s2, s8, s2
	s_addc_u32 s3, s9, s3
	v_cmp_lt_u64_e64 s1, s[4:5], 2
	s_delay_alu instid0(VALU_DEP_3) | instskip(NEXT) | instid1(VALU_DEP_1)
	v_mad_u64_u32 v[7:8], null, v1, s17, v[6:7]
	v_mov_b32_e32 v6, v7
	s_delay_alu instid0(VALU_DEP_1) | instskip(NEXT) | instid1(VALU_DEP_1)
	v_lshlrev_b64 v[5:6], 2, v[5:6]
	v_add_co_u32 v5, vcc_lo, s2, v5
	s_delay_alu instid0(VALU_DEP_2) | instskip(NEXT) | instid1(VALU_DEP_2)
	v_add_co_ci_u32_e32 v6, vcc_lo, s3, v6, vcc_lo
	v_add_co_u32 v3, vcc_lo, v5, v3
	s_delay_alu instid0(VALU_DEP_2)
	v_add_co_ci_u32_e32 v4, vcc_lo, v6, v4, vcc_lo
	s_and_b32 vcc_lo, exec_lo, s1
	global_load_b32 v5, v[3:4], off
	s_waitcnt vmcnt(0) lgkmcnt(0)
	v_mul_f32_e32 v7, s0, v5
	s_cbranch_vccnz .LBB61_17
; %bb.10:
	s_add_u32 s0, s4, -1
	s_addc_u32 s1, s5, -1
	s_mul_hi_u32 s2, s12, s0
	s_mul_i32 s3, s12, s1
	s_mul_i32 s4, s13, s0
	s_add_i32 s3, s2, s3
	s_mul_i32 s2, s12, s0
	s_add_i32 s3, s3, s4
	v_lshlrev_b32_e32 v5, 2, v1
	s_lshl_b64 s[2:3], s[2:3], 2
	v_lshl_add_u32 v0, v0, 2, 0
	s_add_u32 s2, s18, s2
	s_addc_u32 s3, s19, s3
	v_add_co_u32 v5, s2, s2, v5
	s_delay_alu instid0(VALU_DEP_1) | instskip(SKIP_1) | instid1(SALU_CYCLE_1)
	v_add_co_ci_u32_e64 v6, null, s3, 0, s2
	s_lshl_b64 s[2:3], s[12:13], 2
	s_sub_u32 s4, 0, s2
	s_subb_u32 s5, 0, s3
	s_set_inst_prefetch_distance 0x1
	.p2align	6
.LBB61_11:                              ; =>This Inner Loop Header: Depth=1
	s_mov_b32 s2, exec_lo
	s_barrier
	buffer_gl0_inv
	v_cmpx_eq_u64_e64 s[0:1], v[1:2]
	s_cbranch_execz .LBB61_13
; %bb.12:                               ;   in Loop: Header=BB61_11 Depth=1
	ds_store_b32 v0, v7
.LBB61_13:                              ;   in Loop: Header=BB61_11 Depth=1
	s_or_b32 exec_lo, exec_lo, s2
	s_delay_alu instid0(SALU_CYCLE_1)
	s_mov_b32 s2, exec_lo
	s_waitcnt lgkmcnt(0)
	s_barrier
	buffer_gl0_inv
	v_cmpx_gt_i64_e64 s[0:1], v[1:2]
	s_cbranch_execz .LBB61_15
; %bb.14:                               ;   in Loop: Header=BB61_11 Depth=1
	flat_load_b32 v8, v[5:6]
	ds_load_b32 v9, v0
	s_waitcnt vmcnt(0) lgkmcnt(0)
	v_fma_f32 v7, -v8, v9, v7
.LBB61_15:                              ;   in Loop: Header=BB61_11 Depth=1
	s_or_b32 exec_lo, exec_lo, s2
	s_add_u32 s2, s0, -1
	s_addc_u32 s3, s1, -1
	s_add_u32 s0, s0, 1
	s_addc_u32 s1, s1, 0
	v_add_co_u32 v5, vcc_lo, v5, s4
	v_cmp_lt_u64_e64 s0, s[0:1], 3
	v_add_co_ci_u32_e32 v6, vcc_lo, s5, v6, vcc_lo
	s_delay_alu instid0(VALU_DEP_2)
	s_and_b32 vcc_lo, exec_lo, s0
	s_cbranch_vccnz .LBB61_17
; %bb.16:                               ;   in Loop: Header=BB61_11 Depth=1
	s_mov_b64 s[0:1], s[2:3]
	s_branch .LBB61_11
.LBB61_17:
	s_set_inst_prefetch_distance 0x2
	global_store_b32 v[3:4], v7, off
.LBB61_18:
	s_nop 0
	s_sendmsg sendmsg(MSG_DEALLOC_VGPRS)
	s_endpgm
	.section	.rodata,"a",@progbits
	.p2align	6, 0x0
	.amdhsa_kernel _ZL40rocblas_trsm_block_backward_substitutionIffPKPKfPKPfLb1ELb0ELb1EEv18rocblas_operation_llT0_T1_lllT2_lllib
		.amdhsa_group_segment_fixed_size 0
		.amdhsa_private_segment_fixed_size 0
		.amdhsa_kernarg_size 360
		.amdhsa_user_sgpr_count 13
		.amdhsa_user_sgpr_dispatch_ptr 0
		.amdhsa_user_sgpr_queue_ptr 0
		.amdhsa_user_sgpr_kernarg_segment_ptr 1
		.amdhsa_user_sgpr_dispatch_id 0
		.amdhsa_user_sgpr_private_segment_size 0
		.amdhsa_wavefront_size32 1
		.amdhsa_uses_dynamic_stack 0
		.amdhsa_enable_private_segment 0
		.amdhsa_system_sgpr_workgroup_id_x 1
		.amdhsa_system_sgpr_workgroup_id_y 1
		.amdhsa_system_sgpr_workgroup_id_z 1
		.amdhsa_system_sgpr_workgroup_info 0
		.amdhsa_system_vgpr_workitem_id 1
		.amdhsa_next_free_vgpr 10
		.amdhsa_next_free_sgpr 24
		.amdhsa_reserve_vcc 1
		.amdhsa_float_round_mode_32 0
		.amdhsa_float_round_mode_16_64 0
		.amdhsa_float_denorm_mode_32 3
		.amdhsa_float_denorm_mode_16_64 3
		.amdhsa_dx10_clamp 1
		.amdhsa_ieee_mode 1
		.amdhsa_fp16_overflow 0
		.amdhsa_workgroup_processor_mode 1
		.amdhsa_memory_ordered 1
		.amdhsa_forward_progress 0
		.amdhsa_shared_vgpr_count 0
		.amdhsa_exception_fp_ieee_invalid_op 0
		.amdhsa_exception_fp_denorm_src 0
		.amdhsa_exception_fp_ieee_div_zero 0
		.amdhsa_exception_fp_ieee_overflow 0
		.amdhsa_exception_fp_ieee_underflow 0
		.amdhsa_exception_fp_ieee_inexact 0
		.amdhsa_exception_int_div_zero 0
	.end_amdhsa_kernel
	.section	.text._ZL40rocblas_trsm_block_backward_substitutionIffPKPKfPKPfLb1ELb0ELb1EEv18rocblas_operation_llT0_T1_lllT2_lllib,"axG",@progbits,_ZL40rocblas_trsm_block_backward_substitutionIffPKPKfPKPfLb1ELb0ELb1EEv18rocblas_operation_llT0_T1_lllT2_lllib,comdat
.Lfunc_end61:
	.size	_ZL40rocblas_trsm_block_backward_substitutionIffPKPKfPKPfLb1ELb0ELb1EEv18rocblas_operation_llT0_T1_lllT2_lllib, .Lfunc_end61-_ZL40rocblas_trsm_block_backward_substitutionIffPKPKfPKPfLb1ELb0ELb1EEv18rocblas_operation_llT0_T1_lllT2_lllib
                                        ; -- End function
	.section	.AMDGPU.csdata,"",@progbits
; Kernel info:
; codeLenInByte = 964
; NumSgprs: 26
; NumVgprs: 10
; ScratchSize: 0
; MemoryBound: 0
; FloatMode: 240
; IeeeMode: 1
; LDSByteSize: 0 bytes/workgroup (compile time only)
; SGPRBlocks: 3
; VGPRBlocks: 1
; NumSGPRsForWavesPerEU: 26
; NumVGPRsForWavesPerEU: 10
; Occupancy: 16
; WaveLimiterHint : 1
; COMPUTE_PGM_RSRC2:SCRATCH_EN: 0
; COMPUTE_PGM_RSRC2:USER_SGPR: 13
; COMPUTE_PGM_RSRC2:TRAP_HANDLER: 0
; COMPUTE_PGM_RSRC2:TGID_X_EN: 1
; COMPUTE_PGM_RSRC2:TGID_Y_EN: 1
; COMPUTE_PGM_RSRC2:TGID_Z_EN: 1
; COMPUTE_PGM_RSRC2:TIDIG_COMP_CNT: 1
	.section	.text._ZL26setup_batched_array_kernelILi128EfEvPT0_lPS1_,"axG",@progbits,_ZL26setup_batched_array_kernelILi128EfEvPT0_lPS1_,comdat
	.globl	_ZL26setup_batched_array_kernelILi128EfEvPT0_lPS1_ ; -- Begin function _ZL26setup_batched_array_kernelILi128EfEvPT0_lPS1_
	.p2align	8
	.type	_ZL26setup_batched_array_kernelILi128EfEvPT0_lPS1_,@function
_ZL26setup_batched_array_kernelILi128EfEvPT0_lPS1_: ; @_ZL26setup_batched_array_kernelILi128EfEvPT0_lPS1_
; %bb.0:
	s_clause 0x1
	s_load_b128 s[4:7], s[0:1], 0x0
	s_load_b64 s[0:1], s[0:1], 0x10
	s_mov_b32 s2, s15
	s_waitcnt lgkmcnt(0)
	s_mul_i32 s3, s15, s7
	s_mul_hi_u32 s7, s15, s6
	s_mul_i32 s6, s15, s6
	s_add_i32 s7, s7, s3
	s_mov_b32 s3, 0
	s_lshl_b64 s[6:7], s[6:7], 2
	s_delay_alu instid0(SALU_CYCLE_1)
	s_add_u32 s4, s4, s6
	s_addc_u32 s5, s5, s7
	v_mov_b32_e32 v0, s4
	s_lshl_b64 s[2:3], s[2:3], 3
	v_dual_mov_b32 v2, 0 :: v_dual_mov_b32 v1, s5
	s_add_u32 s0, s0, s2
	s_addc_u32 s1, s1, s3
	global_store_b64 v2, v[0:1], s[0:1]
	s_nop 0
	s_sendmsg sendmsg(MSG_DEALLOC_VGPRS)
	s_endpgm
	.section	.rodata,"a",@progbits
	.p2align	6, 0x0
	.amdhsa_kernel _ZL26setup_batched_array_kernelILi128EfEvPT0_lPS1_
		.amdhsa_group_segment_fixed_size 0
		.amdhsa_private_segment_fixed_size 0
		.amdhsa_kernarg_size 24
		.amdhsa_user_sgpr_count 15
		.amdhsa_user_sgpr_dispatch_ptr 0
		.amdhsa_user_sgpr_queue_ptr 0
		.amdhsa_user_sgpr_kernarg_segment_ptr 1
		.amdhsa_user_sgpr_dispatch_id 0
		.amdhsa_user_sgpr_private_segment_size 0
		.amdhsa_wavefront_size32 1
		.amdhsa_uses_dynamic_stack 0
		.amdhsa_enable_private_segment 0
		.amdhsa_system_sgpr_workgroup_id_x 1
		.amdhsa_system_sgpr_workgroup_id_y 0
		.amdhsa_system_sgpr_workgroup_id_z 0
		.amdhsa_system_sgpr_workgroup_info 0
		.amdhsa_system_vgpr_workitem_id 0
		.amdhsa_next_free_vgpr 3
		.amdhsa_next_free_sgpr 16
		.amdhsa_reserve_vcc 0
		.amdhsa_float_round_mode_32 0
		.amdhsa_float_round_mode_16_64 0
		.amdhsa_float_denorm_mode_32 3
		.amdhsa_float_denorm_mode_16_64 3
		.amdhsa_dx10_clamp 1
		.amdhsa_ieee_mode 1
		.amdhsa_fp16_overflow 0
		.amdhsa_workgroup_processor_mode 1
		.amdhsa_memory_ordered 1
		.amdhsa_forward_progress 0
		.amdhsa_shared_vgpr_count 0
		.amdhsa_exception_fp_ieee_invalid_op 0
		.amdhsa_exception_fp_denorm_src 0
		.amdhsa_exception_fp_ieee_div_zero 0
		.amdhsa_exception_fp_ieee_overflow 0
		.amdhsa_exception_fp_ieee_underflow 0
		.amdhsa_exception_fp_ieee_inexact 0
		.amdhsa_exception_int_div_zero 0
	.end_amdhsa_kernel
	.section	.text._ZL26setup_batched_array_kernelILi128EfEvPT0_lPS1_,"axG",@progbits,_ZL26setup_batched_array_kernelILi128EfEvPT0_lPS1_,comdat
.Lfunc_end62:
	.size	_ZL26setup_batched_array_kernelILi128EfEvPT0_lPS1_, .Lfunc_end62-_ZL26setup_batched_array_kernelILi128EfEvPT0_lPS1_
                                        ; -- End function
	.section	.AMDGPU.csdata,"",@progbits
; Kernel info:
; codeLenInByte = 108
; NumSgprs: 16
; NumVgprs: 3
; ScratchSize: 0
; MemoryBound: 0
; FloatMode: 240
; IeeeMode: 1
; LDSByteSize: 0 bytes/workgroup (compile time only)
; SGPRBlocks: 1
; VGPRBlocks: 0
; NumSGPRsForWavesPerEU: 16
; NumVGPRsForWavesPerEU: 3
; Occupancy: 16
; WaveLimiterHint : 0
; COMPUTE_PGM_RSRC2:SCRATCH_EN: 0
; COMPUTE_PGM_RSRC2:USER_SGPR: 15
; COMPUTE_PGM_RSRC2:TRAP_HANDLER: 0
; COMPUTE_PGM_RSRC2:TGID_X_EN: 1
; COMPUTE_PGM_RSRC2:TGID_Y_EN: 0
; COMPUTE_PGM_RSRC2:TGID_Z_EN: 0
; COMPUTE_PGM_RSRC2:TIDIG_COMP_CNT: 0
	.section	.text._ZL25rocblas_trtri_trsm_kernelILi128ELi16ELi8EfPKPKfPKPfEv13rocblas_fill_17rocblas_diagonal_T3_lilT4_lli,"axG",@progbits,_ZL25rocblas_trtri_trsm_kernelILi128ELi16ELi8EfPKPKfPKPfEv13rocblas_fill_17rocblas_diagonal_T3_lilT4_lli,comdat
	.globl	_ZL25rocblas_trtri_trsm_kernelILi128ELi16ELi8EfPKPKfPKPfEv13rocblas_fill_17rocblas_diagonal_T3_lilT4_lli ; -- Begin function _ZL25rocblas_trtri_trsm_kernelILi128ELi16ELi8EfPKPKfPKPfEv13rocblas_fill_17rocblas_diagonal_T3_lilT4_lli
	.p2align	8
	.type	_ZL25rocblas_trtri_trsm_kernelILi128ELi16ELi8EfPKPKfPKPfEv13rocblas_fill_17rocblas_diagonal_T3_lilT4_lli,@function
_ZL25rocblas_trtri_trsm_kernelILi128ELi16ELi8EfPKPKfPKPfEv13rocblas_fill_17rocblas_diagonal_T3_lilT4_lli: ; @_ZL25rocblas_trtri_trsm_kernelILi128ELi16ELi8EfPKPKfPKPfEv13rocblas_fill_17rocblas_diagonal_T3_lilT4_lli
; %bb.0:
	s_clause 0x1
	s_load_b128 s[8:11], s[0:1], 0x8
	s_load_b128 s[4:7], s[0:1], 0x28
	s_mov_b32 s2, s15
	s_mov_b32 s3, 0
	v_cmp_lt_u32_e32 vcc_lo, 31, v0
	s_lshl_b64 s[2:3], s[2:3], 3
	v_mov_b32_e32 v1, v0
	s_waitcnt lgkmcnt(0)
	s_add_u32 s8, s8, s2
	s_addc_u32 s9, s9, s3
	s_add_u32 s2, s4, s2
	s_addc_u32 s3, s5, s3
	s_load_b64 s[18:19], s[8:9], 0x0
	s_load_b64 s[8:9], s[2:3], 0x0
	v_cmp_gt_u32_e64 s2, 16, v0
	v_cmp_gt_u32_e64 s3, 32, v0
	s_mov_b32 s5, exec_lo
	v_cmpx_lt_u32_e32 15, v0
	s_cbranch_execz .LBB63_6
; %bb.1:
                                        ; implicit-def: $vgpr1
	s_and_saveexec_b32 s4, vcc_lo
	s_delay_alu instid0(SALU_CYCLE_1)
	s_xor_b32 s4, exec_lo, s4
; %bb.2:
	v_subrev_nc_u32_e32 v1, 32, v0
; %bb.3:
	s_and_not1_saveexec_b32 s4, s4
; %bb.4:
	v_add_nc_u32_e32 v1, -16, v0
; %bb.5:
	s_or_b32 exec_lo, exec_lo, s4
.LBB63_6:
	s_delay_alu instid0(SALU_CYCLE_1)
	s_or_b32 exec_lo, exec_lo, s5
	s_clause 0x1
	s_load_b32 s12, s[0:1], 0x18
	s_load_b64 s[4:5], s[0:1], 0x0
	s_lshl_b32 s1, s14, 1
	v_cndmask_b32_e64 v4, 0, 0xc00, s3
	s_waitcnt lgkmcnt(0)
	s_ashr_i32 s13, s12, 31
	s_delay_alu instid0(SALU_CYCLE_1) | instskip(NEXT) | instid1(SALU_CYCLE_1)
	s_lshl_b64 s[16:17], s[12:13], 4
	s_add_u32 s0, s16, 16
	s_addc_u32 s20, s17, 0
	s_mul_hi_u32 s15, s0, s1
	s_mul_i32 s21, s20, s1
	s_mul_i32 s22, s0, s1
	s_add_i32 s23, s15, s21
	s_delay_alu instid0(SALU_CYCLE_1) | instskip(NEXT) | instid1(SALU_CYCLE_1)
	s_lshl_b64 s[22:23], s[22:23], 2
	s_add_u32 s15, s18, s22
	s_addc_u32 s21, s19, s23
	s_lshl_b64 s[18:19], s[10:11], 2
	s_delay_alu instid0(SALU_CYCLE_1) | instskip(SKIP_2) | instid1(SALU_CYCLE_1)
	s_add_u32 s11, s15, s18
	s_addc_u32 s15, s21, s19
	s_and_saveexec_b32 s10, vcc_lo
	s_xor_b32 s10, exec_lo, s10
	s_cbranch_execz .LBB63_13
; %bb.7:
	s_mov_b32 s18, exec_lo
	v_cmpx_gt_u32_e32 48, v0
	s_cbranch_execz .LBB63_12
; %bb.8:
	v_mov_b32_e32 v2, 0
	s_cmpk_eq_i32 s4, 0x7a
	s_mov_b32 s19, -1
	s_delay_alu instid0(VALU_DEP_1)
	v_lshlrev_b64 v[2:3], 2, v[1:2]
	s_cbranch_scc1 .LBB63_10
; %bb.9:
	s_lshl_b64 s[22:23], s[12:13], 6
	s_delay_alu instid0(SALU_CYCLE_1) | instskip(SKIP_1) | instid1(VALU_DEP_1)
	s_add_u32 s19, s11, s22
	s_addc_u32 s21, s15, s23
	v_add_co_u32 v5, vcc_lo, s19, v2
	v_add_co_ci_u32_e32 v6, vcc_lo, s21, v3, vcc_lo
	s_lshl_b64 s[22:23], s[12:13], 2
	s_mov_b32 s19, 0
	s_delay_alu instid0(VALU_DEP_1) | instskip(NEXT) | instid1(VALU_DEP_1)
	v_mad_i64_i32 v[7:8], null, s12, 60, v[5:6]
	v_sub_co_u32 v9, vcc_lo, v7, s22
	s_delay_alu instid0(VALU_DEP_2)
	v_subrev_co_ci_u32_e32 v10, vcc_lo, s23, v8, vcc_lo
	global_load_b32 v17, v[7:8], off
	v_sub_co_u32 v11, vcc_lo, v9, s22
	v_subrev_co_ci_u32_e32 v12, vcc_lo, s23, v10, vcc_lo
	global_load_b32 v18, v[9:10], off
	v_sub_co_u32 v13, vcc_lo, v11, s22
	;; [unrolled: 3-line block ×10, first 2 shown]
	v_subrev_co_ci_u32_e32 v10, vcc_lo, s23, v8, vcc_lo
	s_delay_alu instid0(VALU_DEP_2) | instskip(NEXT) | instid1(VALU_DEP_2)
	v_sub_co_u32 v11, vcc_lo, v9, s22
	v_subrev_co_ci_u32_e32 v12, vcc_lo, s23, v10, vcc_lo
	s_delay_alu instid0(VALU_DEP_2) | instskip(NEXT) | instid1(VALU_DEP_2)
	v_sub_co_u32 v13, vcc_lo, v11, s22
	;; [unrolled: 3-line block ×3, first 2 shown]
	v_subrev_co_ci_u32_e32 v16, vcc_lo, s23, v14, vcc_lo
	global_load_b32 v7, v[7:8], off
	global_load_b32 v8, v[9:10], off
	;; [unrolled: 1-line block ×6, first 2 shown]
	v_lshlrev_b32_e32 v6, 2, v1
	s_waitcnt vmcnt(14)
	ds_store_2addr_b32 v6, v18, v17 offset0:224 offset1:240
	s_waitcnt vmcnt(12)
	ds_store_2addr_b32 v6, v20, v19 offset0:192 offset1:208
	;; [unrolled: 2-line block ×7, first 2 shown]
	s_waitcnt vmcnt(0)
	ds_store_2addr_b32 v6, v5, v11 offset1:16
.LBB63_10:
	s_and_not1_b32 vcc_lo, exec_lo, s19
	s_cbranch_vccnz .LBB63_12
; %bb.11:
	s_delay_alu instid0(VALU_DEP_1) | instskip(NEXT) | instid1(VALU_DEP_2)
	v_add_co_u32 v2, vcc_lo, s11, v2
	v_add_co_ci_u32_e32 v3, vcc_lo, s15, v3, vcc_lo
	s_lshl_b64 s[22:23], s[12:13], 2
	s_delay_alu instid0(VALU_DEP_2) | instid1(SALU_CYCLE_1)
	v_add_co_u32 v5, vcc_lo, v2, s22
	s_delay_alu instid0(VALU_DEP_2)
	v_add_co_ci_u32_e32 v6, vcc_lo, s23, v3, vcc_lo
	s_clause 0x1
	global_load_b32 v15, v[2:3], off offset:64
	global_load_b32 v16, v[5:6], off offset:64
	v_add_co_u32 v7, vcc_lo, v5, s22
	v_add_co_ci_u32_e32 v8, vcc_lo, s23, v6, vcc_lo
	s_delay_alu instid0(VALU_DEP_2) | instskip(NEXT) | instid1(VALU_DEP_2)
	v_add_co_u32 v9, vcc_lo, v7, s22
	v_add_co_ci_u32_e32 v10, vcc_lo, s23, v8, vcc_lo
	global_load_b32 v17, v[7:8], off offset:64
	v_add_co_u32 v11, vcc_lo, v9, s22
	v_add_co_ci_u32_e32 v12, vcc_lo, s23, v10, vcc_lo
	global_load_b32 v18, v[9:10], off offset:64
	;; [unrolled: 3-line block ×9, first 2 shown]
	v_add_co_u32 v5, vcc_lo, v2, s22
	v_add_co_ci_u32_e32 v6, vcc_lo, s23, v3, vcc_lo
	s_delay_alu instid0(VALU_DEP_2) | instskip(NEXT) | instid1(VALU_DEP_2)
	v_add_co_u32 v7, vcc_lo, v5, s22
	v_add_co_ci_u32_e32 v8, vcc_lo, s23, v6, vcc_lo
	s_delay_alu instid0(VALU_DEP_2) | instskip(NEXT) | instid1(VALU_DEP_2)
	;; [unrolled: 3-line block ×3, first 2 shown]
	v_add_co_u32 v11, vcc_lo, v9, s22
	v_add_co_ci_u32_e32 v12, vcc_lo, s23, v10, vcc_lo
	global_load_b32 v2, v[2:3], off offset:64
	global_load_b32 v3, v[5:6], off offset:64
	;; [unrolled: 1-line block ×5, first 2 shown]
	v_lshlrev_b32_e32 v8, 2, v1
	s_waitcnt vmcnt(14)
	ds_store_2addr_b32 v8, v15, v16 offset1:16
	s_waitcnt vmcnt(12)
	ds_store_2addr_b32 v8, v17, v18 offset0:32 offset1:48
	s_waitcnt vmcnt(10)
	ds_store_2addr_b32 v8, v19, v13 offset0:64 offset1:80
	;; [unrolled: 2-line block ×7, first 2 shown]
.LBB63_12:
	s_or_b32 exec_lo, exec_lo, s18
.LBB63_13:
	s_or_saveexec_b32 s10, s10
	v_cndmask_b32_e64 v3, v4, 0x800, s2
	s_xor_b32 exec_lo, exec_lo, s10
	s_cbranch_execz .LBB63_80
; %bb.14:
	v_cndmask_b32_e64 v5, s20, 0, s2
	v_cndmask_b32_e64 v4, s0, 0, s2
	s_cmpk_eq_i32 s4, 0x7a
	s_mov_b32 s0, -1
	s_delay_alu instid0(VALU_DEP_1)
	v_lshlrev_b64 v[4:5], 2, v[4:5]
	s_cbranch_scc1 .LBB63_48
; %bb.15:
	v_mov_b32_e32 v2, 0
	s_delay_alu instid0(VALU_DEP_2) | instskip(NEXT) | instid1(VALU_DEP_3)
	v_add_co_u32 v8, vcc_lo, s11, v4
	v_add_co_ci_u32_e32 v9, vcc_lo, s15, v5, vcc_lo
	s_delay_alu instid0(VALU_DEP_3) | instskip(NEXT) | instid1(VALU_DEP_1)
	v_lshlrev_b64 v[6:7], 2, v[1:2]
	v_add_co_u32 v6, s0, v8, v6
	s_delay_alu instid0(VALU_DEP_1)
	v_add_co_ci_u32_e64 v7, s0, v9, v7, s0
	v_mov_b32_e32 v8, 0
	s_mov_b32 s0, exec_lo
	v_cmpx_gt_u32_e32 16, v1
	s_cbranch_execz .LBB63_17
; %bb.16:
	v_mad_i64_i32 v[8:9], null, s12, 60, v[6:7]
	global_load_b32 v8, v[8:9], off
.LBB63_17:
	s_or_b32 exec_lo, exec_lo, s0
	v_sub_nc_u32_e32 v9, 0xffffff10, v1
	s_mov_b32 s0, exec_lo
	s_delay_alu instid0(VALU_DEP_1)
	v_lshl_add_u32 v9, v9, 2, v3
	s_waitcnt vmcnt(0)
	ds_store_b32 v9, v8 offset:1020
	v_cmpx_gt_u32_e32 15, v1
	s_cbranch_execz .LBB63_19
; %bb.18:
	v_mad_i64_i32 v[8:9], null, s12, 56, v[6:7]
	global_load_b32 v2, v[8:9], off
.LBB63_19:
	s_or_b32 exec_lo, exec_lo, s0
	v_sub_nc_u32_e32 v8, 0xffffff20, v1
	s_mov_b32 s0, exec_lo
	v_mov_b32_e32 v9, 0
	s_delay_alu instid0(VALU_DEP_2)
	v_lshl_add_u32 v10, v8, 2, v3
	v_mov_b32_e32 v8, 0
	s_waitcnt vmcnt(0)
	ds_store_b32 v10, v2 offset:1020
	v_cmpx_gt_u32_e32 14, v1
	s_cbranch_execz .LBB63_21
; %bb.20:
	v_mad_i64_i32 v[9:10], null, s12, 52, v[6:7]
	global_load_b32 v9, v[9:10], off
.LBB63_21:
	s_or_b32 exec_lo, exec_lo, s0
	v_sub_nc_u32_e32 v2, 0xffffff30, v1
	s_mov_b32 s0, exec_lo
	s_delay_alu instid0(VALU_DEP_1)
	v_lshl_add_u32 v2, v2, 2, v3
	s_waitcnt vmcnt(0)
	ds_store_b32 v2, v9 offset:1020
	v_cmpx_gt_u32_e32 13, v1
	s_cbranch_execz .LBB63_23
; %bb.22:
	v_mad_i64_i32 v[8:9], null, s12, 48, v[6:7]
	global_load_b32 v8, v[8:9], off
.LBB63_23:
	s_or_b32 exec_lo, exec_lo, s0
	v_sub_nc_u32_e32 v2, 0xffffff40, v1
	s_mov_b32 s0, exec_lo
	v_mov_b32_e32 v9, 0
	s_delay_alu instid0(VALU_DEP_2)
	v_lshl_add_u32 v10, v2, 2, v3
	v_mov_b32_e32 v2, 0
	s_waitcnt vmcnt(0)
	ds_store_b32 v10, v8 offset:1020
	;; [unrolled: 28-line block ×3, first 2 shown]
	v_cmpx_gt_u32_e32 10, v1
	s_cbranch_execz .LBB63_29
; %bb.28:
	v_mad_i64_i32 v[9:10], null, s12, 36, v[6:7]
	global_load_b32 v9, v[9:10], off
.LBB63_29:
	s_or_b32 exec_lo, exec_lo, s0
	v_sub_nc_u32_e32 v2, 0xffffff70, v1
	s_mov_b32 s0, exec_lo
	s_delay_alu instid0(VALU_DEP_1)
	v_lshl_add_u32 v2, v2, 2, v3
	s_waitcnt vmcnt(0)
	ds_store_b32 v2, v9 offset:1020
	v_cmpx_gt_u32_e32 9, v1
	s_cbranch_execz .LBB63_31
; %bb.30:
	s_lshl_b64 s[18:19], s[12:13], 5
	s_delay_alu instid0(SALU_CYCLE_1)
	v_add_co_u32 v8, vcc_lo, v6, s18
	v_add_co_ci_u32_e32 v9, vcc_lo, s19, v7, vcc_lo
	global_load_b32 v8, v[8:9], off
.LBB63_31:
	s_or_b32 exec_lo, exec_lo, s0
	v_sub_nc_u32_e32 v2, 0xffffff80, v1
	s_mov_b32 s0, exec_lo
	v_mov_b32_e32 v9, 0
	s_delay_alu instid0(VALU_DEP_2)
	v_lshl_add_u32 v10, v2, 2, v3
	v_mov_b32_e32 v2, 0
	s_waitcnt vmcnt(0)
	ds_store_b32 v10, v8 offset:1020
	v_cmpx_gt_u32_e32 8, v1
	s_cbranch_execz .LBB63_33
; %bb.32:
	v_mad_i64_i32 v[8:9], null, s12, 28, v[6:7]
	global_load_b32 v9, v[8:9], off
.LBB63_33:
	s_or_b32 exec_lo, exec_lo, s0
	v_sub_nc_u32_e32 v8, 0xffffff90, v1
	s_mov_b32 s0, exec_lo
	s_delay_alu instid0(VALU_DEP_1)
	v_lshl_add_u32 v8, v8, 2, v3
	s_waitcnt vmcnt(0)
	ds_store_b32 v8, v9 offset:1020
	v_cmpx_gt_u32_e32 7, v1
	s_cbranch_execz .LBB63_35
; %bb.34:
	v_mad_i64_i32 v[8:9], null, s12, 24, v[6:7]
	global_load_b32 v2, v[8:9], off
.LBB63_35:
	s_or_b32 exec_lo, exec_lo, s0
	v_sub_nc_u32_e32 v8, 0xffffffa0, v1
	s_mov_b32 s0, exec_lo
	v_mov_b32_e32 v9, 0
	s_delay_alu instid0(VALU_DEP_2)
	v_lshl_add_u32 v10, v8, 2, v3
	v_mov_b32_e32 v8, 0
	s_waitcnt vmcnt(0)
	ds_store_b32 v10, v2 offset:1020
	v_cmpx_gt_u32_e32 6, v1
	s_cbranch_execz .LBB63_37
; %bb.36:
	v_mad_i64_i32 v[9:10], null, s12, 20, v[6:7]
	global_load_b32 v9, v[9:10], off
.LBB63_37:
	s_or_b32 exec_lo, exec_lo, s0
	v_sub_nc_u32_e32 v2, 0xffffffb0, v1
	s_mov_b32 s0, exec_lo
	s_delay_alu instid0(VALU_DEP_1)
	v_lshl_add_u32 v2, v2, 2, v3
	s_waitcnt vmcnt(0)
	ds_store_b32 v2, v9 offset:1020
	v_cmpx_gt_u32_e32 5, v1
	s_cbranch_execz .LBB63_39
; %bb.38:
	v_add_co_u32 v8, vcc_lo, v6, s16
	v_add_co_ci_u32_e32 v9, vcc_lo, s17, v7, vcc_lo
	global_load_b32 v8, v[8:9], off
.LBB63_39:
	s_or_b32 exec_lo, exec_lo, s0
	v_sub_nc_u32_e32 v2, 0xffffffc0, v1
	v_mov_b32_e32 v9, 0
	s_mov_b32 s0, exec_lo
	s_delay_alu instid0(VALU_DEP_2)
	v_lshl_add_u32 v10, v2, 2, v3
	v_mov_b32_e32 v2, 0
	s_waitcnt vmcnt(0)
	ds_store_b32 v10, v8 offset:1020
	v_cmpx_gt_u32_e32 4, v1
	s_cbranch_execz .LBB63_41
; %bb.40:
	v_mad_i64_i32 v[10:11], null, s12, 12, v[6:7]
	global_load_b32 v2, v[10:11], off
.LBB63_41:
	s_or_b32 exec_lo, exec_lo, s0
	v_sub_nc_u32_e32 v8, 0xffffffd0, v1
	s_mov_b32 s0, exec_lo
	s_delay_alu instid0(VALU_DEP_1)
	v_lshl_add_u32 v8, v8, 2, v3
	s_waitcnt vmcnt(0)
	ds_store_b32 v8, v2 offset:1020
	v_cmpx_gt_u32_e32 3, v1
	s_cbranch_execz .LBB63_43
; %bb.42:
	s_lshl_b64 s[18:19], s[12:13], 3
	s_delay_alu instid0(SALU_CYCLE_1)
	v_add_co_u32 v8, vcc_lo, v6, s18
	v_add_co_ci_u32_e32 v9, vcc_lo, s19, v7, vcc_lo
	global_load_b32 v9, v[8:9], off
.LBB63_43:
	s_or_b32 exec_lo, exec_lo, s0
	v_sub_nc_u32_e32 v2, 0xffffffe0, v1
	v_mov_b32_e32 v8, 0
	s_mov_b32 s0, exec_lo
	s_delay_alu instid0(VALU_DEP_2)
	v_lshl_add_u32 v10, v2, 2, v3
	v_mov_b32_e32 v2, 0
	s_waitcnt vmcnt(0)
	ds_store_b32 v10, v9 offset:1020
	v_cmpx_gt_u32_e32 2, v1
	s_cbranch_execz .LBB63_45
; %bb.44:
	s_lshl_b64 s[18:19], s[12:13], 2
	s_delay_alu instid0(SALU_CYCLE_1)
	v_add_co_u32 v8, vcc_lo, v6, s18
	v_add_co_ci_u32_e32 v9, vcc_lo, s19, v7, vcc_lo
	global_load_b32 v8, v[8:9], off
.LBB63_45:
	s_or_b32 exec_lo, exec_lo, s0
	v_sub_nc_u32_e32 v9, -16, v1
	s_mov_b32 s0, 0
	s_mov_b32 s18, exec_lo
	s_delay_alu instid0(VALU_DEP_1)
	v_lshl_add_u32 v9, v9, 2, v3
	s_waitcnt vmcnt(0)
	ds_store_b32 v9, v8 offset:1020
	v_cmpx_eq_u32_e32 0, v1
	s_cbranch_execz .LBB63_47
; %bb.46:
	global_load_b32 v2, v[6:7], off
.LBB63_47:
	s_or_b32 exec_lo, exec_lo, s18
	v_lshlrev_b32_e32 v6, 2, v1
	s_delay_alu instid0(VALU_DEP_1)
	v_sub_nc_u32_e32 v6, v3, v6
	s_waitcnt vmcnt(0)
	ds_store_b32 v6, v2 offset:1020
.LBB63_48:
	s_and_b32 vcc_lo, exec_lo, s0
	s_cbranch_vccz .LBB63_80
; %bb.49:
	v_mov_b32_e32 v2, 0
	s_delay_alu instid0(VALU_DEP_2) | instskip(SKIP_1) | instid1(VALU_DEP_3)
	v_add_co_u32 v4, vcc_lo, s11, v4
	v_add_co_ci_u32_e32 v5, vcc_lo, s15, v5, vcc_lo
	v_lshlrev_b64 v[6:7], 2, v[1:2]
	s_mov_b32 s0, exec_lo
	s_delay_alu instid0(VALU_DEP_1) | instskip(NEXT) | instid1(VALU_DEP_2)
	v_add_co_u32 v4, vcc_lo, v4, v6
	v_add_co_ci_u32_e32 v5, vcc_lo, v5, v7, vcc_lo
	v_mov_b32_e32 v7, 0
	v_lshl_add_u32 v6, v1, 2, v3
	global_load_b32 v8, v[4:5], off
	s_waitcnt vmcnt(0)
	ds_store_b32 v6, v8
	v_cmpx_ne_u32_e32 0, v1
	s_cbranch_execz .LBB63_51
; %bb.50:
	s_lshl_b64 s[18:19], s[12:13], 2
	s_delay_alu instid0(SALU_CYCLE_1)
	v_add_co_u32 v7, vcc_lo, v4, s18
	v_add_co_ci_u32_e32 v8, vcc_lo, s19, v5, vcc_lo
	global_load_b32 v7, v[7:8], off
.LBB63_51:
	s_or_b32 exec_lo, exec_lo, s0
	s_delay_alu instid0(SALU_CYCLE_1)
	s_mov_b32 s0, exec_lo
	s_waitcnt vmcnt(0)
	ds_store_b32 v6, v7 offset:64
	v_cmpx_lt_u32_e32 1, v1
	s_cbranch_execz .LBB63_53
; %bb.52:
	s_lshl_b64 s[18:19], s[12:13], 3
	s_delay_alu instid0(SALU_CYCLE_1)
	v_add_co_u32 v7, vcc_lo, v4, s18
	v_add_co_ci_u32_e32 v8, vcc_lo, s19, v5, vcc_lo
	global_load_b32 v2, v[7:8], off
.LBB63_53:
	s_or_b32 exec_lo, exec_lo, s0
	v_dual_mov_b32 v7, 0 :: v_dual_mov_b32 v8, 0
	s_mov_b32 s0, exec_lo
	s_waitcnt vmcnt(0)
	ds_store_b32 v6, v2 offset:128
	v_cmpx_lt_u32_e32 2, v1
	s_cbranch_execz .LBB63_55
; %bb.54:
	v_mad_i64_i32 v[8:9], null, s12, 12, v[4:5]
	global_load_b32 v8, v[8:9], off
.LBB63_55:
	s_or_b32 exec_lo, exec_lo, s0
	s_delay_alu instid0(SALU_CYCLE_1)
	s_mov_b32 s0, exec_lo
	s_waitcnt vmcnt(0)
	ds_store_b32 v6, v8 offset:192
	v_cmpx_lt_u32_e32 3, v1
	s_cbranch_execz .LBB63_57
; %bb.56:
	v_add_co_u32 v7, vcc_lo, v4, s16
	v_add_co_ci_u32_e32 v8, vcc_lo, s17, v5, vcc_lo
	global_load_b32 v7, v[7:8], off
.LBB63_57:
	s_or_b32 exec_lo, exec_lo, s0
	v_mov_b32_e32 v2, 0
	v_mov_b32_e32 v8, 0
	s_mov_b32 s0, exec_lo
	s_waitcnt vmcnt(0)
	ds_store_b32 v6, v7 offset:256
	v_cmpx_lt_u32_e32 4, v1
	s_cbranch_execz .LBB63_59
; %bb.58:
	v_mad_i64_i32 v[7:8], null, s12, 20, v[4:5]
	global_load_b32 v8, v[7:8], off
.LBB63_59:
	s_or_b32 exec_lo, exec_lo, s0
	s_delay_alu instid0(SALU_CYCLE_1)
	s_mov_b32 s0, exec_lo
	s_waitcnt vmcnt(0)
	ds_store_b32 v6, v8 offset:320
	v_cmpx_lt_u32_e32 5, v1
	s_cbranch_execz .LBB63_61
; %bb.60:
	v_mad_i64_i32 v[7:8], null, s12, 24, v[4:5]
	global_load_b32 v2, v[7:8], off
.LBB63_61:
	s_or_b32 exec_lo, exec_lo, s0
	v_dual_mov_b32 v7, 0 :: v_dual_mov_b32 v8, 0
	s_mov_b32 s0, exec_lo
	s_waitcnt vmcnt(0)
	ds_store_b32 v6, v2 offset:384
	v_cmpx_lt_u32_e32 6, v1
	s_cbranch_execz .LBB63_63
; %bb.62:
	v_mad_i64_i32 v[8:9], null, s12, 28, v[4:5]
	global_load_b32 v8, v[8:9], off
.LBB63_63:
	s_or_b32 exec_lo, exec_lo, s0
	s_delay_alu instid0(SALU_CYCLE_1)
	s_mov_b32 s0, exec_lo
	s_waitcnt vmcnt(0)
	ds_store_b32 v6, v8 offset:448
	v_cmpx_lt_u32_e32 7, v1
	s_cbranch_execz .LBB63_65
; %bb.64:
	s_lshl_b64 s[16:17], s[12:13], 5
	s_delay_alu instid0(SALU_CYCLE_1)
	v_add_co_u32 v7, vcc_lo, v4, s16
	v_add_co_ci_u32_e32 v8, vcc_lo, s17, v5, vcc_lo
	global_load_b32 v7, v[7:8], off
.LBB63_65:
	s_or_b32 exec_lo, exec_lo, s0
	v_mov_b32_e32 v2, 0
	v_mov_b32_e32 v8, 0
	s_mov_b32 s0, exec_lo
	s_waitcnt vmcnt(0)
	ds_store_b32 v6, v7 offset:512
	v_cmpx_lt_u32_e32 8, v1
	s_cbranch_execz .LBB63_67
; %bb.66:
	v_mad_i64_i32 v[7:8], null, s12, 36, v[4:5]
	global_load_b32 v8, v[7:8], off
.LBB63_67:
	s_or_b32 exec_lo, exec_lo, s0
	s_delay_alu instid0(SALU_CYCLE_1)
	s_mov_b32 s0, exec_lo
	s_waitcnt vmcnt(0)
	ds_store_b32 v6, v8 offset:576
	v_cmpx_lt_u32_e32 9, v1
	s_cbranch_execz .LBB63_69
; %bb.68:
	v_mad_i64_i32 v[7:8], null, s12, 40, v[4:5]
	global_load_b32 v2, v[7:8], off
.LBB63_69:
	s_or_b32 exec_lo, exec_lo, s0
	v_dual_mov_b32 v7, 0 :: v_dual_mov_b32 v8, 0
	s_mov_b32 s0, exec_lo
	s_waitcnt vmcnt(0)
	ds_store_b32 v6, v2 offset:640
	v_cmpx_lt_u32_e32 10, v1
	s_cbranch_execz .LBB63_71
; %bb.70:
	v_mad_i64_i32 v[8:9], null, s12, 44, v[4:5]
	global_load_b32 v8, v[8:9], off
.LBB63_71:
	s_or_b32 exec_lo, exec_lo, s0
	s_delay_alu instid0(SALU_CYCLE_1)
	s_mov_b32 s0, exec_lo
	s_waitcnt vmcnt(0)
	ds_store_b32 v6, v8 offset:704
	v_cmpx_lt_u32_e32 11, v1
	s_cbranch_execz .LBB63_73
; %bb.72:
	v_mad_i64_i32 v[7:8], null, s12, 48, v[4:5]
	global_load_b32 v7, v[7:8], off
.LBB63_73:
	s_or_b32 exec_lo, exec_lo, s0
	v_mov_b32_e32 v2, 0
	v_mov_b32_e32 v8, 0
	s_mov_b32 s0, exec_lo
	s_waitcnt vmcnt(0)
	ds_store_b32 v6, v7 offset:768
	v_cmpx_lt_u32_e32 12, v1
	s_cbranch_execz .LBB63_75
; %bb.74:
	v_mad_i64_i32 v[7:8], null, s12, 52, v[4:5]
	global_load_b32 v8, v[7:8], off
.LBB63_75:
	s_or_b32 exec_lo, exec_lo, s0
	s_delay_alu instid0(SALU_CYCLE_1)
	s_mov_b32 s0, exec_lo
	s_waitcnt vmcnt(0)
	ds_store_b32 v6, v8 offset:832
	v_cmpx_lt_u32_e32 13, v1
	s_cbranch_execz .LBB63_77
; %bb.76:
	v_mad_i64_i32 v[7:8], null, s12, 56, v[4:5]
	global_load_b32 v2, v[7:8], off
.LBB63_77:
	s_or_b32 exec_lo, exec_lo, s0
	v_mov_b32_e32 v7, 0
	s_mov_b32 s0, exec_lo
	s_waitcnt vmcnt(0)
	ds_store_b32 v6, v2 offset:896
	v_cmpx_lt_u32_e32 14, v1
	s_cbranch_execz .LBB63_79
; %bb.78:
	v_mad_i64_i32 v[7:8], null, s12, 60, v[4:5]
	global_load_b32 v7, v[7:8], off
.LBB63_79:
	s_or_b32 exec_lo, exec_lo, s0
	s_waitcnt vmcnt(0)
	ds_store_b32 v6, v7 offset:960
.LBB63_80:
	s_or_b32 exec_lo, exec_lo, s10
	v_mul_i32_i24_e32 v8, 0x44, v1
	s_waitcnt lgkmcnt(0)
	s_barrier
	buffer_gl0_inv
	s_and_saveexec_b32 s0, s3
	s_cbranch_execz .LBB63_86
; %bb.81:
	v_dual_mov_b32 v5, 1.0 :: v_dual_add_nc_u32 v2, v3, v8
	s_cmpk_eq_i32 s5, 0x84
	s_cbranch_scc1 .LBB63_85
; %bb.82:
	ds_load_b32 v4, v2
	v_mov_b32_e32 v5, 1.0
	s_mov_b32 s5, exec_lo
	s_waitcnt lgkmcnt(0)
	v_cmpx_neq_f32_e32 0, v4
; %bb.83:
	v_div_scale_f32 v5, null, v4, v4, 1.0
	s_delay_alu instid0(VALU_DEP_1) | instskip(SKIP_2) | instid1(VALU_DEP_1)
	v_rcp_f32_e32 v6, v5
	s_waitcnt_depctr 0xfff
	v_fma_f32 v7, -v5, v6, 1.0
	v_fmac_f32_e32 v6, v7, v6
	v_div_scale_f32 v7, vcc_lo, 1.0, v4, 1.0
	s_delay_alu instid0(VALU_DEP_1) | instskip(NEXT) | instid1(VALU_DEP_1)
	v_mul_f32_e32 v9, v7, v6
	v_fma_f32 v10, -v5, v9, v7
	s_delay_alu instid0(VALU_DEP_1) | instskip(NEXT) | instid1(VALU_DEP_1)
	v_fmac_f32_e32 v9, v10, v6
	v_fma_f32 v5, -v5, v9, v7
	s_delay_alu instid0(VALU_DEP_1) | instskip(NEXT) | instid1(VALU_DEP_1)
	v_div_fmas_f32 v5, v5, v6, v9
	v_div_fixup_f32 v5, v5, v4, 1.0
; %bb.84:
	s_or_b32 exec_lo, exec_lo, s5
.LBB63_85:
	ds_store_b32 v2, v5
.LBB63_86:
	s_or_b32 exec_lo, exec_lo, s0
	s_waitcnt lgkmcnt(0)
	s_barrier
	buffer_gl0_inv
	s_and_saveexec_b32 s0, s3
	s_cbranch_execz .LBB63_108
; %bb.87:
	v_lshl_add_u32 v2, v1, 2, v3
	v_add_nc_u32_e32 v4, 4, v3
	v_add_nc_u32_e32 v5, 0x48, v3
	;; [unrolled: 1-line block ×3, first 2 shown]
	s_mov_b32 s5, 0
	v_add_nc_u32_e32 v6, 64, v2
	v_add_nc_u32_e32 v7, 0x80, v2
	s_branch .LBB63_89
.LBB63_88:                              ;   in Loop: Header=BB63_89 Depth=1
	s_set_inst_prefetch_distance 0x2
	v_add_nc_u32_e32 v6, 0x80, v6
	v_add_nc_u32_e32 v4, 8, v4
	v_add_nc_u32_e32 v5, 0x88, v5
	v_add_nc_u32_e32 v7, 0x80, v7
	s_cmp_eq_u32 s5, 16
	s_cbranch_scc1 .LBB63_108
.LBB63_89:                              ; =>This Loop Header: Depth=1
                                        ;     Child Loop BB63_95 Depth 2
                                        ;     Child Loop BB63_104 Depth 2
	s_mov_b32 s10, exec_lo
                                        ; implicit-def: $sgpr11
                                        ; implicit-def: $sgpr12
	v_cmpx_ge_i32_e64 s5, v1
	s_xor_b32 s10, exec_lo, s10
; %bb.90:                               ;   in Loop: Header=BB63_89 Depth=1
	s_lshl_b32 s12, s5, 6
	s_mov_b32 s11, 0
; %bb.91:                               ;   in Loop: Header=BB63_89 Depth=1
	s_or_saveexec_b32 s10, s10
	v_mov_b32_e32 v11, s12
	v_mov_b32_e32 v9, s11
	s_xor_b32 exec_lo, exec_lo, s10
	s_cbranch_execz .LBB63_93
; %bb.92:                               ;   in Loop: Header=BB63_89 Depth=1
	v_mad_u64_u32 v[9:10], null, 0x44, s5, v[3:4]
	s_lshl_b32 s11, s5, 6
	s_delay_alu instid0(SALU_CYCLE_1)
	v_dual_mov_b32 v11, s11 :: v_dual_add_nc_u32 v10, s11, v2
	ds_load_b32 v10, v10
	ds_load_b32 v9, v9
	s_waitcnt lgkmcnt(0)
	v_fma_f32 v9, v10, v9, 0
.LBB63_93:                              ;   in Loop: Header=BB63_89 Depth=1
	s_or_b32 exec_lo, exec_lo, s10
	v_add_nc_u32_e32 v10, v4, v11
	v_add_nc_u32_e32 v11, v2, v11
	v_mov_b32_e32 v12, v6
	s_or_b32 s10, s5, 1
	s_delay_alu instid0(SALU_CYCLE_1)
	s_mov_b32 s11, s10
	s_set_inst_prefetch_distance 0x1
	s_branch .LBB63_95
	.p2align	6
.LBB63_94:                              ;   in Loop: Header=BB63_95 Depth=2
	s_or_b32 exec_lo, exec_lo, s12
	v_add_nc_u32_e32 v12, 64, v12
	v_add_nc_u32_e32 v10, 4, v10
	s_add_i32 s12, s11, 1
	s_cmp_gt_u32 s11, 14
	s_mov_b32 s11, s12
	s_cbranch_scc1 .LBB63_99
.LBB63_95:                              ;   Parent Loop BB63_89 Depth=1
                                        ; =>  This Inner Loop Header: Depth=2
	s_mov_b32 s12, exec_lo
	v_cmpx_eq_u32_e64 s11, v1
	s_cbranch_execz .LBB63_97
; %bb.96:                               ;   in Loop: Header=BB63_95 Depth=2
	ds_load_b32 v13, v8
	s_waitcnt lgkmcnt(0)
	v_mul_f32_e64 v13, -v9, v13
	ds_store_b32 v11, v13
.LBB63_97:                              ;   in Loop: Header=BB63_95 Depth=2
	s_or_b32 exec_lo, exec_lo, s12
	s_delay_alu instid0(SALU_CYCLE_1)
	s_mov_b32 s12, exec_lo
	v_cmpx_lt_i32_e64 s11, v1
	s_cbranch_execz .LBB63_94
; %bb.98:                               ;   in Loop: Header=BB63_95 Depth=2
	ds_load_b32 v13, v12
	ds_load_b32 v14, v10
	s_waitcnt lgkmcnt(0)
	v_fmac_f32_e32 v9, v13, v14
	s_branch .LBB63_94
.LBB63_99:                              ;   in Loop: Header=BB63_89 Depth=1
	s_set_inst_prefetch_distance 0x2
	v_mov_b32_e32 v9, 0
	s_mov_b32 s11, exec_lo
	v_cmpx_lt_i32_e64 s10, v1
	s_cbranch_execz .LBB63_101
; %bb.100:                              ;   in Loop: Header=BB63_89 Depth=1
	v_mad_u64_u32 v[9:10], null, 0x44, s10, v[3:4]
	v_lshl_add_u32 v10, s10, 6, v2
	ds_load_b32 v10, v10
	ds_load_b32 v9, v9
	s_waitcnt lgkmcnt(0)
	v_fma_f32 v9, v10, v9, 0
.LBB63_101:                             ;   in Loop: Header=BB63_89 Depth=1
	s_or_b32 exec_lo, exec_lo, s11
	s_add_i32 s5, s5, 2
	s_cmp_gt_u32 s10, 14
	s_cbranch_scc1 .LBB63_88
; %bb.102:                              ;   in Loop: Header=BB63_89 Depth=1
	s_lshl_b32 s10, s10, 6
	s_delay_alu instid0(SALU_CYCLE_1)
	v_dual_mov_b32 v10, v7 :: v_dual_add_nc_u32 v11, s10, v2
	v_mov_b32_e32 v12, v5
	s_mov_b32 s10, s5
	s_set_inst_prefetch_distance 0x1
	s_branch .LBB63_104
	.p2align	6
.LBB63_103:                             ;   in Loop: Header=BB63_104 Depth=2
	s_or_b32 exec_lo, exec_lo, s11
	v_add_nc_u32_e32 v12, 4, v12
	v_add_nc_u32_e32 v10, 64, v10
	s_add_i32 s11, s10, 1
	s_cmp_lt_u32 s10, 15
	s_mov_b32 s10, s11
	s_cbranch_scc0 .LBB63_88
.LBB63_104:                             ;   Parent Loop BB63_89 Depth=1
                                        ; =>  This Inner Loop Header: Depth=2
	s_mov_b32 s11, exec_lo
	v_cmpx_eq_u32_e64 s10, v1
	s_cbranch_execz .LBB63_106
; %bb.105:                              ;   in Loop: Header=BB63_104 Depth=2
	ds_load_b32 v13, v8
	s_waitcnt lgkmcnt(0)
	v_mul_f32_e64 v13, -v9, v13
	ds_store_b32 v11, v13
.LBB63_106:                             ;   in Loop: Header=BB63_104 Depth=2
	s_or_b32 exec_lo, exec_lo, s11
	s_delay_alu instid0(SALU_CYCLE_1)
	s_mov_b32 s11, exec_lo
	v_cmpx_lt_i32_e64 s10, v1
	s_cbranch_execz .LBB63_103
; %bb.107:                              ;   in Loop: Header=BB63_104 Depth=2
	ds_load_b32 v13, v10
	ds_load_b32 v14, v12
	s_waitcnt lgkmcnt(0)
	v_fmac_f32_e32 v9, v13, v14
	s_branch .LBB63_103
.LBB63_108:
	s_or_b32 exec_lo, exec_lo, s0
	s_cmpk_lg_i32 s4, 0x7a
	v_and_b32_e32 v2, 15, v0
	v_lshrrev_b32_e32 v4, 4, v0
	v_cmp_gt_u32_e64 s0, 0x100, v0
	s_cselect_b32 s10, -1, 0
	s_waitcnt lgkmcnt(0)
	s_and_b32 vcc_lo, exec_lo, s10
	s_barrier
	buffer_gl0_inv
	s_cbranch_vccz .LBB63_119
; %bb.109:
	s_mov_b32 s4, 0
	s_mov_b32 s11, 0
                                        ; implicit-def: $vgpr5
	s_and_saveexec_b32 s5, s0
	s_cbranch_execz .LBB63_120
; %bb.110:
	v_dual_mov_b32 v5, 0 :: v_dual_and_b32 v6, 0xf0, v0
	v_add_nc_u32_e32 v8, 1, v4
	s_mov_b32 s11, exec_lo
	s_delay_alu instid0(VALU_DEP_2)
	v_xor_b32_e32 v7, 0xff, v6
	v_mov_b32_e32 v6, 0
	v_cmpx_lt_u32_e32 0x6f, v0
	s_cbranch_execz .LBB63_114
; %bb.111:
	v_dual_mov_b32 v5, 0 :: v_dual_and_b32 v6, 24, v8
	v_lshlrev_b32_e32 v9, 2, v2
	v_lshl_add_u32 v10, v7, 2, 0xbe4
	s_mov_b32 s12, 0
	s_mov_b32 s13, 0
	.p2align	6
.LBB63_112:                             ; =>This Inner Loop Header: Depth=1
	ds_load_2addr_b32 v[19:20], v9 offset1:16
	ds_load_b128 v[11:14], v10 offset:16
	ds_load_b128 v[15:18], v10
	ds_load_2addr_b32 v[21:22], v9 offset0:32 offset1:48
	ds_load_2addr_b32 v[23:24], v9 offset0:64 offset1:80
	s_add_i32 s13, s13, 8
	v_subrev_nc_u32_e32 v10, 32, v10
	v_cmp_eq_u32_e32 vcc_lo, s13, v6
	s_or_b32 s12, vcc_lo, s12
	s_waitcnt lgkmcnt(3)
	v_fmac_f32_e32 v5, v19, v14
	s_delay_alu instid0(VALU_DEP_1) | instskip(SKIP_4) | instid1(VALU_DEP_1)
	v_fmac_f32_e32 v5, v20, v13
	ds_load_2addr_b32 v[13:14], v9 offset0:96 offset1:112
	v_add_nc_u32_e32 v9, 0x200, v9
	s_waitcnt lgkmcnt(2)
	v_fmac_f32_e32 v5, v21, v12
	v_fmac_f32_e32 v5, v22, v11
	s_waitcnt lgkmcnt(1)
	s_delay_alu instid0(VALU_DEP_1) | instskip(NEXT) | instid1(VALU_DEP_1)
	v_fmac_f32_e32 v5, v23, v18
	v_fmac_f32_e32 v5, v24, v17
	s_waitcnt lgkmcnt(0)
	s_delay_alu instid0(VALU_DEP_1) | instskip(NEXT) | instid1(VALU_DEP_1)
	v_fmac_f32_e32 v5, v13, v16
	v_fmac_f32_e32 v5, v14, v15
	s_and_not1_b32 exec_lo, exec_lo, s12
	s_cbranch_execnz .LBB63_112
; %bb.113:
	s_or_b32 exec_lo, exec_lo, s12
.LBB63_114:
	s_delay_alu instid0(SALU_CYCLE_1) | instskip(SKIP_3) | instid1(VALU_DEP_1)
	s_or_b32 exec_lo, exec_lo, s11
	v_and_b32_e32 v8, 7, v8
	s_mov_b32 s12, 0
	s_mov_b32 s11, exec_lo
	v_cmpx_ne_u32_e32 0, v8
	s_cbranch_execz .LBB63_118
; %bb.115:
	v_lshlrev_b32_e32 v7, 2, v7
	v_lshlrev_b32_e32 v9, 2, v6
	s_delay_alu instid0(VALU_DEP_1) | instskip(SKIP_1) | instid1(VALU_DEP_2)
	v_sub_nc_u32_e32 v7, v7, v9
	v_lshlrev_b32_e32 v9, 2, v2
	v_add_nc_u32_e32 v7, 0xc00, v7
	s_delay_alu instid0(VALU_DEP_2)
	v_lshl_or_b32 v6, v6, 6, v9
.LBB63_116:                             ; =>This Inner Loop Header: Depth=1
	ds_load_b32 v9, v6
	ds_load_b32 v10, v7
	v_add_nc_u32_e32 v8, -1, v8
	v_add_nc_u32_e32 v7, -4, v7
	v_add_nc_u32_e32 v6, 64, v6
	s_waitcnt lgkmcnt(0)
	v_fmac_f32_e32 v5, v9, v10
	v_cmp_eq_u32_e32 vcc_lo, 0, v8
	s_or_b32 s12, vcc_lo, s12
	s_delay_alu instid0(SALU_CYCLE_1)
	s_and_not1_b32 exec_lo, exec_lo, s12
	s_cbranch_execnz .LBB63_116
; %bb.117:
	s_or_b32 exec_lo, exec_lo, s12
.LBB63_118:
	s_delay_alu instid0(SALU_CYCLE_1) | instskip(NEXT) | instid1(SALU_CYCLE_1)
	s_or_b32 exec_lo, exec_lo, s11
	s_mov_b32 s11, exec_lo
	s_or_b32 exec_lo, exec_lo, s5
	s_delay_alu instid0(SALU_CYCLE_1)
	s_and_b32 vcc_lo, exec_lo, s4
	s_cbranch_vccnz .LBB63_121
	s_branch .LBB63_126
.LBB63_119:
	s_mov_b32 s11, 0
                                        ; implicit-def: $vgpr5
	s_cbranch_execnz .LBB63_121
	s_branch .LBB63_126
.LBB63_120:
	s_or_b32 exec_lo, exec_lo, s5
	s_delay_alu instid0(SALU_CYCLE_1)
	s_and_b32 vcc_lo, exec_lo, s4
	s_cbranch_vccz .LBB63_126
.LBB63_121:
                                        ; implicit-def: $vgpr5
	s_and_saveexec_b32 s4, s0
	s_cbranch_execz .LBB63_125
; %bb.122:
	v_lshlrev_b32_e32 v5, 2, v0
	v_lshlrev_b32_e32 v8, 2, v4
	;; [unrolled: 1-line block ×3, first 2 shown]
	v_add_nc_u32_e32 v6, -1, v4
	s_mov_b32 s5, 0
	v_and_b32_e32 v5, 0x3c0, v5
	s_delay_alu instid0(VALU_DEP_3) | instskip(NEXT) | instid1(VALU_DEP_2)
	v_lshl_or_b32 v7, v4, 6, v7
	v_or3_b32 v8, v5, v8, 0x800
	v_mov_b32_e32 v5, 0
.LBB63_123:                             ; =>This Inner Loop Header: Depth=1
	ds_load_b32 v9, v7
	ds_load_b32 v10, v8
	v_add_nc_u32_e32 v6, 1, v6
	v_add_nc_u32_e32 v8, 4, v8
	;; [unrolled: 1-line block ×3, first 2 shown]
	s_delay_alu instid0(VALU_DEP_3)
	v_cmp_lt_u32_e32 vcc_lo, 14, v6
	s_or_b32 s5, vcc_lo, s5
	s_waitcnt lgkmcnt(0)
	v_fmac_f32_e32 v5, v9, v10
	s_and_not1_b32 exec_lo, exec_lo, s5
	s_cbranch_execnz .LBB63_123
; %bb.124:
	s_or_b32 exec_lo, exec_lo, s5
	s_delay_alu instid0(SALU_CYCLE_1)
	s_or_b32 s11, s11, exec_lo
.LBB63_125:
	s_or_b32 exec_lo, exec_lo, s4
.LBB63_126:
	s_and_saveexec_b32 s4, s11
	s_cbranch_execz .LBB63_128
; %bb.127:
	v_lshlrev_b32_e32 v6, 2, v0
	ds_store_b32 v6, v5 offset:1024
.LBB63_128:
	s_or_b32 exec_lo, exec_lo, s4
	s_bfe_u32 s4, s14, 0x1d0002
	s_and_b32 s1, s1, 6
	s_mov_b32 s5, 0
	s_mulk_i32 s1, 0x2040
	s_lshl_b64 s[12:13], s[4:5], 16
	s_waitcnt lgkmcnt(0)
	s_or_b32 s1, s12, s1
	s_barrier
	s_add_u32 s1, s8, s1
	s_addc_u32 s4, s9, s13
	s_lshl_b64 s[6:7], s[6:7], 2
	buffer_gl0_inv
	s_add_u32 s1, s1, s6
	s_addc_u32 s4, s4, s7
	s_and_b32 vcc_lo, exec_lo, s10
	s_cbranch_vccz .LBB63_134
; %bb.129:
	s_mov_b32 s6, 0
                                        ; implicit-def: $vgpr5
                                        ; implicit-def: $sgpr7
	s_and_saveexec_b32 s8, s0
	s_cbranch_execz .LBB63_133
; %bb.130:
	v_xor_b32_e32 v5, 0xff, v2
	v_lshlrev_b32_e32 v6, 2, v0
	v_lshlrev_b32_e32 v7, 6, v2
	;; [unrolled: 1-line block ×3, first 2 shown]
	s_delay_alu instid0(VALU_DEP_4) | instskip(NEXT) | instid1(VALU_DEP_4)
	v_lshlrev_b32_e32 v5, 2, v5
	v_and_b32_e32 v9, 0x3c0, v6
	v_add_nc_u32_e32 v6, -1, v2
	s_delay_alu instid0(VALU_DEP_3) | instskip(NEXT) | instid1(VALU_DEP_3)
	v_sub_nc_u32_e32 v5, v5, v7
	v_or3_b32 v7, v9, v8, 0x400
	s_delay_alu instid0(VALU_DEP_2)
	v_or_b32_e32 v8, 0x800, v5
	v_mov_b32_e32 v5, 0
.LBB63_131:                             ; =>This Inner Loop Header: Depth=1
	ds_load_b32 v9, v8
	ds_load_b32 v10, v7
	v_add_nc_u32_e32 v6, 1, v6
	v_add_nc_u32_e32 v7, 4, v7
	v_subrev_nc_u32_e32 v8, 64, v8
	s_delay_alu instid0(VALU_DEP_3)
	v_cmp_lt_u32_e32 vcc_lo, 14, v6
	s_or_b32 s5, vcc_lo, s5
	s_waitcnt lgkmcnt(0)
	v_fma_f32 v5, -v9, v10, v5
	s_and_not1_b32 exec_lo, exec_lo, s5
	s_cbranch_execnz .LBB63_131
; %bb.132:
	s_or_b32 exec_lo, exec_lo, s5
	s_delay_alu instid0(SALU_CYCLE_1)
	s_mov_b32 s5, exec_lo
	s_movk_i32 s7, 0x800
.LBB63_133:
	s_or_b32 exec_lo, exec_lo, s8
	s_delay_alu instid0(SALU_CYCLE_1)
	s_and_b32 vcc_lo, exec_lo, s6
	s_cbranch_vccnz .LBB63_135
	s_branch .LBB63_146
.LBB63_134:
                                        ; implicit-def: $vgpr5
                                        ; implicit-def: $sgpr7
	s_cbranch_execz .LBB63_146
.LBB63_135:
                                        ; implicit-def: $vgpr5
                                        ; implicit-def: $sgpr7
	s_and_saveexec_b32 s6, s0
	s_cbranch_execz .LBB63_145
; %bb.136:
	v_dual_mov_b32 v6, 0 :: v_dual_add_nc_u32 v7, 1, v2
	v_dual_mov_b32 v5, 0 :: v_dual_lshlrev_b32 v0, 2, v0
	s_mov_b32 s0, exec_lo
	v_cmpx_lt_u32_e32 6, v2
	s_cbranch_execz .LBB63_140
; %bb.137:
	s_movk_i32 s7, 0x3c0
	v_dual_mov_b32 v5, 0 :: v_dual_and_b32 v6, 24, v7
	v_lshl_or_b32 v8, v2, 2, 0xc00
	v_and_or_b32 v9, v0, s7, 0x400
	s_mov_b32 s7, 0
	s_mov_b32 s8, 0
	s_set_inst_prefetch_distance 0x1
	.p2align	6
.LBB63_138:                             ; =>This Inner Loop Header: Depth=1
	ds_load_2addr_b32 v[18:19], v8 offset1:16
	ds_load_b128 v[10:13], v9
	ds_load_2addr_b32 v[20:21], v8 offset0:32 offset1:48
	ds_load_b128 v[14:17], v9 offset:16
	ds_load_2addr_b32 v[22:23], v8 offset0:64 offset1:80
	s_add_i32 s8, s8, 8
	v_add_nc_u32_e32 v9, 32, v9
	v_cmp_eq_u32_e32 vcc_lo, s8, v6
	s_or_b32 s7, vcc_lo, s7
	s_waitcnt lgkmcnt(3)
	v_fma_f32 v5, -v18, v10, v5
	s_delay_alu instid0(VALU_DEP_1) | instskip(SKIP_4) | instid1(VALU_DEP_1)
	v_fma_f32 v5, -v19, v11, v5
	ds_load_2addr_b32 v[10:11], v8 offset0:96 offset1:112
	v_add_nc_u32_e32 v8, 0x200, v8
	s_waitcnt lgkmcnt(3)
	v_fma_f32 v5, -v20, v12, v5
	v_fma_f32 v5, -v21, v13, v5
	s_waitcnt lgkmcnt(1)
	s_delay_alu instid0(VALU_DEP_1) | instskip(NEXT) | instid1(VALU_DEP_1)
	v_fma_f32 v5, -v22, v14, v5
	v_fma_f32 v5, -v23, v15, v5
	s_waitcnt lgkmcnt(0)
	s_delay_alu instid0(VALU_DEP_1) | instskip(NEXT) | instid1(VALU_DEP_1)
	v_fma_f32 v5, -v10, v16, v5
	v_fma_f32 v5, -v11, v17, v5
	s_and_not1_b32 exec_lo, exec_lo, s7
	s_cbranch_execnz .LBB63_138
; %bb.139:
	s_set_inst_prefetch_distance 0x2
	s_or_b32 exec_lo, exec_lo, s7
.LBB63_140:
	s_delay_alu instid0(SALU_CYCLE_1) | instskip(SKIP_3) | instid1(VALU_DEP_1)
	s_or_b32 exec_lo, exec_lo, s0
	v_and_b32_e32 v7, 7, v7
	s_mov_b32 s7, 0
	s_mov_b32 s0, exec_lo
	v_cmpx_ne_u32_e32 0, v7
	s_cbranch_execz .LBB63_144
; %bb.141:
	v_lshlrev_b32_e32 v8, 2, v2
	v_and_b32_e32 v0, 0x3c0, v0
	v_lshlrev_b32_e32 v9, 2, v6
	s_delay_alu instid0(VALU_DEP_3) | instskip(NEXT) | instid1(VALU_DEP_2)
	v_lshl_or_b32 v6, v6, 6, v8
	v_add3_u32 v0, v0, v9, 0x400
	s_delay_alu instid0(VALU_DEP_2)
	v_add_nc_u32_e32 v6, 0xc00, v6
.LBB63_142:                             ; =>This Inner Loop Header: Depth=1
	ds_load_b32 v8, v6
	ds_load_b32 v9, v0
	v_add_nc_u32_e32 v7, -1, v7
	v_add_nc_u32_e32 v0, 4, v0
	v_add_nc_u32_e32 v6, 64, v6
	s_delay_alu instid0(VALU_DEP_3)
	v_cmp_eq_u32_e32 vcc_lo, 0, v7
	s_or_b32 s7, vcc_lo, s7
	s_waitcnt lgkmcnt(0)
	v_fma_f32 v5, -v8, v9, v5
	s_and_not1_b32 exec_lo, exec_lo, s7
	s_cbranch_execnz .LBB63_142
; %bb.143:
	s_or_b32 exec_lo, exec_lo, s7
.LBB63_144:
	s_delay_alu instid0(SALU_CYCLE_1)
	s_or_b32 exec_lo, exec_lo, s0
	s_mov_b32 s7, 16
	s_or_b32 s5, s5, exec_lo
.LBB63_145:
	s_or_b32 exec_lo, exec_lo, s6
.LBB63_146:
	s_and_saveexec_b32 s0, s5
	s_cbranch_execnz .LBB63_148
; %bb.147:
	s_or_b32 exec_lo, exec_lo, s0
	s_and_saveexec_b32 s0, s3
	s_cbranch_execnz .LBB63_149
	s_branch .LBB63_158
.LBB63_148:
	v_dual_mov_b32 v7, 0 :: v_dual_lshlrev_b32 v0, 7, v4
	s_delay_alu instid0(VALU_DEP_1) | instskip(NEXT) | instid1(VALU_DEP_1)
	v_or3_b32 v6, v0, s7, v2
	v_lshlrev_b64 v[6:7], 2, v[6:7]
	s_delay_alu instid0(VALU_DEP_1) | instskip(NEXT) | instid1(VALU_DEP_2)
	v_add_co_u32 v6, vcc_lo, s1, v6
	v_add_co_ci_u32_e32 v7, vcc_lo, s4, v7, vcc_lo
	global_store_b32 v[6:7], v5, off
	s_or_b32 exec_lo, exec_lo, s0
	s_and_saveexec_b32 s0, s3
	s_cbranch_execz .LBB63_158
.LBB63_149:
	v_cndmask_b32_e64 v0, 0x810, 0, s2
	s_and_not1_b32 vcc_lo, exec_lo, s10
	s_mov_b32 s0, -1
	s_cbranch_vccnz .LBB63_154
; %bb.150:
	s_mov_b32 s2, 16
	s_mov_b32 s5, exec_lo
	v_cmpx_gt_i32_e32 16, v1
	s_cbranch_execz .LBB63_153
; %bb.151:
	v_dual_mov_b32 v2, 0 :: v_dual_lshlrev_b32 v7, 2, v1
	v_lshlrev_b32_e32 v6, 2, v0
	s_mov_b32 s3, 0
	s_mov_b32 s6, 0
	s_delay_alu instid0(VALU_DEP_2) | instskip(SKIP_2) | instid1(VALU_DEP_1)
	v_lshlrev_b64 v[4:5], 2, v[1:2]
	v_sub_nc_u32_e32 v7, v3, v7
	v_add_co_u32 v2, s0, s1, v6
	v_add_co_ci_u32_e64 v6, null, s4, 0, s0
	s_delay_alu instid0(VALU_DEP_2) | instskip(NEXT) | instid1(VALU_DEP_2)
	v_add_co_u32 v2, vcc_lo, v2, v4
	v_add_co_ci_u32_e32 v4, vcc_lo, v6, v5, vcc_lo
	v_add_nc_u32_e32 v5, 60, v7
.LBB63_152:                             ; =>This Inner Loop Header: Depth=1
	ds_load_b32 v8, v5
	s_add_i32 s2, s2, -1
	v_add_nc_u32_e32 v5, 64, v5
	s_lshl_b64 s[8:9], s[2:3], 9
	v_cmp_le_i32_e32 vcc_lo, s2, v1
	v_add_co_u32 v6, s0, v2, s8
	s_delay_alu instid0(VALU_DEP_1)
	v_add_co_ci_u32_e64 v7, s0, s9, v4, s0
	s_or_b32 s6, vcc_lo, s6
	s_waitcnt lgkmcnt(0)
	global_store_b32 v[6:7], v8, off
	s_and_not1_b32 exec_lo, exec_lo, s6
	s_cbranch_execnz .LBB63_152
.LBB63_153:
	s_or_b32 exec_lo, exec_lo, s5
	s_mov_b32 s0, 0
.LBB63_154:
	s_delay_alu instid0(SALU_CYCLE_1)
	s_and_not1_b32 vcc_lo, exec_lo, s0
	s_cbranch_vccnz .LBB63_158
; %bb.155:
	v_cmp_lt_i32_e32 vcc_lo, -1, v1
	s_and_b32 exec_lo, exec_lo, vcc_lo
	s_cbranch_execz .LBB63_158
; %bb.156:
	v_mov_b32_e32 v2, 0
	v_lshlrev_b32_e32 v0, 2, v0
	s_delay_alu instid0(VALU_DEP_2) | instskip(NEXT) | instid1(VALU_DEP_2)
	v_lshlrev_b64 v[4:5], 2, v[1:2]
	v_add_co_u32 v2, s0, s1, v0
	s_delay_alu instid0(VALU_DEP_1) | instskip(SKIP_2) | instid1(VALU_DEP_4)
	v_add_co_ci_u32_e64 v6, null, s4, 0, s0
	v_lshl_add_u32 v0, v1, 2, v3
	v_add_nc_u32_e32 v1, 1, v1
	v_add_co_u32 v2, vcc_lo, v2, v4
	s_delay_alu instid0(VALU_DEP_4)
	v_add_co_ci_u32_e32 v3, vcc_lo, v6, v5, vcc_lo
	s_mov_b32 s1, 0
.LBB63_157:                             ; =>This Inner Loop Header: Depth=1
	ds_load_b32 v4, v0
	v_add_nc_u32_e32 v1, -1, v1
	v_add_nc_u32_e32 v0, 64, v0
	s_delay_alu instid0(VALU_DEP_2) | instskip(SKIP_4) | instid1(VALU_DEP_1)
	v_cmp_eq_u32_e32 vcc_lo, 0, v1
	s_or_b32 s1, vcc_lo, s1
	s_waitcnt lgkmcnt(0)
	global_store_b32 v[2:3], v4, off
	v_add_co_u32 v2, s0, 0x200, v2
	v_add_co_ci_u32_e64 v3, s0, 0, v3, s0
	s_and_not1_b32 exec_lo, exec_lo, s1
	s_cbranch_execnz .LBB63_157
.LBB63_158:
	s_nop 0
	s_sendmsg sendmsg(MSG_DEALLOC_VGPRS)
	s_endpgm
	.section	.rodata,"a",@progbits
	.p2align	6, 0x0
	.amdhsa_kernel _ZL25rocblas_trtri_trsm_kernelILi128ELi16ELi8EfPKPKfPKPfEv13rocblas_fill_17rocblas_diagonal_T3_lilT4_lli
		.amdhsa_group_segment_fixed_size 4096
		.amdhsa_private_segment_fixed_size 0
		.amdhsa_kernarg_size 68
		.amdhsa_user_sgpr_count 14
		.amdhsa_user_sgpr_dispatch_ptr 0
		.amdhsa_user_sgpr_queue_ptr 0
		.amdhsa_user_sgpr_kernarg_segment_ptr 1
		.amdhsa_user_sgpr_dispatch_id 0
		.amdhsa_user_sgpr_private_segment_size 0
		.amdhsa_wavefront_size32 1
		.amdhsa_uses_dynamic_stack 0
		.amdhsa_enable_private_segment 0
		.amdhsa_system_sgpr_workgroup_id_x 1
		.amdhsa_system_sgpr_workgroup_id_y 0
		.amdhsa_system_sgpr_workgroup_id_z 1
		.amdhsa_system_sgpr_workgroup_info 0
		.amdhsa_system_vgpr_workitem_id 0
		.amdhsa_next_free_vgpr 27
		.amdhsa_next_free_sgpr 24
		.amdhsa_reserve_vcc 1
		.amdhsa_float_round_mode_32 0
		.amdhsa_float_round_mode_16_64 0
		.amdhsa_float_denorm_mode_32 3
		.amdhsa_float_denorm_mode_16_64 3
		.amdhsa_dx10_clamp 1
		.amdhsa_ieee_mode 1
		.amdhsa_fp16_overflow 0
		.amdhsa_workgroup_processor_mode 1
		.amdhsa_memory_ordered 1
		.amdhsa_forward_progress 0
		.amdhsa_shared_vgpr_count 0
		.amdhsa_exception_fp_ieee_invalid_op 0
		.amdhsa_exception_fp_denorm_src 0
		.amdhsa_exception_fp_ieee_div_zero 0
		.amdhsa_exception_fp_ieee_overflow 0
		.amdhsa_exception_fp_ieee_underflow 0
		.amdhsa_exception_fp_ieee_inexact 0
		.amdhsa_exception_int_div_zero 0
	.end_amdhsa_kernel
	.section	.text._ZL25rocblas_trtri_trsm_kernelILi128ELi16ELi8EfPKPKfPKPfEv13rocblas_fill_17rocblas_diagonal_T3_lilT4_lli,"axG",@progbits,_ZL25rocblas_trtri_trsm_kernelILi128ELi16ELi8EfPKPKfPKPfEv13rocblas_fill_17rocblas_diagonal_T3_lilT4_lli,comdat
.Lfunc_end63:
	.size	_ZL25rocblas_trtri_trsm_kernelILi128ELi16ELi8EfPKPKfPKPfEv13rocblas_fill_17rocblas_diagonal_T3_lilT4_lli, .Lfunc_end63-_ZL25rocblas_trtri_trsm_kernelILi128ELi16ELi8EfPKPKfPKPfEv13rocblas_fill_17rocblas_diagonal_T3_lilT4_lli
                                        ; -- End function
	.section	.AMDGPU.csdata,"",@progbits
; Kernel info:
; codeLenInByte = 5896
; NumSgprs: 26
; NumVgprs: 27
; ScratchSize: 0
; MemoryBound: 0
; FloatMode: 240
; IeeeMode: 1
; LDSByteSize: 4096 bytes/workgroup (compile time only)
; SGPRBlocks: 3
; VGPRBlocks: 3
; NumSGPRsForWavesPerEU: 26
; NumVGPRsForWavesPerEU: 27
; Occupancy: 16
; WaveLimiterHint : 1
; COMPUTE_PGM_RSRC2:SCRATCH_EN: 0
; COMPUTE_PGM_RSRC2:USER_SGPR: 14
; COMPUTE_PGM_RSRC2:TRAP_HANDLER: 0
; COMPUTE_PGM_RSRC2:TGID_X_EN: 1
; COMPUTE_PGM_RSRC2:TGID_Y_EN: 0
; COMPUTE_PGM_RSRC2:TGID_Z_EN: 1
; COMPUTE_PGM_RSRC2:TIDIG_COMP_CNT: 0
	.section	.text._ZL18rocblas_trtri_fillILi128EfPKPfEvP15_rocblas_handle13rocblas_fill_ililT1_llii,"axG",@progbits,_ZL18rocblas_trtri_fillILi128EfPKPfEvP15_rocblas_handle13rocblas_fill_ililT1_llii,comdat
	.globl	_ZL18rocblas_trtri_fillILi128EfPKPfEvP15_rocblas_handle13rocblas_fill_ililT1_llii ; -- Begin function _ZL18rocblas_trtri_fillILi128EfPKPfEvP15_rocblas_handle13rocblas_fill_ililT1_llii
	.p2align	8
	.type	_ZL18rocblas_trtri_fillILi128EfPKPfEvP15_rocblas_handle13rocblas_fill_ililT1_llii,@function
_ZL18rocblas_trtri_fillILi128EfPKPfEvP15_rocblas_handle13rocblas_fill_ililT1_llii: ; @_ZL18rocblas_trtri_fillILi128EfPKPfEvP15_rocblas_handle13rocblas_fill_ililT1_llii
; %bb.0:
	s_clause 0x1
	s_load_b64 s[2:3], s[0:1], 0x10
	s_load_b32 s6, s[0:1], 0x40
	s_mov_b32 s12, s15
	s_mov_b32 s15, 0
	s_delay_alu instid0(SALU_CYCLE_1) | instskip(NEXT) | instid1(SALU_CYCLE_1)
	s_lshl_b64 s[4:5], s[14:15], 7
	v_mov_b32_e32 v1, s5
	v_or_b32_e32 v0, s4, v0
	s_waitcnt lgkmcnt(0)
	s_mul_i32 s4, s6, s3
	s_mul_hi_u32 s5, s6, s2
	s_ashr_i32 s7, s6, 31
	s_add_i32 s4, s5, s4
	s_mul_i32 s7, s7, s2
	s_mul_i32 s8, s6, s2
	s_add_i32 s9, s4, s7
	s_mov_b32 s4, exec_lo
	v_cmpx_gt_u64_e64 s[8:9], v[0:1]
	s_cbranch_execz .LBB64_16
; %bb.1:
	s_clause 0x1
	s_load_b32 s10, s[0:1], 0x18
	s_load_b128 s[4:7], s[0:1], 0x20
	s_mov_b32 s13, s15
	s_load_b64 s[16:17], s[0:1], 0x30
	s_lshl_b64 s[12:13], s[12:13], 3
	v_cvt_f32_u32_e32 v4, s2
	v_cvt_f32_u32_e32 v2, s2
	;; [unrolled: 1-line block ×3, first 2 shown]
	s_delay_alu instid0(VALU_DEP_3) | instskip(NEXT) | instid1(VALU_DEP_1)
	v_rcp_iflag_f32_e32 v4, v4
	v_fmamk_f32 v5, v3, 0x4f800000, v2
	s_delay_alu instid0(VALU_DEP_1)
	v_rcp_f32_e32 v5, v5
	s_waitcnt_depctr 0xfff
	v_mul_f32_e32 v4, 0x4f7ffffe, v4
	s_waitcnt lgkmcnt(0)
	s_ashr_i32 s11, s10, 31
	s_add_u32 s6, s6, s12
	s_addc_u32 s7, s7, s13
	s_load_b64 s[12:13], s[6:7], 0x0
	s_load_b64 s[6:7], s[0:1], 0x8
	s_lshl_b64 s[16:17], s[16:17], 2
	v_cvt_u32_f32_e32 v6, v4
	v_mul_f32_e32 v5, 0x5f7ffffc, v5
	s_clause 0x1
	s_load_b32 s20, s[0:1], 0x48
	s_load_b32 s0, s[0:1], 0x54
	s_delay_alu instid0(VALU_DEP_1) | instskip(NEXT) | instid1(VALU_DEP_1)
	v_mul_f32_e32 v4, 0x2f800000, v5
	v_trunc_f32_e32 v8, v4
	s_delay_alu instid0(VALU_DEP_1)
	v_dual_mov_b32 v4, 0 :: v_dual_fmamk_f32 v5, v8, 0xcf800000, v5
	s_waitcnt lgkmcnt(0)
	s_add_u32 s14, s12, s16
	s_addc_u32 s16, s13, s17
	s_add_i32 s12, s7, -2
	s_ashr_i32 s17, s7, 31
	v_cvt_f64_i32_e32 v[2:3], s12
	s_add_i32 s12, s7, -1
	v_cvt_u32_f32_e32 v11, v5
	s_mul_hi_i32 s13, s12, s7
	s_mul_i32 s12, s12, s7
	v_cvt_u32_f32_e32 v12, v8
	s_lshl_b64 s[18:19], s[12:13], 2
	s_delay_alu instid0(SALU_CYCLE_1)
	s_add_u32 s1, s18, -7
	s_addc_u32 s18, s19, -1
	s_sub_i32 s19, 0, s2
	s_and_b32 s0, s0, 0xffff
	v_mul_lo_u32 v7, s19, v6
	s_lshr_b64 s[12:13], s[12:13], 1
	s_mul_hi_u32 s19, s0, s20
	s_mul_i32 s20, s0, s20
	s_delay_alu instid0(VALU_DEP_1) | instskip(NEXT) | instid1(VALU_DEP_1)
	v_mul_hi_u32 v7, v6, v7
	v_add_nc_u32_e32 v13, v6, v7
	s_branch .LBB64_3
.LBB64_2:                               ;   in Loop: Header=BB64_3 Depth=1
	v_add_co_u32 v0, vcc_lo, v0, s20
	v_add_co_ci_u32_e32 v1, vcc_lo, s19, v1, vcc_lo
	s_delay_alu instid0(VALU_DEP_1) | instskip(SKIP_1) | instid1(SALU_CYCLE_1)
	v_cmp_le_u64_e32 vcc_lo, s[8:9], v[0:1]
	s_or_b32 s15, vcc_lo, s15
	s_and_not1_b32 exec_lo, exec_lo, s15
	s_cbranch_execz .LBB64_16
.LBB64_3:                               ; =>This Inner Loop Header: Depth=1
	v_or_b32_e32 v5, s3, v1
	s_delay_alu instid0(VALU_DEP_1) | instskip(SKIP_1) | instid1(SALU_CYCLE_1)
	v_cmp_ne_u64_e32 vcc_lo, 0, v[4:5]
                                        ; implicit-def: $vgpr5_vgpr6
	s_and_saveexec_b32 s0, vcc_lo
	s_xor_b32 s21, exec_lo, s0
	s_cbranch_execz .LBB64_5
; %bb.4:                                ;   in Loop: Header=BB64_3 Depth=1
	s_sub_u32 s0, 0, s2
	s_subb_u32 s22, 0, s3
	v_mul_hi_u32 v5, s0, v11
	v_mul_lo_u32 v6, s0, v12
	v_mul_lo_u32 v7, s22, v11
	s_delay_alu instid0(VALU_DEP_2) | instskip(SKIP_1) | instid1(VALU_DEP_2)
	v_add_nc_u32_e32 v5, v5, v6
	v_mul_lo_u32 v6, s0, v11
	v_add_nc_u32_e32 v5, v5, v7
	s_delay_alu instid0(VALU_DEP_2) | instskip(NEXT) | instid1(VALU_DEP_2)
	v_mul_hi_u32 v7, v11, v6
	v_mul_lo_u32 v8, v11, v5
	v_mul_hi_u32 v9, v11, v5
	v_mul_hi_u32 v10, v12, v6
	v_mul_lo_u32 v6, v12, v6
	v_mul_hi_u32 v14, v12, v5
	v_mul_lo_u32 v5, v12, v5
	v_add_co_u32 v7, vcc_lo, v7, v8
	v_add_co_ci_u32_e32 v8, vcc_lo, 0, v9, vcc_lo
	s_delay_alu instid0(VALU_DEP_2) | instskip(NEXT) | instid1(VALU_DEP_2)
	v_add_co_u32 v6, vcc_lo, v7, v6
	v_add_co_ci_u32_e32 v6, vcc_lo, v8, v10, vcc_lo
	v_add_co_ci_u32_e32 v7, vcc_lo, 0, v14, vcc_lo
	s_delay_alu instid0(VALU_DEP_2) | instskip(NEXT) | instid1(VALU_DEP_2)
	v_add_co_u32 v5, vcc_lo, v6, v5
	v_add_co_ci_u32_e32 v6, vcc_lo, 0, v7, vcc_lo
	s_delay_alu instid0(VALU_DEP_2) | instskip(NEXT) | instid1(VALU_DEP_2)
	v_add_co_u32 v5, vcc_lo, v11, v5
	v_add_co_ci_u32_e32 v6, vcc_lo, v12, v6, vcc_lo
	s_delay_alu instid0(VALU_DEP_2) | instskip(SKIP_1) | instid1(VALU_DEP_3)
	v_mul_hi_u32 v7, s0, v5
	v_mul_lo_u32 v9, s22, v5
	v_mul_lo_u32 v8, s0, v6
	s_delay_alu instid0(VALU_DEP_1) | instskip(SKIP_1) | instid1(VALU_DEP_2)
	v_add_nc_u32_e32 v7, v7, v8
	v_mul_lo_u32 v8, s0, v5
	v_add_nc_u32_e32 v7, v7, v9
	s_delay_alu instid0(VALU_DEP_2) | instskip(NEXT) | instid1(VALU_DEP_2)
	v_mul_hi_u32 v9, v5, v8
	v_mul_lo_u32 v10, v5, v7
	v_mul_hi_u32 v14, v5, v7
	v_mul_hi_u32 v15, v6, v8
	v_mul_lo_u32 v8, v6, v8
	v_mul_hi_u32 v16, v6, v7
	v_mul_lo_u32 v7, v6, v7
	v_add_co_u32 v9, vcc_lo, v9, v10
	v_add_co_ci_u32_e32 v10, vcc_lo, 0, v14, vcc_lo
	s_delay_alu instid0(VALU_DEP_2) | instskip(NEXT) | instid1(VALU_DEP_2)
	v_add_co_u32 v8, vcc_lo, v9, v8
	v_add_co_ci_u32_e32 v8, vcc_lo, v10, v15, vcc_lo
	v_add_co_ci_u32_e32 v9, vcc_lo, 0, v16, vcc_lo
	s_delay_alu instid0(VALU_DEP_2) | instskip(NEXT) | instid1(VALU_DEP_2)
	v_add_co_u32 v7, vcc_lo, v8, v7
	v_add_co_ci_u32_e32 v8, vcc_lo, 0, v9, vcc_lo
	s_delay_alu instid0(VALU_DEP_2) | instskip(NEXT) | instid1(VALU_DEP_2)
	v_add_co_u32 v9, vcc_lo, v5, v7
	v_add_co_ci_u32_e32 v14, vcc_lo, v6, v8, vcc_lo
	s_delay_alu instid0(VALU_DEP_2) | instskip(SKIP_1) | instid1(VALU_DEP_3)
	v_mul_hi_u32 v15, v0, v9
	v_mad_u64_u32 v[7:8], null, v1, v9, 0
	v_mad_u64_u32 v[5:6], null, v0, v14, 0
	;; [unrolled: 1-line block ×3, first 2 shown]
	s_delay_alu instid0(VALU_DEP_2) | instskip(NEXT) | instid1(VALU_DEP_3)
	v_add_co_u32 v5, vcc_lo, v15, v5
	v_add_co_ci_u32_e32 v6, vcc_lo, 0, v6, vcc_lo
	s_delay_alu instid0(VALU_DEP_2) | instskip(NEXT) | instid1(VALU_DEP_2)
	v_add_co_u32 v5, vcc_lo, v5, v7
	v_add_co_ci_u32_e32 v5, vcc_lo, v6, v8, vcc_lo
	v_add_co_ci_u32_e32 v6, vcc_lo, 0, v10, vcc_lo
	s_delay_alu instid0(VALU_DEP_2) | instskip(NEXT) | instid1(VALU_DEP_2)
	v_add_co_u32 v7, vcc_lo, v5, v9
	v_add_co_ci_u32_e32 v8, vcc_lo, 0, v6, vcc_lo
	s_delay_alu instid0(VALU_DEP_2) | instskip(SKIP_1) | instid1(VALU_DEP_3)
	v_mul_lo_u32 v9, s3, v7
	v_mad_u64_u32 v[5:6], null, s2, v7, 0
	v_mul_lo_u32 v10, s2, v8
	s_delay_alu instid0(VALU_DEP_2) | instskip(NEXT) | instid1(VALU_DEP_2)
	v_sub_co_u32 v5, vcc_lo, v0, v5
	v_add3_u32 v6, v6, v10, v9
	s_delay_alu instid0(VALU_DEP_1) | instskip(NEXT) | instid1(VALU_DEP_1)
	v_sub_nc_u32_e32 v9, v1, v6
	v_subrev_co_ci_u32_e64 v9, s0, s3, v9, vcc_lo
	v_add_co_u32 v10, s0, v7, 2
	s_delay_alu instid0(VALU_DEP_1) | instskip(SKIP_3) | instid1(VALU_DEP_3)
	v_add_co_ci_u32_e64 v14, s0, 0, v8, s0
	v_sub_co_u32 v15, s0, v5, s2
	v_sub_co_ci_u32_e32 v6, vcc_lo, v1, v6, vcc_lo
	v_subrev_co_ci_u32_e64 v9, s0, 0, v9, s0
	v_cmp_le_u32_e32 vcc_lo, s2, v15
	s_delay_alu instid0(VALU_DEP_3) | instskip(SKIP_1) | instid1(VALU_DEP_4)
	v_cmp_eq_u32_e64 s0, s3, v6
	v_cndmask_b32_e64 v15, 0, -1, vcc_lo
	v_cmp_le_u32_e32 vcc_lo, s3, v9
	v_cndmask_b32_e64 v16, 0, -1, vcc_lo
	v_cmp_le_u32_e32 vcc_lo, s2, v5
	v_cndmask_b32_e64 v5, 0, -1, vcc_lo
	v_cmp_le_u32_e32 vcc_lo, s3, v6
	v_cndmask_b32_e64 v17, 0, -1, vcc_lo
	v_cmp_eq_u32_e32 vcc_lo, s3, v9
	s_delay_alu instid0(VALU_DEP_2) | instskip(SKIP_3) | instid1(VALU_DEP_3)
	v_cndmask_b32_e64 v5, v17, v5, s0
	v_cndmask_b32_e32 v9, v16, v15, vcc_lo
	v_add_co_u32 v15, vcc_lo, v7, 1
	v_add_co_ci_u32_e32 v16, vcc_lo, 0, v8, vcc_lo
	v_cmp_ne_u32_e32 vcc_lo, 0, v9
	s_delay_alu instid0(VALU_DEP_2) | instskip(NEXT) | instid1(VALU_DEP_4)
	v_cndmask_b32_e32 v6, v16, v14, vcc_lo
	v_cndmask_b32_e32 v9, v15, v10, vcc_lo
	v_cmp_ne_u32_e32 vcc_lo, 0, v5
	s_delay_alu instid0(VALU_DEP_2)
	v_dual_cndmask_b32 v6, v8, v6 :: v_dual_cndmask_b32 v5, v7, v9
.LBB64_5:                               ;   in Loop: Header=BB64_3 Depth=1
	s_and_not1_saveexec_b32 s0, s21
; %bb.6:                                ;   in Loop: Header=BB64_3 Depth=1
	v_mul_hi_u32 v5, v0, v13
	s_delay_alu instid0(VALU_DEP_1) | instskip(NEXT) | instid1(VALU_DEP_1)
	v_mul_lo_u32 v6, v5, s2
	v_sub_nc_u32_e32 v6, v0, v6
	s_delay_alu instid0(VALU_DEP_1) | instskip(SKIP_1) | instid1(VALU_DEP_2)
	v_subrev_nc_u32_e32 v8, s2, v6
	v_cmp_le_u32_e32 vcc_lo, s2, v6
	v_dual_cndmask_b32 v6, v6, v8 :: v_dual_add_nc_u32 v7, 1, v5
	s_delay_alu instid0(VALU_DEP_1) | instskip(NEXT) | instid1(VALU_DEP_2)
	v_cndmask_b32_e32 v5, v5, v7, vcc_lo
	v_cmp_le_u32_e32 vcc_lo, s2, v6
	s_delay_alu instid0(VALU_DEP_2) | instskip(NEXT) | instid1(VALU_DEP_1)
	v_dual_mov_b32 v6, v4 :: v_dual_add_nc_u32 v7, 1, v5
	v_cndmask_b32_e32 v5, v5, v7, vcc_lo
; %bb.7:                                ;   in Loop: Header=BB64_3 Depth=1
	s_or_b32 exec_lo, exec_lo, s0
	s_delay_alu instid0(VALU_DEP_2) | instskip(NEXT) | instid1(VALU_DEP_2)
	v_mul_lo_u32 v9, v6, s2
	v_mul_lo_u32 v10, v5, s3
	v_mad_u64_u32 v[7:8], null, v5, s2, 0
	s_cmpk_lt_i32 s6, 0x7a
	s_delay_alu instid0(VALU_DEP_1) | instskip(NEXT) | instid1(VALU_DEP_2)
	v_add3_u32 v8, v8, v10, v9
	v_sub_co_u32 v7, vcc_lo, v0, v7
	s_delay_alu instid0(VALU_DEP_2)
	v_sub_co_ci_u32_e32 v8, vcc_lo, v1, v8, vcc_lo
	s_cbranch_scc1 .LBB64_10
; %bb.8:                                ;   in Loop: Header=BB64_3 Depth=1
	s_mov_b32 s0, 0
	s_cmpk_eq_i32 s6, 0x7a
	s_mov_b32 s21, 0
                                        ; implicit-def: $vgpr9_vgpr10
	s_cbranch_scc0 .LBB64_11
; %bb.9:                                ;   in Loop: Header=BB64_3 Depth=1
	v_lshlrev_b64 v[9:10], 3, v[7:8]
	s_mov_b32 s21, -1
	s_delay_alu instid0(VALU_DEP_1) | instskip(NEXT) | instid1(VALU_DEP_2)
	v_sub_co_u32 v14, vcc_lo, s1, v9
	v_sub_co_ci_u32_e32 v9, vcc_lo, s18, v10, vcc_lo
	s_delay_alu instid0(VALU_DEP_2) | instskip(NEXT) | instid1(VALU_DEP_2)
	v_cvt_f64_u32_e32 v[14:15], v14
	v_cvt_f64_u32_e32 v[9:10], v9
	s_delay_alu instid0(VALU_DEP_1) | instskip(NEXT) | instid1(VALU_DEP_1)
	v_ldexp_f64 v[9:10], v[9:10], 32
	v_add_f64 v[9:10], v[9:10], v[14:15]
	s_delay_alu instid0(VALU_DEP_1) | instskip(SKIP_1) | instid1(VALU_DEP_1)
	v_cmp_gt_f64_e32 vcc_lo, 0x10000000, v[9:10]
	v_cndmask_b32_e64 v14, 0, 1, vcc_lo
	v_lshlrev_b32_e32 v14, 8, v14
	s_delay_alu instid0(VALU_DEP_1) | instskip(NEXT) | instid1(VALU_DEP_1)
	v_ldexp_f64 v[9:10], v[9:10], v14
	v_rsq_f64_e32 v[14:15], v[9:10]
	s_waitcnt_depctr 0xfff
	v_mul_f64 v[16:17], v[9:10], v[14:15]
	v_mul_f64 v[14:15], v[14:15], 0.5
	s_delay_alu instid0(VALU_DEP_1) | instskip(NEXT) | instid1(VALU_DEP_1)
	v_fma_f64 v[18:19], -v[14:15], v[16:17], 0.5
	v_fma_f64 v[16:17], v[16:17], v[18:19], v[16:17]
	v_fma_f64 v[14:15], v[14:15], v[18:19], v[14:15]
	s_delay_alu instid0(VALU_DEP_2) | instskip(NEXT) | instid1(VALU_DEP_1)
	v_fma_f64 v[18:19], -v[16:17], v[16:17], v[9:10]
	v_fma_f64 v[16:17], v[18:19], v[14:15], v[16:17]
	s_delay_alu instid0(VALU_DEP_1) | instskip(NEXT) | instid1(VALU_DEP_1)
	v_fma_f64 v[18:19], -v[16:17], v[16:17], v[9:10]
	v_fma_f64 v[14:15], v[18:19], v[14:15], v[16:17]
	v_cndmask_b32_e64 v16, 0, 0xffffff80, vcc_lo
	v_cmp_class_f64_e64 vcc_lo, v[9:10], 0x260
	v_mul_lo_u32 v17, v5, s5
	s_delay_alu instid0(VALU_DEP_3) | instskip(SKIP_1) | instid1(VALU_DEP_2)
	v_ldexp_f64 v[14:15], v[14:15], v16
	v_mul_lo_u32 v16, v6, s4
	v_dual_cndmask_b32 v10, v15, v10 :: v_dual_cndmask_b32 v9, v14, v9
	s_delay_alu instid0(VALU_DEP_1) | instskip(NEXT) | instid1(VALU_DEP_1)
	v_fma_f64 v[9:10], v[9:10], 0.5, -0.5
	v_floor_f64_e32 v[9:10], v[9:10]
	s_delay_alu instid0(VALU_DEP_1) | instskip(NEXT) | instid1(VALU_DEP_1)
	v_add_f64 v[9:10], v[2:3], -v[9:10]
	v_trunc_f64_e32 v[9:10], v[9:10]
	s_delay_alu instid0(VALU_DEP_1) | instskip(NEXT) | instid1(VALU_DEP_1)
	v_ldexp_f64 v[14:15], v[9:10], 0xffffffe0
	v_floor_f64_e32 v[14:15], v[14:15]
	s_delay_alu instid0(VALU_DEP_1) | instskip(SKIP_1) | instid1(VALU_DEP_2)
	v_fma_f64 v[9:10], 0xc1f00000, v[14:15], v[9:10]
	v_cvt_u32_f64_e32 v15, v[14:15]
	v_cvt_u32_f64_e32 v14, v[9:10]
	v_mad_u64_u32 v[9:10], null, v5, s4, 0
	s_delay_alu instid0(VALU_DEP_3) | instskip(NEXT) | instid1(VALU_DEP_2)
	v_mul_lo_u32 v20, v15, s10
	v_add3_u32 v10, v10, v17, v16
	s_delay_alu instid0(VALU_DEP_1) | instskip(SKIP_4) | instid1(VALU_DEP_4)
	v_lshlrev_b64 v[9:10], 2, v[9:10]
	v_sub_co_u32 v22, vcc_lo, s7, v14
	v_sub_co_ci_u32_e32 v21, vcc_lo, s17, v15, vcc_lo
	v_mul_lo_u32 v23, v14, s11
	v_mad_u64_u32 v[16:17], null, v14, s10, 0
	v_add_co_u32 v24, vcc_lo, v22, -1
	s_delay_alu instid0(VALU_DEP_4) | instskip(SKIP_1) | instid1(VALU_DEP_4)
	v_add_co_ci_u32_e32 v25, vcc_lo, -1, v21, vcc_lo
	v_sub_co_u32 v18, vcc_lo, v7, s12
	v_add3_u32 v17, v17, v23, v20
	s_delay_alu instid0(VALU_DEP_3)
	v_mul_lo_u32 v23, v25, v22
	v_mul_lo_u32 v25, v24, v21
	v_mad_u64_u32 v[20:21], null, v24, v22, 0
	v_subrev_co_ci_u32_e32 v19, vcc_lo, s13, v8, vcc_lo
	v_lshlrev_b64 v[16:17], 2, v[16:17]
	v_add_co_u32 v9, vcc_lo, s14, v9
	v_add_co_ci_u32_e32 v10, vcc_lo, s16, v10, vcc_lo
	s_delay_alu instid0(VALU_DEP_4) | instskip(SKIP_1) | instid1(VALU_DEP_4)
	v_lshlrev_b64 v[18:19], 2, v[18:19]
	v_add3_u32 v21, v21, v25, v23
	v_add_co_u32 v16, vcc_lo, v9, v16
	s_delay_alu instid0(VALU_DEP_4) | instskip(NEXT) | instid1(VALU_DEP_3)
	v_add_co_ci_u32_e32 v17, vcc_lo, v10, v17, vcc_lo
	v_lshlrev_b64 v[9:10], 1, v[20:21]
	v_lshlrev_b64 v[14:15], 2, v[14:15]
	s_delay_alu instid0(VALU_DEP_4) | instskip(NEXT) | instid1(VALU_DEP_4)
	v_add_co_u32 v16, vcc_lo, v16, v18
	v_add_co_ci_u32_e32 v17, vcc_lo, v17, v19, vcc_lo
	s_delay_alu instid0(VALU_DEP_4) | instskip(NEXT) | instid1(VALU_DEP_3)
	v_and_b32_e32 v9, -4, v9
	v_add_co_u32 v14, vcc_lo, v16, v14
	s_delay_alu instid0(VALU_DEP_3) | instskip(NEXT) | instid1(VALU_DEP_2)
	v_add_co_ci_u32_e32 v15, vcc_lo, v17, v15, vcc_lo
	v_add_co_u32 v9, vcc_lo, v14, v9
	s_delay_alu instid0(VALU_DEP_2) | instskip(NEXT) | instid1(VALU_DEP_2)
	v_add_co_ci_u32_e32 v10, vcc_lo, v15, v10, vcc_lo
	v_add_co_u32 v9, vcc_lo, v9, 4
	s_delay_alu instid0(VALU_DEP_2)
	v_add_co_ci_u32_e32 v10, vcc_lo, 0, v10, vcc_lo
	s_branch .LBB64_11
.LBB64_10:                              ;   in Loop: Header=BB64_3 Depth=1
	s_mov_b32 s0, -1
	s_mov_b32 s21, 0
                                        ; implicit-def: $vgpr9_vgpr10
.LBB64_11:                              ;   in Loop: Header=BB64_3 Depth=1
	s_and_b32 vcc_lo, exec_lo, s0
	s_cbranch_vccz .LBB64_14
; %bb.12:                               ;   in Loop: Header=BB64_3 Depth=1
	s_cmpk_eq_i32 s6, 0x79
                                        ; implicit-def: $vgpr9_vgpr10
	s_cbranch_scc0 .LBB64_14
; %bb.13:                               ;   in Loop: Header=BB64_3 Depth=1
	v_lshlrev_b64 v[9:10], 3, v[7:8]
	s_mov_b32 s21, -1
	s_delay_alu instid0(VALU_DEP_1) | instskip(NEXT) | instid1(VALU_DEP_2)
	v_cvt_f64_u32_e32 v[14:15], v10
	v_or_b32_e32 v9, 1, v9
	s_delay_alu instid0(VALU_DEP_1) | instskip(NEXT) | instid1(VALU_DEP_3)
	v_cvt_f64_u32_e32 v[9:10], v9
	v_ldexp_f64 v[14:15], v[14:15], 32
	s_delay_alu instid0(VALU_DEP_1) | instskip(NEXT) | instid1(VALU_DEP_1)
	v_add_f64 v[9:10], v[14:15], v[9:10]
	v_cmp_gt_f64_e32 vcc_lo, 0x10000000, v[9:10]
	v_cndmask_b32_e64 v14, 0, 1, vcc_lo
	s_delay_alu instid0(VALU_DEP_1) | instskip(NEXT) | instid1(VALU_DEP_1)
	v_lshlrev_b32_e32 v14, 8, v14
	v_ldexp_f64 v[9:10], v[9:10], v14
	s_delay_alu instid0(VALU_DEP_1) | instskip(SKIP_3) | instid1(VALU_DEP_1)
	v_rsq_f64_e32 v[14:15], v[9:10]
	s_waitcnt_depctr 0xfff
	v_mul_f64 v[16:17], v[9:10], v[14:15]
	v_mul_f64 v[14:15], v[14:15], 0.5
	v_fma_f64 v[18:19], -v[14:15], v[16:17], 0.5
	s_delay_alu instid0(VALU_DEP_1) | instskip(SKIP_1) | instid1(VALU_DEP_2)
	v_fma_f64 v[16:17], v[16:17], v[18:19], v[16:17]
	v_fma_f64 v[14:15], v[14:15], v[18:19], v[14:15]
	v_fma_f64 v[18:19], -v[16:17], v[16:17], v[9:10]
	s_delay_alu instid0(VALU_DEP_1) | instskip(NEXT) | instid1(VALU_DEP_1)
	v_fma_f64 v[16:17], v[18:19], v[14:15], v[16:17]
	v_fma_f64 v[18:19], -v[16:17], v[16:17], v[9:10]
	s_delay_alu instid0(VALU_DEP_1) | instskip(SKIP_4) | instid1(VALU_DEP_4)
	v_fma_f64 v[14:15], v[18:19], v[14:15], v[16:17]
	v_cndmask_b32_e64 v16, 0, 0xffffff80, vcc_lo
	v_cmp_class_f64_e64 vcc_lo, v[9:10], 0x260
	v_mul_lo_u32 v17, v6, s4
	v_mul_lo_u32 v18, v5, s5
	v_ldexp_f64 v[14:15], v[14:15], v16
	s_delay_alu instid0(VALU_DEP_1) | instskip(NEXT) | instid1(VALU_DEP_1)
	v_dual_cndmask_b32 v10, v15, v10 :: v_dual_cndmask_b32 v9, v14, v9
	v_add_f64 v[9:10], v[9:10], -1.0
	s_delay_alu instid0(VALU_DEP_1) | instskip(NEXT) | instid1(VALU_DEP_1)
	v_mul_f64 v[9:10], v[9:10], 0.5
	v_trunc_f64_e32 v[9:10], v[9:10]
	s_delay_alu instid0(VALU_DEP_1) | instskip(NEXT) | instid1(VALU_DEP_1)
	v_ldexp_f64 v[14:15], v[9:10], 0xffffffe0
	v_floor_f64_e32 v[14:15], v[14:15]
	s_delay_alu instid0(VALU_DEP_1) | instskip(SKIP_1) | instid1(VALU_DEP_2)
	v_fma_f64 v[9:10], 0xc1f00000, v[14:15], v[9:10]
	v_cvt_u32_f64_e32 v15, v[14:15]
	v_cvt_u32_f64_e32 v14, v[9:10]
	v_mad_u64_u32 v[9:10], null, v5, s4, 0
	s_delay_alu instid0(VALU_DEP_3) | instskip(NEXT) | instid1(VALU_DEP_2)
	v_mul_lo_u32 v20, s10, v15
	v_add3_u32 v10, v10, v18, v17
	s_delay_alu instid0(VALU_DEP_1) | instskip(SKIP_4) | instid1(VALU_DEP_3)
	v_lshlrev_b64 v[9:10], 2, v[9:10]
	v_mad_u64_u32 v[5:6], null, v14, v14, v[14:15]
	v_mul_lo_u32 v19, v14, v15
	v_mul_lo_u32 v21, s11, v14
	v_mad_u64_u32 v[15:16], null, s10, v14, s[10:11]
	v_add3_u32 v6, v19, v6, v19
	s_delay_alu instid0(VALU_DEP_2) | instskip(NEXT) | instid1(VALU_DEP_2)
	v_add3_u32 v16, v21, v16, v20
	v_lshrrev_b64 v[5:6], 1, v[5:6]
	s_delay_alu instid0(VALU_DEP_2) | instskip(NEXT) | instid1(VALU_DEP_2)
	v_lshlrev_b64 v[14:15], 2, v[15:16]
	v_sub_co_u32 v5, vcc_lo, v7, v5
	s_delay_alu instid0(VALU_DEP_3) | instskip(SKIP_2) | instid1(VALU_DEP_3)
	v_sub_co_ci_u32_e32 v6, vcc_lo, v8, v6, vcc_lo
	v_add_co_u32 v7, vcc_lo, s14, v9
	v_add_co_ci_u32_e32 v8, vcc_lo, s16, v10, vcc_lo
	v_lshlrev_b64 v[5:6], 2, v[5:6]
	s_delay_alu instid0(VALU_DEP_3) | instskip(NEXT) | instid1(VALU_DEP_3)
	v_add_co_u32 v7, vcc_lo, v7, v14
	v_add_co_ci_u32_e32 v8, vcc_lo, v8, v15, vcc_lo
	s_delay_alu instid0(VALU_DEP_2) | instskip(NEXT) | instid1(VALU_DEP_2)
	v_add_co_u32 v9, vcc_lo, v7, v5
	v_add_co_ci_u32_e32 v10, vcc_lo, v8, v6, vcc_lo
.LBB64_14:                              ;   in Loop: Header=BB64_3 Depth=1
	s_and_b32 vcc_lo, exec_lo, s21
	s_cbranch_vccz .LBB64_2
; %bb.15:                               ;   in Loop: Header=BB64_3 Depth=1
	global_store_b32 v[9:10], v4, off
	s_branch .LBB64_2
.LBB64_16:
	s_nop 0
	s_sendmsg sendmsg(MSG_DEALLOC_VGPRS)
	s_endpgm
	.section	.rodata,"a",@progbits
	.p2align	6, 0x0
	.amdhsa_kernel _ZL18rocblas_trtri_fillILi128EfPKPfEvP15_rocblas_handle13rocblas_fill_ililT1_llii
		.amdhsa_group_segment_fixed_size 0
		.amdhsa_private_segment_fixed_size 0
		.amdhsa_kernarg_size 328
		.amdhsa_user_sgpr_count 14
		.amdhsa_user_sgpr_dispatch_ptr 0
		.amdhsa_user_sgpr_queue_ptr 0
		.amdhsa_user_sgpr_kernarg_segment_ptr 1
		.amdhsa_user_sgpr_dispatch_id 0
		.amdhsa_user_sgpr_private_segment_size 0
		.amdhsa_wavefront_size32 1
		.amdhsa_uses_dynamic_stack 0
		.amdhsa_enable_private_segment 0
		.amdhsa_system_sgpr_workgroup_id_x 1
		.amdhsa_system_sgpr_workgroup_id_y 0
		.amdhsa_system_sgpr_workgroup_id_z 1
		.amdhsa_system_sgpr_workgroup_info 0
		.amdhsa_system_vgpr_workitem_id 0
		.amdhsa_next_free_vgpr 26
		.amdhsa_next_free_sgpr 23
		.amdhsa_reserve_vcc 1
		.amdhsa_float_round_mode_32 0
		.amdhsa_float_round_mode_16_64 0
		.amdhsa_float_denorm_mode_32 3
		.amdhsa_float_denorm_mode_16_64 3
		.amdhsa_dx10_clamp 1
		.amdhsa_ieee_mode 1
		.amdhsa_fp16_overflow 0
		.amdhsa_workgroup_processor_mode 1
		.amdhsa_memory_ordered 1
		.amdhsa_forward_progress 0
		.amdhsa_shared_vgpr_count 0
		.amdhsa_exception_fp_ieee_invalid_op 0
		.amdhsa_exception_fp_denorm_src 0
		.amdhsa_exception_fp_ieee_div_zero 0
		.amdhsa_exception_fp_ieee_overflow 0
		.amdhsa_exception_fp_ieee_underflow 0
		.amdhsa_exception_fp_ieee_inexact 0
		.amdhsa_exception_int_div_zero 0
	.end_amdhsa_kernel
	.section	.text._ZL18rocblas_trtri_fillILi128EfPKPfEvP15_rocblas_handle13rocblas_fill_ililT1_llii,"axG",@progbits,_ZL18rocblas_trtri_fillILi128EfPKPfEvP15_rocblas_handle13rocblas_fill_ililT1_llii,comdat
.Lfunc_end64:
	.size	_ZL18rocblas_trtri_fillILi128EfPKPfEvP15_rocblas_handle13rocblas_fill_ililT1_llii, .Lfunc_end64-_ZL18rocblas_trtri_fillILi128EfPKPfEvP15_rocblas_handle13rocblas_fill_ililT1_llii
                                        ; -- End function
	.section	.AMDGPU.csdata,"",@progbits
; Kernel info:
; codeLenInByte = 2416
; NumSgprs: 25
; NumVgprs: 26
; ScratchSize: 0
; MemoryBound: 0
; FloatMode: 240
; IeeeMode: 1
; LDSByteSize: 0 bytes/workgroup (compile time only)
; SGPRBlocks: 3
; VGPRBlocks: 3
; NumSGPRsForWavesPerEU: 25
; NumVGPRsForWavesPerEU: 26
; Occupancy: 16
; WaveLimiterHint : 0
; COMPUTE_PGM_RSRC2:SCRATCH_EN: 0
; COMPUTE_PGM_RSRC2:USER_SGPR: 14
; COMPUTE_PGM_RSRC2:TRAP_HANDLER: 0
; COMPUTE_PGM_RSRC2:TGID_X_EN: 1
; COMPUTE_PGM_RSRC2:TGID_Y_EN: 0
; COMPUTE_PGM_RSRC2:TGID_Z_EN: 1
; COMPUTE_PGM_RSRC2:TIDIG_COMP_CNT: 0
	.section	.text._ZL24rocblas_copy_matrix_trsmILi128ELi8EfPKPKfPKPfEviiiT2_ilT3_illli,"axG",@progbits,_ZL24rocblas_copy_matrix_trsmILi128ELi8EfPKPKfPKPfEviiiT2_ilT3_illli,comdat
	.globl	_ZL24rocblas_copy_matrix_trsmILi128ELi8EfPKPKfPKPfEviiiT2_ilT3_illli ; -- Begin function _ZL24rocblas_copy_matrix_trsmILi128ELi8EfPKPKfPKPfEviiiT2_ilT3_illli
	.p2align	8
	.type	_ZL24rocblas_copy_matrix_trsmILi128ELi8EfPKPKfPKPfEviiiT2_ilT3_illli,@function
_ZL24rocblas_copy_matrix_trsmILi128ELi8EfPKPKfPKPfEviiiT2_ilT3_illli: ; @_ZL24rocblas_copy_matrix_trsmILi128ELi8EfPKPKfPKPfEviiiT2_ilT3_illli
; %bb.0:
	s_load_b64 s[2:3], s[0:1], 0x0
	v_dual_mov_b32 v3, 0 :: v_dual_and_b32 v2, 0x3ff, v0
	v_bfe_u32 v0, v0, 10, 10
	s_mov_b32 s5, 0
	s_delay_alu instid0(VALU_DEP_2) | instskip(NEXT) | instid1(VALU_DEP_3)
	v_mov_b32_e32 v1, v3
	v_lshl_add_u32 v2, s13, 7, v2
	s_delay_alu instid0(VALU_DEP_3) | instskip(SKIP_4) | instid1(SALU_CYCLE_1)
	v_lshl_add_u32 v0, s14, 3, v0
	s_waitcnt lgkmcnt(0)
	s_ashr_i32 s7, s3, 31
	s_mov_b32 s6, s3
	s_ashr_i32 s3, s2, 31
	v_cmp_gt_u64_e32 vcc_lo, s[2:3], v[2:3]
	v_cmp_gt_u64_e64 s2, s[6:7], v[0:1]
	s_delay_alu instid0(VALU_DEP_1) | instskip(NEXT) | instid1(SALU_CYCLE_1)
	s_and_b32 s2, vcc_lo, s2
	s_and_saveexec_b32 s3, s2
	s_cbranch_execz .LBB65_3
; %bb.1:
	s_mov_b32 s4, s15
	s_clause 0x5
	s_load_b32 s14, s[0:1], 0x30
	s_load_b32 s16, s[0:1], 0x18
	s_load_b64 s[2:3], s[0:1], 0x10
	s_load_b64 s[12:13], s[0:1], 0x28
	s_load_b32 s15, s[0:1], 0x5c
	s_load_b128 s[8:11], s[0:1], 0x40
	s_lshl_b64 s[0:1], s[4:5], 3
	v_lshlrev_b64 v[2:3], 2, v[2:3]
	s_waitcnt lgkmcnt(0)
	v_mad_u64_u32 v[4:5], null, s14, v0, 0
	v_mad_u64_u32 v[6:7], null, s16, v0, 0
	s_ashr_i32 s17, s14, 31
	s_ashr_i32 s4, s16, 31
	s_add_u32 s2, s2, s0
	s_addc_u32 s3, s3, s1
	s_add_u32 s12, s12, s0
	s_addc_u32 s13, s13, s1
	s_delay_alu instid0(VALU_DEP_1)
	v_mad_u64_u32 v[8:9], null, s17, v0, v[5:6]
	s_load_b64 s[12:13], s[12:13], 0x0
	s_load_b64 s[2:3], s[2:3], 0x0
	s_lshl_b64 s[10:11], s[10:11], 2
	s_lshl_b64 s[8:9], s[8:9], 2
	s_lshl_b32 s1, s15, 3
	s_delay_alu instid0(VALU_DEP_1)
	v_mad_u64_u32 v[9:10], null, s4, v0, v[7:8]
	v_mov_b32_e32 v5, v8
	s_mul_i32 s17, s17, s1
	s_mul_hi_u32 s0, s14, s1
	s_mul_i32 s4, s4, s1
	s_mul_hi_u32 s18, s16, s1
	v_lshlrev_b64 v[4:5], 2, v[4:5]
	s_delay_alu instid0(VALU_DEP_3) | instskip(SKIP_2) | instid1(VALU_DEP_1)
	v_mov_b32_e32 v7, v9
	s_mul_i32 s14, s14, s1
	s_add_i32 s15, s0, s17
	v_lshlrev_b64 v[6:7], 2, v[6:7]
	s_delay_alu instid0(VALU_DEP_3) | instskip(SKIP_1) | instid1(VALU_DEP_3)
	v_add_co_u32 v4, vcc_lo, v4, s10
	v_add_co_ci_u32_e32 v5, vcc_lo, s11, v5, vcc_lo
	v_add_co_u32 v6, vcc_lo, v6, s8
	s_delay_alu instid0(VALU_DEP_4) | instskip(NEXT) | instid1(VALU_DEP_4)
	v_add_co_ci_u32_e32 v7, vcc_lo, s9, v7, vcc_lo
	v_add_co_u32 v4, vcc_lo, v4, v2
	s_delay_alu instid0(VALU_DEP_4) | instskip(NEXT) | instid1(VALU_DEP_4)
	v_add_co_ci_u32_e32 v5, vcc_lo, v5, v3, vcc_lo
	v_add_co_u32 v6, vcc_lo, v6, v2
	s_delay_alu instid0(VALU_DEP_4)
	v_add_co_ci_u32_e32 v7, vcc_lo, v7, v3, vcc_lo
	s_waitcnt lgkmcnt(0)
	v_add_co_u32 v2, vcc_lo, s12, v4
	v_add_co_ci_u32_e32 v3, vcc_lo, s13, v5, vcc_lo
	v_add_co_u32 v4, vcc_lo, s2, v6
	v_add_co_ci_u32_e32 v5, vcc_lo, s3, v7, vcc_lo
	s_add_i32 s9, s18, s4
	s_mul_i32 s8, s16, s1
	s_lshl_b64 s[2:3], s[14:15], 2
	s_lshl_b64 s[8:9], s[8:9], 2
	.p2align	6
.LBB65_2:                               ; =>This Inner Loop Header: Depth=1
	global_load_b32 v6, v[4:5], off
	v_add_co_u32 v0, vcc_lo, v0, s1
	v_add_co_ci_u32_e32 v1, vcc_lo, 0, v1, vcc_lo
	v_add_co_u32 v4, vcc_lo, v4, s8
	v_add_co_ci_u32_e32 v5, vcc_lo, s9, v5, vcc_lo
	s_delay_alu instid0(VALU_DEP_3) | instskip(SKIP_4) | instid1(VALU_DEP_1)
	v_cmp_le_u64_e32 vcc_lo, s[6:7], v[0:1]
	s_or_b32 s5, vcc_lo, s5
	s_waitcnt vmcnt(0)
	global_store_b32 v[2:3], v6, off
	v_add_co_u32 v2, s0, v2, s2
	v_add_co_ci_u32_e64 v3, s0, s3, v3, s0
	s_and_not1_b32 exec_lo, exec_lo, s5
	s_cbranch_execnz .LBB65_2
.LBB65_3:
	s_nop 0
	s_sendmsg sendmsg(MSG_DEALLOC_VGPRS)
	s_endpgm
	.section	.rodata,"a",@progbits
	.p2align	6, 0x0
	.amdhsa_kernel _ZL24rocblas_copy_matrix_trsmILi128ELi8EfPKPKfPKPfEviiiT2_ilT3_illli
		.amdhsa_group_segment_fixed_size 0
		.amdhsa_private_segment_fixed_size 0
		.amdhsa_kernarg_size 344
		.amdhsa_user_sgpr_count 13
		.amdhsa_user_sgpr_dispatch_ptr 0
		.amdhsa_user_sgpr_queue_ptr 0
		.amdhsa_user_sgpr_kernarg_segment_ptr 1
		.amdhsa_user_sgpr_dispatch_id 0
		.amdhsa_user_sgpr_private_segment_size 0
		.amdhsa_wavefront_size32 1
		.amdhsa_uses_dynamic_stack 0
		.amdhsa_enable_private_segment 0
		.amdhsa_system_sgpr_workgroup_id_x 1
		.amdhsa_system_sgpr_workgroup_id_y 1
		.amdhsa_system_sgpr_workgroup_id_z 1
		.amdhsa_system_sgpr_workgroup_info 0
		.amdhsa_system_vgpr_workitem_id 1
		.amdhsa_next_free_vgpr 11
		.amdhsa_next_free_sgpr 19
		.amdhsa_reserve_vcc 1
		.amdhsa_float_round_mode_32 0
		.amdhsa_float_round_mode_16_64 0
		.amdhsa_float_denorm_mode_32 3
		.amdhsa_float_denorm_mode_16_64 3
		.amdhsa_dx10_clamp 1
		.amdhsa_ieee_mode 1
		.amdhsa_fp16_overflow 0
		.amdhsa_workgroup_processor_mode 1
		.amdhsa_memory_ordered 1
		.amdhsa_forward_progress 0
		.amdhsa_shared_vgpr_count 0
		.amdhsa_exception_fp_ieee_invalid_op 0
		.amdhsa_exception_fp_denorm_src 0
		.amdhsa_exception_fp_ieee_div_zero 0
		.amdhsa_exception_fp_ieee_overflow 0
		.amdhsa_exception_fp_ieee_underflow 0
		.amdhsa_exception_fp_ieee_inexact 0
		.amdhsa_exception_int_div_zero 0
	.end_amdhsa_kernel
	.section	.text._ZL24rocblas_copy_matrix_trsmILi128ELi8EfPKPKfPKPfEviiiT2_ilT3_illli,"axG",@progbits,_ZL24rocblas_copy_matrix_trsmILi128ELi8EfPKPKfPKPfEviiiT2_ilT3_illli,comdat
.Lfunc_end65:
	.size	_ZL24rocblas_copy_matrix_trsmILi128ELi8EfPKPKfPKPfEviiiT2_ilT3_illli, .Lfunc_end65-_ZL24rocblas_copy_matrix_trsmILi128ELi8EfPKPKfPKPfEviiiT2_ilT3_illli
                                        ; -- End function
	.section	.AMDGPU.csdata,"",@progbits
; Kernel info:
; codeLenInByte = 520
; NumSgprs: 21
; NumVgprs: 11
; ScratchSize: 0
; MemoryBound: 0
; FloatMode: 240
; IeeeMode: 1
; LDSByteSize: 0 bytes/workgroup (compile time only)
; SGPRBlocks: 2
; VGPRBlocks: 1
; NumSGPRsForWavesPerEU: 21
; NumVGPRsForWavesPerEU: 11
; Occupancy: 16
; WaveLimiterHint : 0
; COMPUTE_PGM_RSRC2:SCRATCH_EN: 0
; COMPUTE_PGM_RSRC2:USER_SGPR: 13
; COMPUTE_PGM_RSRC2:TRAP_HANDLER: 0
; COMPUTE_PGM_RSRC2:TGID_X_EN: 1
; COMPUTE_PGM_RSRC2:TGID_Y_EN: 1
; COMPUTE_PGM_RSRC2:TGID_Z_EN: 1
; COMPUTE_PGM_RSRC2:TIDIG_COMP_CNT: 1
	.section	.text._ZL23rocblas_set_matrix_trsmILi128ELi8EdPKPdEvlliT2_llT1_li,"axG",@progbits,_ZL23rocblas_set_matrix_trsmILi128ELi8EdPKPdEvlliT2_llT1_li,comdat
	.globl	_ZL23rocblas_set_matrix_trsmILi128ELi8EdPKPdEvlliT2_llT1_li ; -- Begin function _ZL23rocblas_set_matrix_trsmILi128ELi8EdPKPdEvlliT2_llT1_li
	.p2align	8
	.type	_ZL23rocblas_set_matrix_trsmILi128ELi8EdPKPdEvlliT2_llT1_li,@function
_ZL23rocblas_set_matrix_trsmILi128ELi8EdPKPdEvlliT2_llT1_li: ; @_ZL23rocblas_set_matrix_trsmILi128ELi8EdPKPdEvlliT2_llT1_li
; %bb.0:
	s_load_b128 s[8:11], s[0:1], 0x0
	v_dual_mov_b32 v1, 0 :: v_dual_and_b32 v2, 0x3ff, v0
	v_bfe_u32 v4, v0, 10, 10
	s_mov_b32 s5, 0
	s_delay_alu instid0(VALU_DEP_2) | instskip(NEXT) | instid1(VALU_DEP_3)
	v_mov_b32_e32 v3, v1
	v_lshl_add_u32 v0, s13, 7, v2
	s_delay_alu instid0(VALU_DEP_3) | instskip(SKIP_1) | instid1(VALU_DEP_2)
	v_lshl_add_u32 v2, s14, 3, v4
	s_waitcnt lgkmcnt(0)
	v_cmp_gt_u64_e32 vcc_lo, s[8:9], v[0:1]
	s_delay_alu instid0(VALU_DEP_2) | instskip(NEXT) | instid1(VALU_DEP_1)
	v_cmp_gt_u64_e64 s2, s[10:11], v[2:3]
	s_and_b32 s2, vcc_lo, s2
	s_delay_alu instid0(SALU_CYCLE_1)
	s_and_saveexec_b32 s3, s2
	s_cbranch_execz .LBB66_2
; %bb.1:
	s_clause 0x1
	s_load_b128 s[8:11], s[0:1], 0x18
	s_load_b64 s[0:1], s[0:1], 0x38
	s_mov_b32 s4, s15
	s_delay_alu instid0(SALU_CYCLE_1)
	s_lshl_b64 s[2:3], s[4:5], 3
	s_waitcnt lgkmcnt(0)
	v_mad_u64_u32 v[3:4], null, v2, s10, 0
	s_add_u32 s2, s8, s2
	s_addc_u32 s3, s9, s3
	s_lshl_b64 s[0:1], s[0:1], 3
	s_load_b64 s[2:3], s[2:3], 0x0
	s_delay_alu instid0(VALU_DEP_1) | instskip(NEXT) | instid1(VALU_DEP_1)
	v_mad_u64_u32 v[5:6], null, v2, s11, v[4:5]
	v_mov_b32_e32 v4, v5
	s_delay_alu instid0(VALU_DEP_1) | instskip(SKIP_4) | instid1(VALU_DEP_2)
	v_lshlrev_b64 v[2:3], 3, v[3:4]
	v_lshlrev_b64 v[4:5], 3, v[0:1]
	s_waitcnt lgkmcnt(0)
	s_add_u32 s0, s2, s0
	s_addc_u32 s1, s3, s1
	v_add_co_u32 v0, vcc_lo, s0, v2
	v_add_co_ci_u32_e32 v3, vcc_lo, s1, v3, vcc_lo
	s_delay_alu instid0(VALU_DEP_2) | instskip(NEXT) | instid1(VALU_DEP_2)
	v_add_co_u32 v2, vcc_lo, v0, v4
	v_add_co_ci_u32_e32 v3, vcc_lo, v3, v5, vcc_lo
	v_mov_b32_e32 v0, v1
	global_store_b64 v[2:3], v[0:1], off
.LBB66_2:
	s_nop 0
	s_sendmsg sendmsg(MSG_DEALLOC_VGPRS)
	s_endpgm
	.section	.rodata,"a",@progbits
	.p2align	6, 0x0
	.amdhsa_kernel _ZL23rocblas_set_matrix_trsmILi128ELi8EdPKPdEvlliT2_llT1_li
		.amdhsa_group_segment_fixed_size 0
		.amdhsa_private_segment_fixed_size 0
		.amdhsa_kernarg_size 68
		.amdhsa_user_sgpr_count 13
		.amdhsa_user_sgpr_dispatch_ptr 0
		.amdhsa_user_sgpr_queue_ptr 0
		.amdhsa_user_sgpr_kernarg_segment_ptr 1
		.amdhsa_user_sgpr_dispatch_id 0
		.amdhsa_user_sgpr_private_segment_size 0
		.amdhsa_wavefront_size32 1
		.amdhsa_uses_dynamic_stack 0
		.amdhsa_enable_private_segment 0
		.amdhsa_system_sgpr_workgroup_id_x 1
		.amdhsa_system_sgpr_workgroup_id_y 1
		.amdhsa_system_sgpr_workgroup_id_z 1
		.amdhsa_system_sgpr_workgroup_info 0
		.amdhsa_system_vgpr_workitem_id 1
		.amdhsa_next_free_vgpr 7
		.amdhsa_next_free_sgpr 16
		.amdhsa_reserve_vcc 1
		.amdhsa_float_round_mode_32 0
		.amdhsa_float_round_mode_16_64 0
		.amdhsa_float_denorm_mode_32 3
		.amdhsa_float_denorm_mode_16_64 3
		.amdhsa_dx10_clamp 1
		.amdhsa_ieee_mode 1
		.amdhsa_fp16_overflow 0
		.amdhsa_workgroup_processor_mode 1
		.amdhsa_memory_ordered 1
		.amdhsa_forward_progress 0
		.amdhsa_shared_vgpr_count 0
		.amdhsa_exception_fp_ieee_invalid_op 0
		.amdhsa_exception_fp_denorm_src 0
		.amdhsa_exception_fp_ieee_div_zero 0
		.amdhsa_exception_fp_ieee_overflow 0
		.amdhsa_exception_fp_ieee_underflow 0
		.amdhsa_exception_fp_ieee_inexact 0
		.amdhsa_exception_int_div_zero 0
	.end_amdhsa_kernel
	.section	.text._ZL23rocblas_set_matrix_trsmILi128ELi8EdPKPdEvlliT2_llT1_li,"axG",@progbits,_ZL23rocblas_set_matrix_trsmILi128ELi8EdPKPdEvlliT2_llT1_li,comdat
.Lfunc_end66:
	.size	_ZL23rocblas_set_matrix_trsmILi128ELi8EdPKPdEvlliT2_llT1_li, .Lfunc_end66-_ZL23rocblas_set_matrix_trsmILi128ELi8EdPKPdEvlliT2_llT1_li
                                        ; -- End function
	.section	.AMDGPU.csdata,"",@progbits
; Kernel info:
; codeLenInByte = 260
; NumSgprs: 18
; NumVgprs: 7
; ScratchSize: 0
; MemoryBound: 0
; FloatMode: 240
; IeeeMode: 1
; LDSByteSize: 0 bytes/workgroup (compile time only)
; SGPRBlocks: 2
; VGPRBlocks: 0
; NumSGPRsForWavesPerEU: 18
; NumVGPRsForWavesPerEU: 7
; Occupancy: 16
; WaveLimiterHint : 1
; COMPUTE_PGM_RSRC2:SCRATCH_EN: 0
; COMPUTE_PGM_RSRC2:USER_SGPR: 13
; COMPUTE_PGM_RSRC2:TRAP_HANDLER: 0
; COMPUTE_PGM_RSRC2:TGID_X_EN: 1
; COMPUTE_PGM_RSRC2:TGID_Y_EN: 1
; COMPUTE_PGM_RSRC2:TGID_Z_EN: 1
; COMPUTE_PGM_RSRC2:TIDIG_COMP_CNT: 1
	.section	.text._ZL38rocblas_trsm_small_left_device_sharedBILi4ELi4ELb0EddPKPKdPKPdEv13rocblas_fill_18rocblas_operation_17rocblas_diagonal_iiT3_T4_lilT5_lili,"axG",@progbits,_ZL38rocblas_trsm_small_left_device_sharedBILi4ELi4ELb0EddPKPKdPKPdEv13rocblas_fill_18rocblas_operation_17rocblas_diagonal_iiT3_T4_lilT5_lili,comdat
	.globl	_ZL38rocblas_trsm_small_left_device_sharedBILi4ELi4ELb0EddPKPKdPKPdEv13rocblas_fill_18rocblas_operation_17rocblas_diagonal_iiT3_T4_lilT5_lili ; -- Begin function _ZL38rocblas_trsm_small_left_device_sharedBILi4ELi4ELb0EddPKPKdPKPdEv13rocblas_fill_18rocblas_operation_17rocblas_diagonal_iiT3_T4_lilT5_lili
	.p2align	8
	.type	_ZL38rocblas_trsm_small_left_device_sharedBILi4ELi4ELb0EddPKPKdPKPdEv13rocblas_fill_18rocblas_operation_17rocblas_diagonal_iiT3_T4_lilT5_lili,@function
_ZL38rocblas_trsm_small_left_device_sharedBILi4ELi4ELb0EddPKPKdPKPdEv13rocblas_fill_18rocblas_operation_17rocblas_diagonal_iiT3_T4_lilT5_lili: ; @_ZL38rocblas_trsm_small_left_device_sharedBILi4ELi4ELb0EddPKPKdPKPdEv13rocblas_fill_18rocblas_operation_17rocblas_diagonal_iiT3_T4_lilT5_lili
; %bb.0:
	s_load_b128 s[16:19], s[0:1], 0x40
	s_mov_b32 s12, s15
	s_mov_b32 s13, 0
	s_clause 0x1
	s_load_b128 s[4:7], s[0:1], 0x4
	s_load_b64 s[20:21], s[0:1], 0x28
	s_lshl_b64 s[22:23], s[12:13], 3
	s_mov_b32 s28, exec_lo
	s_waitcnt lgkmcnt(0)
	s_add_u32 s2, s16, s22
	s_addc_u32 s3, s17, s23
	s_load_b128 s[8:11], s[0:1], 0x18
	s_load_b64 s[2:3], s[2:3], 0x0
	s_min_i32 s12, s6, 4
	s_delay_alu instid0(SALU_CYCLE_1)
	s_add_i32 s15, s12, -1
	v_cmpx_gt_i32_e64 s12, v0
	s_cbranch_execz .LBB67_10
; %bb.1:
	s_load_b32 s16, s[0:1], 0x30
	s_waitcnt lgkmcnt(0)
	s_ashr_i32 s17, s16, 31
	s_add_u32 s10, s10, s22
	s_addc_u32 s11, s11, s23
	s_cmp_lt_u32 s15, 3
	s_load_b64 s[10:11], s[10:11], 0x0
	s_cbranch_scc1 .LBB67_4
; %bb.2:
	v_lshlrev_b32_e32 v3, 3, v0
	s_lshl_b64 s[22:23], s[20:21], 3
	s_mul_hi_i32 s29, s16, 24
	s_waitcnt lgkmcnt(0)
	s_add_u32 s13, s10, s22
	s_addc_u32 s22, s11, s23
	v_add_co_u32 v1, s13, s13, v3
	s_delay_alu instid0(VALU_DEP_1)
	v_add_co_ci_u32_e64 v2, null, s22, 0, s13
	s_and_b32 s13, s12, -4
	s_mul_i32 s30, s16, 24
	s_lshl_b64 s[22:23], s[16:17], 5
	s_lshl_b64 s[24:25], s[16:17], 4
	;; [unrolled: 1-line block ×3, first 2 shown]
	s_mov_b32 s31, 0
	.p2align	6
.LBB67_3:                               ; =>This Inner Loop Header: Depth=1
	v_add_co_u32 v4, vcc_lo, v1, s26
	v_add_co_ci_u32_e32 v5, vcc_lo, s27, v2, vcc_lo
	v_add_co_u32 v6, vcc_lo, v1, s24
	v_add_co_ci_u32_e32 v7, vcc_lo, s25, v2, vcc_lo
	;; [unrolled: 2-line block ×3, first 2 shown]
	s_clause 0x3
	global_load_b64 v[10:11], v[1:2], off
	global_load_b64 v[4:5], v[4:5], off
	;; [unrolled: 1-line block ×4, first 2 shown]
	v_add_co_u32 v1, vcc_lo, v1, s22
	v_add_co_ci_u32_e32 v2, vcc_lo, s23, v2, vcc_lo
	s_add_i32 s31, s31, 4
	s_waitcnt vmcnt(2)
	ds_store_2addr_b64 v3, v[10:11], v[4:5] offset1:4
	s_waitcnt vmcnt(0)
	ds_store_2addr_b64 v3, v[6:7], v[8:9] offset0:8 offset1:12
	v_add_nc_u32_e32 v3, 0x80, v3
	s_cmp_eq_u32 s13, s31
	s_cbranch_scc0 .LBB67_3
.LBB67_4:
	s_and_b32 s22, s12, 3
	s_delay_alu instid0(SALU_CYCLE_1)
	s_cmp_eq_u32 s22, 0
	s_cbranch_scc1 .LBB67_7
; %bb.5:
	s_mul_i32 s23, s17, s13
	s_mul_hi_u32 s24, s16, s13
	v_lshlrev_b32_e32 v1, 3, v0
	s_add_i32 s25, s24, s23
	s_mul_i32 s24, s16, s13
	s_lshl_b64 s[20:21], s[20:21], 3
	s_lshl_b64 s[24:25], s[24:25], 3
	v_lshl_or_b32 v3, s13, 5, v1
	s_add_u32 s13, s24, s20
	s_addc_u32 s20, s25, s21
	s_waitcnt lgkmcnt(0)
	s_add_u32 s10, s10, s13
	s_addc_u32 s11, s11, s20
	v_add_co_u32 v1, s10, s10, v1
	s_delay_alu instid0(VALU_DEP_1)
	v_add_co_ci_u32_e64 v2, null, s11, 0, s10
	s_lshl_b64 s[10:11], s[16:17], 3
.LBB67_6:                               ; =>This Inner Loop Header: Depth=1
	global_load_b64 v[4:5], v[1:2], off
	v_add_co_u32 v1, vcc_lo, v1, s10
	v_add_co_ci_u32_e32 v2, vcc_lo, s11, v2, vcc_lo
	s_add_i32 s22, s22, -1
	s_delay_alu instid0(SALU_CYCLE_1)
	s_cmp_lg_u32 s22, 0
	s_waitcnt vmcnt(0)
	ds_store_b64 v3, v[4:5]
	v_add_nc_u32_e32 v3, 32, v3
	s_cbranch_scc1 .LBB67_6
.LBB67_7:
	v_mul_u32_u24_e32 v3, 5, v0
	v_mov_b32_e32 v1, 0
	v_mov_b32_e32 v2, 0x3ff00000
	s_cmpk_lg_i32 s5, 0x84
	s_delay_alu instid0(VALU_DEP_3)
	v_lshlrev_b32_e32 v3, 3, v3
	s_cbranch_scc0 .LBB67_9
; %bb.8:
	ds_load_b64 v[1:2], v3
	s_waitcnt lgkmcnt(0)
	v_div_scale_f64 v[4:5], null, v[1:2], v[1:2], 1.0
	s_delay_alu instid0(VALU_DEP_1) | instskip(SKIP_2) | instid1(VALU_DEP_1)
	v_rcp_f64_e32 v[6:7], v[4:5]
	s_waitcnt_depctr 0xfff
	v_fma_f64 v[8:9], -v[4:5], v[6:7], 1.0
	v_fma_f64 v[6:7], v[6:7], v[8:9], v[6:7]
	s_delay_alu instid0(VALU_DEP_1) | instskip(NEXT) | instid1(VALU_DEP_1)
	v_fma_f64 v[8:9], -v[4:5], v[6:7], 1.0
	v_fma_f64 v[6:7], v[6:7], v[8:9], v[6:7]
	v_div_scale_f64 v[8:9], vcc_lo, 1.0, v[1:2], 1.0
	s_delay_alu instid0(VALU_DEP_1) | instskip(NEXT) | instid1(VALU_DEP_1)
	v_mul_f64 v[10:11], v[8:9], v[6:7]
	v_fma_f64 v[4:5], -v[4:5], v[10:11], v[8:9]
	s_delay_alu instid0(VALU_DEP_1) | instskip(NEXT) | instid1(VALU_DEP_1)
	v_div_fmas_f64 v[4:5], v[4:5], v[6:7], v[10:11]
	v_div_fixup_f64 v[1:2], v[4:5], v[1:2], 1.0
.LBB67_9:
	ds_store_b64 v3, v[1:2]
.LBB67_10:
	s_or_b32 exec_lo, exec_lo, s28
	s_clause 0x1
	s_load_b32 s5, s[0:1], 0x68
	s_load_b32 s0, s[0:1], 0x50
	s_waitcnt lgkmcnt(0)
	s_lshl_b64 s[10:11], s[18:19], 3
	v_lshl_or_b32 v5, v0, 3, 0x80
	s_add_u32 s1, s2, s10
	s_addc_u32 s10, s3, s11
	s_lshl_b32 s2, s14, 2
	s_delay_alu instid0(SALU_CYCLE_1)
	s_sub_i32 s7, s7, s2
	s_add_i32 s5, s5, -1
	s_mul_hi_i32 s3, s0, s2
	s_cmp_ge_u32 s14, s5
	s_mul_i32 s2, s0, s2
	s_cselect_b32 s5, s7, 4
	s_lshl_b64 s[2:3], s[2:3], 3
	v_cmp_gt_i32_e32 vcc_lo, s5, v0
	s_add_u32 s1, s1, s2
	s_addc_u32 s2, s10, s3
	s_cmp_gt_i32 s6, 0
	s_cselect_b32 s3, -1, 0
	s_delay_alu instid0(SALU_CYCLE_1) | instskip(NEXT) | instid1(SALU_CYCLE_1)
	s_and_b32 s3, vcc_lo, s3
	s_and_saveexec_b32 s5, s3
	s_cbranch_execz .LBB67_13
; %bb.11:
	v_mad_i64_i32 v[1:2], null, s0, v0, 0
	v_lshl_or_b32 v3, v0, 3, 0x80
	s_mov_b32 s7, s12
	s_delay_alu instid0(VALU_DEP_2) | instskip(NEXT) | instid1(VALU_DEP_1)
	v_lshlrev_b64 v[1:2], 3, v[1:2]
	v_add_co_u32 v1, vcc_lo, s1, v1
	s_delay_alu instid0(VALU_DEP_2)
	v_add_co_ci_u32_e32 v2, vcc_lo, s2, v2, vcc_lo
.LBB67_12:                              ; =>This Inner Loop Header: Depth=1
	global_load_b64 v[6:7], v[1:2], off
	v_add_co_u32 v1, vcc_lo, v1, 8
	v_add_co_ci_u32_e32 v2, vcc_lo, 0, v2, vcc_lo
	s_add_i32 s7, s7, -1
	s_delay_alu instid0(SALU_CYCLE_1)
	s_cmp_lg_u32 s7, 0
	s_waitcnt vmcnt(0)
	v_mul_f64 v[6:7], v[6:7], s[8:9]
	ds_store_b64 v3, v[6:7]
	v_add_nc_u32_e32 v3, 32, v3
	s_cbranch_scc1 .LBB67_12
.LBB67_13:
	s_or_b32 exec_lo, exec_lo, s5
	s_cmpk_eq_i32 s4, 0x6f
	s_mov_b32 s4, -1
	s_waitcnt vmcnt(0) lgkmcnt(0)
	s_waitcnt_vscnt null, 0x0
	; wave barrier
	s_waitcnt lgkmcnt(0)
	buffer_gl0_inv
	s_cbranch_scc1 .LBB67_23
; %bb.14:
	s_cmp_gt_i32 s6, 3
	s_cbranch_scc0 .LBB67_16
; %bb.15:
	v_lshlrev_b32_e32 v22, 3, v0
	v_mov_b32_e32 v18, 0
	s_mov_b32 s4, 4
	ds_load_2addr_b64 v[1:4], v22 offset0:16 offset1:20
	ds_load_2addr_b64 v[6:9], v18 offset1:10
	ds_load_b128 v[10:13], v18 offset:32
	ds_load_b128 v[14:17], v18 offset:64
	s_waitcnt lgkmcnt(2)
	v_mul_f64 v[6:7], v[1:2], v[6:7]
	s_waitcnt lgkmcnt(1)
	s_delay_alu instid0(VALU_DEP_1)
	v_fma_f64 v[10:11], -v[6:7], v[10:11], v[3:4]
	ds_load_2addr_b64 v[1:4], v22 offset0:24 offset1:28
	s_waitcnt lgkmcnt(0)
	v_fma_f64 v[1:2], -v[6:7], v[14:15], v[1:2]
	v_mul_f64 v[14:15], v[10:11], v[12:13]
	ds_load_b128 v[10:13], v18 offset:96
	ds_load_b128 v[18:21], v18 offset:112
	s_waitcnt lgkmcnt(1)
	v_fma_f64 v[3:4], -v[6:7], v[10:11], v[3:4]
	v_fma_f64 v[1:2], -v[14:15], v[16:17], v[1:2]
	ds_store_2addr_b64 v22, v[6:7], v[14:15] offset0:16 offset1:20
	v_fma_f64 v[3:4], -v[14:15], v[12:13], v[3:4]
	v_mul_f64 v[1:2], v[1:2], v[8:9]
	s_waitcnt lgkmcnt(1)
	s_delay_alu instid0(VALU_DEP_1) | instskip(NEXT) | instid1(VALU_DEP_1)
	v_fma_f64 v[3:4], -v[1:2], v[18:19], v[3:4]
	v_mul_f64 v[3:4], v[3:4], v[20:21]
	ds_store_2addr_b64 v22, v[1:2], v[3:4] offset0:24 offset1:28
	s_cmp_ge_i32 s4, s12
	s_cbranch_scc0 .LBB67_17
	s_branch .LBB67_22
.LBB67_16:
	s_mov_b32 s4, 0
	s_delay_alu instid0(SALU_CYCLE_1)
	s_cmp_ge_i32 s4, s12
	s_cbranch_scc1 .LBB67_22
.LBB67_17:
	v_lshl_or_b32 v3, v0, 3, 0x80
	v_lshlrev_b32_e32 v4, 3, v0
	s_lshl_b32 s5, s4, 5
	s_set_inst_prefetch_distance 0x1
	s_branch .LBB67_19
	.p2align	6
.LBB67_18:                              ;   in Loop: Header=BB67_19 Depth=1
	s_mul_i32 s7, s4, 40
	s_delay_alu instid0(SALU_CYCLE_1)
	v_dual_mov_b32 v7, s7 :: v_dual_add_nc_u32 v6, 0x80, v6
	s_add_i32 s4, s4, 1
	s_add_i32 s5, s5, 32
	s_cmp_ge_i32 s4, s12
	ds_load_b64 v[7:8], v7
	s_waitcnt lgkmcnt(0)
	v_mul_f64 v[1:2], v[1:2], v[7:8]
	ds_store_b64 v6, v[1:2]
	s_cbranch_scc1 .LBB67_22
.LBB67_19:                              ; =>This Loop Header: Depth=1
                                        ;     Child Loop BB67_21 Depth 2
	s_delay_alu instid0(VALU_DEP_1)
	v_lshl_or_b32 v6, s4, 5, v4
	s_cmp_eq_u32 s4, 0
	ds_load_b64 v[1:2], v6 offset:128
	s_cbranch_scc1 .LBB67_18
; %bb.20:                               ;   in Loop: Header=BB67_19 Depth=1
	v_mov_b32_e32 v7, v3
	s_mov_b32 s7, 0
	s_mov_b32 s8, s5
.LBB67_21:                              ;   Parent Loop BB67_19 Depth=1
                                        ; =>  This Inner Loop Header: Depth=2
	s_delay_alu instid0(SALU_CYCLE_1)
	v_mov_b32_e32 v10, s8
	s_add_i32 s7, s7, 1
	s_add_i32 s8, s8, 8
	s_cmp_lt_u32 s7, s4
	ds_load_b64 v[8:9], v7
	ds_load_b64 v[10:11], v10
	v_add_nc_u32_e32 v7, 32, v7
	s_waitcnt lgkmcnt(0)
	v_fma_f64 v[1:2], -v[8:9], v[10:11], v[1:2]
	s_cbranch_scc1 .LBB67_21
	s_branch .LBB67_18
.LBB67_22:
	s_set_inst_prefetch_distance 0x2
	s_mov_b32 s4, 0
.LBB67_23:
	s_delay_alu instid0(SALU_CYCLE_1)
	s_and_b32 vcc_lo, exec_lo, s4
	s_cbranch_vccz .LBB67_39
; %bb.24:
	v_lshlrev_b32_e32 v6, 3, v0
	s_cmp_gt_i32 s6, 3
	s_cbranch_scc0 .LBB67_26
; %bb.25:
	s_lshl_b32 s4, s15, 2
	s_add_i32 s5, s12, -2
	v_or_b32_e32 v1, s4, v0
	s_add_i32 s6, s5, s4
	s_mul_i32 s7, s15, 40
	s_lshl_b32 s6, s6, 3
	s_sub_i32 s10, s7, 40
	s_delay_alu instid0(SALU_CYCLE_1) | instskip(SKIP_2) | instid1(SALU_CYCLE_1)
	v_dual_mov_b32 v12, s10 :: v_dual_lshlrev_b32 v21, 3, v1
	v_mov_b32_e32 v1, s6
	s_lshl_b32 s6, s12, 2
	s_add_i32 s8, s6, -8
	s_add_i32 s9, s6, -12
	v_or_b32_e32 v9, s8, v0
	s_add_i32 s6, s6, -16
	v_or_b32_e32 v10, s9, v0
	v_or_b32_e32 v11, s6, v0
	s_add_i32 s6, s12, -4
	v_lshlrev_b32_e32 v22, 3, v9
	ds_load_b64 v[7:8], v21 offset:128
	ds_load_2addr_b64 v[1:4], v1 offset1:1
	v_lshlrev_b32_e32 v23, 3, v10
	v_lshlrev_b32_e32 v15, 3, v11
	ds_load_b64 v[11:12], v12
	ds_load_b64 v[9:10], v22 offset:128
	ds_load_b64 v[13:14], v23 offset:128
	;; [unrolled: 1-line block ×3, first 2 shown]
	s_add_i32 s4, s6, s4
	s_delay_alu instid0(SALU_CYCLE_1) | instskip(SKIP_3) | instid1(VALU_DEP_1)
	s_lshl_b32 s4, s4, 3
	s_waitcnt lgkmcnt(4)
	v_mul_f64 v[17:18], v[7:8], v[3:4]
	s_waitcnt lgkmcnt(2)
	v_fma_f64 v[19:20], -v[17:18], v[1:2], v[9:10]
	v_mov_b32_e32 v1, s4
	s_lshl_b32 s4, s5, 2
	s_add_i32 s5, s12, -5
	s_add_i32 s4, s6, s4
	ds_load_2addr_b64 v[1:4], v1 offset1:1
	s_lshl_b32 s4, s4, 3
	s_delay_alu instid0(SALU_CYCLE_1) | instskip(SKIP_1) | instid1(SALU_CYCLE_1)
	v_mov_b32_e32 v7, s4
	s_add_i32 s4, s6, s9
	s_lshl_b32 s4, s4, 3
	ds_load_2addr_b64 v[7:10], v7 offset1:1
	s_waitcnt lgkmcnt(1)
	v_fma_f64 v[3:4], -v[17:18], v[3:4], v[13:14]
	v_fma_f64 v[13:14], -v[17:18], v[1:2], v[15:16]
	v_mov_b32_e32 v1, s4
	s_add_i32 s4, s7, 0xffffff88
	s_delay_alu instid0(SALU_CYCLE_1) | instskip(SKIP_3) | instid1(VALU_DEP_1)
	v_mov_b32_e32 v15, s4
	ds_load_b64 v[15:16], v15
	v_mul_f64 v[11:12], v[19:20], v[11:12]
	s_waitcnt lgkmcnt(1)
	v_fma_f64 v[9:10], -v[11:12], v[9:10], v[3:4]
	ds_load_2addr_b64 v[1:4], v1 offset1:1
	v_fma_f64 v[7:8], -v[11:12], v[7:8], v[13:14]
	s_waitcnt lgkmcnt(0)
	v_mul_f64 v[3:4], v[9:10], v[3:4]
	ds_store_b64 v21, v[17:18] offset:128
	ds_store_b64 v22, v[11:12] offset:128
	;; [unrolled: 1-line block ×3, first 2 shown]
	v_fma_f64 v[1:2], -v[3:4], v[1:2], v[7:8]
	v_lshl_or_b32 v7, s6, 5, v6
	s_delay_alu instid0(VALU_DEP_2)
	v_mul_f64 v[1:2], v[1:2], v[15:16]
	ds_store_b64 v7, v[1:2] offset:128
	s_cmp_lt_i32 s5, 0
	s_cbranch_scc0 .LBB67_27
	s_branch .LBB67_39
.LBB67_26:
	s_mov_b32 s5, s15
	s_delay_alu instid0(SALU_CYCLE_1)
	s_cmp_lt_i32 s5, 0
	s_cbranch_scc1 .LBB67_39
.LBB67_27:
	s_bitcmp1_b32 s5, 0
	s_cselect_b32 s4, -1, 0
	s_delay_alu instid0(SALU_CYCLE_1)
	s_and_b32 vcc_lo, exec_lo, s4
	s_mov_b32 s4, s5
	s_cbranch_vccnz .LBB67_32
; %bb.28:
	v_lshl_or_b32 v3, s5, 5, v6
	s_cmp_le_i32 s15, s5
	ds_load_b64 v[1:2], v3 offset:128
	s_cbranch_scc1 .LBB67_31
; %bb.29:
	s_lshl_b32 s4, s12, 5
	s_lshl_b32 s6, s5, 3
	v_lshl_or_b32 v4, v0, 3, s4
	s_add_i32 s4, s4, s6
	s_mov_b32 s6, s15
	s_sub_i32 s4, s4, 32
	s_delay_alu instid0(VALU_DEP_1)
	v_add_nc_u32_e32 v4, 0x60, v4
.LBB67_30:                              ; =>This Inner Loop Header: Depth=1
	v_mov_b32_e32 v9, s4
	s_add_i32 s6, s6, -1
	s_sub_i32 s4, s4, 32
	s_cmp_gt_i32 s6, s5
	ds_load_b64 v[7:8], v4
	ds_load_b64 v[9:10], v9
	v_subrev_nc_u32_e32 v4, 32, v4
	s_waitcnt lgkmcnt(0)
	v_fma_f64 v[1:2], -v[7:8], v[9:10], v[1:2]
	s_cbranch_scc1 .LBB67_30
.LBB67_31:
	s_mul_i32 s4, s5, 40
	s_delay_alu instid0(SALU_CYCLE_1)
	v_dual_mov_b32 v4, s4 :: v_dual_add_nc_u32 v3, 0x80, v3
	s_add_i32 s4, s5, -1
	ds_load_b64 v[7:8], v4
	s_waitcnt lgkmcnt(0)
	v_mul_f64 v[1:2], v[1:2], v[7:8]
	ds_store_b64 v3, v[1:2]
.LBB67_32:
	s_cmp_eq_u32 s5, 0
	s_cbranch_scc1 .LBB67_39
; %bb.33:
	s_lshl_b32 s5, s12, 5
	s_lshl_b32 s6, s4, 3
	v_lshl_or_b32 v1, v0, 3, s5
	s_add_i32 s6, s5, s6
	s_delay_alu instid0(SALU_CYCLE_1) | instskip(SKIP_1) | instid1(VALU_DEP_1)
	s_sub_i32 s5, s6, 32
	s_sub_i32 s6, s6, 40
	v_add_nc_u32_e32 v7, 0x60, v1
	s_branch .LBB67_35
.LBB67_34:                              ;   in Loop: Header=BB67_35 Depth=1
	s_sub_i32 s7, s7, 40
	s_delay_alu instid0(SALU_CYCLE_1)
	v_dual_mov_b32 v2, s7 :: v_dual_add_nc_u32 v1, 0x80, v8
	s_add_i32 s7, s4, -2
	s_add_i32 s5, s5, -16
	;; [unrolled: 1-line block ×3, first 2 shown]
	s_cmp_lt_i32 s4, 2
	ds_load_b64 v[8:9], v2
	s_mov_b32 s4, s7
	s_waitcnt lgkmcnt(0)
	v_mul_f64 v[2:3], v[3:4], v[8:9]
	ds_store_b64 v1, v[2:3]
	s_cbranch_scc1 .LBB67_39
.LBB67_35:                              ; =>This Loop Header: Depth=1
                                        ;     Child Loop BB67_36 Depth 2
                                        ;     Child Loop BB67_38 Depth 2
	v_lshl_or_b32 v3, s4, 5, v6
	s_delay_alu instid0(VALU_DEP_2)
	v_mov_b32_e32 v4, v7
	s_cmp_le_i32 s15, s4
	s_mov_b32 s7, s5
	s_mov_b32 s8, s15
	ds_load_b64 v[1:2], v3 offset:128
	s_cbranch_scc1 .LBB67_37
.LBB67_36:                              ;   Parent Loop BB67_35 Depth=1
                                        ; =>  This Inner Loop Header: Depth=2
	v_mov_b32_e32 v10, s7
	s_add_i32 s8, s8, -1
	s_sub_i32 s7, s7, 32
	s_cmp_gt_i32 s8, s4
	ds_load_b64 v[8:9], v4
	ds_load_b64 v[10:11], v10
	v_subrev_nc_u32_e32 v4, 32, v4
	s_waitcnt lgkmcnt(0)
	v_fma_f64 v[1:2], -v[8:9], v[10:11], v[1:2]
	s_cbranch_scc1 .LBB67_36
.LBB67_37:                              ;   in Loop: Header=BB67_35 Depth=1
	s_mul_i32 s7, s4, 40
	v_add_nc_u32_e32 v9, 0x80, v3
	v_mov_b32_e32 v3, s7
	s_lshl_b32 s8, s4, 5
	s_mov_b32 s9, s12
	s_sub_i32 s8, s8, 32
	s_cmp_lt_i32 s15, s4
	ds_load_b64 v[10:11], v3
	v_lshl_or_b32 v8, v0, 3, s8
	s_mov_b32 s8, s6
	ds_load_b64 v[3:4], v8 offset:128
	s_waitcnt lgkmcnt(1)
	v_mul_f64 v[10:11], v[1:2], v[10:11]
	v_mov_b32_e32 v1, v7
	ds_store_b64 v9, v[10:11]
	s_cbranch_scc1 .LBB67_34
.LBB67_38:                              ;   Parent Loop BB67_35 Depth=1
                                        ; =>  This Inner Loop Header: Depth=2
	v_mov_b32_e32 v2, s8
	s_add_i32 s9, s9, -1
	s_sub_i32 s8, s8, 32
	s_cmp_gt_i32 s9, s4
	ds_load_b64 v[9:10], v1
	ds_load_b64 v[11:12], v2
	v_subrev_nc_u32_e32 v1, 32, v1
	s_waitcnt lgkmcnt(0)
	v_fma_f64 v[3:4], -v[9:10], v[11:12], v[3:4]
	s_cbranch_scc1 .LBB67_38
	s_branch .LBB67_34
.LBB67_39:
	s_waitcnt vmcnt(0) lgkmcnt(0)
	s_waitcnt_vscnt null, 0x0
	; wave barrier
	s_waitcnt lgkmcnt(0)
	buffer_gl0_inv
	s_and_saveexec_b32 s4, s3
	s_cbranch_execz .LBB67_42
; %bb.40:
	v_mad_i64_i32 v[1:2], null, s0, v0, 0
	s_delay_alu instid0(VALU_DEP_1) | instskip(NEXT) | instid1(VALU_DEP_1)
	v_lshlrev_b64 v[0:1], 3, v[1:2]
	v_add_co_u32 v0, vcc_lo, s1, v0
	s_delay_alu instid0(VALU_DEP_2)
	v_add_co_ci_u32_e32 v1, vcc_lo, s2, v1, vcc_lo
.LBB67_41:                              ; =>This Inner Loop Header: Depth=1
	ds_load_b64 v[2:3], v5
	v_add_nc_u32_e32 v5, 32, v5
	s_add_i32 s12, s12, -1
	s_delay_alu instid0(SALU_CYCLE_1)
	s_cmp_lg_u32 s12, 0
	s_waitcnt lgkmcnt(0)
	global_store_b64 v[0:1], v[2:3], off
	v_add_co_u32 v0, vcc_lo, v0, 8
	v_add_co_ci_u32_e32 v1, vcc_lo, 0, v1, vcc_lo
	s_cbranch_scc1 .LBB67_41
.LBB67_42:
	s_nop 0
	s_sendmsg sendmsg(MSG_DEALLOC_VGPRS)
	s_endpgm
	.section	.rodata,"a",@progbits
	.p2align	6, 0x0
	.amdhsa_kernel _ZL38rocblas_trsm_small_left_device_sharedBILi4ELi4ELb0EddPKPKdPKPdEv13rocblas_fill_18rocblas_operation_17rocblas_diagonal_iiT3_T4_lilT5_lili
		.amdhsa_group_segment_fixed_size 256
		.amdhsa_private_segment_fixed_size 0
		.amdhsa_kernarg_size 360
		.amdhsa_user_sgpr_count 14
		.amdhsa_user_sgpr_dispatch_ptr 0
		.amdhsa_user_sgpr_queue_ptr 0
		.amdhsa_user_sgpr_kernarg_segment_ptr 1
		.amdhsa_user_sgpr_dispatch_id 0
		.amdhsa_user_sgpr_private_segment_size 0
		.amdhsa_wavefront_size32 1
		.amdhsa_uses_dynamic_stack 0
		.amdhsa_enable_private_segment 0
		.amdhsa_system_sgpr_workgroup_id_x 1
		.amdhsa_system_sgpr_workgroup_id_y 0
		.amdhsa_system_sgpr_workgroup_id_z 1
		.amdhsa_system_sgpr_workgroup_info 0
		.amdhsa_system_vgpr_workitem_id 0
		.amdhsa_next_free_vgpr 24
		.amdhsa_next_free_sgpr 32
		.amdhsa_reserve_vcc 1
		.amdhsa_float_round_mode_32 0
		.amdhsa_float_round_mode_16_64 0
		.amdhsa_float_denorm_mode_32 3
		.amdhsa_float_denorm_mode_16_64 3
		.amdhsa_dx10_clamp 1
		.amdhsa_ieee_mode 1
		.amdhsa_fp16_overflow 0
		.amdhsa_workgroup_processor_mode 1
		.amdhsa_memory_ordered 1
		.amdhsa_forward_progress 0
		.amdhsa_shared_vgpr_count 0
		.amdhsa_exception_fp_ieee_invalid_op 0
		.amdhsa_exception_fp_denorm_src 0
		.amdhsa_exception_fp_ieee_div_zero 0
		.amdhsa_exception_fp_ieee_overflow 0
		.amdhsa_exception_fp_ieee_underflow 0
		.amdhsa_exception_fp_ieee_inexact 0
		.amdhsa_exception_int_div_zero 0
	.end_amdhsa_kernel
	.section	.text._ZL38rocblas_trsm_small_left_device_sharedBILi4ELi4ELb0EddPKPKdPKPdEv13rocblas_fill_18rocblas_operation_17rocblas_diagonal_iiT3_T4_lilT5_lili,"axG",@progbits,_ZL38rocblas_trsm_small_left_device_sharedBILi4ELi4ELb0EddPKPKdPKPdEv13rocblas_fill_18rocblas_operation_17rocblas_diagonal_iiT3_T4_lilT5_lili,comdat
.Lfunc_end67:
	.size	_ZL38rocblas_trsm_small_left_device_sharedBILi4ELi4ELb0EddPKPKdPKPdEv13rocblas_fill_18rocblas_operation_17rocblas_diagonal_iiT3_T4_lilT5_lili, .Lfunc_end67-_ZL38rocblas_trsm_small_left_device_sharedBILi4ELi4ELb0EddPKPKdPKPdEv13rocblas_fill_18rocblas_operation_17rocblas_diagonal_iiT3_T4_lilT5_lili
                                        ; -- End function
	.section	.AMDGPU.csdata,"",@progbits
; Kernel info:
; codeLenInByte = 2448
; NumSgprs: 34
; NumVgprs: 24
; ScratchSize: 0
; MemoryBound: 0
; FloatMode: 240
; IeeeMode: 1
; LDSByteSize: 256 bytes/workgroup (compile time only)
; SGPRBlocks: 4
; VGPRBlocks: 2
; NumSGPRsForWavesPerEU: 34
; NumVGPRsForWavesPerEU: 24
; Occupancy: 16
; WaveLimiterHint : 0
; COMPUTE_PGM_RSRC2:SCRATCH_EN: 0
; COMPUTE_PGM_RSRC2:USER_SGPR: 14
; COMPUTE_PGM_RSRC2:TRAP_HANDLER: 0
; COMPUTE_PGM_RSRC2:TGID_X_EN: 1
; COMPUTE_PGM_RSRC2:TGID_Y_EN: 0
; COMPUTE_PGM_RSRC2:TGID_Z_EN: 1
; COMPUTE_PGM_RSRC2:TIDIG_COMP_CNT: 0
	.section	.text._ZL30rocblas_trsm_small_left_deviceILi4ELi4ELb0EddPKPKdPKPdEv13rocblas_fill_18rocblas_operation_17rocblas_diagonal_iiT3_T4_lilT5_lili,"axG",@progbits,_ZL30rocblas_trsm_small_left_deviceILi4ELi4ELb0EddPKPKdPKPdEv13rocblas_fill_18rocblas_operation_17rocblas_diagonal_iiT3_T4_lilT5_lili,comdat
	.globl	_ZL30rocblas_trsm_small_left_deviceILi4ELi4ELb0EddPKPKdPKPdEv13rocblas_fill_18rocblas_operation_17rocblas_diagonal_iiT3_T4_lilT5_lili ; -- Begin function _ZL30rocblas_trsm_small_left_deviceILi4ELi4ELb0EddPKPKdPKPdEv13rocblas_fill_18rocblas_operation_17rocblas_diagonal_iiT3_T4_lilT5_lili
	.p2align	8
	.type	_ZL30rocblas_trsm_small_left_deviceILi4ELi4ELb0EddPKPKdPKPdEv13rocblas_fill_18rocblas_operation_17rocblas_diagonal_iiT3_T4_lilT5_lili,@function
_ZL30rocblas_trsm_small_left_deviceILi4ELi4ELb0EddPKPKdPKPdEv13rocblas_fill_18rocblas_operation_17rocblas_diagonal_iiT3_T4_lilT5_lili: ; @_ZL30rocblas_trsm_small_left_deviceILi4ELi4ELb0EddPKPKdPKPdEv13rocblas_fill_18rocblas_operation_17rocblas_diagonal_iiT3_T4_lilT5_lili
; %bb.0:
	s_load_b128 s[16:19], s[0:1], 0x40
	s_mov_b32 s2, s15
	s_mov_b32 s3, 0
	s_clause 0x1
	s_load_b128 s[8:11], s[0:1], 0x4
	s_load_b64 s[20:21], s[0:1], 0x28
	s_lshl_b64 s[24:25], s[2:3], 3
	s_waitcnt lgkmcnt(0)
	s_add_u32 s12, s16, s24
	s_addc_u32 s13, s17, s25
	s_load_b128 s[4:7], s[0:1], 0x18
	s_load_b64 s[16:17], s[12:13], 0x0
	s_min_i32 s2, s10, 4
	s_mov_b32 s13, exec_lo
	s_add_i32 s12, s2, -1
	v_cmpx_gt_i32_e64 s2, v0
	s_cbranch_execz .LBB68_10
; %bb.1:
	s_load_b32 s22, s[0:1], 0x30
	v_lshlrev_b32_e32 v3, 3, v0
	s_waitcnt lgkmcnt(0)
	s_ashr_i32 s23, s22, 31
	s_add_u32 s6, s6, s24
	s_addc_u32 s7, s7, s25
	s_cmp_lt_u32 s12, 3
	s_load_b64 s[6:7], s[6:7], 0x0
	s_cbranch_scc1 .LBB68_4
; %bb.2:
	s_lshl_b64 s[24:25], s[20:21], 3
	v_mov_b32_e32 v4, v3
	s_waitcnt lgkmcnt(0)
	s_add_u32 s3, s6, s24
	s_addc_u32 s15, s7, s25
	v_add_co_u32 v1, s3, s3, v3
	s_delay_alu instid0(VALU_DEP_1)
	v_add_co_ci_u32_e64 v2, null, s15, 0, s3
	s_and_b32 s3, s2, -4
	s_mul_hi_i32 s15, s22, 24
	s_mul_i32 s30, s22, 24
	s_lshl_b64 s[24:25], s[22:23], 5
	s_lshl_b64 s[26:27], s[22:23], 4
	;; [unrolled: 1-line block ×3, first 2 shown]
	s_mov_b32 s31, 0
	.p2align	6
.LBB68_3:                               ; =>This Inner Loop Header: Depth=1
	v_add_co_u32 v5, vcc_lo, v1, s28
	v_add_co_ci_u32_e32 v6, vcc_lo, s29, v2, vcc_lo
	v_add_co_u32 v7, vcc_lo, v1, s26
	v_add_co_ci_u32_e32 v8, vcc_lo, s27, v2, vcc_lo
	;; [unrolled: 2-line block ×3, first 2 shown]
	s_clause 0x3
	global_load_b64 v[11:12], v[1:2], off
	global_load_b64 v[5:6], v[5:6], off
	;; [unrolled: 1-line block ×4, first 2 shown]
	v_add_co_u32 v1, vcc_lo, v1, s24
	v_add_co_ci_u32_e32 v2, vcc_lo, s25, v2, vcc_lo
	s_add_i32 s31, s31, 4
	s_waitcnt vmcnt(2)
	ds_store_2addr_b64 v4, v[11:12], v[5:6] offset1:4
	s_waitcnt vmcnt(0)
	ds_store_2addr_b64 v4, v[7:8], v[9:10] offset0:8 offset1:12
	v_add_nc_u32_e32 v4, 0x80, v4
	s_cmp_eq_u32 s3, s31
	s_cbranch_scc0 .LBB68_3
.LBB68_4:
	s_and_b32 s15, s2, 3
	s_delay_alu instid0(SALU_CYCLE_1)
	s_cmp_eq_u32 s15, 0
	s_cbranch_scc1 .LBB68_7
; %bb.5:
	s_mul_i32 s25, s23, s3
	s_mul_hi_u32 s26, s22, s3
	s_mul_i32 s24, s22, s3
	s_add_i32 s25, s26, s25
	s_lshl_b64 s[20:21], s[20:21], 3
	s_lshl_b64 s[24:25], s[24:25], 3
	v_lshl_or_b32 v4, s3, 5, v3
	s_add_u32 s3, s24, s20
	s_addc_u32 s20, s25, s21
	s_waitcnt lgkmcnt(0)
	s_add_u32 s3, s6, s3
	s_addc_u32 s6, s7, s20
	v_add_co_u32 v1, s3, s3, v3
	s_delay_alu instid0(VALU_DEP_1)
	v_add_co_ci_u32_e64 v2, null, s6, 0, s3
	s_lshl_b64 s[6:7], s[22:23], 3
.LBB68_6:                               ; =>This Inner Loop Header: Depth=1
	global_load_b64 v[5:6], v[1:2], off
	v_add_co_u32 v1, vcc_lo, v1, s6
	v_add_co_ci_u32_e32 v2, vcc_lo, s7, v2, vcc_lo
	s_add_i32 s15, s15, -1
	s_delay_alu instid0(SALU_CYCLE_1)
	s_cmp_lg_u32 s15, 0
	s_waitcnt vmcnt(0)
	ds_store_b64 v4, v[5:6]
	v_add_nc_u32_e32 v4, 32, v4
	s_cbranch_scc1 .LBB68_6
.LBB68_7:
	v_mul_u32_u24_e32 v3, 5, v0
	v_mov_b32_e32 v1, 0
	v_mov_b32_e32 v2, 0x3ff00000
	s_cmpk_lg_i32 s9, 0x84
	s_delay_alu instid0(VALU_DEP_3)
	v_lshlrev_b32_e32 v3, 3, v3
	s_cbranch_scc0 .LBB68_9
; %bb.8:
	ds_load_b64 v[1:2], v3
	s_waitcnt lgkmcnt(0)
	v_div_scale_f64 v[4:5], null, v[1:2], v[1:2], 1.0
	s_delay_alu instid0(VALU_DEP_1) | instskip(SKIP_2) | instid1(VALU_DEP_1)
	v_rcp_f64_e32 v[6:7], v[4:5]
	s_waitcnt_depctr 0xfff
	v_fma_f64 v[8:9], -v[4:5], v[6:7], 1.0
	v_fma_f64 v[6:7], v[6:7], v[8:9], v[6:7]
	s_delay_alu instid0(VALU_DEP_1) | instskip(NEXT) | instid1(VALU_DEP_1)
	v_fma_f64 v[8:9], -v[4:5], v[6:7], 1.0
	v_fma_f64 v[6:7], v[6:7], v[8:9], v[6:7]
	v_div_scale_f64 v[8:9], vcc_lo, 1.0, v[1:2], 1.0
	s_delay_alu instid0(VALU_DEP_1) | instskip(NEXT) | instid1(VALU_DEP_1)
	v_mul_f64 v[10:11], v[8:9], v[6:7]
	v_fma_f64 v[4:5], -v[4:5], v[10:11], v[8:9]
	s_delay_alu instid0(VALU_DEP_1) | instskip(NEXT) | instid1(VALU_DEP_1)
	v_div_fmas_f64 v[4:5], v[4:5], v[6:7], v[10:11]
	v_div_fixup_f64 v[1:2], v[4:5], v[1:2], 1.0
.LBB68_9:
	ds_store_b64 v3, v[1:2]
.LBB68_10:
	s_or_b32 exec_lo, exec_lo, s13
	s_load_b32 s3, s[0:1], 0x68
	s_waitcnt lgkmcnt(0)
	s_lshl_b32 s6, s14, 2
	s_delay_alu instid0(SALU_CYCLE_1) | instskip(SKIP_2) | instid1(SALU_CYCLE_1)
	s_sub_i32 s7, s11, s6
	; wave barrier
	buffer_gl0_inv
	s_add_i32 s3, s3, -1
	s_cmp_ge_u32 s14, s3
	s_cselect_b32 s3, s7, 4
	s_delay_alu instid0(SALU_CYCLE_1)
	v_cmp_gt_i32_e32 vcc_lo, s3, v0
	s_mov_b32 s3, -1
	s_and_saveexec_b32 s7, vcc_lo
	s_cbranch_execz .LBB68_37
; %bb.11:
	s_load_b32 s0, s[0:1], 0x50
	v_add_nc_u32_e32 v2, s6, v0
	s_waitcnt lgkmcnt(0)
	s_delay_alu instid0(VALU_DEP_1) | instskip(SKIP_1) | instid1(SALU_CYCLE_1)
	v_mad_i64_i32 v[0:1], null, s0, v2, 0
	s_lshl_b64 s[0:1], s[18:19], 3
	s_add_u32 s6, s16, s0
	s_addc_u32 s7, s17, s1
	s_cmpk_eq_i32 s8, 0x6f
	s_delay_alu instid0(VALU_DEP_1) | instskip(NEXT) | instid1(VALU_DEP_1)
	v_lshlrev_b64 v[2:3], 3, v[0:1]
	v_add_co_u32 v0, vcc_lo, s6, v2
	s_delay_alu instid0(VALU_DEP_2)
	v_add_co_ci_u32_e32 v1, vcc_lo, s7, v3, vcc_lo
	s_cbranch_scc1 .LBB68_21
; %bb.12:
	s_cmp_gt_i32 s10, 3
	s_cbranch_scc0 .LBB68_14
; %bb.13:
	s_clause 0x1
	global_load_b128 v[4:7], v[0:1], off
	global_load_b128 v[8:11], v[0:1], off offset:16
	v_mov_b32_e32 v28, 0
	s_mov_b32 s6, 4
	ds_load_2addr_b64 v[12:15], v28 offset1:10
	ds_load_b128 v[16:19], v28 offset:32
	ds_load_b128 v[20:23], v28 offset:64
	ds_load_b128 v[24:27], v28 offset:96
	ds_load_b128 v[28:31], v28 offset:112
	s_waitcnt vmcnt(1)
	v_mul_f64 v[4:5], v[4:5], s[4:5]
	s_waitcnt lgkmcnt(4)
	s_delay_alu instid0(VALU_DEP_1) | instskip(SKIP_1) | instid1(VALU_DEP_1)
	v_mul_f64 v[4:5], v[4:5], v[12:13]
	s_waitcnt lgkmcnt(3)
	v_mul_f64 v[12:13], v[4:5], v[16:17]
	s_waitcnt lgkmcnt(2)
	v_mul_f64 v[16:17], v[4:5], v[20:21]
	s_delay_alu instid0(VALU_DEP_2) | instskip(SKIP_1) | instid1(VALU_DEP_2)
	v_fma_f64 v[6:7], v[6:7], s[4:5], -v[12:13]
	s_waitcnt vmcnt(0)
	v_fma_f64 v[8:9], v[8:9], s[4:5], -v[16:17]
	s_waitcnt lgkmcnt(1)
	v_mul_f64 v[12:13], v[4:5], v[24:25]
	s_delay_alu instid0(VALU_DEP_3) | instskip(NEXT) | instid1(VALU_DEP_2)
	v_mul_f64 v[6:7], v[6:7], v[18:19]
	v_fma_f64 v[10:11], v[10:11], s[4:5], -v[12:13]
	s_delay_alu instid0(VALU_DEP_2) | instskip(NEXT) | instid1(VALU_DEP_2)
	v_fma_f64 v[8:9], -v[6:7], v[22:23], v[8:9]
	v_fma_f64 v[10:11], -v[6:7], v[26:27], v[10:11]
	s_delay_alu instid0(VALU_DEP_2) | instskip(SKIP_1) | instid1(VALU_DEP_1)
	v_mul_f64 v[8:9], v[8:9], v[14:15]
	s_waitcnt lgkmcnt(0)
	v_fma_f64 v[10:11], -v[8:9], v[28:29], v[10:11]
	s_delay_alu instid0(VALU_DEP_1)
	v_mul_f64 v[10:11], v[10:11], v[30:31]
	s_clause 0x1
	global_store_b128 v[0:1], v[4:7], off
	global_store_b128 v[0:1], v[8:11], off offset:16
	s_cmp_ge_i32 s6, s2
	s_cbranch_scc0 .LBB68_15
	s_branch .LBB68_20
.LBB68_14:
	s_mov_b32 s6, 0
	s_delay_alu instid0(SALU_CYCLE_1)
	s_cmp_ge_i32 s6, s2
	s_cbranch_scc1 .LBB68_20
.LBB68_15:
	s_lshl_b32 s3, s6, 5
	s_mov_b32 s7, 0
	s_set_inst_prefetch_distance 0x1
	s_branch .LBB68_17
	.p2align	6
.LBB68_16:                              ;   in Loop: Header=BB68_17 Depth=1
	s_mul_i32 s8, s6, 40
	s_add_i32 s6, s6, 1
	v_mov_b32_e32 v8, s8
	s_add_i32 s3, s3, 32
	s_cmp_ge_i32 s6, s2
	ds_load_b64 v[8:9], v8
	s_waitcnt lgkmcnt(0)
	v_mul_f64 v[6:7], v[6:7], v[8:9]
	global_store_b64 v[4:5], v[6:7], off
	s_cbranch_scc1 .LBB68_20
.LBB68_17:                              ; =>This Loop Header: Depth=1
                                        ;     Child Loop BB68_19 Depth 2
	s_lshl_b64 s[8:9], s[6:7], 3
	s_cmp_eq_u32 s6, 0
	v_add_co_u32 v4, vcc_lo, v0, s8
	v_add_co_ci_u32_e32 v5, vcc_lo, s9, v1, vcc_lo
	global_load_b64 v[6:7], v[4:5], off
	s_waitcnt vmcnt(0)
	v_mul_f64 v[6:7], v[6:7], s[4:5]
	s_cbranch_scc1 .LBB68_16
; %bb.18:                               ;   in Loop: Header=BB68_17 Depth=1
	v_dual_mov_b32 v9, v1 :: v_dual_mov_b32 v8, v0
	s_mov_b32 s8, 0
	s_mov_b32 s9, s3
.LBB68_19:                              ;   Parent Loop BB68_17 Depth=1
                                        ; =>  This Inner Loop Header: Depth=2
	global_load_b64 v[10:11], v[8:9], off
	v_mov_b32_e32 v12, s9
	v_add_co_u32 v8, vcc_lo, v8, 8
	v_add_co_ci_u32_e32 v9, vcc_lo, 0, v9, vcc_lo
	ds_load_b64 v[12:13], v12
	s_add_i32 s8, s8, 1
	s_add_i32 s9, s9, 8
	s_cmp_lt_u32 s8, s6
	s_waitcnt vmcnt(0) lgkmcnt(0)
	v_fma_f64 v[6:7], -v[10:11], v[12:13], v[6:7]
	s_cbranch_scc1 .LBB68_19
	s_branch .LBB68_16
.LBB68_20:
	s_set_inst_prefetch_distance 0x2
	s_mov_b32 s3, 0
.LBB68_21:
	s_delay_alu instid0(SALU_CYCLE_1)
	s_and_b32 vcc_lo, exec_lo, s3
	s_cbranch_vccz .LBB68_37
; %bb.22:
	s_cmp_gt_i32 s10, 3
	s_cbranch_scc0 .LBB68_24
; %bb.23:
	s_ashr_i32 s13, s12, 31
	s_mov_b32 s3, 0
	s_lshl_b64 s[6:7], s[12:13], 3
	s_delay_alu instid0(SALU_CYCLE_1)
	v_add_co_u32 v16, vcc_lo, v0, s6
	v_add_co_ci_u32_e32 v17, vcc_lo, s7, v1, vcc_lo
	s_lshl_b64 s[6:7], s[2:3], 3
	s_add_i32 s3, s2, -2
	v_add_co_u32 v4, vcc_lo, v0, s6
	global_load_b64 v[8:9], v[16:17], off
	v_add_co_ci_u32_e32 v5, vcc_lo, s7, v1, vcc_lo
	s_clause 0x1
	global_load_b64 v[18:19], v[4:5], off offset:-16
	global_load_b128 v[4:7], v[4:5], off offset:-32
	s_lshl_b32 s6, s12, 2
	s_delay_alu instid0(SALU_CYCLE_1)
	s_add_i32 s7, s3, s6
	s_lshl_b32 s3, s3, 2
	s_lshl_b32 s7, s7, 3
	s_waitcnt vmcnt(2)
	v_mul_f64 v[12:13], v[8:9], s[4:5]
	v_mov_b32_e32 v8, s7
	s_mul_i32 s7, s12, 40
	s_delay_alu instid0(SALU_CYCLE_1) | instskip(SKIP_3) | instid1(SALU_CYCLE_1)
	s_sub_i32 s8, s7, 40
	ds_load_2addr_b64 v[8:11], v8 offset1:1
	v_mov_b32_e32 v14, s8
	s_add_i32 s8, s2, -4
	s_add_i32 s6, s8, s6
	s_add_i32 s3, s8, s3
	ds_load_b64 v[20:21], v14
	s_lshl_b32 s6, s6, 3
	s_lshl_b32 s3, s3, 3
	s_waitcnt lgkmcnt(1)
	v_mul_f64 v[22:23], v[12:13], v[10:11]
	v_mov_b32_e32 v12, s3
	s_lshl_b32 s3, s2, 2
	s_delay_alu instid0(SALU_CYCLE_1)
	s_add_i32 s3, s3, s8
	s_add_i32 s8, s2, -5
	s_lshl_b32 s3, s3, 3
	ds_load_2addr_b64 v[12:15], v12 offset1:1
	s_addk_i32 s3, 0xffa0
	v_mul_f64 v[24:25], v[22:23], v[8:9]
	v_mov_b32_e32 v8, s6
	global_store_b64 v[16:17], v[22:23], off
	ds_load_2addr_b64 v[8:11], v8 offset1:1
	s_waitcnt lgkmcnt(0)
	v_mul_f64 v[10:11], v[22:23], v[10:11]
	v_mul_f64 v[8:9], v[22:23], v[8:9]
	s_waitcnt vmcnt(1)
	v_fma_f64 v[18:19], v[18:19], s[4:5], -v[24:25]
	s_waitcnt vmcnt(0)
	s_delay_alu instid0(VALU_DEP_3) | instskip(NEXT) | instid1(VALU_DEP_3)
	v_fma_f64 v[6:7], v[6:7], s[4:5], -v[10:11]
	v_fma_f64 v[8:9], v[4:5], s[4:5], -v[8:9]
	v_mov_b32_e32 v4, s3
	s_add_i32 s3, s7, 0xffffff88
	s_delay_alu instid0(VALU_DEP_4) | instskip(SKIP_2) | instid1(SALU_CYCLE_1)
	v_mul_f64 v[10:11], v[18:19], v[20:21]
	v_mov_b32_e32 v18, s3
	s_ashr_i32 s3, s2, 31
	s_lshl_b64 s[6:7], s[2:3], 3
	ds_load_b64 v[18:19], v18
	v_fma_f64 v[14:15], -v[10:11], v[14:15], v[6:7]
	ds_load_2addr_b64 v[4:7], v4 offset1:1
	v_fma_f64 v[8:9], -v[10:11], v[12:13], v[8:9]
	s_waitcnt lgkmcnt(0)
	v_mul_f64 v[6:7], v[14:15], v[6:7]
	s_delay_alu instid0(VALU_DEP_1) | instskip(SKIP_2) | instid1(VALU_DEP_3)
	v_fma_f64 v[4:5], -v[6:7], v[4:5], v[8:9]
	v_add_co_u32 v8, vcc_lo, v0, s6
	v_add_co_ci_u32_e32 v9, vcc_lo, s7, v1, vcc_lo
	v_mul_f64 v[4:5], v[4:5], v[18:19]
	s_clause 0x1
	global_store_b64 v[8:9], v[10:11], off offset:-16
	global_store_b128 v[8:9], v[4:7], off offset:-32
	s_cmp_lt_i32 s8, 0
	s_cbranch_scc0 .LBB68_25
	s_branch .LBB68_37
.LBB68_24:
	s_mov_b32 s8, s12
	s_delay_alu instid0(SALU_CYCLE_1)
	s_cmp_lt_i32 s8, 0
	s_cbranch_scc1 .LBB68_37
.LBB68_25:
	s_bitcmp1_b32 s8, 0
	s_mov_b32 s6, s8
	s_cselect_b32 s3, -1, 0
	s_delay_alu instid0(SALU_CYCLE_1)
	s_and_b32 vcc_lo, exec_lo, s3
	s_cbranch_vccnz .LBB68_30
; %bb.26:
	s_mov_b32 s9, 0
	s_delay_alu instid0(SALU_CYCLE_1)
	s_lshl_b64 s[6:7], s[8:9], 3
	s_cmp_le_i32 s12, s8
	v_add_co_u32 v4, vcc_lo, v0, s6
	v_add_co_ci_u32_e32 v5, vcc_lo, s7, v1, vcc_lo
	global_load_b64 v[6:7], v[4:5], off
	s_waitcnt vmcnt(0)
	v_mul_f64 v[6:7], v[6:7], s[4:5]
	s_cbranch_scc1 .LBB68_29
; %bb.27:
	s_lshl_b32 s3, s2, 5
	s_lshl_b32 s6, s8, 3
	s_ashr_i32 s13, s12, 31
	s_add_i32 s3, s3, s6
	s_lshl_b64 s[6:7], s[12:13], 3
	s_sub_i32 s3, s3, 32
	s_add_u32 s6, s16, s6
	s_addc_u32 s7, s17, s7
	s_add_u32 s6, s6, s0
	s_addc_u32 s7, s7, s1
	v_add_co_u32 v8, vcc_lo, s6, v2
	v_add_co_ci_u32_e32 v9, vcc_lo, s7, v3, vcc_lo
	s_mov_b32 s6, s12
.LBB68_28:                              ; =>This Inner Loop Header: Depth=1
	global_load_b64 v[10:11], v[8:9], off
	v_mov_b32_e32 v12, s3
	v_add_co_u32 v8, vcc_lo, v8, -8
	v_add_co_ci_u32_e32 v9, vcc_lo, -1, v9, vcc_lo
	ds_load_b64 v[12:13], v12
	s_add_i32 s6, s6, -1
	s_sub_i32 s3, s3, 32
	s_cmp_gt_i32 s6, s8
	s_waitcnt vmcnt(0) lgkmcnt(0)
	v_fma_f64 v[6:7], -v[10:11], v[12:13], v[6:7]
	s_cbranch_scc1 .LBB68_28
.LBB68_29:
	s_mul_i32 s3, s8, 40
	s_add_i32 s6, s8, -1
	v_mov_b32_e32 v8, s3
	ds_load_b64 v[8:9], v8
	s_waitcnt lgkmcnt(0)
	v_mul_f64 v[6:7], v[6:7], v[8:9]
	global_store_b64 v[4:5], v[6:7], off
.LBB68_30:
	s_cmp_eq_u32 s8, 0
	s_mov_b32 s7, 0
	s_cbranch_scc1 .LBB68_37
; %bb.31:
	s_lshl_b32 s3, s2, 5
	s_lshl_b32 s8, s6, 3
	s_ashr_i32 s13, s12, 31
	s_add_i32 s10, s3, s8
	s_lshl_b64 s[8:9], s[12:13], 3
	s_sub_i32 s3, s10, 32
	s_add_u32 s8, s16, s8
	s_addc_u32 s9, s17, s9
	s_add_u32 s0, s8, s0
	s_addc_u32 s1, s9, s1
	v_add_co_u32 v2, vcc_lo, s0, v2
	v_add_co_ci_u32_e32 v3, vcc_lo, s1, v3, vcc_lo
	s_sub_i32 s0, s10, 40
	s_branch .LBB68_33
.LBB68_32:                              ;   in Loop: Header=BB68_33 Depth=1
	s_sub_i32 s1, s1, 40
	s_add_i32 s3, s3, -16
	v_mov_b32_e32 v8, s1
	s_add_i32 s1, s6, -2
	s_add_i32 s0, s0, -16
	s_cmp_lt_i32 s6, 2
	s_mov_b32 s6, s1
	ds_load_b64 v[8:9], v8
	s_waitcnt lgkmcnt(0)
	v_mul_f64 v[6:7], v[6:7], v[8:9]
	global_store_b64 v[4:5], v[6:7], off offset:-8
	s_cbranch_scc1 .LBB68_37
.LBB68_33:                              ; =>This Loop Header: Depth=1
                                        ;     Child Loop BB68_34 Depth 2
                                        ;     Child Loop BB68_36 Depth 2
	s_lshl_b64 s[8:9], s[6:7], 3
	s_delay_alu instid0(VALU_DEP_1)
	v_dual_mov_b32 v7, v3 :: v_dual_mov_b32 v6, v2
	v_add_co_u32 v4, vcc_lo, v0, s8
	v_add_co_ci_u32_e32 v5, vcc_lo, s9, v1, vcc_lo
	s_cmp_le_i32 s12, s6
	s_mov_b32 s1, s3
	s_mov_b32 s8, s12
	global_load_b64 v[4:5], v[4:5], off
	s_waitcnt vmcnt(0)
	v_mul_f64 v[4:5], v[4:5], s[4:5]
	s_cbranch_scc1 .LBB68_35
.LBB68_34:                              ;   Parent Loop BB68_33 Depth=1
                                        ; =>  This Inner Loop Header: Depth=2
	global_load_b64 v[8:9], v[6:7], off
	v_mov_b32_e32 v10, s1
	v_add_co_u32 v6, vcc_lo, v6, -8
	v_add_co_ci_u32_e32 v7, vcc_lo, -1, v7, vcc_lo
	ds_load_b64 v[10:11], v10
	s_add_i32 s8, s8, -1
	s_sub_i32 s1, s1, 32
	s_cmp_gt_i32 s8, s6
	s_waitcnt vmcnt(0) lgkmcnt(0)
	v_fma_f64 v[4:5], -v[8:9], v[10:11], v[4:5]
	s_cbranch_scc1 .LBB68_34
.LBB68_35:                              ;   in Loop: Header=BB68_33 Depth=1
	s_add_i32 s8, s6, -1
	s_mov_b32 s9, s7
	s_mul_i32 s1, s6, 40
	s_lshl_b64 s[8:9], s[8:9], 3
	v_mov_b32_e32 v8, s1
	v_add_co_u32 v6, vcc_lo, v0, s8
	v_add_co_ci_u32_e32 v7, vcc_lo, s9, v1, vcc_lo
	ds_load_b64 v[8:9], v8
	s_ashr_i32 s9, s6, 31
	s_mov_b32 s8, s6
	global_load_b64 v[6:7], v[6:7], off
	s_lshl_b64 s[8:9], s[8:9], 3
	s_cmp_lt_i32 s12, s6
	s_waitcnt lgkmcnt(0)
	v_mul_f64 v[10:11], v[4:5], v[8:9]
	v_add_co_u32 v4, vcc_lo, v0, s8
	v_add_co_ci_u32_e32 v5, vcc_lo, s9, v1, vcc_lo
	v_dual_mov_b32 v9, v3 :: v_dual_mov_b32 v8, v2
	s_mov_b32 s8, s0
	s_mov_b32 s9, s2
	global_store_b64 v[4:5], v[10:11], off
	s_waitcnt vmcnt(0)
	v_mul_f64 v[6:7], v[6:7], s[4:5]
	s_cbranch_scc1 .LBB68_32
.LBB68_36:                              ;   Parent Loop BB68_33 Depth=1
                                        ; =>  This Inner Loop Header: Depth=2
	global_load_b64 v[10:11], v[8:9], off
	v_mov_b32_e32 v12, s8
	v_add_co_u32 v8, vcc_lo, v8, -8
	v_add_co_ci_u32_e32 v9, vcc_lo, -1, v9, vcc_lo
	ds_load_b64 v[12:13], v12
	s_add_i32 s9, s9, -1
	s_sub_i32 s8, s8, 32
	s_cmp_gt_i32 s9, s6
	s_waitcnt vmcnt(0) lgkmcnt(0)
	v_fma_f64 v[6:7], -v[10:11], v[12:13], v[6:7]
	s_cbranch_scc1 .LBB68_36
	s_branch .LBB68_32
.LBB68_37:
	s_nop 0
	s_sendmsg sendmsg(MSG_DEALLOC_VGPRS)
	s_endpgm
	.section	.rodata,"a",@progbits
	.p2align	6, 0x0
	.amdhsa_kernel _ZL30rocblas_trsm_small_left_deviceILi4ELi4ELb0EddPKPKdPKPdEv13rocblas_fill_18rocblas_operation_17rocblas_diagonal_iiT3_T4_lilT5_lili
		.amdhsa_group_segment_fixed_size 128
		.amdhsa_private_segment_fixed_size 0
		.amdhsa_kernarg_size 360
		.amdhsa_user_sgpr_count 14
		.amdhsa_user_sgpr_dispatch_ptr 0
		.amdhsa_user_sgpr_queue_ptr 0
		.amdhsa_user_sgpr_kernarg_segment_ptr 1
		.amdhsa_user_sgpr_dispatch_id 0
		.amdhsa_user_sgpr_private_segment_size 0
		.amdhsa_wavefront_size32 1
		.amdhsa_uses_dynamic_stack 0
		.amdhsa_enable_private_segment 0
		.amdhsa_system_sgpr_workgroup_id_x 1
		.amdhsa_system_sgpr_workgroup_id_y 0
		.amdhsa_system_sgpr_workgroup_id_z 1
		.amdhsa_system_sgpr_workgroup_info 0
		.amdhsa_system_vgpr_workitem_id 0
		.amdhsa_next_free_vgpr 32
		.amdhsa_next_free_sgpr 32
		.amdhsa_reserve_vcc 1
		.amdhsa_float_round_mode_32 0
		.amdhsa_float_round_mode_16_64 0
		.amdhsa_float_denorm_mode_32 3
		.amdhsa_float_denorm_mode_16_64 3
		.amdhsa_dx10_clamp 1
		.amdhsa_ieee_mode 1
		.amdhsa_fp16_overflow 0
		.amdhsa_workgroup_processor_mode 1
		.amdhsa_memory_ordered 1
		.amdhsa_forward_progress 0
		.amdhsa_shared_vgpr_count 0
		.amdhsa_exception_fp_ieee_invalid_op 0
		.amdhsa_exception_fp_denorm_src 0
		.amdhsa_exception_fp_ieee_div_zero 0
		.amdhsa_exception_fp_ieee_overflow 0
		.amdhsa_exception_fp_ieee_underflow 0
		.amdhsa_exception_fp_ieee_inexact 0
		.amdhsa_exception_int_div_zero 0
	.end_amdhsa_kernel
	.section	.text._ZL30rocblas_trsm_small_left_deviceILi4ELi4ELb0EddPKPKdPKPdEv13rocblas_fill_18rocblas_operation_17rocblas_diagonal_iiT3_T4_lilT5_lili,"axG",@progbits,_ZL30rocblas_trsm_small_left_deviceILi4ELi4ELb0EddPKPKdPKPdEv13rocblas_fill_18rocblas_operation_17rocblas_diagonal_iiT3_T4_lilT5_lili,comdat
.Lfunc_end68:
	.size	_ZL30rocblas_trsm_small_left_deviceILi4ELi4ELb0EddPKPKdPKPdEv13rocblas_fill_18rocblas_operation_17rocblas_diagonal_iiT3_T4_lilT5_lili, .Lfunc_end68-_ZL30rocblas_trsm_small_left_deviceILi4ELi4ELb0EddPKPKdPKPdEv13rocblas_fill_18rocblas_operation_17rocblas_diagonal_iiT3_T4_lilT5_lili
                                        ; -- End function
	.section	.AMDGPU.csdata,"",@progbits
; Kernel info:
; codeLenInByte = 2432
; NumSgprs: 34
; NumVgprs: 32
; ScratchSize: 0
; MemoryBound: 0
; FloatMode: 240
; IeeeMode: 1
; LDSByteSize: 128 bytes/workgroup (compile time only)
; SGPRBlocks: 4
; VGPRBlocks: 3
; NumSGPRsForWavesPerEU: 34
; NumVGPRsForWavesPerEU: 32
; Occupancy: 16
; WaveLimiterHint : 1
; COMPUTE_PGM_RSRC2:SCRATCH_EN: 0
; COMPUTE_PGM_RSRC2:USER_SGPR: 14
; COMPUTE_PGM_RSRC2:TRAP_HANDLER: 0
; COMPUTE_PGM_RSRC2:TGID_X_EN: 1
; COMPUTE_PGM_RSRC2:TGID_Y_EN: 0
; COMPUTE_PGM_RSRC2:TGID_Z_EN: 1
; COMPUTE_PGM_RSRC2:TIDIG_COMP_CNT: 0
	.section	.text._ZL38rocblas_trsm_small_left_device_sharedBILi4ELi4ELb1EddPKPKdPKPdEv13rocblas_fill_18rocblas_operation_17rocblas_diagonal_iiT3_T4_lilT5_lili,"axG",@progbits,_ZL38rocblas_trsm_small_left_device_sharedBILi4ELi4ELb1EddPKPKdPKPdEv13rocblas_fill_18rocblas_operation_17rocblas_diagonal_iiT3_T4_lilT5_lili,comdat
	.globl	_ZL38rocblas_trsm_small_left_device_sharedBILi4ELi4ELb1EddPKPKdPKPdEv13rocblas_fill_18rocblas_operation_17rocblas_diagonal_iiT3_T4_lilT5_lili ; -- Begin function _ZL38rocblas_trsm_small_left_device_sharedBILi4ELi4ELb1EddPKPKdPKPdEv13rocblas_fill_18rocblas_operation_17rocblas_diagonal_iiT3_T4_lilT5_lili
	.p2align	8
	.type	_ZL38rocblas_trsm_small_left_device_sharedBILi4ELi4ELb1EddPKPKdPKPdEv13rocblas_fill_18rocblas_operation_17rocblas_diagonal_iiT3_T4_lilT5_lili,@function
_ZL38rocblas_trsm_small_left_device_sharedBILi4ELi4ELb1EddPKPKdPKPdEv13rocblas_fill_18rocblas_operation_17rocblas_diagonal_iiT3_T4_lilT5_lili: ; @_ZL38rocblas_trsm_small_left_device_sharedBILi4ELi4ELb1EddPKPKdPKPdEv13rocblas_fill_18rocblas_operation_17rocblas_diagonal_iiT3_T4_lilT5_lili
; %bb.0:
	s_load_b128 s[16:19], s[0:1], 0x40
	s_mov_b32 s12, s15
	s_mov_b32 s13, 0
	s_clause 0x1
	s_load_b128 s[4:7], s[0:1], 0x4
	s_load_b64 s[20:21], s[0:1], 0x28
	s_lshl_b64 s[22:23], s[12:13], 3
	s_mov_b32 s28, exec_lo
	s_waitcnt lgkmcnt(0)
	s_add_u32 s2, s16, s22
	s_addc_u32 s3, s17, s23
	s_load_b128 s[8:11], s[0:1], 0x18
	s_load_b64 s[2:3], s[2:3], 0x0
	s_min_i32 s12, s6, 4
	s_delay_alu instid0(SALU_CYCLE_1)
	s_add_i32 s15, s12, -1
	v_cmpx_gt_i32_e64 s12, v0
	s_cbranch_execz .LBB69_10
; %bb.1:
	s_load_b32 s16, s[0:1], 0x30
	s_waitcnt lgkmcnt(0)
	s_ashr_i32 s17, s16, 31
	s_add_u32 s10, s10, s22
	s_addc_u32 s11, s11, s23
	s_cmp_lt_u32 s15, 3
	s_load_b64 s[10:11], s[10:11], 0x0
	s_cbranch_scc1 .LBB69_4
; %bb.2:
	v_lshlrev_b32_e32 v3, 3, v0
	s_lshl_b64 s[22:23], s[20:21], 3
	s_mul_hi_i32 s29, s16, 24
	s_waitcnt lgkmcnt(0)
	s_add_u32 s13, s10, s22
	s_addc_u32 s22, s11, s23
	v_add_co_u32 v1, s13, s13, v3
	s_delay_alu instid0(VALU_DEP_1)
	v_add_co_ci_u32_e64 v2, null, s22, 0, s13
	s_and_b32 s13, s12, -4
	s_mul_i32 s30, s16, 24
	s_lshl_b64 s[22:23], s[16:17], 5
	s_lshl_b64 s[24:25], s[16:17], 4
	s_lshl_b64 s[26:27], s[16:17], 3
	s_mov_b32 s31, 0
	.p2align	6
.LBB69_3:                               ; =>This Inner Loop Header: Depth=1
	v_add_co_u32 v4, vcc_lo, v1, s26
	v_add_co_ci_u32_e32 v5, vcc_lo, s27, v2, vcc_lo
	v_add_co_u32 v6, vcc_lo, v1, s24
	v_add_co_ci_u32_e32 v7, vcc_lo, s25, v2, vcc_lo
	;; [unrolled: 2-line block ×3, first 2 shown]
	s_clause 0x3
	global_load_b64 v[10:11], v[1:2], off
	global_load_b64 v[4:5], v[4:5], off
	;; [unrolled: 1-line block ×4, first 2 shown]
	v_add_co_u32 v1, vcc_lo, v1, s22
	v_add_co_ci_u32_e32 v2, vcc_lo, s23, v2, vcc_lo
	s_add_i32 s31, s31, 4
	s_waitcnt vmcnt(2)
	ds_store_2addr_b64 v3, v[10:11], v[4:5] offset1:4
	s_waitcnt vmcnt(0)
	ds_store_2addr_b64 v3, v[6:7], v[8:9] offset0:8 offset1:12
	v_add_nc_u32_e32 v3, 0x80, v3
	s_cmp_eq_u32 s13, s31
	s_cbranch_scc0 .LBB69_3
.LBB69_4:
	s_and_b32 s22, s12, 3
	s_delay_alu instid0(SALU_CYCLE_1)
	s_cmp_eq_u32 s22, 0
	s_cbranch_scc1 .LBB69_7
; %bb.5:
	s_mul_i32 s23, s17, s13
	s_mul_hi_u32 s24, s16, s13
	v_lshlrev_b32_e32 v1, 3, v0
	s_add_i32 s25, s24, s23
	s_mul_i32 s24, s16, s13
	s_lshl_b64 s[20:21], s[20:21], 3
	s_lshl_b64 s[24:25], s[24:25], 3
	v_lshl_or_b32 v3, s13, 5, v1
	s_add_u32 s13, s24, s20
	s_addc_u32 s20, s25, s21
	s_waitcnt lgkmcnt(0)
	s_add_u32 s10, s10, s13
	s_addc_u32 s11, s11, s20
	v_add_co_u32 v1, s10, s10, v1
	s_delay_alu instid0(VALU_DEP_1)
	v_add_co_ci_u32_e64 v2, null, s11, 0, s10
	s_lshl_b64 s[10:11], s[16:17], 3
.LBB69_6:                               ; =>This Inner Loop Header: Depth=1
	global_load_b64 v[4:5], v[1:2], off
	v_add_co_u32 v1, vcc_lo, v1, s10
	v_add_co_ci_u32_e32 v2, vcc_lo, s11, v2, vcc_lo
	s_add_i32 s22, s22, -1
	s_delay_alu instid0(SALU_CYCLE_1)
	s_cmp_lg_u32 s22, 0
	s_waitcnt vmcnt(0)
	ds_store_b64 v3, v[4:5]
	v_add_nc_u32_e32 v3, 32, v3
	s_cbranch_scc1 .LBB69_6
.LBB69_7:
	v_mul_u32_u24_e32 v3, 5, v0
	v_mov_b32_e32 v1, 0
	v_mov_b32_e32 v2, 0x3ff00000
	s_cmpk_lg_i32 s5, 0x84
	s_delay_alu instid0(VALU_DEP_3)
	v_lshlrev_b32_e32 v3, 3, v3
	s_cbranch_scc0 .LBB69_9
; %bb.8:
	ds_load_b64 v[1:2], v3
	s_waitcnt lgkmcnt(0)
	v_div_scale_f64 v[4:5], null, v[1:2], v[1:2], 1.0
	s_delay_alu instid0(VALU_DEP_1) | instskip(SKIP_2) | instid1(VALU_DEP_1)
	v_rcp_f64_e32 v[6:7], v[4:5]
	s_waitcnt_depctr 0xfff
	v_fma_f64 v[8:9], -v[4:5], v[6:7], 1.0
	v_fma_f64 v[6:7], v[6:7], v[8:9], v[6:7]
	s_delay_alu instid0(VALU_DEP_1) | instskip(NEXT) | instid1(VALU_DEP_1)
	v_fma_f64 v[8:9], -v[4:5], v[6:7], 1.0
	v_fma_f64 v[6:7], v[6:7], v[8:9], v[6:7]
	v_div_scale_f64 v[8:9], vcc_lo, 1.0, v[1:2], 1.0
	s_delay_alu instid0(VALU_DEP_1) | instskip(NEXT) | instid1(VALU_DEP_1)
	v_mul_f64 v[10:11], v[8:9], v[6:7]
	v_fma_f64 v[4:5], -v[4:5], v[10:11], v[8:9]
	s_delay_alu instid0(VALU_DEP_1) | instskip(NEXT) | instid1(VALU_DEP_1)
	v_div_fmas_f64 v[4:5], v[4:5], v[6:7], v[10:11]
	v_div_fixup_f64 v[1:2], v[4:5], v[1:2], 1.0
.LBB69_9:
	ds_store_b64 v3, v[1:2]
.LBB69_10:
	s_or_b32 exec_lo, exec_lo, s28
	s_clause 0x1
	s_load_b32 s5, s[0:1], 0x68
	s_load_b32 s0, s[0:1], 0x50
	s_waitcnt lgkmcnt(0)
	s_lshl_b64 s[10:11], s[18:19], 3
	v_lshl_or_b32 v5, v0, 3, 0x80
	s_add_u32 s1, s2, s10
	s_addc_u32 s10, s3, s11
	s_lshl_b32 s2, s14, 2
	s_delay_alu instid0(SALU_CYCLE_1)
	s_sub_i32 s7, s7, s2
	s_add_i32 s5, s5, -1
	s_mul_hi_i32 s3, s0, s2
	s_cmp_ge_u32 s14, s5
	s_mul_i32 s2, s0, s2
	s_cselect_b32 s5, s7, 4
	s_lshl_b64 s[2:3], s[2:3], 3
	v_cmp_gt_i32_e32 vcc_lo, s5, v0
	s_add_u32 s1, s1, s2
	s_addc_u32 s2, s10, s3
	s_cmp_gt_i32 s6, 0
	s_cselect_b32 s3, -1, 0
	s_delay_alu instid0(SALU_CYCLE_1) | instskip(NEXT) | instid1(SALU_CYCLE_1)
	s_and_b32 s3, vcc_lo, s3
	s_and_saveexec_b32 s5, s3
	s_cbranch_execz .LBB69_13
; %bb.11:
	v_mad_i64_i32 v[1:2], null, s0, v0, 0
	v_lshl_or_b32 v3, v0, 3, 0x80
	s_mov_b32 s7, s12
	s_delay_alu instid0(VALU_DEP_2) | instskip(NEXT) | instid1(VALU_DEP_1)
	v_lshlrev_b64 v[1:2], 3, v[1:2]
	v_add_co_u32 v1, vcc_lo, s1, v1
	s_delay_alu instid0(VALU_DEP_2)
	v_add_co_ci_u32_e32 v2, vcc_lo, s2, v2, vcc_lo
.LBB69_12:                              ; =>This Inner Loop Header: Depth=1
	global_load_b64 v[6:7], v[1:2], off
	v_add_co_u32 v1, vcc_lo, v1, 8
	v_add_co_ci_u32_e32 v2, vcc_lo, 0, v2, vcc_lo
	s_add_i32 s7, s7, -1
	s_delay_alu instid0(SALU_CYCLE_1)
	s_cmp_lg_u32 s7, 0
	s_waitcnt vmcnt(0)
	v_mul_f64 v[6:7], v[6:7], s[8:9]
	ds_store_b64 v3, v[6:7]
	v_add_nc_u32_e32 v3, 32, v3
	s_cbranch_scc1 .LBB69_12
.LBB69_13:
	s_or_b32 exec_lo, exec_lo, s5
	s_cmpk_eq_i32 s4, 0x6f
	s_mov_b32 s4, -1
	s_waitcnt vmcnt(0) lgkmcnt(0)
	s_waitcnt_vscnt null, 0x0
	; wave barrier
	s_waitcnt lgkmcnt(0)
	buffer_gl0_inv
	s_cbranch_scc1 .LBB69_29
; %bb.14:
	s_cmp_gt_i32 s6, 3
	s_cbranch_scc0 .LBB69_16
; %bb.15:
	s_mul_i32 s4, s15, 40
	s_lshl_b32 s5, s12, 2
	s_sub_i32 s9, s4, 40
	s_delay_alu instid0(SALU_CYCLE_1) | instskip(SKIP_3) | instid1(VALU_DEP_2)
	v_dual_mov_b32 v4, s9 :: v_dual_lshlrev_b32 v1, 3, v0
	s_add_i32 s8, s5, -12
	s_add_i32 s7, s5, -8
	v_or_b32_e32 v2, s8, v0
	v_lshl_or_b32 v22, s15, 5, v1
	v_mov_b32_e32 v1, s4
	s_add_i32 s5, s5, -16
	s_add_i32 s8, s8, s15
	v_lshlrev_b32_e32 v24, 3, v2
	ds_load_b64 v[6:7], v22 offset:128
	ds_load_b64 v[8:9], v1
	v_or_b32_e32 v1, s7, v0
	v_or_b32_e32 v3, s5, v0
	s_lshl_b32 s7, s8, 3
	s_add_i32 s5, s5, s15
	s_delay_alu instid0(VALU_DEP_2) | instskip(SKIP_1) | instid1(SALU_CYCLE_1)
	v_lshlrev_b32_e32 v23, 3, v1
	s_lshl_b32 s5, s5, 3
	s_add_i32 s5, s5, -8
	s_waitcnt lgkmcnt(0)
	v_mul_f64 v[16:17], v[6:7], v[8:9]
	v_mov_b32_e32 v6, s7
	s_add_i32 s7, s4, 0xffffffb0
	v_lshlrev_b32_e32 v25, 3, v3
	ds_load_2addr_b64 v[1:4], v4 offset1:1
	ds_load_b64 v[10:11], v23 offset:128
	ds_load_b64 v[12:13], v24 offset:128
	;; [unrolled: 1-line block ×3, first 2 shown]
	s_addk_i32 s4, 0xff88
	s_waitcnt lgkmcnt(2)
	v_fma_f64 v[3:4], -v[16:17], v[3:4], v[10:11]
	ds_load_b64 v[10:11], v6
	v_mul_f64 v[20:21], v[3:4], v[1:2]
	v_mov_b32_e32 v1, s5
	ds_load_2addr_b64 v[1:4], v1 offset1:1
	s_waitcnt lgkmcnt(1)
	v_fma_f64 v[18:19], -v[16:17], v[10:11], v[12:13]
	v_mov_b32_e32 v10, s4
	v_mov_b32_e32 v6, s7
	s_add_i32 s7, s12, -5
	ds_load_2addr_b64 v[10:13], v10 offset1:1
	ds_load_2addr_b64 v[6:9], v6 offset1:1
	s_waitcnt lgkmcnt(2)
	v_fma_f64 v[3:4], -v[16:17], v[3:4], v[14:15]
	s_waitcnt lgkmcnt(0)
	v_fma_f64 v[8:9], -v[20:21], v[8:9], v[18:19]
	s_delay_alu instid0(VALU_DEP_2) | instskip(NEXT) | instid1(VALU_DEP_2)
	v_fma_f64 v[1:2], -v[20:21], v[1:2], v[3:4]
	v_mul_f64 v[6:7], v[8:9], v[6:7]
	ds_store_b64 v22, v[16:17] offset:128
	ds_store_b64 v23, v[20:21] offset:128
	;; [unrolled: 1-line block ×3, first 2 shown]
	v_fma_f64 v[1:2], -v[6:7], v[12:13], v[1:2]
	s_delay_alu instid0(VALU_DEP_1)
	v_mul_f64 v[1:2], v[1:2], v[10:11]
	ds_store_b64 v25, v[1:2] offset:128
	s_cmp_lt_i32 s7, 0
	s_mov_b32 s4, 0
	s_cbranch_scc0 .LBB69_17
	s_branch .LBB69_29
.LBB69_16:
	s_mov_b32 s7, s15
	s_delay_alu instid0(SALU_CYCLE_1)
	s_cmp_lt_i32 s7, 0
	s_mov_b32 s4, 0
	s_cbranch_scc1 .LBB69_29
.LBB69_17:
	s_bitcmp1_b32 s7, 0
	s_cselect_b32 s5, -1, 0
	s_delay_alu instid0(SALU_CYCLE_1)
	s_and_b32 vcc_lo, exec_lo, s5
	s_mov_b32 s5, s7
	s_cbranch_vccnz .LBB69_22
; %bb.18:
	v_lshlrev_b32_e32 v4, 3, v0
	s_cmp_le_i32 s15, s7
	s_delay_alu instid0(VALU_DEP_1)
	v_lshl_or_b32 v3, s7, 5, v4
	ds_load_b64 v[1:2], v3 offset:128
	s_cbranch_scc1 .LBB69_21
; %bb.19:
	v_lshl_or_b32 v4, s12, 5, v4
	s_lshl_b32 s5, s7, 5
	s_lshl_b32 s8, s12, 3
	s_delay_alu instid0(SALU_CYCLE_1) | instskip(NEXT) | instid1(VALU_DEP_1)
	s_add_i32 s5, s5, s8
	v_add_nc_u32_e32 v4, 0x60, v4
	s_add_i32 s5, s5, -8
	s_mov_b32 s8, s15
.LBB69_20:                              ; =>This Inner Loop Header: Depth=1
	v_mov_b32_e32 v8, s5
	s_add_i32 s8, s8, -1
	s_add_i32 s5, s5, -8
	s_cmp_gt_i32 s8, s7
	ds_load_b64 v[6:7], v4
	ds_load_b64 v[8:9], v8
	v_subrev_nc_u32_e32 v4, 32, v4
	s_waitcnt lgkmcnt(0)
	v_fma_f64 v[1:2], -v[6:7], v[8:9], v[1:2]
	s_cbranch_scc1 .LBB69_20
.LBB69_21:
	s_mul_i32 s5, s7, 40
	s_delay_alu instid0(SALU_CYCLE_1)
	v_dual_mov_b32 v4, s5 :: v_dual_add_nc_u32 v3, 0x80, v3
	s_add_i32 s5, s7, -1
	ds_load_b64 v[6:7], v4
	s_waitcnt lgkmcnt(0)
	v_mul_f64 v[1:2], v[1:2], v[6:7]
	ds_store_b64 v3, v[1:2]
.LBB69_22:
	s_cmp_eq_u32 s7, 0
	s_cbranch_scc1 .LBB69_29
; %bb.23:
	v_lshlrev_b32_e32 v6, 3, v0
	s_lshl_b32 s7, s5, 5
	s_lshl_b32 s8, s12, 3
	s_delay_alu instid0(SALU_CYCLE_1) | instskip(NEXT) | instid1(VALU_DEP_1)
	s_add_i32 s8, s7, s8
	v_lshl_or_b32 v1, s12, 5, v6
	s_add_i32 s7, s8, -8
	s_sub_i32 s8, s8, 40
	s_delay_alu instid0(VALU_DEP_1)
	v_add_nc_u32_e32 v7, 0x60, v1
	s_branch .LBB69_25
.LBB69_24:                              ;   in Loop: Header=BB69_25 Depth=1
	s_sub_i32 s9, s9, 40
	s_delay_alu instid0(SALU_CYCLE_1)
	v_dual_mov_b32 v2, s9 :: v_dual_add_nc_u32 v1, 0x80, v8
	s_add_i32 s9, s5, -2
	s_sub_i32 s7, s7, 64
	s_sub_i32 s8, s8, 64
	s_cmp_lt_i32 s5, 2
	ds_load_b64 v[8:9], v2
	s_mov_b32 s5, s9
	s_waitcnt lgkmcnt(0)
	v_mul_f64 v[2:3], v[3:4], v[8:9]
	ds_store_b64 v1, v[2:3]
	s_cbranch_scc1 .LBB69_29
.LBB69_25:                              ; =>This Loop Header: Depth=1
                                        ;     Child Loop BB69_26 Depth 2
                                        ;     Child Loop BB69_28 Depth 2
	v_lshl_or_b32 v3, s5, 5, v6
	s_delay_alu instid0(VALU_DEP_2)
	v_mov_b32_e32 v4, v7
	s_cmp_le_i32 s15, s5
	s_mov_b32 s9, s7
	s_mov_b32 s10, s15
	ds_load_b64 v[1:2], v3 offset:128
	s_cbranch_scc1 .LBB69_27
.LBB69_26:                              ;   Parent Loop BB69_25 Depth=1
                                        ; =>  This Inner Loop Header: Depth=2
	v_mov_b32_e32 v10, s9
	s_add_i32 s10, s10, -1
	s_add_i32 s9, s9, -8
	s_cmp_gt_i32 s10, s5
	ds_load_b64 v[8:9], v4
	ds_load_b64 v[10:11], v10
	v_subrev_nc_u32_e32 v4, 32, v4
	s_waitcnt lgkmcnt(0)
	v_fma_f64 v[1:2], -v[8:9], v[10:11], v[1:2]
	s_cbranch_scc1 .LBB69_26
.LBB69_27:                              ;   in Loop: Header=BB69_25 Depth=1
	s_mul_i32 s9, s5, 40
	v_add_nc_u32_e32 v9, 0x80, v3
	v_mov_b32_e32 v3, s9
	s_lshl_b32 s10, s5, 5
	s_mov_b32 s11, s12
	s_sub_i32 s10, s10, 32
	s_cmp_lt_i32 s15, s5
	ds_load_b64 v[10:11], v3
	v_lshl_or_b32 v8, v0, 3, s10
	s_mov_b32 s10, s8
	ds_load_b64 v[3:4], v8 offset:128
	s_waitcnt lgkmcnt(1)
	v_mul_f64 v[10:11], v[1:2], v[10:11]
	v_mov_b32_e32 v1, v7
	ds_store_b64 v9, v[10:11]
	s_cbranch_scc1 .LBB69_24
.LBB69_28:                              ;   Parent Loop BB69_25 Depth=1
                                        ; =>  This Inner Loop Header: Depth=2
	v_mov_b32_e32 v2, s10
	s_add_i32 s11, s11, -1
	s_add_i32 s10, s10, -8
	s_cmp_gt_i32 s11, s5
	ds_load_b64 v[9:10], v1
	ds_load_b64 v[11:12], v2
	v_subrev_nc_u32_e32 v1, 32, v1
	s_waitcnt lgkmcnt(0)
	v_fma_f64 v[3:4], -v[9:10], v[11:12], v[3:4]
	s_cbranch_scc1 .LBB69_28
	s_branch .LBB69_24
.LBB69_29:
	s_and_b32 vcc_lo, exec_lo, s4
	s_cbranch_vccz .LBB69_38
; %bb.30:
	s_cmp_gt_i32 s6, 3
	s_cbranch_scc0 .LBB69_32
; %bb.31:
	v_dual_mov_b32 v23, 0 :: v_dual_lshlrev_b32 v22, 3, v0
	s_mov_b32 s4, 4
	ds_load_2addr_b64 v[1:4], v22 offset0:16 offset1:20
	ds_load_b128 v[6:9], v23
	ds_load_b128 v[10:13], v23 offset:16
	s_waitcnt lgkmcnt(1)
	v_mul_f64 v[18:19], v[1:2], v[6:7]
	s_delay_alu instid0(VALU_DEP_1)
	v_fma_f64 v[20:21], -v[18:19], v[8:9], v[3:4]
	ds_load_2addr_b64 v[1:4], v22 offset0:24 offset1:28
	ds_load_2addr_b64 v[6:9], v23 offset0:5 offset1:6
	ds_load_b128 v[14:17], v23 offset:80
	s_waitcnt lgkmcnt(2)
	v_fma_f64 v[1:2], -v[18:19], v[10:11], v[1:2]
	v_fma_f64 v[10:11], -v[18:19], v[12:13], v[3:4]
	s_waitcnt lgkmcnt(1)
	v_mul_f64 v[6:7], v[20:21], v[6:7]
	s_delay_alu instid0(VALU_DEP_1)
	v_fma_f64 v[8:9], -v[6:7], v[8:9], v[1:2]
	ds_load_2addr_b64 v[1:4], v23 offset0:7 offset1:15
	ds_store_2addr_b64 v22, v[18:19], v[6:7] offset0:16 offset1:20
	s_waitcnt lgkmcnt(1)
	v_fma_f64 v[1:2], -v[6:7], v[1:2], v[10:11]
	v_mul_f64 v[8:9], v[8:9], v[14:15]
	s_delay_alu instid0(VALU_DEP_1) | instskip(NEXT) | instid1(VALU_DEP_1)
	v_fma_f64 v[1:2], -v[8:9], v[16:17], v[1:2]
	v_mul_f64 v[1:2], v[1:2], v[3:4]
	ds_store_2addr_b64 v22, v[8:9], v[1:2] offset0:24 offset1:28
	s_cmp_ge_i32 s4, s12
	s_cbranch_scc0 .LBB69_33
	s_branch .LBB69_38
.LBB69_32:
	s_mov_b32 s4, 0
	s_delay_alu instid0(SALU_CYCLE_1)
	s_cmp_ge_i32 s4, s12
	s_cbranch_scc1 .LBB69_38
.LBB69_33:
	v_lshl_or_b32 v3, v0, 3, 0x80
	v_lshlrev_b32_e32 v4, 3, v0
	s_lshl_b32 s5, s4, 3
	s_set_inst_prefetch_distance 0x1
	s_branch .LBB69_35
	.p2align	6
.LBB69_34:                              ;   in Loop: Header=BB69_35 Depth=1
	s_mul_i32 s6, s4, 40
	s_delay_alu instid0(SALU_CYCLE_1)
	v_dual_mov_b32 v7, s6 :: v_dual_add_nc_u32 v6, 0x80, v6
	s_add_i32 s4, s4, 1
	s_add_i32 s5, s5, 8
	s_cmp_ge_i32 s4, s12
	ds_load_b64 v[7:8], v7
	s_waitcnt lgkmcnt(0)
	v_mul_f64 v[1:2], v[1:2], v[7:8]
	ds_store_b64 v6, v[1:2]
	s_cbranch_scc1 .LBB69_38
.LBB69_35:                              ; =>This Loop Header: Depth=1
                                        ;     Child Loop BB69_37 Depth 2
	s_delay_alu instid0(VALU_DEP_1)
	v_lshl_or_b32 v6, s4, 5, v4
	s_cmp_eq_u32 s4, 0
	ds_load_b64 v[1:2], v6 offset:128
	s_cbranch_scc1 .LBB69_34
; %bb.36:                               ;   in Loop: Header=BB69_35 Depth=1
	v_mov_b32_e32 v7, v3
	s_mov_b32 s6, 0
	s_mov_b32 s7, s5
.LBB69_37:                              ;   Parent Loop BB69_35 Depth=1
                                        ; =>  This Inner Loop Header: Depth=2
	s_delay_alu instid0(SALU_CYCLE_1)
	v_mov_b32_e32 v10, s7
	s_add_i32 s6, s6, 1
	s_add_i32 s7, s7, 32
	s_cmp_lt_u32 s6, s4
	ds_load_b64 v[8:9], v7
	ds_load_b64 v[10:11], v10
	v_add_nc_u32_e32 v7, 32, v7
	s_waitcnt lgkmcnt(0)
	v_fma_f64 v[1:2], -v[8:9], v[10:11], v[1:2]
	s_cbranch_scc1 .LBB69_37
	s_branch .LBB69_34
.LBB69_38:
	s_set_inst_prefetch_distance 0x2
	s_waitcnt vmcnt(0) lgkmcnt(0)
	s_waitcnt_vscnt null, 0x0
	; wave barrier
	s_waitcnt lgkmcnt(0)
	buffer_gl0_inv
	s_and_saveexec_b32 s4, s3
	s_cbranch_execz .LBB69_41
; %bb.39:
	v_mad_i64_i32 v[1:2], null, s0, v0, 0
	s_delay_alu instid0(VALU_DEP_1) | instskip(NEXT) | instid1(VALU_DEP_1)
	v_lshlrev_b64 v[0:1], 3, v[1:2]
	v_add_co_u32 v0, vcc_lo, s1, v0
	s_delay_alu instid0(VALU_DEP_2)
	v_add_co_ci_u32_e32 v1, vcc_lo, s2, v1, vcc_lo
.LBB69_40:                              ; =>This Inner Loop Header: Depth=1
	ds_load_b64 v[2:3], v5
	v_add_nc_u32_e32 v5, 32, v5
	s_add_i32 s12, s12, -1
	s_delay_alu instid0(SALU_CYCLE_1)
	s_cmp_lg_u32 s12, 0
	s_waitcnt lgkmcnt(0)
	global_store_b64 v[0:1], v[2:3], off
	v_add_co_u32 v0, vcc_lo, v0, 8
	v_add_co_ci_u32_e32 v1, vcc_lo, 0, v1, vcc_lo
	s_cbranch_scc1 .LBB69_40
.LBB69_41:
	s_nop 0
	s_sendmsg sendmsg(MSG_DEALLOC_VGPRS)
	s_endpgm
	.section	.rodata,"a",@progbits
	.p2align	6, 0x0
	.amdhsa_kernel _ZL38rocblas_trsm_small_left_device_sharedBILi4ELi4ELb1EddPKPKdPKPdEv13rocblas_fill_18rocblas_operation_17rocblas_diagonal_iiT3_T4_lilT5_lili
		.amdhsa_group_segment_fixed_size 256
		.amdhsa_private_segment_fixed_size 0
		.amdhsa_kernarg_size 360
		.amdhsa_user_sgpr_count 14
		.amdhsa_user_sgpr_dispatch_ptr 0
		.amdhsa_user_sgpr_queue_ptr 0
		.amdhsa_user_sgpr_kernarg_segment_ptr 1
		.amdhsa_user_sgpr_dispatch_id 0
		.amdhsa_user_sgpr_private_segment_size 0
		.amdhsa_wavefront_size32 1
		.amdhsa_uses_dynamic_stack 0
		.amdhsa_enable_private_segment 0
		.amdhsa_system_sgpr_workgroup_id_x 1
		.amdhsa_system_sgpr_workgroup_id_y 0
		.amdhsa_system_sgpr_workgroup_id_z 1
		.amdhsa_system_sgpr_workgroup_info 0
		.amdhsa_system_vgpr_workitem_id 0
		.amdhsa_next_free_vgpr 26
		.amdhsa_next_free_sgpr 32
		.amdhsa_reserve_vcc 1
		.amdhsa_float_round_mode_32 0
		.amdhsa_float_round_mode_16_64 0
		.amdhsa_float_denorm_mode_32 3
		.amdhsa_float_denorm_mode_16_64 3
		.amdhsa_dx10_clamp 1
		.amdhsa_ieee_mode 1
		.amdhsa_fp16_overflow 0
		.amdhsa_workgroup_processor_mode 1
		.amdhsa_memory_ordered 1
		.amdhsa_forward_progress 0
		.amdhsa_shared_vgpr_count 0
		.amdhsa_exception_fp_ieee_invalid_op 0
		.amdhsa_exception_fp_denorm_src 0
		.amdhsa_exception_fp_ieee_div_zero 0
		.amdhsa_exception_fp_ieee_overflow 0
		.amdhsa_exception_fp_ieee_underflow 0
		.amdhsa_exception_fp_ieee_inexact 0
		.amdhsa_exception_int_div_zero 0
	.end_amdhsa_kernel
	.section	.text._ZL38rocblas_trsm_small_left_device_sharedBILi4ELi4ELb1EddPKPKdPKPdEv13rocblas_fill_18rocblas_operation_17rocblas_diagonal_iiT3_T4_lilT5_lili,"axG",@progbits,_ZL38rocblas_trsm_small_left_device_sharedBILi4ELi4ELb1EddPKPKdPKPdEv13rocblas_fill_18rocblas_operation_17rocblas_diagonal_iiT3_T4_lilT5_lili,comdat
.Lfunc_end69:
	.size	_ZL38rocblas_trsm_small_left_device_sharedBILi4ELi4ELb1EddPKPKdPKPdEv13rocblas_fill_18rocblas_operation_17rocblas_diagonal_iiT3_T4_lilT5_lili, .Lfunc_end69-_ZL38rocblas_trsm_small_left_device_sharedBILi4ELi4ELb1EddPKPKdPKPdEv13rocblas_fill_18rocblas_operation_17rocblas_diagonal_iiT3_T4_lilT5_lili
                                        ; -- End function
	.section	.AMDGPU.csdata,"",@progbits
; Kernel info:
; codeLenInByte = 2428
; NumSgprs: 34
; NumVgprs: 26
; ScratchSize: 0
; MemoryBound: 0
; FloatMode: 240
; IeeeMode: 1
; LDSByteSize: 256 bytes/workgroup (compile time only)
; SGPRBlocks: 4
; VGPRBlocks: 3
; NumSGPRsForWavesPerEU: 34
; NumVGPRsForWavesPerEU: 26
; Occupancy: 16
; WaveLimiterHint : 0
; COMPUTE_PGM_RSRC2:SCRATCH_EN: 0
; COMPUTE_PGM_RSRC2:USER_SGPR: 14
; COMPUTE_PGM_RSRC2:TRAP_HANDLER: 0
; COMPUTE_PGM_RSRC2:TGID_X_EN: 1
; COMPUTE_PGM_RSRC2:TGID_Y_EN: 0
; COMPUTE_PGM_RSRC2:TGID_Z_EN: 1
; COMPUTE_PGM_RSRC2:TIDIG_COMP_CNT: 0
	.section	.text._ZL30rocblas_trsm_small_left_deviceILi4ELi4ELb1EddPKPKdPKPdEv13rocblas_fill_18rocblas_operation_17rocblas_diagonal_iiT3_T4_lilT5_lili,"axG",@progbits,_ZL30rocblas_trsm_small_left_deviceILi4ELi4ELb1EddPKPKdPKPdEv13rocblas_fill_18rocblas_operation_17rocblas_diagonal_iiT3_T4_lilT5_lili,comdat
	.globl	_ZL30rocblas_trsm_small_left_deviceILi4ELi4ELb1EddPKPKdPKPdEv13rocblas_fill_18rocblas_operation_17rocblas_diagonal_iiT3_T4_lilT5_lili ; -- Begin function _ZL30rocblas_trsm_small_left_deviceILi4ELi4ELb1EddPKPKdPKPdEv13rocblas_fill_18rocblas_operation_17rocblas_diagonal_iiT3_T4_lilT5_lili
	.p2align	8
	.type	_ZL30rocblas_trsm_small_left_deviceILi4ELi4ELb1EddPKPKdPKPdEv13rocblas_fill_18rocblas_operation_17rocblas_diagonal_iiT3_T4_lilT5_lili,@function
_ZL30rocblas_trsm_small_left_deviceILi4ELi4ELb1EddPKPKdPKPdEv13rocblas_fill_18rocblas_operation_17rocblas_diagonal_iiT3_T4_lilT5_lili: ; @_ZL30rocblas_trsm_small_left_deviceILi4ELi4ELb1EddPKPKdPKPdEv13rocblas_fill_18rocblas_operation_17rocblas_diagonal_iiT3_T4_lilT5_lili
; %bb.0:
	s_load_b128 s[16:19], s[0:1], 0x40
	s_mov_b32 s2, s15
	s_mov_b32 s3, 0
	s_clause 0x1
	s_load_b128 s[8:11], s[0:1], 0x4
	s_load_b64 s[20:21], s[0:1], 0x28
	s_lshl_b64 s[24:25], s[2:3], 3
	s_waitcnt lgkmcnt(0)
	s_add_u32 s12, s16, s24
	s_addc_u32 s13, s17, s25
	s_load_b128 s[4:7], s[0:1], 0x18
	s_load_b64 s[16:17], s[12:13], 0x0
	s_min_i32 s2, s10, 4
	s_mov_b32 s13, exec_lo
	s_add_i32 s12, s2, -1
	v_cmpx_gt_i32_e64 s2, v0
	s_cbranch_execz .LBB70_10
; %bb.1:
	s_load_b32 s22, s[0:1], 0x30
	v_lshlrev_b32_e32 v3, 3, v0
	s_waitcnt lgkmcnt(0)
	s_ashr_i32 s23, s22, 31
	s_add_u32 s6, s6, s24
	s_addc_u32 s7, s7, s25
	s_cmp_lt_u32 s12, 3
	s_load_b64 s[6:7], s[6:7], 0x0
	s_cbranch_scc1 .LBB70_4
; %bb.2:
	s_lshl_b64 s[24:25], s[20:21], 3
	v_mov_b32_e32 v4, v3
	s_waitcnt lgkmcnt(0)
	s_add_u32 s3, s6, s24
	s_addc_u32 s15, s7, s25
	v_add_co_u32 v1, s3, s3, v3
	s_delay_alu instid0(VALU_DEP_1)
	v_add_co_ci_u32_e64 v2, null, s15, 0, s3
	s_and_b32 s3, s2, -4
	s_mul_hi_i32 s15, s22, 24
	s_mul_i32 s30, s22, 24
	s_lshl_b64 s[24:25], s[22:23], 5
	s_lshl_b64 s[26:27], s[22:23], 4
	;; [unrolled: 1-line block ×3, first 2 shown]
	s_mov_b32 s31, 0
	.p2align	6
.LBB70_3:                               ; =>This Inner Loop Header: Depth=1
	v_add_co_u32 v5, vcc_lo, v1, s28
	v_add_co_ci_u32_e32 v6, vcc_lo, s29, v2, vcc_lo
	v_add_co_u32 v7, vcc_lo, v1, s26
	v_add_co_ci_u32_e32 v8, vcc_lo, s27, v2, vcc_lo
	;; [unrolled: 2-line block ×3, first 2 shown]
	s_clause 0x3
	global_load_b64 v[11:12], v[1:2], off
	global_load_b64 v[5:6], v[5:6], off
	;; [unrolled: 1-line block ×4, first 2 shown]
	v_add_co_u32 v1, vcc_lo, v1, s24
	v_add_co_ci_u32_e32 v2, vcc_lo, s25, v2, vcc_lo
	s_add_i32 s31, s31, 4
	s_waitcnt vmcnt(2)
	ds_store_2addr_b64 v4, v[11:12], v[5:6] offset1:4
	s_waitcnt vmcnt(0)
	ds_store_2addr_b64 v4, v[7:8], v[9:10] offset0:8 offset1:12
	v_add_nc_u32_e32 v4, 0x80, v4
	s_cmp_eq_u32 s3, s31
	s_cbranch_scc0 .LBB70_3
.LBB70_4:
	s_and_b32 s15, s2, 3
	s_delay_alu instid0(SALU_CYCLE_1)
	s_cmp_eq_u32 s15, 0
	s_cbranch_scc1 .LBB70_7
; %bb.5:
	s_mul_i32 s25, s23, s3
	s_mul_hi_u32 s26, s22, s3
	s_mul_i32 s24, s22, s3
	s_add_i32 s25, s26, s25
	s_lshl_b64 s[20:21], s[20:21], 3
	s_lshl_b64 s[24:25], s[24:25], 3
	v_lshl_or_b32 v4, s3, 5, v3
	s_add_u32 s3, s24, s20
	s_addc_u32 s20, s25, s21
	s_waitcnt lgkmcnt(0)
	s_add_u32 s3, s6, s3
	s_addc_u32 s6, s7, s20
	v_add_co_u32 v1, s3, s3, v3
	s_delay_alu instid0(VALU_DEP_1)
	v_add_co_ci_u32_e64 v2, null, s6, 0, s3
	s_lshl_b64 s[6:7], s[22:23], 3
.LBB70_6:                               ; =>This Inner Loop Header: Depth=1
	global_load_b64 v[5:6], v[1:2], off
	v_add_co_u32 v1, vcc_lo, v1, s6
	v_add_co_ci_u32_e32 v2, vcc_lo, s7, v2, vcc_lo
	s_add_i32 s15, s15, -1
	s_delay_alu instid0(SALU_CYCLE_1)
	s_cmp_lg_u32 s15, 0
	s_waitcnt vmcnt(0)
	ds_store_b64 v4, v[5:6]
	v_add_nc_u32_e32 v4, 32, v4
	s_cbranch_scc1 .LBB70_6
.LBB70_7:
	v_mul_u32_u24_e32 v3, 5, v0
	v_mov_b32_e32 v1, 0
	v_mov_b32_e32 v2, 0x3ff00000
	s_cmpk_lg_i32 s9, 0x84
	s_delay_alu instid0(VALU_DEP_3)
	v_lshlrev_b32_e32 v3, 3, v3
	s_cbranch_scc0 .LBB70_9
; %bb.8:
	ds_load_b64 v[1:2], v3
	s_waitcnt lgkmcnt(0)
	v_div_scale_f64 v[4:5], null, v[1:2], v[1:2], 1.0
	s_delay_alu instid0(VALU_DEP_1) | instskip(SKIP_2) | instid1(VALU_DEP_1)
	v_rcp_f64_e32 v[6:7], v[4:5]
	s_waitcnt_depctr 0xfff
	v_fma_f64 v[8:9], -v[4:5], v[6:7], 1.0
	v_fma_f64 v[6:7], v[6:7], v[8:9], v[6:7]
	s_delay_alu instid0(VALU_DEP_1) | instskip(NEXT) | instid1(VALU_DEP_1)
	v_fma_f64 v[8:9], -v[4:5], v[6:7], 1.0
	v_fma_f64 v[6:7], v[6:7], v[8:9], v[6:7]
	v_div_scale_f64 v[8:9], vcc_lo, 1.0, v[1:2], 1.0
	s_delay_alu instid0(VALU_DEP_1) | instskip(NEXT) | instid1(VALU_DEP_1)
	v_mul_f64 v[10:11], v[8:9], v[6:7]
	v_fma_f64 v[4:5], -v[4:5], v[10:11], v[8:9]
	s_delay_alu instid0(VALU_DEP_1) | instskip(NEXT) | instid1(VALU_DEP_1)
	v_div_fmas_f64 v[4:5], v[4:5], v[6:7], v[10:11]
	v_div_fixup_f64 v[1:2], v[4:5], v[1:2], 1.0
.LBB70_9:
	ds_store_b64 v3, v[1:2]
.LBB70_10:
	s_or_b32 exec_lo, exec_lo, s13
	s_load_b32 s3, s[0:1], 0x68
	s_waitcnt lgkmcnt(0)
	s_lshl_b32 s6, s14, 2
	s_delay_alu instid0(SALU_CYCLE_1) | instskip(SKIP_2) | instid1(SALU_CYCLE_1)
	s_sub_i32 s7, s11, s6
	; wave barrier
	buffer_gl0_inv
	s_add_i32 s3, s3, -1
	s_cmp_ge_u32 s14, s3
	s_cselect_b32 s3, s7, 4
	s_delay_alu instid0(SALU_CYCLE_1)
	v_cmp_gt_i32_e32 vcc_lo, s3, v0
	s_mov_b32 s3, -1
	s_and_saveexec_b32 s7, vcc_lo
	s_cbranch_execz .LBB70_36
; %bb.11:
	s_load_b32 s0, s[0:1], 0x50
	v_add_nc_u32_e32 v2, s6, v0
	s_waitcnt lgkmcnt(0)
	s_delay_alu instid0(VALU_DEP_1) | instskip(SKIP_1) | instid1(SALU_CYCLE_1)
	v_mad_i64_i32 v[0:1], null, s0, v2, 0
	s_lshl_b64 s[0:1], s[18:19], 3
	s_add_u32 s6, s16, s0
	s_addc_u32 s7, s17, s1
	s_cmpk_eq_i32 s8, 0x6f
	s_delay_alu instid0(VALU_DEP_1) | instskip(NEXT) | instid1(VALU_DEP_1)
	v_lshlrev_b64 v[2:3], 3, v[0:1]
	v_add_co_u32 v0, vcc_lo, s6, v2
	s_delay_alu instid0(VALU_DEP_2)
	v_add_co_ci_u32_e32 v1, vcc_lo, s7, v3, vcc_lo
	s_cbranch_scc1 .LBB70_27
; %bb.12:
	s_cmp_gt_i32 s10, 3
	s_cbranch_scc0 .LBB70_14
; %bb.13:
	s_ashr_i32 s13, s12, 31
	s_mov_b32 s3, 0
	s_lshl_b64 s[6:7], s[12:13], 3
	s_add_i32 s8, s2, -5
	v_add_co_u32 v22, vcc_lo, v0, s6
	v_add_co_ci_u32_e32 v23, vcc_lo, s7, v1, vcc_lo
	s_lshl_b64 s[6:7], s[2:3], 3
	s_mul_i32 s3, s12, 40
	v_add_co_u32 v4, vcc_lo, v0, s6
	global_load_b64 v[8:9], v[22:23], off
	v_add_co_ci_u32_e32 v5, vcc_lo, s7, v1, vcc_lo
	s_clause 0x1
	global_load_b64 v[14:15], v[4:5], off offset:-16
	global_load_b128 v[4:7], v[4:5], off offset:-32
	s_sub_i32 s6, s3, 40
	s_waitcnt vmcnt(2)
	v_mul_f64 v[12:13], v[8:9], s[4:5]
	v_mov_b32_e32 v8, s3
	ds_load_b64 v[16:17], v8
	v_mov_b32_e32 v8, s6
	s_lshl_b32 s6, s2, 2
	s_delay_alu instid0(SALU_CYCLE_1) | instskip(SKIP_2) | instid1(SALU_CYCLE_1)
	s_add_i32 s6, s6, s12
	ds_load_2addr_b64 v[8:11], v8 offset1:1
	s_lshl_b32 s6, s6, 3
	s_add_i32 s7, s6, 0xffffffa0
	s_addk_i32 s6, 0xff78
	s_waitcnt lgkmcnt(1)
	v_mul_f64 v[24:25], v[12:13], v[16:17]
	s_waitcnt lgkmcnt(0)
	s_delay_alu instid0(VALU_DEP_1)
	v_mul_f64 v[16:17], v[24:25], v[10:11]
	v_mov_b32_e32 v10, s7
	s_add_i32 s7, s3, 0xffffffb0
	s_addk_i32 s3, 0xff88
	global_store_b64 v[22:23], v[24:25], off
	ds_load_b64 v[18:19], v10
	s_waitcnt vmcnt(1)
	v_fma_f64 v[28:29], v[14:15], s[4:5], -v[16:17]
	v_mov_b32_e32 v14, s6
	ds_load_2addr_b64 v[14:17], v14 offset1:1
	s_waitcnt lgkmcnt(1)
	v_mul_f64 v[26:27], v[24:25], v[18:19]
	v_mov_b32_e32 v10, s7
	v_mov_b32_e32 v18, s3
	s_ashr_i32 s3, s2, 31
	s_delay_alu instid0(SALU_CYCLE_1)
	s_lshl_b64 s[6:7], s[2:3], 3
	ds_load_2addr_b64 v[10:13], v10 offset1:1
	ds_load_2addr_b64 v[18:21], v18 offset1:1
	s_waitcnt lgkmcnt(2)
	v_mul_f64 v[16:17], v[24:25], v[16:17]
	v_mul_f64 v[8:9], v[28:29], v[8:9]
	s_waitcnt vmcnt(0)
	v_fma_f64 v[6:7], v[6:7], s[4:5], -v[26:27]
	s_delay_alu instid0(VALU_DEP_3) | instskip(SKIP_1) | instid1(VALU_DEP_2)
	v_fma_f64 v[4:5], v[4:5], s[4:5], -v[16:17]
	s_waitcnt lgkmcnt(1)
	v_fma_f64 v[6:7], -v[8:9], v[12:13], v[6:7]
	s_delay_alu instid0(VALU_DEP_2) | instskip(NEXT) | instid1(VALU_DEP_2)
	v_fma_f64 v[4:5], -v[8:9], v[14:15], v[4:5]
	v_mul_f64 v[6:7], v[6:7], v[10:11]
	v_add_co_u32 v10, vcc_lo, v0, s6
	v_add_co_ci_u32_e32 v11, vcc_lo, s7, v1, vcc_lo
	s_waitcnt lgkmcnt(0)
	s_delay_alu instid0(VALU_DEP_3) | instskip(NEXT) | instid1(VALU_DEP_1)
	v_fma_f64 v[4:5], -v[6:7], v[20:21], v[4:5]
	v_mul_f64 v[4:5], v[4:5], v[18:19]
	s_clause 0x1
	global_store_b64 v[10:11], v[8:9], off offset:-16
	global_store_b128 v[10:11], v[4:7], off offset:-32
	s_cmp_lt_i32 s8, 0
	s_mov_b32 s3, 0
	s_cbranch_scc0 .LBB70_15
	s_branch .LBB70_27
.LBB70_14:
	s_mov_b32 s8, s12
	s_delay_alu instid0(SALU_CYCLE_1)
	s_cmp_lt_i32 s8, 0
	s_mov_b32 s3, 0
	s_cbranch_scc1 .LBB70_27
.LBB70_15:
	s_bitcmp1_b32 s8, 0
	s_cselect_b32 s6, -1, 0
	s_delay_alu instid0(SALU_CYCLE_1)
	s_and_b32 vcc_lo, exec_lo, s6
	s_mov_b32 s6, s8
	s_cbranch_vccnz .LBB70_20
; %bb.16:
	s_mov_b32 s9, 0
	s_delay_alu instid0(SALU_CYCLE_1)
	s_lshl_b64 s[6:7], s[8:9], 3
	s_cmp_le_i32 s12, s8
	v_add_co_u32 v4, vcc_lo, v0, s6
	v_add_co_ci_u32_e32 v5, vcc_lo, s7, v1, vcc_lo
	global_load_b64 v[6:7], v[4:5], off
	s_waitcnt vmcnt(0)
	v_mul_f64 v[6:7], v[6:7], s[4:5]
	s_cbranch_scc1 .LBB70_19
; %bb.17:
	s_lshl_b32 s6, s8, 5
	s_lshl_b32 s7, s2, 3
	s_ashr_i32 s13, s12, 31
	s_add_i32 s6, s6, s7
	s_lshl_b64 s[14:15], s[12:13], 3
	s_add_i32 s6, s6, -8
	s_add_u32 s7, s16, s14
	s_addc_u32 s9, s17, s15
	s_add_u32 s7, s7, s0
	s_addc_u32 s9, s9, s1
	v_add_co_u32 v8, vcc_lo, s7, v2
	v_add_co_ci_u32_e32 v9, vcc_lo, s9, v3, vcc_lo
	s_mov_b32 s7, s12
.LBB70_18:                              ; =>This Inner Loop Header: Depth=1
	global_load_b64 v[10:11], v[8:9], off
	v_mov_b32_e32 v12, s6
	v_add_co_u32 v8, vcc_lo, v8, -8
	v_add_co_ci_u32_e32 v9, vcc_lo, -1, v9, vcc_lo
	ds_load_b64 v[12:13], v12
	s_add_i32 s7, s7, -1
	s_add_i32 s6, s6, -8
	s_cmp_gt_i32 s7, s8
	s_waitcnt vmcnt(0) lgkmcnt(0)
	v_fma_f64 v[6:7], -v[10:11], v[12:13], v[6:7]
	s_cbranch_scc1 .LBB70_18
.LBB70_19:
	s_mul_i32 s6, s8, 40
	s_delay_alu instid0(SALU_CYCLE_1)
	v_mov_b32_e32 v8, s6
	s_add_i32 s6, s8, -1
	ds_load_b64 v[8:9], v8
	s_waitcnt lgkmcnt(0)
	v_mul_f64 v[6:7], v[6:7], v[8:9]
	global_store_b64 v[4:5], v[6:7], off
.LBB70_20:
	s_cmp_eq_u32 s8, 0
	s_mov_b32 s7, 0
	s_cbranch_scc1 .LBB70_27
; %bb.21:
	s_lshl_b32 s8, s6, 5
	s_lshl_b32 s9, s2, 3
	s_ashr_i32 s13, s12, 31
	s_add_i32 s9, s8, s9
	s_lshl_b64 s[14:15], s[12:13], 3
	s_add_i32 s8, s9, -8
	s_add_u32 s11, s16, s14
	s_addc_u32 s13, s17, s15
	s_add_u32 s0, s11, s0
	s_addc_u32 s1, s13, s1
	v_add_co_u32 v2, vcc_lo, s0, v2
	v_add_co_ci_u32_e32 v3, vcc_lo, s1, v3, vcc_lo
	s_sub_i32 s0, s9, 40
	s_branch .LBB70_23
.LBB70_22:                              ;   in Loop: Header=BB70_23 Depth=1
	s_sub_i32 s1, s1, 40
	s_sub_i32 s8, s8, 64
	v_mov_b32_e32 v8, s1
	s_add_i32 s1, s6, -2
	s_sub_i32 s0, s0, 64
	s_cmp_lt_i32 s6, 2
	s_mov_b32 s6, s1
	ds_load_b64 v[8:9], v8
	s_waitcnt lgkmcnt(0)
	v_mul_f64 v[6:7], v[6:7], v[8:9]
	global_store_b64 v[4:5], v[6:7], off offset:-8
	s_cbranch_scc1 .LBB70_27
.LBB70_23:                              ; =>This Loop Header: Depth=1
                                        ;     Child Loop BB70_24 Depth 2
                                        ;     Child Loop BB70_26 Depth 2
	s_lshl_b64 s[14:15], s[6:7], 3
	s_delay_alu instid0(VALU_DEP_1)
	v_dual_mov_b32 v7, v3 :: v_dual_mov_b32 v6, v2
	v_add_co_u32 v4, vcc_lo, v0, s14
	v_add_co_ci_u32_e32 v5, vcc_lo, s15, v1, vcc_lo
	s_cmp_le_i32 s12, s6
	s_mov_b32 s1, s8
	s_mov_b32 s9, s12
	global_load_b64 v[4:5], v[4:5], off
	s_waitcnt vmcnt(0)
	v_mul_f64 v[4:5], v[4:5], s[4:5]
	s_cbranch_scc1 .LBB70_25
.LBB70_24:                              ;   Parent Loop BB70_23 Depth=1
                                        ; =>  This Inner Loop Header: Depth=2
	global_load_b64 v[8:9], v[6:7], off
	v_mov_b32_e32 v10, s1
	v_add_co_u32 v6, vcc_lo, v6, -8
	v_add_co_ci_u32_e32 v7, vcc_lo, -1, v7, vcc_lo
	ds_load_b64 v[10:11], v10
	s_add_i32 s9, s9, -1
	s_add_i32 s1, s1, -8
	s_cmp_gt_i32 s9, s6
	s_waitcnt vmcnt(0) lgkmcnt(0)
	v_fma_f64 v[4:5], -v[8:9], v[10:11], v[4:5]
	s_cbranch_scc1 .LBB70_24
.LBB70_25:                              ;   in Loop: Header=BB70_23 Depth=1
	s_add_i32 s14, s6, -1
	s_mov_b32 s15, s7
	s_mul_i32 s1, s6, 40
	s_lshl_b64 s[14:15], s[14:15], 3
	v_mov_b32_e32 v8, s1
	v_add_co_u32 v6, vcc_lo, v0, s14
	v_add_co_ci_u32_e32 v7, vcc_lo, s15, v1, vcc_lo
	ds_load_b64 v[8:9], v8
	s_ashr_i32 s15, s6, 31
	s_mov_b32 s14, s6
	global_load_b64 v[6:7], v[6:7], off
	s_lshl_b64 s[14:15], s[14:15], 3
	s_cmp_lt_i32 s12, s6
	s_mov_b32 s9, s0
	s_mov_b32 s11, s2
	s_waitcnt lgkmcnt(0)
	v_mul_f64 v[10:11], v[4:5], v[8:9]
	v_add_co_u32 v4, vcc_lo, v0, s14
	v_add_co_ci_u32_e32 v5, vcc_lo, s15, v1, vcc_lo
	v_dual_mov_b32 v9, v3 :: v_dual_mov_b32 v8, v2
	global_store_b64 v[4:5], v[10:11], off
	s_waitcnt vmcnt(0)
	v_mul_f64 v[6:7], v[6:7], s[4:5]
	s_cbranch_scc1 .LBB70_22
.LBB70_26:                              ;   Parent Loop BB70_23 Depth=1
                                        ; =>  This Inner Loop Header: Depth=2
	global_load_b64 v[10:11], v[8:9], off
	v_mov_b32_e32 v12, s9
	v_add_co_u32 v8, vcc_lo, v8, -8
	v_add_co_ci_u32_e32 v9, vcc_lo, -1, v9, vcc_lo
	ds_load_b64 v[12:13], v12
	s_add_i32 s11, s11, -1
	s_add_i32 s9, s9, -8
	s_cmp_gt_i32 s11, s6
	s_waitcnt vmcnt(0) lgkmcnt(0)
	v_fma_f64 v[6:7], -v[10:11], v[12:13], v[6:7]
	s_cbranch_scc1 .LBB70_26
	s_branch .LBB70_22
.LBB70_27:
	s_and_b32 vcc_lo, exec_lo, s3
	s_cbranch_vccz .LBB70_36
; %bb.28:
	s_cmp_gt_i32 s10, 3
	s_cbranch_scc0 .LBB70_30
; %bb.29:
	s_clause 0x1
	global_load_b128 v[2:5], v[0:1], off
	global_load_b128 v[6:9], v[0:1], off offset:16
	v_mov_b32_e32 v22, 0
	s_mov_b32 s0, 4
	ds_load_b128 v[10:13], v22
	ds_load_b128 v[14:17], v22 offset:16
	s_waitcnt vmcnt(1)
	v_mul_f64 v[2:3], v[2:3], s[4:5]
	s_waitcnt lgkmcnt(1)
	s_delay_alu instid0(VALU_DEP_1) | instskip(NEXT) | instid1(VALU_DEP_1)
	v_mul_f64 v[2:3], v[2:3], v[10:11]
	v_mul_f64 v[10:11], v[2:3], v[12:13]
	s_waitcnt lgkmcnt(0)
	v_mul_f64 v[14:15], v[2:3], v[14:15]
	s_delay_alu instid0(VALU_DEP_2)
	v_fma_f64 v[4:5], v[4:5], s[4:5], -v[10:11]
	ds_load_2addr_b64 v[10:13], v22 offset0:5 offset1:6
	ds_load_b128 v[18:21], v22 offset:80
	s_waitcnt vmcnt(0)
	v_fma_f64 v[6:7], v[6:7], s[4:5], -v[14:15]
	s_waitcnt lgkmcnt(1)
	v_mul_f64 v[4:5], v[4:5], v[10:11]
	v_mul_f64 v[10:11], v[2:3], v[16:17]
	s_delay_alu instid0(VALU_DEP_2) | instskip(NEXT) | instid1(VALU_DEP_2)
	v_fma_f64 v[12:13], -v[4:5], v[12:13], v[6:7]
	v_fma_f64 v[14:15], v[8:9], s[4:5], -v[10:11]
	ds_load_2addr_b64 v[6:9], v22 offset0:7 offset1:15
	s_waitcnt lgkmcnt(1)
	v_mul_f64 v[10:11], v[12:13], v[18:19]
	s_waitcnt lgkmcnt(0)
	v_fma_f64 v[6:7], -v[4:5], v[6:7], v[14:15]
	s_delay_alu instid0(VALU_DEP_1) | instskip(NEXT) | instid1(VALU_DEP_1)
	v_fma_f64 v[6:7], -v[10:11], v[20:21], v[6:7]
	v_mul_f64 v[12:13], v[6:7], v[8:9]
	s_clause 0x1
	global_store_b128 v[0:1], v[2:5], off
	global_store_b128 v[0:1], v[10:13], off offset:16
	s_cmp_ge_i32 s0, s2
	s_cbranch_scc0 .LBB70_31
	s_branch .LBB70_36
.LBB70_30:
	s_mov_b32 s0, 0
	s_delay_alu instid0(SALU_CYCLE_1)
	s_cmp_ge_i32 s0, s2
	s_cbranch_scc1 .LBB70_36
.LBB70_31:
	s_lshl_b32 s3, s0, 3
	s_mov_b32 s1, 0
	s_set_inst_prefetch_distance 0x1
	s_branch .LBB70_33
	.p2align	6
.LBB70_32:                              ;   in Loop: Header=BB70_33 Depth=1
	s_mul_i32 s6, s0, 40
	s_add_i32 s0, s0, 1
	v_mov_b32_e32 v6, s6
	s_add_i32 s3, s3, 8
	s_cmp_ge_i32 s0, s2
	ds_load_b64 v[6:7], v6
	s_waitcnt lgkmcnt(0)
	v_mul_f64 v[4:5], v[4:5], v[6:7]
	global_store_b64 v[2:3], v[4:5], off
	s_cbranch_scc1 .LBB70_36
.LBB70_33:                              ; =>This Loop Header: Depth=1
                                        ;     Child Loop BB70_35 Depth 2
	s_lshl_b64 s[6:7], s[0:1], 3
	s_cmp_eq_u32 s0, 0
	v_add_co_u32 v2, vcc_lo, v0, s6
	v_add_co_ci_u32_e32 v3, vcc_lo, s7, v1, vcc_lo
	global_load_b64 v[4:5], v[2:3], off
	s_waitcnt vmcnt(0)
	v_mul_f64 v[4:5], v[4:5], s[4:5]
	s_cbranch_scc1 .LBB70_32
; %bb.34:                               ;   in Loop: Header=BB70_33 Depth=1
	v_dual_mov_b32 v7, v1 :: v_dual_mov_b32 v6, v0
	s_mov_b32 s6, 0
	s_mov_b32 s7, s3
.LBB70_35:                              ;   Parent Loop BB70_33 Depth=1
                                        ; =>  This Inner Loop Header: Depth=2
	global_load_b64 v[8:9], v[6:7], off
	v_mov_b32_e32 v10, s7
	v_add_co_u32 v6, vcc_lo, v6, 8
	v_add_co_ci_u32_e32 v7, vcc_lo, 0, v7, vcc_lo
	ds_load_b64 v[10:11], v10
	s_add_i32 s6, s6, 1
	s_add_i32 s7, s7, 32
	s_cmp_lt_u32 s6, s0
	s_waitcnt vmcnt(0) lgkmcnt(0)
	v_fma_f64 v[4:5], -v[8:9], v[10:11], v[4:5]
	s_cbranch_scc1 .LBB70_35
	s_branch .LBB70_32
.LBB70_36:
	s_set_inst_prefetch_distance 0x2
	s_nop 0
	s_sendmsg sendmsg(MSG_DEALLOC_VGPRS)
	s_endpgm
	.section	.rodata,"a",@progbits
	.p2align	6, 0x0
	.amdhsa_kernel _ZL30rocblas_trsm_small_left_deviceILi4ELi4ELb1EddPKPKdPKPdEv13rocblas_fill_18rocblas_operation_17rocblas_diagonal_iiT3_T4_lilT5_lili
		.amdhsa_group_segment_fixed_size 128
		.amdhsa_private_segment_fixed_size 0
		.amdhsa_kernarg_size 360
		.amdhsa_user_sgpr_count 14
		.amdhsa_user_sgpr_dispatch_ptr 0
		.amdhsa_user_sgpr_queue_ptr 0
		.amdhsa_user_sgpr_kernarg_segment_ptr 1
		.amdhsa_user_sgpr_dispatch_id 0
		.amdhsa_user_sgpr_private_segment_size 0
		.amdhsa_wavefront_size32 1
		.amdhsa_uses_dynamic_stack 0
		.amdhsa_enable_private_segment 0
		.amdhsa_system_sgpr_workgroup_id_x 1
		.amdhsa_system_sgpr_workgroup_id_y 0
		.amdhsa_system_sgpr_workgroup_id_z 1
		.amdhsa_system_sgpr_workgroup_info 0
		.amdhsa_system_vgpr_workitem_id 0
		.amdhsa_next_free_vgpr 30
		.amdhsa_next_free_sgpr 32
		.amdhsa_reserve_vcc 1
		.amdhsa_float_round_mode_32 0
		.amdhsa_float_round_mode_16_64 0
		.amdhsa_float_denorm_mode_32 3
		.amdhsa_float_denorm_mode_16_64 3
		.amdhsa_dx10_clamp 1
		.amdhsa_ieee_mode 1
		.amdhsa_fp16_overflow 0
		.amdhsa_workgroup_processor_mode 1
		.amdhsa_memory_ordered 1
		.amdhsa_forward_progress 0
		.amdhsa_shared_vgpr_count 0
		.amdhsa_exception_fp_ieee_invalid_op 0
		.amdhsa_exception_fp_denorm_src 0
		.amdhsa_exception_fp_ieee_div_zero 0
		.amdhsa_exception_fp_ieee_overflow 0
		.amdhsa_exception_fp_ieee_underflow 0
		.amdhsa_exception_fp_ieee_inexact 0
		.amdhsa_exception_int_div_zero 0
	.end_amdhsa_kernel
	.section	.text._ZL30rocblas_trsm_small_left_deviceILi4ELi4ELb1EddPKPKdPKPdEv13rocblas_fill_18rocblas_operation_17rocblas_diagonal_iiT3_T4_lilT5_lili,"axG",@progbits,_ZL30rocblas_trsm_small_left_deviceILi4ELi4ELb1EddPKPKdPKPdEv13rocblas_fill_18rocblas_operation_17rocblas_diagonal_iiT3_T4_lilT5_lili,comdat
.Lfunc_end70:
	.size	_ZL30rocblas_trsm_small_left_deviceILi4ELi4ELb1EddPKPKdPKPdEv13rocblas_fill_18rocblas_operation_17rocblas_diagonal_iiT3_T4_lilT5_lili, .Lfunc_end70-_ZL30rocblas_trsm_small_left_deviceILi4ELi4ELb1EddPKPKdPKPdEv13rocblas_fill_18rocblas_operation_17rocblas_diagonal_iiT3_T4_lilT5_lili
                                        ; -- End function
	.section	.AMDGPU.csdata,"",@progbits
; Kernel info:
; codeLenInByte = 2408
; NumSgprs: 34
; NumVgprs: 30
; ScratchSize: 0
; MemoryBound: 0
; FloatMode: 240
; IeeeMode: 1
; LDSByteSize: 128 bytes/workgroup (compile time only)
; SGPRBlocks: 4
; VGPRBlocks: 3
; NumSGPRsForWavesPerEU: 34
; NumVGPRsForWavesPerEU: 30
; Occupancy: 16
; WaveLimiterHint : 1
; COMPUTE_PGM_RSRC2:SCRATCH_EN: 0
; COMPUTE_PGM_RSRC2:USER_SGPR: 14
; COMPUTE_PGM_RSRC2:TRAP_HANDLER: 0
; COMPUTE_PGM_RSRC2:TGID_X_EN: 1
; COMPUTE_PGM_RSRC2:TGID_Y_EN: 0
; COMPUTE_PGM_RSRC2:TGID_Z_EN: 1
; COMPUTE_PGM_RSRC2:TIDIG_COMP_CNT: 0
	.section	.text._ZL31rocblas_trsm_small_right_deviceIddPKPKdPKPdLi4EEv13rocblas_fill_18rocblas_operation_17rocblas_diagonal_iiT0_T1_lilT2_lili,"axG",@progbits,_ZL31rocblas_trsm_small_right_deviceIddPKPKdPKPdLi4EEv13rocblas_fill_18rocblas_operation_17rocblas_diagonal_iiT0_T1_lilT2_lili,comdat
	.globl	_ZL31rocblas_trsm_small_right_deviceIddPKPKdPKPdLi4EEv13rocblas_fill_18rocblas_operation_17rocblas_diagonal_iiT0_T1_lilT2_lili ; -- Begin function _ZL31rocblas_trsm_small_right_deviceIddPKPKdPKPdLi4EEv13rocblas_fill_18rocblas_operation_17rocblas_diagonal_iiT0_T1_lilT2_lili
	.p2align	8
	.type	_ZL31rocblas_trsm_small_right_deviceIddPKPKdPKPdLi4EEv13rocblas_fill_18rocblas_operation_17rocblas_diagonal_iiT0_T1_lilT2_lili,@function
_ZL31rocblas_trsm_small_right_deviceIddPKPKdPKPdLi4EEv13rocblas_fill_18rocblas_operation_17rocblas_diagonal_iiT0_T1_lilT2_lili: ; @_ZL31rocblas_trsm_small_right_deviceIddPKPKdPKPdLi4EEv13rocblas_fill_18rocblas_operation_17rocblas_diagonal_iiT0_T1_lilT2_lili
; %bb.0:
	s_load_b128 s[16:19], s[0:1], 0x40
	s_mov_b32 s12, s15
	s_mov_b32 s13, 0
	s_clause 0x1
	s_load_b32 s28, s[0:1], 0x10
	s_load_b128 s[4:7], s[0:1], 0x0
	s_lshl_b64 s[22:23], s[12:13], 3
	s_mov_b32 s12, exec_lo
	s_waitcnt lgkmcnt(0)
	s_add_u32 s2, s16, s22
	s_addc_u32 s3, s17, s23
	s_clause 0x1
	s_load_b128 s[8:11], s[0:1], 0x18
	s_load_b64 s[16:17], s[0:1], 0x28
	s_load_b64 s[2:3], s[2:3], 0x0
	s_min_i32 s29, s28, 4
	s_delay_alu instid0(SALU_CYCLE_1)
	s_add_i32 s30, s29, -1
	v_cmpx_gt_i32_e64 s29, v0
	s_cbranch_execz .LBB71_9
; %bb.1:
	s_load_b32 s20, s[0:1], 0x30
	s_waitcnt lgkmcnt(0)
	s_ashr_i32 s21, s20, 31
	s_add_u32 s10, s10, s22
	s_addc_u32 s11, s11, s23
	s_cmp_lt_u32 s30, 3
	s_load_b64 s[10:11], s[10:11], 0x0
	s_cbranch_scc1 .LBB71_4
; %bb.2:
	v_lshlrev_b32_e32 v3, 3, v0
	s_lshl_b64 s[22:23], s[16:17], 3
	s_mul_i32 s31, s20, 24
	s_waitcnt lgkmcnt(0)
	s_add_u32 s13, s10, s22
	s_addc_u32 s15, s11, s23
	v_add_co_u32 v1, s13, s13, v3
	s_delay_alu instid0(VALU_DEP_1)
	v_add_co_ci_u32_e64 v2, null, s15, 0, s13
	s_and_b32 s13, s29, -4
	s_mul_hi_i32 s15, s20, 24
	s_lshl_b64 s[22:23], s[20:21], 5
	s_lshl_b64 s[24:25], s[20:21], 4
	;; [unrolled: 1-line block ×3, first 2 shown]
	s_mov_b32 s33, 0
	.p2align	6
.LBB71_3:                               ; =>This Inner Loop Header: Depth=1
	v_add_co_u32 v4, vcc_lo, v1, s26
	v_add_co_ci_u32_e32 v5, vcc_lo, s27, v2, vcc_lo
	v_add_co_u32 v6, vcc_lo, v1, s24
	v_add_co_ci_u32_e32 v7, vcc_lo, s25, v2, vcc_lo
	;; [unrolled: 2-line block ×3, first 2 shown]
	s_clause 0x3
	global_load_b64 v[10:11], v[1:2], off
	global_load_b64 v[4:5], v[4:5], off
	;; [unrolled: 1-line block ×4, first 2 shown]
	v_add_co_u32 v1, vcc_lo, v1, s22
	v_add_co_ci_u32_e32 v2, vcc_lo, s23, v2, vcc_lo
	s_add_i32 s33, s33, 4
	s_waitcnt vmcnt(2)
	ds_store_2addr_b64 v3, v[10:11], v[4:5] offset1:4
	s_waitcnt vmcnt(0)
	ds_store_2addr_b64 v3, v[6:7], v[8:9] offset0:8 offset1:12
	v_add_nc_u32_e32 v3, 0x80, v3
	s_cmp_eq_u32 s13, s33
	s_cbranch_scc0 .LBB71_3
.LBB71_4:
	s_and_b32 s15, s29, 3
	s_delay_alu instid0(SALU_CYCLE_1)
	s_cmp_eq_u32 s15, 0
	s_cbranch_scc1 .LBB71_7
; %bb.5:
	s_mul_i32 s22, s21, s13
	s_mul_hi_u32 s23, s20, s13
	v_lshlrev_b32_e32 v1, 3, v0
	s_add_i32 s23, s23, s22
	s_mul_i32 s22, s20, s13
	s_lshl_b64 s[16:17], s[16:17], 3
	s_lshl_b64 s[22:23], s[22:23], 3
	v_lshl_or_b32 v3, s13, 5, v1
	s_add_u32 s13, s22, s16
	s_addc_u32 s16, s23, s17
	s_waitcnt lgkmcnt(0)
	s_add_u32 s10, s10, s13
	s_addc_u32 s11, s11, s16
	v_add_co_u32 v1, s10, s10, v1
	s_delay_alu instid0(VALU_DEP_1)
	v_add_co_ci_u32_e64 v2, null, s11, 0, s10
	s_lshl_b64 s[10:11], s[20:21], 3
.LBB71_6:                               ; =>This Inner Loop Header: Depth=1
	global_load_b64 v[4:5], v[1:2], off
	v_add_co_u32 v1, vcc_lo, v1, s10
	v_add_co_ci_u32_e32 v2, vcc_lo, s11, v2, vcc_lo
	s_add_i32 s15, s15, -1
	s_delay_alu instid0(SALU_CYCLE_1)
	s_cmp_lg_u32 s15, 0
	s_waitcnt vmcnt(0)
	ds_store_b64 v3, v[4:5]
	v_add_nc_u32_e32 v3, 32, v3
	s_cbranch_scc1 .LBB71_6
.LBB71_7:
	s_cmpk_eq_i32 s6, 0x84
	s_cbranch_scc0 .LBB71_9
; %bb.8:
	v_mul_u32_u24_e32 v2, 5, v0
	v_mov_b32_e32 v1, 0
	s_delay_alu instid0(VALU_DEP_2)
	v_dual_mov_b32 v2, 0x3ff00000 :: v_dual_lshlrev_b32 v3, 3, v2
	ds_store_b64 v3, v[1:2]
.LBB71_9:
	s_or_b32 exec_lo, exec_lo, s12
	s_load_b32 s6, s[0:1], 0x68
	s_waitcnt lgkmcnt(0)
	s_lshl_b64 s[10:11], s[18:19], 3
	s_load_b32 s0, s[0:1], 0x50
	s_add_u32 s1, s2, s10
	s_addc_u32 s12, s3, s11
	s_lshl_b32 s13, s14, 2
	s_mov_b32 s22, 0
	s_sub_i32 s7, s7, s13
	s_add_i32 s6, s6, -1
	s_delay_alu instid0(SALU_CYCLE_1) | instskip(SKIP_4) | instid1(SALU_CYCLE_1)
	s_cmp_ge_u32 s14, s6
	s_cselect_b32 s13, s7, 4
	s_ashr_i32 s15, s14, 31
	v_cmp_gt_i32_e32 vcc_lo, s13, v0
	s_lshl_b64 s[6:7], s[14:15], 5
	s_add_u32 s18, s1, s6
	s_addc_u32 s19, s12, s7
	s_cmp_gt_i32 s28, 0
	s_cselect_b32 s1, -1, 0
	s_delay_alu instid0(SALU_CYCLE_1) | instskip(NEXT) | instid1(SALU_CYCLE_1)
	s_and_b32 s20, vcc_lo, s1
	s_and_saveexec_b32 s21, s20
	s_cbranch_execz .LBB71_16
; %bb.10:
	s_waitcnt lgkmcnt(0)
	s_ashr_i32 s1, s0, 31
	s_cmp_lt_u32 s28, 4
	s_cbranch_scc1 .LBB71_13
; %bb.11:
	v_lshlrev_b32_e32 v1, 3, v0
	v_lshl_or_b32 v3, v0, 3, 0x80
	s_and_b32 s22, s28, 0x7ffffffc
	s_mul_hi_i32 s23, s0, 24
	s_mul_i32 s24, s0, 24
	v_add_co_u32 v1, s12, s18, v1
	s_delay_alu instid0(VALU_DEP_1)
	v_add_co_ci_u32_e64 v2, null, s19, 0, s12
	s_lshl_b64 s[12:13], s[0:1], 5
	s_lshl_b64 s[14:15], s[0:1], 4
	;; [unrolled: 1-line block ×3, first 2 shown]
	s_mov_b32 s25, 0
	s_set_inst_prefetch_distance 0x1
	.p2align	6
.LBB71_12:                              ; =>This Inner Loop Header: Depth=1
	v_add_co_u32 v4, vcc_lo, v1, s16
	v_add_co_ci_u32_e32 v5, vcc_lo, s17, v2, vcc_lo
	v_add_co_u32 v6, vcc_lo, v1, s14
	v_add_co_ci_u32_e32 v7, vcc_lo, s15, v2, vcc_lo
	;; [unrolled: 2-line block ×3, first 2 shown]
	s_clause 0x3
	global_load_b64 v[10:11], v[1:2], off
	global_load_b64 v[4:5], v[4:5], off
	;; [unrolled: 1-line block ×4, first 2 shown]
	v_add_co_u32 v1, vcc_lo, v1, s12
	v_add_co_ci_u32_e32 v2, vcc_lo, s13, v2, vcc_lo
	s_add_i32 s25, s25, 4
	s_delay_alu instid0(SALU_CYCLE_1)
	s_cmp_lg_u32 s22, s25
	s_waitcnt vmcnt(3)
	v_mul_f64 v[10:11], v[10:11], s[8:9]
	s_waitcnt vmcnt(2)
	v_mul_f64 v[4:5], v[4:5], s[8:9]
	;; [unrolled: 2-line block ×4, first 2 shown]
	ds_store_2addr_b64 v3, v[10:11], v[4:5] offset1:4
	ds_store_2addr_b64 v3, v[6:7], v[8:9] offset0:8 offset1:12
	v_add_nc_u32_e32 v3, 0x80, v3
	s_cbranch_scc1 .LBB71_12
.LBB71_13:
	s_set_inst_prefetch_distance 0x2
	s_and_b32 s14, s28, 3
	s_delay_alu instid0(SALU_CYCLE_1)
	s_cmp_eq_u32 s14, 0
	s_cbranch_scc1 .LBB71_16
; %bb.14:
	s_mul_hi_i32 s13, s0, s22
	s_mul_i32 s12, s0, s22
	v_lshlrev_b32_e32 v1, 3, v0
	s_lshl_b64 s[12:13], s[12:13], 3
	s_delay_alu instid0(SALU_CYCLE_1)
	s_add_u32 s12, s12, s6
	s_addc_u32 s13, s13, s7
	s_add_u32 s12, s12, s10
	v_lshl_or_b32 v2, s22, 5, v1
	s_addc_u32 s13, s13, s11
	s_add_u32 s12, s2, s12
	s_addc_u32 s13, s3, s13
	v_add_co_u32 v1, s12, s12, v1
	v_add_nc_u32_e32 v3, 0x80, v2
	v_add_co_ci_u32_e64 v2, null, s13, 0, s12
	s_lshl_b64 s[12:13], s[0:1], 3
.LBB71_15:                              ; =>This Inner Loop Header: Depth=1
	global_load_b64 v[4:5], v[1:2], off
	v_add_co_u32 v1, vcc_lo, v1, s12
	v_add_co_ci_u32_e32 v2, vcc_lo, s13, v2, vcc_lo
	s_add_i32 s14, s14, -1
	s_delay_alu instid0(SALU_CYCLE_1)
	s_cmp_lg_u32 s14, 0
	s_waitcnt vmcnt(0)
	v_mul_f64 v[4:5], v[4:5], s[8:9]
	ds_store_b64 v3, v[4:5]
	v_add_nc_u32_e32 v3, 32, v3
	s_cbranch_scc1 .LBB71_15
.LBB71_16:
	s_or_b32 exec_lo, exec_lo, s21
	s_cmpk_eq_i32 s5, 0x6f
	s_waitcnt lgkmcnt(0)
	s_cselect_b32 s1, -1, 0
	s_cmpk_eq_i32 s4, 0x79
	; wave barrier
	buffer_gl0_inv
	s_cselect_b32 s8, -1, 0
	s_cmpk_lg_i32 s4, 0x79
	s_cselect_b32 s5, -1, 0
	s_and_b32 s8, s8, s1
	s_delay_alu instid0(SALU_CYCLE_1)
	s_and_not1_b32 vcc_lo, exec_lo, s8
	s_mov_b32 s8, -1
	s_cbranch_vccz .LBB71_62
; %bb.17:
	s_cmpk_lg_i32 s4, 0x7a
	s_cselect_b32 s4, -1, 0
	s_xor_b32 s1, s1, -1
	s_delay_alu instid0(SALU_CYCLE_1)
	s_or_b32 s4, s4, s1
	s_cmp_gt_i32 s28, 3
	s_cselect_b32 s1, -1, 0
	s_and_b32 vcc_lo, exec_lo, s4
	s_mov_b32 s4, -1
	s_cbranch_vccz .LBB71_45
; %bb.18:
	s_and_not1_b32 vcc_lo, exec_lo, s5
	s_cbranch_vccnz .LBB71_28
; %bb.19:
	s_and_b32 vcc_lo, exec_lo, s1
	s_mov_b32 s4, 0
	s_cbranch_vccz .LBB71_21
; %bb.20:
	v_dual_mov_b32 v26, 0 :: v_dual_lshlrev_b32 v25, 3, v0
	s_mov_b32 s4, 4
	ds_load_2addr_b64 v[1:4], v25 offset0:16 offset1:20
	ds_load_b128 v[5:8], v26
	ds_load_b128 v[9:12], v26 offset:16
	s_waitcnt lgkmcnt(1)
	v_div_scale_f64 v[13:14], null, v[5:6], v[5:6], v[1:2]
	v_div_scale_f64 v[19:20], vcc_lo, v[1:2], v[5:6], v[1:2]
	s_delay_alu instid0(VALU_DEP_2) | instskip(SKIP_2) | instid1(VALU_DEP_1)
	v_rcp_f64_e32 v[15:16], v[13:14]
	s_waitcnt_depctr 0xfff
	v_fma_f64 v[17:18], -v[13:14], v[15:16], 1.0
	v_fma_f64 v[15:16], v[15:16], v[17:18], v[15:16]
	s_delay_alu instid0(VALU_DEP_1) | instskip(NEXT) | instid1(VALU_DEP_1)
	v_fma_f64 v[17:18], -v[13:14], v[15:16], 1.0
	v_fma_f64 v[15:16], v[15:16], v[17:18], v[15:16]
	s_delay_alu instid0(VALU_DEP_1) | instskip(NEXT) | instid1(VALU_DEP_1)
	v_mul_f64 v[17:18], v[19:20], v[15:16]
	v_fma_f64 v[13:14], -v[13:14], v[17:18], v[19:20]
	s_delay_alu instid0(VALU_DEP_1) | instskip(NEXT) | instid1(VALU_DEP_1)
	v_div_fmas_f64 v[13:14], v[13:14], v[15:16], v[17:18]
	v_div_fixup_f64 v[17:18], v[13:14], v[5:6], v[1:2]
	s_delay_alu instid0(VALU_DEP_1)
	v_fma_f64 v[19:20], -v[17:18], v[7:8], v[3:4]
	ds_load_2addr_b64 v[1:4], v26 offset0:5 offset1:6
	ds_load_b128 v[5:8], v26 offset:80
	s_waitcnt lgkmcnt(1)
	v_div_scale_f64 v[13:14], null, v[1:2], v[1:2], v[19:20]
	v_div_scale_f64 v[23:24], vcc_lo, v[19:20], v[1:2], v[19:20]
	s_delay_alu instid0(VALU_DEP_2) | instskip(SKIP_2) | instid1(VALU_DEP_1)
	v_rcp_f64_e32 v[15:16], v[13:14]
	s_waitcnt_depctr 0xfff
	v_fma_f64 v[21:22], -v[13:14], v[15:16], 1.0
	v_fma_f64 v[15:16], v[15:16], v[21:22], v[15:16]
	s_delay_alu instid0(VALU_DEP_1) | instskip(NEXT) | instid1(VALU_DEP_1)
	v_fma_f64 v[21:22], -v[13:14], v[15:16], 1.0
	v_fma_f64 v[15:16], v[15:16], v[21:22], v[15:16]
	s_delay_alu instid0(VALU_DEP_1) | instskip(NEXT) | instid1(VALU_DEP_1)
	v_mul_f64 v[21:22], v[23:24], v[15:16]
	v_fma_f64 v[13:14], -v[13:14], v[21:22], v[23:24]
	s_delay_alu instid0(VALU_DEP_1)
	v_div_fmas_f64 v[21:22], v[13:14], v[15:16], v[21:22]
	ds_load_2addr_b64 v[13:16], v25 offset0:24 offset1:28
	s_waitcnt lgkmcnt(0)
	v_fma_f64 v[9:10], -v[17:18], v[9:10], v[13:14]
	v_fma_f64 v[11:12], -v[17:18], v[11:12], v[15:16]
	v_div_fixup_f64 v[13:14], v[21:22], v[1:2], v[19:20]
	s_delay_alu instid0(VALU_DEP_1) | instskip(SKIP_3) | instid1(VALU_DEP_2)
	v_fma_f64 v[9:10], -v[13:14], v[3:4], v[9:10]
	ds_store_2addr_b64 v25, v[17:18], v[13:14] offset0:16 offset1:20
	v_div_scale_f64 v[1:2], null, v[5:6], v[5:6], v[9:10]
	v_div_scale_f64 v[21:22], vcc_lo, v[9:10], v[5:6], v[9:10]
	v_rcp_f64_e32 v[3:4], v[1:2]
	s_waitcnt_depctr 0xfff
	v_fma_f64 v[19:20], -v[1:2], v[3:4], 1.0
	s_delay_alu instid0(VALU_DEP_1) | instskip(NEXT) | instid1(VALU_DEP_1)
	v_fma_f64 v[3:4], v[3:4], v[19:20], v[3:4]
	v_fma_f64 v[19:20], -v[1:2], v[3:4], 1.0
	s_delay_alu instid0(VALU_DEP_1) | instskip(NEXT) | instid1(VALU_DEP_1)
	v_fma_f64 v[3:4], v[3:4], v[19:20], v[3:4]
	v_mul_f64 v[19:20], v[21:22], v[3:4]
	s_delay_alu instid0(VALU_DEP_1) | instskip(NEXT) | instid1(VALU_DEP_1)
	v_fma_f64 v[1:2], -v[1:2], v[19:20], v[21:22]
	v_div_fmas_f64 v[15:16], v[1:2], v[3:4], v[19:20]
	ds_load_2addr_b64 v[1:4], v26 offset0:7 offset1:15
	s_waitcnt lgkmcnt(0)
	v_fma_f64 v[1:2], -v[13:14], v[1:2], v[11:12]
	v_div_fixup_f64 v[5:6], v[15:16], v[5:6], v[9:10]
	s_delay_alu instid0(VALU_DEP_1) | instskip(NEXT) | instid1(VALU_DEP_1)
	v_fma_f64 v[1:2], -v[5:6], v[7:8], v[1:2]
	v_div_scale_f64 v[7:8], null, v[3:4], v[3:4], v[1:2]
	s_delay_alu instid0(VALU_DEP_1) | instskip(SKIP_2) | instid1(VALU_DEP_1)
	v_rcp_f64_e32 v[9:10], v[7:8]
	s_waitcnt_depctr 0xfff
	v_fma_f64 v[11:12], -v[7:8], v[9:10], 1.0
	v_fma_f64 v[9:10], v[9:10], v[11:12], v[9:10]
	s_delay_alu instid0(VALU_DEP_1) | instskip(NEXT) | instid1(VALU_DEP_1)
	v_fma_f64 v[11:12], -v[7:8], v[9:10], 1.0
	v_fma_f64 v[9:10], v[9:10], v[11:12], v[9:10]
	v_div_scale_f64 v[11:12], vcc_lo, v[1:2], v[3:4], v[1:2]
	s_delay_alu instid0(VALU_DEP_1) | instskip(NEXT) | instid1(VALU_DEP_1)
	v_mul_f64 v[15:16], v[11:12], v[9:10]
	v_fma_f64 v[7:8], -v[7:8], v[15:16], v[11:12]
	s_delay_alu instid0(VALU_DEP_1) | instskip(NEXT) | instid1(VALU_DEP_1)
	v_div_fmas_f64 v[7:8], v[7:8], v[9:10], v[15:16]
	v_div_fixup_f64 v[1:2], v[7:8], v[3:4], v[1:2]
	ds_store_2addr_b64 v25, v[5:6], v[1:2] offset0:24 offset1:28
.LBB71_21:
	s_cmp_ge_i32 s4, s29
	s_cbranch_scc1 .LBB71_27
; %bb.22:
	v_lshl_or_b32 v3, v0, 3, 0x80
	v_lshlrev_b32_e32 v4, 3, v0
	s_lshl_b32 s5, s4, 3
	s_branch .LBB71_24
.LBB71_23:                              ;   in Loop: Header=BB71_24 Depth=1
	s_mul_i32 s8, s4, 40
	s_delay_alu instid0(SALU_CYCLE_1)
	v_dual_mov_b32 v6, s8 :: v_dual_add_nc_u32 v5, 0x80, v5
	s_add_i32 s4, s4, 1
	s_add_i32 s5, s5, 8
	s_cmp_ge_i32 s4, s29
	ds_load_b64 v[6:7], v6
	s_waitcnt lgkmcnt(0)
	v_div_scale_f64 v[8:9], null, v[6:7], v[6:7], v[1:2]
	s_delay_alu instid0(VALU_DEP_1) | instskip(SKIP_2) | instid1(VALU_DEP_1)
	v_rcp_f64_e32 v[10:11], v[8:9]
	s_waitcnt_depctr 0xfff
	v_fma_f64 v[12:13], -v[8:9], v[10:11], 1.0
	v_fma_f64 v[10:11], v[10:11], v[12:13], v[10:11]
	s_delay_alu instid0(VALU_DEP_1) | instskip(NEXT) | instid1(VALU_DEP_1)
	v_fma_f64 v[12:13], -v[8:9], v[10:11], 1.0
	v_fma_f64 v[10:11], v[10:11], v[12:13], v[10:11]
	v_div_scale_f64 v[12:13], vcc_lo, v[1:2], v[6:7], v[1:2]
	s_delay_alu instid0(VALU_DEP_1) | instskip(NEXT) | instid1(VALU_DEP_1)
	v_mul_f64 v[14:15], v[12:13], v[10:11]
	v_fma_f64 v[8:9], -v[8:9], v[14:15], v[12:13]
	s_delay_alu instid0(VALU_DEP_1) | instskip(NEXT) | instid1(VALU_DEP_1)
	v_div_fmas_f64 v[8:9], v[8:9], v[10:11], v[14:15]
	v_div_fixup_f64 v[1:2], v[8:9], v[6:7], v[1:2]
	ds_store_b64 v5, v[1:2]
	s_cbranch_scc1 .LBB71_27
.LBB71_24:                              ; =>This Loop Header: Depth=1
                                        ;     Child Loop BB71_26 Depth 2
	s_delay_alu instid0(VALU_DEP_1)
	v_lshl_or_b32 v5, s4, 5, v4
	s_cmp_eq_u32 s4, 0
	ds_load_b64 v[1:2], v5 offset:128
	s_cbranch_scc1 .LBB71_23
; %bb.25:                               ;   in Loop: Header=BB71_24 Depth=1
	v_mov_b32_e32 v6, v3
	s_mov_b32 s8, 0
	s_mov_b32 s9, s5
.LBB71_26:                              ;   Parent Loop BB71_24 Depth=1
                                        ; =>  This Inner Loop Header: Depth=2
	s_delay_alu instid0(SALU_CYCLE_1)
	v_mov_b32_e32 v9, s9
	s_add_i32 s8, s8, 1
	s_add_i32 s9, s9, 32
	s_cmp_ge_u32 s8, s4
	ds_load_b64 v[7:8], v6
	ds_load_b64 v[9:10], v9
	v_add_nc_u32_e32 v6, 32, v6
	s_waitcnt lgkmcnt(0)
	v_fma_f64 v[1:2], -v[7:8], v[9:10], v[1:2]
	s_cbranch_scc0 .LBB71_26
	s_branch .LBB71_23
.LBB71_27:
	s_mov_b32 s4, 0
.LBB71_28:
	s_delay_alu instid0(SALU_CYCLE_1)
	s_and_b32 vcc_lo, exec_lo, s4
	s_cbranch_vccz .LBB71_44
; %bb.29:
	s_and_b32 vcc_lo, exec_lo, s1
	s_mov_b32 s5, s30
	s_cbranch_vccz .LBB71_31
; %bb.30:
	s_lshl_b32 s4, s30, 2
	s_add_i32 s5, s29, -2
	v_or_b32_e32 v1, s4, v0
	s_add_i32 s8, s4, s5
	s_mul_i32 s9, s30, 40
	s_lshl_b32 s5, s5, 2
	s_lshl_b32 s8, s8, 3
	v_or_b32_e32 v8, s5, v0
	s_sub_i32 s12, s9, 40
	s_delay_alu instid0(SALU_CYCLE_1) | instskip(NEXT) | instid1(VALU_DEP_2)
	v_dual_mov_b32 v10, s12 :: v_dual_lshlrev_b32 v27, 3, v1
	v_dual_mov_b32 v1, s8 :: v_dual_lshlrev_b32 v28, 3, v8
	ds_load_b64 v[5:6], v27 offset:128
	ds_load_2addr_b64 v[1:4], v1 offset1:1
	s_lshl_b32 s8, s29, 2
	v_lshlrev_b32_e32 v7, 3, v0
	s_add_i32 s8, s8, -12
	s_add_i32 s13, s29, -4
	v_or_b32_e32 v9, s8, v0
	s_add_i32 s4, s4, s13
	v_lshl_or_b32 v30, s13, 5, v7
	s_lshl_b32 s4, s4, 3
	s_add_i32 s5, s5, s13
	v_lshlrev_b32_e32 v29, 3, v9
	ds_load_b64 v[9:10], v10
	ds_load_b64 v[7:8], v28 offset:128
	ds_load_b64 v[11:12], v29 offset:128
	;; [unrolled: 1-line block ×3, first 2 shown]
	s_add_i32 s8, s8, s13
	s_waitcnt lgkmcnt(4)
	v_div_scale_f64 v[15:16], null, v[3:4], v[3:4], v[5:6]
	v_div_scale_f64 v[21:22], vcc_lo, v[5:6], v[3:4], v[5:6]
	s_delay_alu instid0(VALU_DEP_2) | instskip(SKIP_2) | instid1(VALU_DEP_1)
	v_rcp_f64_e32 v[17:18], v[15:16]
	s_waitcnt_depctr 0xfff
	v_fma_f64 v[19:20], -v[15:16], v[17:18], 1.0
	v_fma_f64 v[17:18], v[17:18], v[19:20], v[17:18]
	s_delay_alu instid0(VALU_DEP_1) | instskip(NEXT) | instid1(VALU_DEP_1)
	v_fma_f64 v[19:20], -v[15:16], v[17:18], 1.0
	v_fma_f64 v[17:18], v[17:18], v[19:20], v[17:18]
	s_delay_alu instid0(VALU_DEP_1) | instskip(NEXT) | instid1(VALU_DEP_1)
	v_mul_f64 v[19:20], v[21:22], v[17:18]
	v_fma_f64 v[15:16], -v[15:16], v[19:20], v[21:22]
	s_delay_alu instid0(VALU_DEP_1) | instskip(NEXT) | instid1(VALU_DEP_1)
	v_div_fmas_f64 v[15:16], v[15:16], v[17:18], v[19:20]
	v_div_fixup_f64 v[15:16], v[15:16], v[3:4], v[5:6]
	s_waitcnt lgkmcnt(2)
	s_delay_alu instid0(VALU_DEP_1) | instskip(NEXT) | instid1(VALU_DEP_1)
	v_fma_f64 v[17:18], -v[15:16], v[1:2], v[7:8]
	v_div_scale_f64 v[1:2], null, v[9:10], v[9:10], v[17:18]
	v_div_scale_f64 v[7:8], vcc_lo, v[17:18], v[9:10], v[17:18]
	s_delay_alu instid0(VALU_DEP_2) | instskip(SKIP_2) | instid1(VALU_DEP_1)
	v_rcp_f64_e32 v[3:4], v[1:2]
	s_waitcnt_depctr 0xfff
	v_fma_f64 v[5:6], -v[1:2], v[3:4], 1.0
	v_fma_f64 v[3:4], v[3:4], v[5:6], v[3:4]
	s_delay_alu instid0(VALU_DEP_1) | instskip(NEXT) | instid1(VALU_DEP_1)
	v_fma_f64 v[5:6], -v[1:2], v[3:4], 1.0
	v_fma_f64 v[3:4], v[3:4], v[5:6], v[3:4]
	s_delay_alu instid0(VALU_DEP_1) | instskip(NEXT) | instid1(VALU_DEP_1)
	v_mul_f64 v[5:6], v[7:8], v[3:4]
	v_fma_f64 v[1:2], -v[1:2], v[5:6], v[7:8]
	s_delay_alu instid0(VALU_DEP_1)
	v_div_fmas_f64 v[19:20], v[1:2], v[3:4], v[5:6]
	v_mov_b32_e32 v1, s4
	s_lshl_b32 s4, s5, 3
	s_add_i32 s5, s29, -5
	v_mov_b32_e32 v5, s4
	s_lshl_b32 s4, s8, 3
	ds_load_2addr_b64 v[1:4], v1 offset1:1
	ds_load_2addr_b64 v[5:8], v5 offset1:1
	s_waitcnt lgkmcnt(1)
	v_fma_f64 v[3:4], -v[15:16], v[3:4], v[11:12]
	v_fma_f64 v[1:2], -v[15:16], v[1:2], v[13:14]
	v_div_fixup_f64 v[11:12], v[19:20], v[9:10], v[17:18]
	s_waitcnt lgkmcnt(0)
	s_delay_alu instid0(VALU_DEP_1) | instskip(SKIP_2) | instid1(VALU_DEP_4)
	v_fma_f64 v[3:4], -v[11:12], v[7:8], v[3:4]
	v_mov_b32_e32 v7, s4
	s_add_i32 s4, s9, 0xffffff88
	v_fma_f64 v[1:2], -v[11:12], v[5:6], v[1:2]
	v_mov_b32_e32 v17, s4
	ds_load_2addr_b64 v[7:10], v7 offset1:1
	ds_load_b64 v[17:18], v17
	s_waitcnt lgkmcnt(1)
	v_div_scale_f64 v[19:20], null, v[9:10], v[9:10], v[3:4]
	v_div_scale_f64 v[25:26], vcc_lo, v[3:4], v[9:10], v[3:4]
	s_delay_alu instid0(VALU_DEP_2) | instskip(SKIP_2) | instid1(VALU_DEP_1)
	v_rcp_f64_e32 v[21:22], v[19:20]
	s_waitcnt_depctr 0xfff
	v_fma_f64 v[23:24], -v[19:20], v[21:22], 1.0
	v_fma_f64 v[21:22], v[21:22], v[23:24], v[21:22]
	s_delay_alu instid0(VALU_DEP_1) | instskip(NEXT) | instid1(VALU_DEP_1)
	v_fma_f64 v[23:24], -v[19:20], v[21:22], 1.0
	v_fma_f64 v[21:22], v[21:22], v[23:24], v[21:22]
	s_delay_alu instid0(VALU_DEP_1) | instskip(NEXT) | instid1(VALU_DEP_1)
	v_mul_f64 v[23:24], v[25:26], v[21:22]
	v_fma_f64 v[19:20], -v[19:20], v[23:24], v[25:26]
	s_delay_alu instid0(VALU_DEP_1) | instskip(NEXT) | instid1(VALU_DEP_1)
	v_div_fmas_f64 v[13:14], v[19:20], v[21:22], v[23:24]
	v_div_fixup_f64 v[3:4], v[13:14], v[9:10], v[3:4]
	s_delay_alu instid0(VALU_DEP_1) | instskip(SKIP_1) | instid1(VALU_DEP_1)
	v_fma_f64 v[1:2], -v[3:4], v[7:8], v[1:2]
	s_waitcnt lgkmcnt(0)
	v_div_scale_f64 v[5:6], null, v[17:18], v[17:18], v[1:2]
	s_delay_alu instid0(VALU_DEP_1) | instskip(SKIP_2) | instid1(VALU_DEP_1)
	v_rcp_f64_e32 v[7:8], v[5:6]
	s_waitcnt_depctr 0xfff
	v_fma_f64 v[9:10], -v[5:6], v[7:8], 1.0
	v_fma_f64 v[7:8], v[7:8], v[9:10], v[7:8]
	s_delay_alu instid0(VALU_DEP_1) | instskip(NEXT) | instid1(VALU_DEP_1)
	v_fma_f64 v[9:10], -v[5:6], v[7:8], 1.0
	v_fma_f64 v[7:8], v[7:8], v[9:10], v[7:8]
	v_div_scale_f64 v[9:10], vcc_lo, v[1:2], v[17:18], v[1:2]
	s_delay_alu instid0(VALU_DEP_1) | instskip(NEXT) | instid1(VALU_DEP_1)
	v_mul_f64 v[13:14], v[9:10], v[7:8]
	v_fma_f64 v[5:6], -v[5:6], v[13:14], v[9:10]
	s_delay_alu instid0(VALU_DEP_1) | instskip(NEXT) | instid1(VALU_DEP_1)
	v_div_fmas_f64 v[5:6], v[5:6], v[7:8], v[13:14]
	v_div_fixup_f64 v[1:2], v[5:6], v[17:18], v[1:2]
	ds_store_b64 v27, v[15:16] offset:128
	ds_store_b64 v28, v[11:12] offset:128
	;; [unrolled: 1-line block ×4, first 2 shown]
.LBB71_31:
	s_cmp_lt_i32 s5, 0
	s_cbranch_scc1 .LBB71_44
; %bb.32:
	s_bitcmp1_b32 s5, 0
	s_cselect_b32 s4, -1, 0
	s_delay_alu instid0(SALU_CYCLE_1)
	s_and_b32 vcc_lo, exec_lo, s4
	s_mov_b32 s4, s5
	s_cbranch_vccnz .LBB71_37
; %bb.33:
	v_lshlrev_b32_e32 v1, 3, v0
	s_cmp_le_i32 s30, s5
	s_delay_alu instid0(VALU_DEP_1)
	v_lshl_or_b32 v3, s5, 5, v1
	ds_load_b64 v[1:2], v3 offset:128
	s_cbranch_scc1 .LBB71_36
; %bb.34:
	s_lshl_b32 s4, s29, 5
	s_lshl_b32 s8, s5, 3
	v_lshl_or_b32 v4, v0, 3, s4
	s_add_i32 s4, s4, s8
	s_mov_b32 s8, s30
	s_sub_i32 s4, s4, 32
	s_delay_alu instid0(VALU_DEP_1)
	v_add_nc_u32_e32 v4, 0x60, v4
.LBB71_35:                              ; =>This Inner Loop Header: Depth=1
	v_mov_b32_e32 v7, s4
	s_add_i32 s8, s8, -1
	s_sub_i32 s4, s4, 32
	s_cmp_gt_i32 s8, s5
	ds_load_b64 v[5:6], v4
	ds_load_b64 v[7:8], v7
	v_subrev_nc_u32_e32 v4, 32, v4
	s_waitcnt lgkmcnt(0)
	v_fma_f64 v[1:2], -v[5:6], v[7:8], v[1:2]
	s_cbranch_scc1 .LBB71_35
.LBB71_36:
	s_mul_i32 s4, s5, 40
	s_delay_alu instid0(SALU_CYCLE_1) | instskip(SKIP_4) | instid1(VALU_DEP_1)
	v_dual_mov_b32 v4, s4 :: v_dual_add_nc_u32 v3, 0x80, v3
	s_add_i32 s4, s5, -1
	ds_load_b64 v[4:5], v4
	s_waitcnt lgkmcnt(0)
	v_div_scale_f64 v[6:7], null, v[4:5], v[4:5], v[1:2]
	v_rcp_f64_e32 v[8:9], v[6:7]
	s_waitcnt_depctr 0xfff
	v_fma_f64 v[10:11], -v[6:7], v[8:9], 1.0
	s_delay_alu instid0(VALU_DEP_1) | instskip(NEXT) | instid1(VALU_DEP_1)
	v_fma_f64 v[8:9], v[8:9], v[10:11], v[8:9]
	v_fma_f64 v[10:11], -v[6:7], v[8:9], 1.0
	s_delay_alu instid0(VALU_DEP_1) | instskip(SKIP_1) | instid1(VALU_DEP_1)
	v_fma_f64 v[8:9], v[8:9], v[10:11], v[8:9]
	v_div_scale_f64 v[10:11], vcc_lo, v[1:2], v[4:5], v[1:2]
	v_mul_f64 v[12:13], v[10:11], v[8:9]
	s_delay_alu instid0(VALU_DEP_1) | instskip(NEXT) | instid1(VALU_DEP_1)
	v_fma_f64 v[6:7], -v[6:7], v[12:13], v[10:11]
	v_div_fmas_f64 v[6:7], v[6:7], v[8:9], v[12:13]
	s_delay_alu instid0(VALU_DEP_1)
	v_div_fixup_f64 v[1:2], v[6:7], v[4:5], v[1:2]
	ds_store_b64 v3, v[1:2]
.LBB71_37:
	s_cmp_eq_u32 s5, 0
	s_cbranch_scc1 .LBB71_44
; %bb.38:
	s_lshl_b32 s5, s29, 5
	s_lshl_b32 s8, s4, 3
	v_lshl_or_b32 v1, v0, 3, s5
	v_lshlrev_b32_e32 v6, 3, v0
	s_add_i32 s8, s5, s8
	s_delay_alu instid0(SALU_CYCLE_1) | instskip(NEXT) | instid1(VALU_DEP_2)
	s_sub_i32 s5, s8, 32
	v_add_nc_u32_e32 v5, 0x60, v1
	s_sub_i32 s8, s8, 40
	s_branch .LBB71_40
.LBB71_39:                              ;   in Loop: Header=BB71_40 Depth=1
	s_sub_i32 s9, s9, 40
	s_delay_alu instid0(SALU_CYCLE_1)
	v_dual_mov_b32 v2, s9 :: v_dual_add_nc_u32 v1, 0x80, v7
	s_add_i32 s9, s4, -2
	s_add_i32 s5, s5, -16
	;; [unrolled: 1-line block ×3, first 2 shown]
	s_cmp_lt_i32 s4, 2
	ds_load_b64 v[7:8], v2
	s_mov_b32 s4, s9
	s_waitcnt lgkmcnt(0)
	v_div_scale_f64 v[9:10], null, v[7:8], v[7:8], v[3:4]
	s_delay_alu instid0(VALU_DEP_1) | instskip(SKIP_2) | instid1(VALU_DEP_1)
	v_rcp_f64_e32 v[11:12], v[9:10]
	s_waitcnt_depctr 0xfff
	v_fma_f64 v[13:14], -v[9:10], v[11:12], 1.0
	v_fma_f64 v[11:12], v[11:12], v[13:14], v[11:12]
	s_delay_alu instid0(VALU_DEP_1) | instskip(NEXT) | instid1(VALU_DEP_1)
	v_fma_f64 v[13:14], -v[9:10], v[11:12], 1.0
	v_fma_f64 v[11:12], v[11:12], v[13:14], v[11:12]
	v_div_scale_f64 v[13:14], vcc_lo, v[3:4], v[7:8], v[3:4]
	s_delay_alu instid0(VALU_DEP_1) | instskip(NEXT) | instid1(VALU_DEP_1)
	v_mul_f64 v[15:16], v[13:14], v[11:12]
	v_fma_f64 v[9:10], -v[9:10], v[15:16], v[13:14]
	s_delay_alu instid0(VALU_DEP_1) | instskip(NEXT) | instid1(VALU_DEP_1)
	v_div_fmas_f64 v[9:10], v[9:10], v[11:12], v[15:16]
	v_div_fixup_f64 v[2:3], v[9:10], v[7:8], v[3:4]
	ds_store_b64 v1, v[2:3]
	s_cbranch_scc1 .LBB71_44
.LBB71_40:                              ; =>This Loop Header: Depth=1
                                        ;     Child Loop BB71_41 Depth 2
                                        ;     Child Loop BB71_43 Depth 2
	v_lshl_or_b32 v3, s4, 5, v6
	s_delay_alu instid0(VALU_DEP_2)
	v_mov_b32_e32 v4, v5
	s_cmp_le_i32 s30, s4
	s_mov_b32 s9, s5
	s_mov_b32 s12, s30
	ds_load_b64 v[1:2], v3 offset:128
	s_cbranch_scc1 .LBB71_42
.LBB71_41:                              ;   Parent Loop BB71_40 Depth=1
                                        ; =>  This Inner Loop Header: Depth=2
	v_mov_b32_e32 v9, s9
	s_add_i32 s12, s12, -1
	s_sub_i32 s9, s9, 32
	s_cmp_le_i32 s12, s4
	ds_load_b64 v[7:8], v4
	ds_load_b64 v[9:10], v9
	v_subrev_nc_u32_e32 v4, 32, v4
	s_waitcnt lgkmcnt(0)
	v_fma_f64 v[1:2], -v[7:8], v[9:10], v[1:2]
	s_cbranch_scc0 .LBB71_41
.LBB71_42:                              ;   in Loop: Header=BB71_40 Depth=1
	s_mul_i32 s9, s4, 40
	s_delay_alu instid0(SALU_CYCLE_1)
	v_dual_mov_b32 v3, s9 :: v_dual_add_nc_u32 v8, 0x80, v3
	s_lshl_b32 s12, s4, 5
	s_mov_b32 s13, s29
	s_sub_i32 s12, s12, 32
	s_cmp_lt_i32 s30, s4
	ds_load_b64 v[9:10], v3
	v_lshl_or_b32 v7, v0, 3, s12
	s_mov_b32 s12, s8
	ds_load_b64 v[3:4], v7 offset:128
	s_waitcnt lgkmcnt(1)
	v_div_scale_f64 v[11:12], null, v[9:10], v[9:10], v[1:2]
	s_delay_alu instid0(VALU_DEP_1) | instskip(SKIP_2) | instid1(VALU_DEP_1)
	v_rcp_f64_e32 v[13:14], v[11:12]
	s_waitcnt_depctr 0xfff
	v_fma_f64 v[15:16], -v[11:12], v[13:14], 1.0
	v_fma_f64 v[13:14], v[13:14], v[15:16], v[13:14]
	s_delay_alu instid0(VALU_DEP_1) | instskip(NEXT) | instid1(VALU_DEP_1)
	v_fma_f64 v[15:16], -v[11:12], v[13:14], 1.0
	v_fma_f64 v[13:14], v[13:14], v[15:16], v[13:14]
	v_div_scale_f64 v[15:16], vcc_lo, v[1:2], v[9:10], v[1:2]
	s_delay_alu instid0(VALU_DEP_1) | instskip(NEXT) | instid1(VALU_DEP_1)
	v_mul_f64 v[17:18], v[15:16], v[13:14]
	v_fma_f64 v[11:12], -v[11:12], v[17:18], v[15:16]
	s_delay_alu instid0(VALU_DEP_1) | instskip(NEXT) | instid1(VALU_DEP_1)
	v_div_fmas_f64 v[11:12], v[11:12], v[13:14], v[17:18]
	v_div_fixup_f64 v[9:10], v[11:12], v[9:10], v[1:2]
	v_mov_b32_e32 v1, v5
	ds_store_b64 v8, v[9:10]
	s_cbranch_scc1 .LBB71_39
.LBB71_43:                              ;   Parent Loop BB71_40 Depth=1
                                        ; =>  This Inner Loop Header: Depth=2
	v_mov_b32_e32 v2, s12
	s_add_i32 s13, s13, -1
	s_sub_i32 s12, s12, 32
	s_cmp_gt_i32 s13, s4
	ds_load_b64 v[8:9], v1
	ds_load_b64 v[10:11], v2
	v_subrev_nc_u32_e32 v1, 32, v1
	s_waitcnt lgkmcnt(0)
	v_fma_f64 v[3:4], -v[8:9], v[10:11], v[3:4]
	s_cbranch_scc1 .LBB71_43
	s_branch .LBB71_39
.LBB71_44:
	s_mov_b32 s4, 0
.LBB71_45:
	s_delay_alu instid0(SALU_CYCLE_1)
	s_and_not1_b32 vcc_lo, exec_lo, s4
	s_cbranch_vccnz .LBB71_61
; %bb.46:
	s_and_b32 vcc_lo, exec_lo, s1
	s_mov_b32 s4, s30
	s_cbranch_vccz .LBB71_48
; %bb.47:
	s_mul_i32 s1, s30, 40
	s_delay_alu instid0(SALU_CYCLE_1) | instskip(SKIP_3) | instid1(VALU_DEP_1)
	v_dual_mov_b32 v2, s1 :: v_dual_lshlrev_b32 v1, 3, v0
	s_lshl_b32 s4, s29, 2
	s_sub_i32 s8, s1, 40
	s_add_i32 s5, s4, -12
	v_lshl_or_b32 v25, s30, 5, v1
	s_add_i32 s4, s4, -16
	s_add_i32 s9, s29, -2
	v_or_b32_e32 v3, s4, v0
	ds_load_b64 v[5:6], v25 offset:128
	ds_load_b64 v[7:8], v2
	v_or_b32_e32 v2, s5, v0
	v_mov_b32_e32 v4, s8
	v_lshl_or_b32 v26, s9, 5, v1
	s_add_i32 s5, s5, s30
	s_add_i32 s4, s4, s9
	v_lshlrev_b32_e32 v27, 3, v2
	s_lshl_b32 s5, s5, 3
	v_lshlrev_b32_e32 v28, 3, v3
	ds_load_2addr_b64 v[1:4], v4 offset1:1
	ds_load_b64 v[9:10], v26 offset:128
	ds_load_b64 v[11:12], v27 offset:128
	;; [unrolled: 1-line block ×3, first 2 shown]
	s_lshl_b32 s4, s4, 3
	s_waitcnt lgkmcnt(4)
	v_div_scale_f64 v[15:16], null, v[7:8], v[7:8], v[5:6]
	v_div_scale_f64 v[21:22], vcc_lo, v[5:6], v[7:8], v[5:6]
	s_delay_alu instid0(VALU_DEP_2) | instskip(SKIP_2) | instid1(VALU_DEP_1)
	v_rcp_f64_e32 v[17:18], v[15:16]
	s_waitcnt_depctr 0xfff
	v_fma_f64 v[19:20], -v[15:16], v[17:18], 1.0
	v_fma_f64 v[17:18], v[17:18], v[19:20], v[17:18]
	s_delay_alu instid0(VALU_DEP_1) | instskip(NEXT) | instid1(VALU_DEP_1)
	v_fma_f64 v[19:20], -v[15:16], v[17:18], 1.0
	v_fma_f64 v[17:18], v[17:18], v[19:20], v[17:18]
	s_delay_alu instid0(VALU_DEP_1) | instskip(NEXT) | instid1(VALU_DEP_1)
	v_mul_f64 v[19:20], v[21:22], v[17:18]
	v_fma_f64 v[15:16], -v[15:16], v[19:20], v[21:22]
	s_delay_alu instid0(VALU_DEP_1) | instskip(NEXT) | instid1(VALU_DEP_1)
	v_div_fmas_f64 v[15:16], v[15:16], v[17:18], v[19:20]
	v_div_fixup_f64 v[15:16], v[15:16], v[7:8], v[5:6]
	s_waitcnt lgkmcnt(2)
	s_delay_alu instid0(VALU_DEP_1) | instskip(NEXT) | instid1(VALU_DEP_1)
	v_fma_f64 v[7:8], -v[15:16], v[3:4], v[9:10]
	v_div_scale_f64 v[3:4], null, v[1:2], v[1:2], v[7:8]
	v_div_scale_f64 v[17:18], vcc_lo, v[7:8], v[1:2], v[7:8]
	s_delay_alu instid0(VALU_DEP_2) | instskip(SKIP_2) | instid1(VALU_DEP_1)
	v_rcp_f64_e32 v[5:6], v[3:4]
	s_waitcnt_depctr 0xfff
	v_fma_f64 v[9:10], -v[3:4], v[5:6], 1.0
	v_fma_f64 v[5:6], v[5:6], v[9:10], v[5:6]
	s_delay_alu instid0(VALU_DEP_1) | instskip(NEXT) | instid1(VALU_DEP_1)
	v_fma_f64 v[9:10], -v[3:4], v[5:6], 1.0
	v_fma_f64 v[5:6], v[5:6], v[9:10], v[5:6]
	s_delay_alu instid0(VALU_DEP_1) | instskip(NEXT) | instid1(VALU_DEP_1)
	v_mul_f64 v[9:10], v[17:18], v[5:6]
	v_fma_f64 v[3:4], -v[3:4], v[9:10], v[17:18]
	s_delay_alu instid0(VALU_DEP_1)
	v_div_fmas_f64 v[9:10], v[3:4], v[5:6], v[9:10]
	v_mov_b32_e32 v3, s5
	s_add_i32 s5, s1, 0xffffffb0
	s_addk_i32 s1, 0xff88
	ds_load_b64 v[17:18], v3
	v_mov_b32_e32 v3, s5
	ds_load_2addr_b64 v[3:6], v3 offset1:1
	s_waitcnt lgkmcnt(1)
	v_fma_f64 v[11:12], -v[15:16], v[17:18], v[11:12]
	v_div_fixup_f64 v[1:2], v[9:10], v[1:2], v[7:8]
	s_waitcnt lgkmcnt(0)
	s_delay_alu instid0(VALU_DEP_1) | instskip(NEXT) | instid1(VALU_DEP_1)
	v_fma_f64 v[17:18], -v[1:2], v[5:6], v[11:12]
	v_div_scale_f64 v[5:6], null, v[3:4], v[3:4], v[17:18]
	v_div_scale_f64 v[11:12], vcc_lo, v[17:18], v[3:4], v[17:18]
	s_delay_alu instid0(VALU_DEP_2) | instskip(SKIP_2) | instid1(VALU_DEP_1)
	v_rcp_f64_e32 v[7:8], v[5:6]
	s_waitcnt_depctr 0xfff
	v_fma_f64 v[9:10], -v[5:6], v[7:8], 1.0
	v_fma_f64 v[7:8], v[7:8], v[9:10], v[7:8]
	s_delay_alu instid0(VALU_DEP_1) | instskip(NEXT) | instid1(VALU_DEP_1)
	v_fma_f64 v[9:10], -v[5:6], v[7:8], 1.0
	v_fma_f64 v[19:20], v[7:8], v[9:10], v[7:8]
	v_mov_b32_e32 v9, s1
	s_delay_alu instid0(VALU_DEP_2) | instskip(NEXT) | instid1(VALU_DEP_1)
	v_mul_f64 v[21:22], v[11:12], v[19:20]
	v_fma_f64 v[23:24], -v[5:6], v[21:22], v[11:12]
	v_mov_b32_e32 v5, s4
	s_add_i32 s4, s29, -5
	ds_load_2addr_b64 v[9:12], v9 offset1:1
	ds_load_2addr_b64 v[5:8], v5 offset1:1
	s_waitcnt lgkmcnt(0)
	v_fma_f64 v[7:8], -v[15:16], v[7:8], v[13:14]
	v_div_fmas_f64 v[13:14], v[23:24], v[19:20], v[21:22]
	s_delay_alu instid0(VALU_DEP_2) | instskip(NEXT) | instid1(VALU_DEP_2)
	v_fma_f64 v[5:6], -v[1:2], v[5:6], v[7:8]
	v_div_fixup_f64 v[3:4], v[13:14], v[3:4], v[17:18]
	s_delay_alu instid0(VALU_DEP_1) | instskip(NEXT) | instid1(VALU_DEP_1)
	v_fma_f64 v[5:6], -v[3:4], v[11:12], v[5:6]
	v_div_scale_f64 v[7:8], null, v[9:10], v[9:10], v[5:6]
	s_delay_alu instid0(VALU_DEP_1) | instskip(SKIP_2) | instid1(VALU_DEP_1)
	v_rcp_f64_e32 v[11:12], v[7:8]
	s_waitcnt_depctr 0xfff
	v_fma_f64 v[13:14], -v[7:8], v[11:12], 1.0
	v_fma_f64 v[11:12], v[11:12], v[13:14], v[11:12]
	s_delay_alu instid0(VALU_DEP_1) | instskip(NEXT) | instid1(VALU_DEP_1)
	v_fma_f64 v[13:14], -v[7:8], v[11:12], 1.0
	v_fma_f64 v[11:12], v[11:12], v[13:14], v[11:12]
	v_div_scale_f64 v[13:14], vcc_lo, v[5:6], v[9:10], v[5:6]
	s_delay_alu instid0(VALU_DEP_1) | instskip(NEXT) | instid1(VALU_DEP_1)
	v_mul_f64 v[17:18], v[13:14], v[11:12]
	v_fma_f64 v[7:8], -v[7:8], v[17:18], v[13:14]
	s_delay_alu instid0(VALU_DEP_1) | instskip(NEXT) | instid1(VALU_DEP_1)
	v_div_fmas_f64 v[7:8], v[7:8], v[11:12], v[17:18]
	v_div_fixup_f64 v[5:6], v[7:8], v[9:10], v[5:6]
	ds_store_b64 v25, v[15:16] offset:128
	ds_store_b64 v26, v[1:2] offset:128
	;; [unrolled: 1-line block ×4, first 2 shown]
.LBB71_48:
	s_cmp_lt_i32 s4, 0
	s_cbranch_scc1 .LBB71_61
; %bb.49:
	s_bitcmp1_b32 s4, 0
	s_cselect_b32 s1, -1, 0
	s_delay_alu instid0(SALU_CYCLE_1)
	s_and_b32 vcc_lo, exec_lo, s1
	s_mov_b32 s1, s4
	s_cbranch_vccnz .LBB71_54
; %bb.50:
	v_lshlrev_b32_e32 v4, 3, v0
	s_cmp_le_i32 s30, s4
	s_delay_alu instid0(VALU_DEP_1)
	v_lshl_or_b32 v3, s4, 5, v4
	ds_load_b64 v[1:2], v3 offset:128
	s_cbranch_scc1 .LBB71_53
; %bb.51:
	v_lshl_or_b32 v4, s29, 5, v4
	s_lshl_b32 s1, s4, 5
	s_lshl_b32 s5, s29, 3
	s_delay_alu instid0(SALU_CYCLE_1) | instskip(NEXT) | instid1(VALU_DEP_1)
	s_add_i32 s1, s1, s5
	v_add_nc_u32_e32 v4, 0x60, v4
	s_add_i32 s1, s1, -8
	s_mov_b32 s5, s30
.LBB71_52:                              ; =>This Inner Loop Header: Depth=1
	v_mov_b32_e32 v7, s1
	s_add_i32 s5, s5, -1
	s_add_i32 s1, s1, -8
	s_cmp_gt_i32 s5, s4
	ds_load_b64 v[5:6], v4
	ds_load_b64 v[7:8], v7
	v_subrev_nc_u32_e32 v4, 32, v4
	s_waitcnt lgkmcnt(0)
	v_fma_f64 v[1:2], -v[5:6], v[7:8], v[1:2]
	s_cbranch_scc1 .LBB71_52
.LBB71_53:
	s_mul_i32 s1, s4, 40
	s_delay_alu instid0(SALU_CYCLE_1) | instskip(SKIP_4) | instid1(VALU_DEP_1)
	v_dual_mov_b32 v4, s1 :: v_dual_add_nc_u32 v3, 0x80, v3
	s_add_i32 s1, s4, -1
	ds_load_b64 v[4:5], v4
	s_waitcnt lgkmcnt(0)
	v_div_scale_f64 v[6:7], null, v[4:5], v[4:5], v[1:2]
	v_rcp_f64_e32 v[8:9], v[6:7]
	s_waitcnt_depctr 0xfff
	v_fma_f64 v[10:11], -v[6:7], v[8:9], 1.0
	s_delay_alu instid0(VALU_DEP_1) | instskip(NEXT) | instid1(VALU_DEP_1)
	v_fma_f64 v[8:9], v[8:9], v[10:11], v[8:9]
	v_fma_f64 v[10:11], -v[6:7], v[8:9], 1.0
	s_delay_alu instid0(VALU_DEP_1) | instskip(SKIP_1) | instid1(VALU_DEP_1)
	v_fma_f64 v[8:9], v[8:9], v[10:11], v[8:9]
	v_div_scale_f64 v[10:11], vcc_lo, v[1:2], v[4:5], v[1:2]
	v_mul_f64 v[12:13], v[10:11], v[8:9]
	s_delay_alu instid0(VALU_DEP_1) | instskip(NEXT) | instid1(VALU_DEP_1)
	v_fma_f64 v[6:7], -v[6:7], v[12:13], v[10:11]
	v_div_fmas_f64 v[6:7], v[6:7], v[8:9], v[12:13]
	s_delay_alu instid0(VALU_DEP_1)
	v_div_fixup_f64 v[1:2], v[6:7], v[4:5], v[1:2]
	ds_store_b64 v3, v[1:2]
.LBB71_54:
	s_cmp_eq_u32 s4, 0
	s_cbranch_scc1 .LBB71_61
; %bb.55:
	v_lshlrev_b32_e32 v5, 3, v0
	s_lshl_b32 s4, s1, 5
	s_lshl_b32 s5, s29, 3
	s_delay_alu instid0(SALU_CYCLE_1) | instskip(NEXT) | instid1(VALU_DEP_1)
	s_add_i32 s5, s4, s5
	v_lshl_or_b32 v1, s29, 5, v5
	s_add_i32 s4, s5, -8
	s_sub_i32 s5, s5, 40
	s_delay_alu instid0(VALU_DEP_1)
	v_add_nc_u32_e32 v6, 0x60, v1
	s_branch .LBB71_57
.LBB71_56:                              ;   in Loop: Header=BB71_57 Depth=1
	s_sub_i32 s8, s8, 40
	s_delay_alu instid0(SALU_CYCLE_1)
	v_dual_mov_b32 v2, s8 :: v_dual_add_nc_u32 v1, 0x80, v7
	s_add_i32 s8, s1, -2
	s_sub_i32 s4, s4, 64
	s_sub_i32 s5, s5, 64
	s_cmp_lt_i32 s1, 2
	ds_load_b64 v[7:8], v2
	s_mov_b32 s1, s8
	s_waitcnt lgkmcnt(0)
	v_div_scale_f64 v[9:10], null, v[7:8], v[7:8], v[3:4]
	s_delay_alu instid0(VALU_DEP_1) | instskip(SKIP_2) | instid1(VALU_DEP_1)
	v_rcp_f64_e32 v[11:12], v[9:10]
	s_waitcnt_depctr 0xfff
	v_fma_f64 v[13:14], -v[9:10], v[11:12], 1.0
	v_fma_f64 v[11:12], v[11:12], v[13:14], v[11:12]
	s_delay_alu instid0(VALU_DEP_1) | instskip(NEXT) | instid1(VALU_DEP_1)
	v_fma_f64 v[13:14], -v[9:10], v[11:12], 1.0
	v_fma_f64 v[11:12], v[11:12], v[13:14], v[11:12]
	v_div_scale_f64 v[13:14], vcc_lo, v[3:4], v[7:8], v[3:4]
	s_delay_alu instid0(VALU_DEP_1) | instskip(NEXT) | instid1(VALU_DEP_1)
	v_mul_f64 v[15:16], v[13:14], v[11:12]
	v_fma_f64 v[9:10], -v[9:10], v[15:16], v[13:14]
	s_delay_alu instid0(VALU_DEP_1) | instskip(NEXT) | instid1(VALU_DEP_1)
	v_div_fmas_f64 v[9:10], v[9:10], v[11:12], v[15:16]
	v_div_fixup_f64 v[2:3], v[9:10], v[7:8], v[3:4]
	ds_store_b64 v1, v[2:3]
	s_cbranch_scc1 .LBB71_61
.LBB71_57:                              ; =>This Loop Header: Depth=1
                                        ;     Child Loop BB71_58 Depth 2
                                        ;     Child Loop BB71_60 Depth 2
	v_lshl_or_b32 v3, s1, 5, v5
	s_delay_alu instid0(VALU_DEP_2)
	v_mov_b32_e32 v4, v6
	s_cmp_le_i32 s30, s1
	s_mov_b32 s8, s4
	s_mov_b32 s9, s30
	ds_load_b64 v[1:2], v3 offset:128
	s_cbranch_scc1 .LBB71_59
.LBB71_58:                              ;   Parent Loop BB71_57 Depth=1
                                        ; =>  This Inner Loop Header: Depth=2
	v_mov_b32_e32 v9, s8
	s_add_i32 s9, s9, -1
	s_add_i32 s8, s8, -8
	s_cmp_le_i32 s9, s1
	ds_load_b64 v[7:8], v4
	ds_load_b64 v[9:10], v9
	v_subrev_nc_u32_e32 v4, 32, v4
	s_waitcnt lgkmcnt(0)
	v_fma_f64 v[1:2], -v[7:8], v[9:10], v[1:2]
	s_cbranch_scc0 .LBB71_58
.LBB71_59:                              ;   in Loop: Header=BB71_57 Depth=1
	s_mul_i32 s8, s1, 40
	s_delay_alu instid0(SALU_CYCLE_1)
	v_dual_mov_b32 v3, s8 :: v_dual_add_nc_u32 v8, 0x80, v3
	s_lshl_b32 s9, s1, 5
	s_mov_b32 s12, s29
	s_sub_i32 s9, s9, 32
	s_cmp_lt_i32 s30, s1
	ds_load_b64 v[9:10], v3
	v_lshl_or_b32 v7, v0, 3, s9
	s_mov_b32 s9, s5
	ds_load_b64 v[3:4], v7 offset:128
	s_waitcnt lgkmcnt(1)
	v_div_scale_f64 v[11:12], null, v[9:10], v[9:10], v[1:2]
	s_delay_alu instid0(VALU_DEP_1) | instskip(SKIP_2) | instid1(VALU_DEP_1)
	v_rcp_f64_e32 v[13:14], v[11:12]
	s_waitcnt_depctr 0xfff
	v_fma_f64 v[15:16], -v[11:12], v[13:14], 1.0
	v_fma_f64 v[13:14], v[13:14], v[15:16], v[13:14]
	s_delay_alu instid0(VALU_DEP_1) | instskip(NEXT) | instid1(VALU_DEP_1)
	v_fma_f64 v[15:16], -v[11:12], v[13:14], 1.0
	v_fma_f64 v[13:14], v[13:14], v[15:16], v[13:14]
	v_div_scale_f64 v[15:16], vcc_lo, v[1:2], v[9:10], v[1:2]
	s_delay_alu instid0(VALU_DEP_1) | instskip(NEXT) | instid1(VALU_DEP_1)
	v_mul_f64 v[17:18], v[15:16], v[13:14]
	v_fma_f64 v[11:12], -v[11:12], v[17:18], v[15:16]
	s_delay_alu instid0(VALU_DEP_1) | instskip(NEXT) | instid1(VALU_DEP_1)
	v_div_fmas_f64 v[11:12], v[11:12], v[13:14], v[17:18]
	v_div_fixup_f64 v[9:10], v[11:12], v[9:10], v[1:2]
	v_mov_b32_e32 v1, v6
	ds_store_b64 v8, v[9:10]
	s_cbranch_scc1 .LBB71_56
.LBB71_60:                              ;   Parent Loop BB71_57 Depth=1
                                        ; =>  This Inner Loop Header: Depth=2
	v_mov_b32_e32 v2, s9
	s_add_i32 s12, s12, -1
	s_add_i32 s9, s9, -8
	s_cmp_gt_i32 s12, s1
	ds_load_b64 v[8:9], v1
	ds_load_b64 v[10:11], v2
	v_subrev_nc_u32_e32 v1, 32, v1
	s_waitcnt lgkmcnt(0)
	v_fma_f64 v[3:4], -v[8:9], v[10:11], v[3:4]
	s_cbranch_scc1 .LBB71_60
	s_branch .LBB71_56
.LBB71_61:
	s_mov_b32 s8, 0
.LBB71_62:
	s_delay_alu instid0(SALU_CYCLE_1)
	s_and_not1_b32 vcc_lo, exec_lo, s8
	s_cbranch_vccnz .LBB71_71
; %bb.63:
	s_cmp_gt_i32 s28, 3
	s_mov_b32 s1, 0
	s_cbranch_scc0 .LBB71_65
; %bb.64:
	v_dual_mov_b32 v25, 0 :: v_dual_lshlrev_b32 v26, 3, v0
	s_mov_b32 s1, 4
	ds_load_2addr_b64 v[1:4], v25 offset1:10
	ds_load_2addr_b64 v[5:8], v26 offset0:16 offset1:20
	s_waitcnt lgkmcnt(0)
	v_div_scale_f64 v[9:10], null, v[1:2], v[1:2], v[5:6]
	v_div_scale_f64 v[15:16], vcc_lo, v[5:6], v[1:2], v[5:6]
	s_delay_alu instid0(VALU_DEP_2) | instskip(SKIP_2) | instid1(VALU_DEP_1)
	v_rcp_f64_e32 v[11:12], v[9:10]
	s_waitcnt_depctr 0xfff
	v_fma_f64 v[13:14], -v[9:10], v[11:12], 1.0
	v_fma_f64 v[11:12], v[11:12], v[13:14], v[11:12]
	s_delay_alu instid0(VALU_DEP_1) | instskip(NEXT) | instid1(VALU_DEP_1)
	v_fma_f64 v[13:14], -v[9:10], v[11:12], 1.0
	v_fma_f64 v[11:12], v[11:12], v[13:14], v[11:12]
	s_delay_alu instid0(VALU_DEP_1) | instskip(NEXT) | instid1(VALU_DEP_1)
	v_mul_f64 v[13:14], v[15:16], v[11:12]
	v_fma_f64 v[9:10], -v[9:10], v[13:14], v[15:16]
	s_delay_alu instid0(VALU_DEP_1) | instskip(NEXT) | instid1(VALU_DEP_1)
	v_div_fmas_f64 v[9:10], v[9:10], v[11:12], v[13:14]
	v_div_fixup_f64 v[1:2], v[9:10], v[1:2], v[5:6]
	ds_load_b128 v[9:12], v25 offset:32
	s_waitcnt lgkmcnt(0)
	v_fma_f64 v[9:10], -v[1:2], v[9:10], v[7:8]
	s_delay_alu instid0(VALU_DEP_1) | instskip(SKIP_1) | instid1(VALU_DEP_2)
	v_div_scale_f64 v[5:6], null, v[11:12], v[11:12], v[9:10]
	v_div_scale_f64 v[15:16], vcc_lo, v[9:10], v[11:12], v[9:10]
	v_rcp_f64_e32 v[7:8], v[5:6]
	s_waitcnt_depctr 0xfff
	v_fma_f64 v[13:14], -v[5:6], v[7:8], 1.0
	s_delay_alu instid0(VALU_DEP_1) | instskip(NEXT) | instid1(VALU_DEP_1)
	v_fma_f64 v[7:8], v[7:8], v[13:14], v[7:8]
	v_fma_f64 v[13:14], -v[5:6], v[7:8], 1.0
	s_delay_alu instid0(VALU_DEP_1) | instskip(NEXT) | instid1(VALU_DEP_1)
	v_fma_f64 v[7:8], v[7:8], v[13:14], v[7:8]
	v_mul_f64 v[13:14], v[15:16], v[7:8]
	s_delay_alu instid0(VALU_DEP_1) | instskip(NEXT) | instid1(VALU_DEP_1)
	v_fma_f64 v[5:6], -v[5:6], v[13:14], v[15:16]
	v_div_fmas_f64 v[17:18], v[5:6], v[7:8], v[13:14]
	ds_load_b128 v[5:8], v25 offset:64
	ds_load_2addr_b64 v[13:16], v26 offset0:24 offset1:28
	s_waitcnt lgkmcnt(0)
	v_fma_f64 v[5:6], -v[1:2], v[5:6], v[13:14]
	v_div_fixup_f64 v[13:14], v[17:18], v[11:12], v[9:10]
	s_delay_alu instid0(VALU_DEP_1) | instskip(NEXT) | instid1(VALU_DEP_1)
	v_fma_f64 v[17:18], -v[13:14], v[7:8], v[5:6]
	v_div_scale_f64 v[5:6], null, v[3:4], v[3:4], v[17:18]
	v_div_scale_f64 v[11:12], vcc_lo, v[17:18], v[3:4], v[17:18]
	s_delay_alu instid0(VALU_DEP_2) | instskip(SKIP_2) | instid1(VALU_DEP_1)
	v_rcp_f64_e32 v[7:8], v[5:6]
	s_waitcnt_depctr 0xfff
	v_fma_f64 v[9:10], -v[5:6], v[7:8], 1.0
	v_fma_f64 v[7:8], v[7:8], v[9:10], v[7:8]
	s_delay_alu instid0(VALU_DEP_1) | instskip(NEXT) | instid1(VALU_DEP_1)
	v_fma_f64 v[9:10], -v[5:6], v[7:8], 1.0
	v_fma_f64 v[19:20], v[7:8], v[9:10], v[7:8]
	s_delay_alu instid0(VALU_DEP_1) | instskip(NEXT) | instid1(VALU_DEP_1)
	v_mul_f64 v[21:22], v[11:12], v[19:20]
	v_fma_f64 v[23:24], -v[5:6], v[21:22], v[11:12]
	ds_load_b128 v[5:8], v25 offset:96
	ds_load_b128 v[9:12], v25 offset:112
	ds_store_2addr_b64 v26, v[1:2], v[13:14] offset0:16 offset1:20
	s_waitcnt lgkmcnt(2)
	v_fma_f64 v[5:6], -v[1:2], v[5:6], v[15:16]
	v_div_fmas_f64 v[15:16], v[23:24], v[19:20], v[21:22]
	s_delay_alu instid0(VALU_DEP_2) | instskip(NEXT) | instid1(VALU_DEP_2)
	v_fma_f64 v[5:6], -v[13:14], v[7:8], v[5:6]
	v_div_fixup_f64 v[3:4], v[15:16], v[3:4], v[17:18]
	s_waitcnt lgkmcnt(1)
	s_delay_alu instid0(VALU_DEP_1) | instskip(NEXT) | instid1(VALU_DEP_1)
	v_fma_f64 v[5:6], -v[3:4], v[9:10], v[5:6]
	v_div_scale_f64 v[7:8], null, v[11:12], v[11:12], v[5:6]
	s_delay_alu instid0(VALU_DEP_1) | instskip(SKIP_2) | instid1(VALU_DEP_1)
	v_rcp_f64_e32 v[9:10], v[7:8]
	s_waitcnt_depctr 0xfff
	v_fma_f64 v[15:16], -v[7:8], v[9:10], 1.0
	v_fma_f64 v[9:10], v[9:10], v[15:16], v[9:10]
	s_delay_alu instid0(VALU_DEP_1) | instskip(NEXT) | instid1(VALU_DEP_1)
	v_fma_f64 v[15:16], -v[7:8], v[9:10], 1.0
	v_fma_f64 v[9:10], v[9:10], v[15:16], v[9:10]
	v_div_scale_f64 v[15:16], vcc_lo, v[5:6], v[11:12], v[5:6]
	s_delay_alu instid0(VALU_DEP_1) | instskip(NEXT) | instid1(VALU_DEP_1)
	v_mul_f64 v[17:18], v[15:16], v[9:10]
	v_fma_f64 v[7:8], -v[7:8], v[17:18], v[15:16]
	s_delay_alu instid0(VALU_DEP_1) | instskip(NEXT) | instid1(VALU_DEP_1)
	v_div_fmas_f64 v[7:8], v[7:8], v[9:10], v[17:18]
	v_div_fixup_f64 v[5:6], v[7:8], v[11:12], v[5:6]
	ds_store_2addr_b64 v26, v[3:4], v[5:6] offset0:24 offset1:28
.LBB71_65:
	s_cmp_ge_i32 s1, s29
	s_cbranch_scc1 .LBB71_71
; %bb.66:
	v_lshl_or_b32 v3, v0, 3, 0x80
	v_lshlrev_b32_e32 v4, 3, v0
	s_lshl_b32 s4, s1, 5
	s_branch .LBB71_68
.LBB71_67:                              ;   in Loop: Header=BB71_68 Depth=1
	s_mul_i32 s5, s1, 40
	s_delay_alu instid0(SALU_CYCLE_1)
	v_dual_mov_b32 v6, s5 :: v_dual_add_nc_u32 v5, 0x80, v5
	s_add_i32 s1, s1, 1
	s_add_i32 s4, s4, 32
	s_cmp_ge_i32 s1, s29
	ds_load_b64 v[6:7], v6
	s_waitcnt lgkmcnt(0)
	v_div_scale_f64 v[8:9], null, v[6:7], v[6:7], v[1:2]
	s_delay_alu instid0(VALU_DEP_1) | instskip(SKIP_2) | instid1(VALU_DEP_1)
	v_rcp_f64_e32 v[10:11], v[8:9]
	s_waitcnt_depctr 0xfff
	v_fma_f64 v[12:13], -v[8:9], v[10:11], 1.0
	v_fma_f64 v[10:11], v[10:11], v[12:13], v[10:11]
	s_delay_alu instid0(VALU_DEP_1) | instskip(NEXT) | instid1(VALU_DEP_1)
	v_fma_f64 v[12:13], -v[8:9], v[10:11], 1.0
	v_fma_f64 v[10:11], v[10:11], v[12:13], v[10:11]
	v_div_scale_f64 v[12:13], vcc_lo, v[1:2], v[6:7], v[1:2]
	s_delay_alu instid0(VALU_DEP_1) | instskip(NEXT) | instid1(VALU_DEP_1)
	v_mul_f64 v[14:15], v[12:13], v[10:11]
	v_fma_f64 v[8:9], -v[8:9], v[14:15], v[12:13]
	s_delay_alu instid0(VALU_DEP_1) | instskip(NEXT) | instid1(VALU_DEP_1)
	v_div_fmas_f64 v[8:9], v[8:9], v[10:11], v[14:15]
	v_div_fixup_f64 v[1:2], v[8:9], v[6:7], v[1:2]
	ds_store_b64 v5, v[1:2]
	s_cbranch_scc1 .LBB71_71
.LBB71_68:                              ; =>This Loop Header: Depth=1
                                        ;     Child Loop BB71_70 Depth 2
	s_delay_alu instid0(VALU_DEP_1)
	v_lshl_or_b32 v5, s1, 5, v4
	s_cmp_eq_u32 s1, 0
	ds_load_b64 v[1:2], v5 offset:128
	s_cbranch_scc1 .LBB71_67
; %bb.69:                               ;   in Loop: Header=BB71_68 Depth=1
	v_mov_b32_e32 v6, v3
	s_mov_b32 s5, 0
	s_mov_b32 s8, s4
.LBB71_70:                              ;   Parent Loop BB71_68 Depth=1
                                        ; =>  This Inner Loop Header: Depth=2
	s_delay_alu instid0(SALU_CYCLE_1)
	v_mov_b32_e32 v9, s8
	s_add_i32 s5, s5, 1
	s_add_i32 s8, s8, 8
	s_cmp_ge_u32 s5, s1
	ds_load_b64 v[7:8], v6
	ds_load_b64 v[9:10], v9
	v_add_nc_u32_e32 v6, 32, v6
	s_waitcnt lgkmcnt(0)
	v_fma_f64 v[1:2], -v[7:8], v[9:10], v[1:2]
	s_cbranch_scc0 .LBB71_70
	s_branch .LBB71_67
.LBB71_71:
	s_and_saveexec_b32 s1, s20
	s_cbranch_execz .LBB71_78
; %bb.72:
	v_lshlrev_b32_e32 v3, 3, v0
	s_ashr_i32 s1, s0, 31
	s_cmp_lt_u32 s28, 4
	s_mov_b32 s14, 0
	s_cbranch_scc1 .LBB71_75
; %bb.73:
	v_add_co_u32 v1, s4, s18, v3
	s_delay_alu instid0(VALU_DEP_1)
	v_add_co_ci_u32_e64 v2, null, s19, 0, s4
	v_lshl_or_b32 v0, v0, 3, 0x80
	s_and_b32 s14, s28, 0x7ffffffc
	s_mul_hi_i32 s15, s0, 24
	s_mul_i32 s16, s0, 24
	s_lshl_b64 s[4:5], s[0:1], 5
	s_lshl_b64 s[8:9], s[0:1], 4
	;; [unrolled: 1-line block ×3, first 2 shown]
	s_mov_b32 s17, 0
	.p2align	6
.LBB71_74:                              ; =>This Inner Loop Header: Depth=1
	ds_load_2addr_b64 v[4:7], v0 offset1:4
	ds_load_2addr_b64 v[8:11], v0 offset0:8 offset1:12
	v_add_co_u32 v12, vcc_lo, v1, s12
	v_add_co_ci_u32_e32 v13, vcc_lo, s13, v2, vcc_lo
	v_add_co_u32 v14, vcc_lo, v1, s8
	v_add_co_ci_u32_e32 v15, vcc_lo, s9, v2, vcc_lo
	;; [unrolled: 2-line block ×3, first 2 shown]
	v_add_nc_u32_e32 v0, 0x80, v0
	s_add_i32 s17, s17, 4
	s_delay_alu instid0(SALU_CYCLE_1)
	s_cmp_lg_u32 s14, s17
	s_waitcnt lgkmcnt(1)
	global_store_b64 v[1:2], v[4:5], off
	v_add_co_u32 v1, vcc_lo, v1, s4
	v_add_co_ci_u32_e32 v2, vcc_lo, s5, v2, vcc_lo
	global_store_b64 v[12:13], v[6:7], off
	s_waitcnt lgkmcnt(0)
	s_clause 0x1
	global_store_b64 v[14:15], v[8:9], off
	global_store_b64 v[16:17], v[10:11], off
	s_cbranch_scc1 .LBB71_74
.LBB71_75:
	s_and_b32 s4, s28, 3
	s_delay_alu instid0(SALU_CYCLE_1)
	s_cmp_eq_u32 s4, 0
	s_cbranch_scc1 .LBB71_78
; %bb.76:
	s_mul_hi_i32 s9, s0, s14
	s_mul_i32 s8, s0, s14
	v_lshl_or_b32 v2, s14, 5, v3
	s_lshl_b64 s[8:9], s[8:9], 3
	s_delay_alu instid0(SALU_CYCLE_1)
	s_add_u32 s5, s8, s6
	s_addc_u32 s6, s9, s7
	s_add_u32 s5, s5, s10
	s_addc_u32 s6, s6, s11
	;; [unrolled: 2-line block ×3, first 2 shown]
	v_add_co_u32 v0, s2, s2, v3
	s_delay_alu instid0(VALU_DEP_1)
	v_add_co_ci_u32_e64 v1, null, s3, 0, s2
	v_add_nc_u32_e32 v2, 0x80, v2
	s_lshl_b64 s[0:1], s[0:1], 3
.LBB71_77:                              ; =>This Inner Loop Header: Depth=1
	ds_load_b64 v[3:4], v2
	v_add_nc_u32_e32 v2, 32, v2
	s_add_i32 s4, s4, -1
	s_delay_alu instid0(SALU_CYCLE_1)
	s_cmp_lg_u32 s4, 0
	s_waitcnt lgkmcnt(0)
	global_store_b64 v[0:1], v[3:4], off
	v_add_co_u32 v0, vcc_lo, v0, s0
	v_add_co_ci_u32_e32 v1, vcc_lo, s1, v1, vcc_lo
	s_cbranch_scc1 .LBB71_77
.LBB71_78:
	s_nop 0
	s_sendmsg sendmsg(MSG_DEALLOC_VGPRS)
	s_endpgm
	.section	.rodata,"a",@progbits
	.p2align	6, 0x0
	.amdhsa_kernel _ZL31rocblas_trsm_small_right_deviceIddPKPKdPKPdLi4EEv13rocblas_fill_18rocblas_operation_17rocblas_diagonal_iiT0_T1_lilT2_lili
		.amdhsa_group_segment_fixed_size 256
		.amdhsa_private_segment_fixed_size 0
		.amdhsa_kernarg_size 360
		.amdhsa_user_sgpr_count 14
		.amdhsa_user_sgpr_dispatch_ptr 0
		.amdhsa_user_sgpr_queue_ptr 0
		.amdhsa_user_sgpr_kernarg_segment_ptr 1
		.amdhsa_user_sgpr_dispatch_id 0
		.amdhsa_user_sgpr_private_segment_size 0
		.amdhsa_wavefront_size32 1
		.amdhsa_uses_dynamic_stack 0
		.amdhsa_enable_private_segment 0
		.amdhsa_system_sgpr_workgroup_id_x 1
		.amdhsa_system_sgpr_workgroup_id_y 0
		.amdhsa_system_sgpr_workgroup_id_z 1
		.amdhsa_system_sgpr_workgroup_info 0
		.amdhsa_system_vgpr_workitem_id 0
		.amdhsa_next_free_vgpr 31
		.amdhsa_next_free_sgpr 34
		.amdhsa_reserve_vcc 1
		.amdhsa_float_round_mode_32 0
		.amdhsa_float_round_mode_16_64 0
		.amdhsa_float_denorm_mode_32 3
		.amdhsa_float_denorm_mode_16_64 3
		.amdhsa_dx10_clamp 1
		.amdhsa_ieee_mode 1
		.amdhsa_fp16_overflow 0
		.amdhsa_workgroup_processor_mode 1
		.amdhsa_memory_ordered 1
		.amdhsa_forward_progress 0
		.amdhsa_shared_vgpr_count 0
		.amdhsa_exception_fp_ieee_invalid_op 0
		.amdhsa_exception_fp_denorm_src 0
		.amdhsa_exception_fp_ieee_div_zero 0
		.amdhsa_exception_fp_ieee_overflow 0
		.amdhsa_exception_fp_ieee_underflow 0
		.amdhsa_exception_fp_ieee_inexact 0
		.amdhsa_exception_int_div_zero 0
	.end_amdhsa_kernel
	.section	.text._ZL31rocblas_trsm_small_right_deviceIddPKPKdPKPdLi4EEv13rocblas_fill_18rocblas_operation_17rocblas_diagonal_iiT0_T1_lilT2_lili,"axG",@progbits,_ZL31rocblas_trsm_small_right_deviceIddPKPKdPKPdLi4EEv13rocblas_fill_18rocblas_operation_17rocblas_diagonal_iiT0_T1_lilT2_lili,comdat
.Lfunc_end71:
	.size	_ZL31rocblas_trsm_small_right_deviceIddPKPKdPKPdLi4EEv13rocblas_fill_18rocblas_operation_17rocblas_diagonal_iiT0_T1_lilT2_lili, .Lfunc_end71-_ZL31rocblas_trsm_small_right_deviceIddPKPKdPKPdLi4EEv13rocblas_fill_18rocblas_operation_17rocblas_diagonal_iiT0_T1_lilT2_lili
                                        ; -- End function
	.section	.AMDGPU.csdata,"",@progbits
; Kernel info:
; codeLenInByte = 6592
; NumSgprs: 36
; NumVgprs: 31
; ScratchSize: 0
; MemoryBound: 0
; FloatMode: 240
; IeeeMode: 1
; LDSByteSize: 256 bytes/workgroup (compile time only)
; SGPRBlocks: 4
; VGPRBlocks: 3
; NumSGPRsForWavesPerEU: 36
; NumVGPRsForWavesPerEU: 31
; Occupancy: 16
; WaveLimiterHint : 0
; COMPUTE_PGM_RSRC2:SCRATCH_EN: 0
; COMPUTE_PGM_RSRC2:USER_SGPR: 14
; COMPUTE_PGM_RSRC2:TRAP_HANDLER: 0
; COMPUTE_PGM_RSRC2:TGID_X_EN: 1
; COMPUTE_PGM_RSRC2:TGID_Y_EN: 0
; COMPUTE_PGM_RSRC2:TGID_Z_EN: 1
; COMPUTE_PGM_RSRC2:TIDIG_COMP_CNT: 0
	.section	.text._ZL38rocblas_trsm_small_left_device_sharedBILi8ELi8ELb0EddPKPKdPKPdEv13rocblas_fill_18rocblas_operation_17rocblas_diagonal_iiT3_T4_lilT5_lili,"axG",@progbits,_ZL38rocblas_trsm_small_left_device_sharedBILi8ELi8ELb0EddPKPKdPKPdEv13rocblas_fill_18rocblas_operation_17rocblas_diagonal_iiT3_T4_lilT5_lili,comdat
	.globl	_ZL38rocblas_trsm_small_left_device_sharedBILi8ELi8ELb0EddPKPKdPKPdEv13rocblas_fill_18rocblas_operation_17rocblas_diagonal_iiT3_T4_lilT5_lili ; -- Begin function _ZL38rocblas_trsm_small_left_device_sharedBILi8ELi8ELb0EddPKPKdPKPdEv13rocblas_fill_18rocblas_operation_17rocblas_diagonal_iiT3_T4_lilT5_lili
	.p2align	8
	.type	_ZL38rocblas_trsm_small_left_device_sharedBILi8ELi8ELb0EddPKPKdPKPdEv13rocblas_fill_18rocblas_operation_17rocblas_diagonal_iiT3_T4_lilT5_lili,@function
_ZL38rocblas_trsm_small_left_device_sharedBILi8ELi8ELb0EddPKPKdPKPdEv13rocblas_fill_18rocblas_operation_17rocblas_diagonal_iiT3_T4_lilT5_lili: ; @_ZL38rocblas_trsm_small_left_device_sharedBILi8ELi8ELb0EddPKPKdPKPdEv13rocblas_fill_18rocblas_operation_17rocblas_diagonal_iiT3_T4_lilT5_lili
; %bb.0:
	s_load_b128 s[16:19], s[0:1], 0x40
	s_mov_b32 s12, s15
	s_mov_b32 s13, 0
	s_clause 0x1
	s_load_b128 s[4:7], s[0:1], 0x4
	s_load_b64 s[20:21], s[0:1], 0x28
	s_lshl_b64 s[22:23], s[12:13], 3
	s_mov_b32 s28, exec_lo
	s_waitcnt lgkmcnt(0)
	s_add_u32 s2, s16, s22
	s_addc_u32 s3, s17, s23
	s_load_b128 s[8:11], s[0:1], 0x18
	s_load_b64 s[2:3], s[2:3], 0x0
	s_min_i32 s12, s6, 8
	s_delay_alu instid0(SALU_CYCLE_1)
	s_add_i32 s15, s12, -1
	v_cmpx_gt_i32_e64 s12, v0
	s_cbranch_execz .LBB72_10
; %bb.1:
	s_load_b32 s16, s[0:1], 0x30
	s_waitcnt lgkmcnt(0)
	s_ashr_i32 s17, s16, 31
	s_add_u32 s10, s10, s22
	s_addc_u32 s11, s11, s23
	s_cmp_lt_u32 s15, 3
	s_load_b64 s[10:11], s[10:11], 0x0
	s_cbranch_scc1 .LBB72_4
; %bb.2:
	v_lshlrev_b32_e32 v3, 3, v0
	s_lshl_b64 s[22:23], s[20:21], 3
	s_mul_hi_i32 s29, s16, 24
	s_waitcnt lgkmcnt(0)
	s_add_u32 s13, s10, s22
	s_addc_u32 s22, s11, s23
	v_add_co_u32 v1, s13, s13, v3
	s_delay_alu instid0(VALU_DEP_1)
	v_add_co_ci_u32_e64 v2, null, s22, 0, s13
	s_and_b32 s13, s12, -4
	s_mul_i32 s30, s16, 24
	s_lshl_b64 s[22:23], s[16:17], 5
	s_lshl_b64 s[24:25], s[16:17], 4
	;; [unrolled: 1-line block ×3, first 2 shown]
	s_mov_b32 s31, 0
	.p2align	6
.LBB72_3:                               ; =>This Inner Loop Header: Depth=1
	v_add_co_u32 v4, vcc_lo, v1, s26
	v_add_co_ci_u32_e32 v5, vcc_lo, s27, v2, vcc_lo
	v_add_co_u32 v6, vcc_lo, v1, s24
	v_add_co_ci_u32_e32 v7, vcc_lo, s25, v2, vcc_lo
	;; [unrolled: 2-line block ×3, first 2 shown]
	s_clause 0x3
	global_load_b64 v[10:11], v[1:2], off
	global_load_b64 v[4:5], v[4:5], off
	;; [unrolled: 1-line block ×4, first 2 shown]
	v_add_co_u32 v1, vcc_lo, v1, s22
	v_add_co_ci_u32_e32 v2, vcc_lo, s23, v2, vcc_lo
	s_add_i32 s31, s31, 4
	s_waitcnt vmcnt(2)
	ds_store_2addr_b64 v3, v[10:11], v[4:5] offset1:8
	s_waitcnt vmcnt(0)
	ds_store_2addr_b64 v3, v[6:7], v[8:9] offset0:16 offset1:24
	v_add_nc_u32_e32 v3, 0x100, v3
	s_cmp_eq_u32 s13, s31
	s_cbranch_scc0 .LBB72_3
.LBB72_4:
	s_and_b32 s22, s12, 3
	s_delay_alu instid0(SALU_CYCLE_1)
	s_cmp_eq_u32 s22, 0
	s_cbranch_scc1 .LBB72_7
; %bb.5:
	s_mul_i32 s23, s17, s13
	s_mul_hi_u32 s24, s16, s13
	v_lshlrev_b32_e32 v1, 3, v0
	s_add_i32 s25, s24, s23
	s_mul_i32 s24, s16, s13
	s_lshl_b64 s[20:21], s[20:21], 3
	s_lshl_b64 s[24:25], s[24:25], 3
	v_lshl_or_b32 v3, s13, 6, v1
	s_add_u32 s13, s24, s20
	s_addc_u32 s20, s25, s21
	s_waitcnt lgkmcnt(0)
	s_add_u32 s10, s10, s13
	s_addc_u32 s11, s11, s20
	v_add_co_u32 v1, s10, s10, v1
	s_delay_alu instid0(VALU_DEP_1)
	v_add_co_ci_u32_e64 v2, null, s11, 0, s10
	s_lshl_b64 s[10:11], s[16:17], 3
.LBB72_6:                               ; =>This Inner Loop Header: Depth=1
	global_load_b64 v[4:5], v[1:2], off
	v_add_co_u32 v1, vcc_lo, v1, s10
	v_add_co_ci_u32_e32 v2, vcc_lo, s11, v2, vcc_lo
	s_add_i32 s22, s22, -1
	s_delay_alu instid0(SALU_CYCLE_1)
	s_cmp_lg_u32 s22, 0
	s_waitcnt vmcnt(0)
	ds_store_b64 v3, v[4:5]
	v_add_nc_u32_e32 v3, 64, v3
	s_cbranch_scc1 .LBB72_6
.LBB72_7:
	v_mul_u32_u24_e32 v3, 9, v0
	v_mov_b32_e32 v1, 0
	v_mov_b32_e32 v2, 0x3ff00000
	s_cmpk_lg_i32 s5, 0x84
	s_delay_alu instid0(VALU_DEP_3)
	v_lshlrev_b32_e32 v3, 3, v3
	s_cbranch_scc0 .LBB72_9
; %bb.8:
	ds_load_b64 v[1:2], v3
	s_waitcnt lgkmcnt(0)
	v_div_scale_f64 v[4:5], null, v[1:2], v[1:2], 1.0
	s_delay_alu instid0(VALU_DEP_1) | instskip(SKIP_2) | instid1(VALU_DEP_1)
	v_rcp_f64_e32 v[6:7], v[4:5]
	s_waitcnt_depctr 0xfff
	v_fma_f64 v[8:9], -v[4:5], v[6:7], 1.0
	v_fma_f64 v[6:7], v[6:7], v[8:9], v[6:7]
	s_delay_alu instid0(VALU_DEP_1) | instskip(NEXT) | instid1(VALU_DEP_1)
	v_fma_f64 v[8:9], -v[4:5], v[6:7], 1.0
	v_fma_f64 v[6:7], v[6:7], v[8:9], v[6:7]
	v_div_scale_f64 v[8:9], vcc_lo, 1.0, v[1:2], 1.0
	s_delay_alu instid0(VALU_DEP_1) | instskip(NEXT) | instid1(VALU_DEP_1)
	v_mul_f64 v[10:11], v[8:9], v[6:7]
	v_fma_f64 v[4:5], -v[4:5], v[10:11], v[8:9]
	s_delay_alu instid0(VALU_DEP_1) | instskip(NEXT) | instid1(VALU_DEP_1)
	v_div_fmas_f64 v[4:5], v[4:5], v[6:7], v[10:11]
	v_div_fixup_f64 v[1:2], v[4:5], v[1:2], 1.0
.LBB72_9:
	ds_store_b64 v3, v[1:2]
.LBB72_10:
	s_or_b32 exec_lo, exec_lo, s28
	s_clause 0x1
	s_load_b32 s5, s[0:1], 0x68
	s_load_b32 s0, s[0:1], 0x50
	s_waitcnt lgkmcnt(0)
	s_lshl_b64 s[10:11], s[18:19], 3
	v_lshlrev_b32_e32 v9, 3, v0
	s_add_u32 s1, s2, s10
	s_addc_u32 s10, s3, s11
	s_lshl_b32 s2, s14, 3
	s_delay_alu instid0(SALU_CYCLE_1)
	s_sub_i32 s7, s7, s2
	s_add_i32 s5, s5, -1
	s_mul_hi_i32 s3, s0, s2
	s_cmp_ge_u32 s14, s5
	s_mul_i32 s2, s0, s2
	s_cselect_b32 s5, s7, 8
	s_lshl_b64 s[2:3], s[2:3], 3
	v_cmp_gt_i32_e32 vcc_lo, s5, v0
	s_add_u32 s1, s1, s2
	s_addc_u32 s2, s10, s3
	s_cmp_gt_i32 s6, 0
	s_mov_b32 s5, -1
	s_cselect_b32 s3, -1, 0
	s_delay_alu instid0(SALU_CYCLE_1) | instskip(NEXT) | instid1(SALU_CYCLE_1)
	s_and_b32 s3, vcc_lo, s3
	s_and_saveexec_b32 s7, s3
	s_cbranch_execz .LBB72_19
; %bb.11:
	v_mad_i64_i32 v[1:2], null, s0, v0, 0
	s_cmp_eq_u32 s6, 1
	s_delay_alu instid0(VALU_DEP_1) | instskip(NEXT) | instid1(VALU_DEP_1)
	v_lshlrev_b64 v[1:2], 3, v[1:2]
	v_add_co_u32 v1, vcc_lo, s1, v1
	s_delay_alu instid0(VALU_DEP_2)
	v_add_co_ci_u32_e32 v2, vcc_lo, s2, v2, vcc_lo
	global_load_b64 v[3:4], v[1:2], off
	s_waitcnt vmcnt(0)
	v_mul_f64 v[3:4], v[3:4], s[8:9]
	ds_store_b64 v9, v[3:4] offset:512
	s_cbranch_scc1 .LBB72_19
; %bb.12:
	global_load_b64 v[3:4], v[1:2], off offset:8
	s_cmp_eq_u32 s6, 2
	s_waitcnt vmcnt(0)
	v_mul_f64 v[4:5], v[3:4], s[8:9]
	v_or_b32_e32 v3, 0x200, v9
	ds_store_b64 v3, v[4:5] offset:64
	s_cbranch_scc1 .LBB72_19
; %bb.13:
	global_load_b64 v[4:5], v[1:2], off offset:16
	s_cmp_eq_u32 s6, 3
	s_waitcnt vmcnt(0)
	v_mul_f64 v[4:5], v[4:5], s[8:9]
	ds_store_b64 v3, v[4:5] offset:128
	s_cbranch_scc1 .LBB72_19
; %bb.14:
	global_load_b64 v[4:5], v[1:2], off offset:24
	s_cmp_eq_u32 s6, 4
	s_waitcnt vmcnt(0)
	v_mul_f64 v[4:5], v[4:5], s[8:9]
	;; [unrolled: 7-line block ×5, first 2 shown]
	ds_store_b64 v3, v[4:5] offset:384
	s_cbranch_scc1 .LBB72_19
; %bb.18:
	global_load_b64 v[1:2], v[1:2], off offset:56
	s_waitcnt vmcnt(0)
	v_mul_f64 v[1:2], v[1:2], s[8:9]
	ds_store_b64 v3, v[1:2] offset:448
.LBB72_19:
	s_or_b32 exec_lo, exec_lo, s7
	s_cmpk_eq_i32 s4, 0x6f
	s_waitcnt vmcnt(0) lgkmcnt(0)
	s_waitcnt_vscnt null, 0x0
	; wave barrier
	s_waitcnt lgkmcnt(0)
	buffer_gl0_inv
	s_cbranch_scc1 .LBB72_42
; %bb.20:
	s_cmp_gt_i32 s6, 7
	s_cbranch_scc0 .LBB72_22
; %bb.21:
	v_mov_b32_e32 v38, 0
	s_mov_b32 s4, 8
	ds_load_2addr_b64 v[1:4], v9 offset0:64 offset1:72
	ds_load_2addr_b64 v[5:8], v38 offset1:18
	ds_load_b128 v[10:13], v38 offset:64
	ds_load_b128 v[14:17], v38 offset:128
	s_waitcnt lgkmcnt(2)
	v_mul_f64 v[26:27], v[1:2], v[5:6]
	s_waitcnt lgkmcnt(1)
	s_delay_alu instid0(VALU_DEP_1)
	v_fma_f64 v[5:6], -v[26:27], v[10:11], v[3:4]
	ds_load_2addr_b64 v[1:4], v9 offset0:80 offset1:88
	s_waitcnt lgkmcnt(0)
	v_fma_f64 v[1:2], -v[26:27], v[14:15], v[1:2]
	v_mul_f64 v[28:29], v[5:6], v[12:13]
	ds_load_b128 v[10:13], v38 offset:192
	ds_load_b128 v[18:21], v38 offset:208
	s_waitcnt lgkmcnt(1)
	v_fma_f64 v[5:6], -v[26:27], v[10:11], v[3:4]
	v_fma_f64 v[10:11], -v[28:29], v[16:17], v[1:2]
	ds_load_2addr_b64 v[1:4], v9 offset0:96 offset1:104
	ds_load_b128 v[14:17], v38 offset:256
	ds_load_b128 v[22:25], v38 offset:272
	s_waitcnt lgkmcnt(1)
	v_fma_f64 v[1:2], -v[26:27], v[14:15], v[1:2]
	v_fma_f64 v[14:15], -v[28:29], v[12:13], v[5:6]
	v_mul_f64 v[30:31], v[10:11], v[7:8]
	ds_load_b128 v[5:8], v38 offset:320
	ds_load_b128 v[10:13], v38 offset:336
	s_waitcnt lgkmcnt(1)
	v_fma_f64 v[5:6], -v[26:27], v[5:6], v[3:4]
	v_fma_f64 v[32:33], -v[28:29], v[16:17], v[1:2]
	;; [unrolled: 1-line block ×3, first 2 shown]
	ds_load_2addr_b64 v[1:4], v9 offset0:112 offset1:120
	ds_load_b128 v[14:17], v38 offset:384
	v_fma_f64 v[22:23], -v[30:31], v[22:23], v[32:33]
	s_waitcnt lgkmcnt(0)
	v_fma_f64 v[1:2], -v[26:27], v[14:15], v[1:2]
	v_fma_f64 v[14:15], -v[28:29], v[7:8], v[5:6]
	v_mul_f64 v[32:33], v[18:19], v[20:21]
	ds_load_b128 v[5:8], v38 offset:448
	ds_load_b128 v[18:21], v38 offset:464
	s_waitcnt lgkmcnt(1)
	v_fma_f64 v[5:6], -v[26:27], v[5:6], v[3:4]
	v_fma_f64 v[34:35], -v[28:29], v[16:17], v[1:2]
	;; [unrolled: 1-line block ×4, first 2 shown]
	ds_load_b128 v[1:4], v38 offset:400
	ds_load_2addr_b64 v[14:17], v38 offset0:36 offset1:54
	ds_load_b128 v[22:25], v38 offset:416
	s_waitcnt lgkmcnt(2)
	v_fma_f64 v[1:2], -v[30:31], v[1:2], v[34:35]
	v_fma_f64 v[10:11], -v[32:33], v[12:13], v[10:11]
	s_waitcnt lgkmcnt(1)
	v_mul_f64 v[12:13], v[36:37], v[14:15]
	v_fma_f64 v[14:15], -v[28:29], v[7:8], v[5:6]
	ds_load_b128 v[5:8], v38 offset:352
	v_fma_f64 v[1:2], -v[32:33], v[3:4], v[1:2]
	s_waitcnt lgkmcnt(0)
	v_fma_f64 v[3:4], -v[12:13], v[5:6], v[10:11]
	v_fma_f64 v[5:6], -v[30:31], v[18:19], v[14:15]
	s_delay_alu instid0(VALU_DEP_3) | instskip(NEXT) | instid1(VALU_DEP_3)
	v_fma_f64 v[10:11], -v[12:13], v[22:23], v[1:2]
	v_mul_f64 v[14:15], v[3:4], v[7:8]
	s_delay_alu instid0(VALU_DEP_3)
	v_fma_f64 v[18:19], -v[32:33], v[20:21], v[5:6]
	ds_load_b128 v[1:4], v38 offset:480
	ds_load_b128 v[5:8], v38 offset:496
	ds_store_2addr_b64 v9, v[26:27], v[28:29] offset0:64 offset1:72
	ds_store_2addr_b64 v9, v[30:31], v[32:33] offset0:80 offset1:88
	;; [unrolled: 1-line block ×3, first 2 shown]
	v_fma_f64 v[10:11], -v[14:15], v[24:25], v[10:11]
	s_waitcnt lgkmcnt(4)
	v_fma_f64 v[1:2], -v[12:13], v[1:2], v[18:19]
	s_delay_alu instid0(VALU_DEP_2) | instskip(NEXT) | instid1(VALU_DEP_2)
	v_mul_f64 v[10:11], v[10:11], v[16:17]
	v_fma_f64 v[1:2], -v[14:15], v[3:4], v[1:2]
	s_waitcnt lgkmcnt(3)
	s_delay_alu instid0(VALU_DEP_1) | instskip(NEXT) | instid1(VALU_DEP_1)
	v_fma_f64 v[1:2], -v[10:11], v[5:6], v[1:2]
	v_mul_f64 v[1:2], v[1:2], v[7:8]
	ds_store_2addr_b64 v9, v[10:11], v[1:2] offset0:112 offset1:120
	s_cmp_lt_i32 s4, s12
	s_cbranch_scc1 .LBB72_23
	s_branch .LBB72_41
.LBB72_22:
	s_mov_b32 s4, 0
	s_delay_alu instid0(SALU_CYCLE_1)
	s_cmp_lt_i32 s4, s12
	s_cbranch_scc0 .LBB72_41
.LBB72_23:
	s_or_b32 s5, s4, 3
	s_delay_alu instid0(SALU_CYCLE_1)
	s_cmp_ge_u32 s5, s12
	s_cbranch_scc1 .LBB72_29
; %bb.24:
	v_lshl_or_b32 v10, v0, 3, 0x200
	s_lshl_b32 s5, s4, 6
.LBB72_25:                              ; =>This Loop Header: Depth=1
                                        ;     Child Loop BB72_26 Depth 2
	v_lshl_or_b32 v11, s4, 6, v9
	s_delay_alu instid0(VALU_DEP_2)
	v_mov_b32_e32 v12, v10
	s_cmp_eq_u32 s4, 0
	s_mov_b32 s7, s4
	s_mov_b32 s8, s5
	ds_load_2addr_b64 v[5:8], v11 offset0:64 offset1:72
	ds_load_2addr_b64 v[1:4], v11 offset0:80 offset1:88
	s_cbranch_scc1 .LBB72_27
.LBB72_26:                              ;   Parent Loop BB72_25 Depth=1
                                        ; =>  This Inner Loop Header: Depth=2
	v_mov_b32_e32 v45, s8
	s_add_i32 s7, s7, -4
	s_add_i32 s8, s8, 32
	s_cmp_lg_u32 s7, 0
	ds_load_2addr_b64 v[13:16], v12 offset1:8
	ds_load_b128 v[17:20], v45
	ds_load_b128 v[21:24], v45 offset:64
	ds_load_b128 v[25:28], v45 offset:128
	;; [unrolled: 1-line block ×7, first 2 shown]
	s_waitcnt lgkmcnt(7)
	v_fma_f64 v[5:6], -v[13:14], v[17:18], v[5:6]
	s_waitcnt lgkmcnt(6)
	v_fma_f64 v[7:8], -v[13:14], v[21:22], v[7:8]
	;; [unrolled: 2-line block ×4, first 2 shown]
	s_delay_alu instid0(VALU_DEP_4) | instskip(NEXT) | instid1(VALU_DEP_4)
	v_fma_f64 v[5:6], -v[15:16], v[19:20], v[5:6]
	v_fma_f64 v[7:8], -v[15:16], v[23:24], v[7:8]
	s_delay_alu instid0(VALU_DEP_4) | instskip(NEXT) | instid1(VALU_DEP_4)
	v_fma_f64 v[13:14], -v[15:16], v[27:28], v[1:2]
	v_fma_f64 v[15:16], -v[15:16], v[31:32], v[3:4]
	ds_load_2addr_b64 v[1:4], v12 offset0:16 offset1:24
	v_add_nc_u32_e32 v12, 0x100, v12
	s_waitcnt lgkmcnt(0)
	v_fma_f64 v[5:6], -v[1:2], v[33:34], v[5:6]
	v_fma_f64 v[7:8], -v[1:2], v[37:38], v[7:8]
	;; [unrolled: 1-line block ×4, first 2 shown]
	s_delay_alu instid0(VALU_DEP_4) | instskip(NEXT) | instid1(VALU_DEP_4)
	v_fma_f64 v[5:6], -v[3:4], v[35:36], v[5:6]
	v_fma_f64 v[7:8], -v[3:4], v[39:40], v[7:8]
	s_delay_alu instid0(VALU_DEP_4) | instskip(NEXT) | instid1(VALU_DEP_4)
	v_fma_f64 v[1:2], -v[3:4], v[43:44], v[13:14]
	v_fma_f64 v[3:4], -v[3:4], v[47:48], v[15:16]
	s_cbranch_scc1 .LBB72_26
.LBB72_27:                              ;   in Loop: Header=BB72_25 Depth=1
	s_mul_i32 s7, s4, 0x48
	s_delay_alu instid0(SALU_CYCLE_1) | instskip(SKIP_3) | instid1(SALU_CYCLE_1)
	v_dual_mov_b32 v12, s7 :: v_dual_add_nc_u32 v11, 0x200, v11
	s_lshl_b32 s7, s4, 3
	s_addk_i32 s5, 0x100
	s_or_b32 s8, s7, 8
	s_add_i32 s9, s8, s4
	ds_load_2addr_b64 v[12:15], v12 offset1:18
	s_lshl_b32 s9, s9, 3
	s_waitcnt lgkmcnt(0)
	v_mul_f64 v[12:13], v[5:6], v[12:13]
	v_mov_b32_e32 v5, s9
	s_or_b32 s9, s7, 16
	s_or_b32 s7, s7, 24
	s_add_i32 s10, s9, s4
	ds_load_b128 v[16:19], v5
	s_lshl_b32 s10, s10, 3
	s_delay_alu instid0(SALU_CYCLE_1) | instskip(SKIP_1) | instid1(SALU_CYCLE_1)
	v_mov_b32_e32 v5, s10
	s_add_i32 s10, s7, s4
	s_lshl_b32 s10, s10, 3
	ds_load_b128 v[20:23], v5
	s_waitcnt lgkmcnt(1)
	v_fma_f64 v[5:6], -v[12:13], v[16:17], v[7:8]
	s_waitcnt lgkmcnt(0)
	v_fma_f64 v[1:2], -v[12:13], v[20:21], v[1:2]
	v_mov_b32_e32 v16, s10
	s_delay_alu instid0(VALU_DEP_3)
	v_mul_f64 v[20:21], v[5:6], v[18:19]
	ds_load_b128 v[5:8], v16
	ds_load_b128 v[16:19], v16 offset:16
	s_waitcnt lgkmcnt(1)
	v_fma_f64 v[3:4], -v[12:13], v[5:6], v[3:4]
	v_or_b32_e32 v5, s8, v0
	v_or_b32_e32 v6, s9, v0
	s_delay_alu instid0(VALU_DEP_2) | instskip(NEXT) | instid1(VALU_DEP_2)
	v_lshlrev_b32_e32 v5, 3, v5
	v_lshlrev_b32_e32 v6, 3, v6
	v_fma_f64 v[1:2], -v[20:21], v[22:23], v[1:2]
	v_fma_f64 v[3:4], -v[20:21], v[7:8], v[3:4]
	v_or_b32_e32 v7, s7, v0
	s_add_i32 s7, s4, 4
	s_add_i32 s4, s4, 7
	s_delay_alu instid0(SALU_CYCLE_1) | instskip(NEXT) | instid1(VALU_DEP_1)
	s_cmp_lt_i32 s4, s12
	v_lshlrev_b32_e32 v7, 3, v7
	s_delay_alu instid0(VALU_DEP_4) | instskip(SKIP_1) | instid1(VALU_DEP_1)
	v_mul_f64 v[1:2], v[1:2], v[14:15]
	s_waitcnt lgkmcnt(0)
	v_fma_f64 v[3:4], -v[1:2], v[16:17], v[3:4]
	s_delay_alu instid0(VALU_DEP_1)
	v_mul_f64 v[3:4], v[3:4], v[18:19]
	ds_store_b64 v11, v[12:13]
	ds_store_b64 v5, v[20:21] offset:512
	ds_store_b64 v6, v[1:2] offset:512
	;; [unrolled: 1-line block ×3, first 2 shown]
	s_cbranch_scc0 .LBB72_30
; %bb.28:                               ;   in Loop: Header=BB72_25 Depth=1
	s_mov_b32 s4, s7
	s_branch .LBB72_25
.LBB72_29:
	s_mov_b32 s7, s4
.LBB72_30:
	s_delay_alu instid0(SALU_CYCLE_1)
	s_cmp_ge_i32 s7, s12
	s_cbranch_scc1 .LBB72_41
; %bb.31:
	v_lshl_or_b32 v3, v0, 3, 0x200
	s_add_i32 s4, s7, -1
	s_lshl_b32 s5, s7, 6
	s_mov_b32 s8, 0
	s_mov_b32 s9, s7
	s_branch .LBB72_33
.LBB72_32:                              ;   in Loop: Header=BB72_33 Depth=1
	s_mul_i32 s10, s7, 0x48
	s_delay_alu instid0(SALU_CYCLE_1)
	v_dual_mov_b32 v5, s10 :: v_dual_add_nc_u32 v4, 0x200, v4
	s_add_i32 s7, s7, 1
	s_add_i32 s8, s8, 1
	;; [unrolled: 1-line block ×3, first 2 shown]
	s_cmp_ge_i32 s7, s12
	ds_load_b64 v[5:6], v5
	s_waitcnt lgkmcnt(0)
	v_mul_f64 v[1:2], v[1:2], v[5:6]
	v_add_nc_u16 v5, s9, 1
	s_delay_alu instid0(VALU_DEP_1)
	v_readfirstlane_b32 s9, v5
	ds_store_b64 v4, v[1:2]
	s_cbranch_scc1 .LBB72_41
.LBB72_33:                              ; =>This Loop Header: Depth=1
                                        ;     Child Loop BB72_36 Depth 2
                                        ;     Child Loop BB72_40 Depth 2
	v_lshl_or_b32 v4, s7, 6, v9
	s_cmp_eq_u32 s7, 0
	ds_load_b64 v[1:2], v4 offset:512
	s_cbranch_scc1 .LBB72_32
; %bb.34:                               ;   in Loop: Header=BB72_33 Depth=1
	s_add_i32 s10, s4, s8
	s_delay_alu instid0(SALU_CYCLE_1)
	s_cmp_lt_u32 s10, 7
	s_cbranch_scc1 .LBB72_38
; %bb.35:                               ;   in Loop: Header=BB72_33 Depth=1
	v_mov_b32_e32 v5, v3
	s_and_b32 s10, s7, -8
	s_mov_b32 s11, 0
	s_mov_b32 s13, s5
	s_set_inst_prefetch_distance 0x1
	.p2align	6
.LBB72_36:                              ;   Parent Loop BB72_33 Depth=1
                                        ; =>  This Inner Loop Header: Depth=2
	v_mov_b32_e32 v6, s13
	s_add_i32 s11, s11, 8
	s_add_i32 s13, s13, 64
	s_cmp_lg_u32 s10, s11
	ds_load_2addr_b64 v[10:13], v5 offset1:8
	ds_load_b128 v[14:17], v6
	ds_load_b128 v[18:21], v6 offset:16
	s_waitcnt lgkmcnt(1)
	v_fma_f64 v[1:2], -v[10:11], v[14:15], v[1:2]
	s_delay_alu instid0(VALU_DEP_1) | instskip(SKIP_3) | instid1(VALU_DEP_1)
	v_fma_f64 v[1:2], -v[12:13], v[16:17], v[1:2]
	ds_load_2addr_b64 v[10:13], v5 offset0:16 offset1:24
	s_waitcnt lgkmcnt(0)
	v_fma_f64 v[1:2], -v[10:11], v[18:19], v[1:2]
	v_fma_f64 v[1:2], -v[12:13], v[20:21], v[1:2]
	ds_load_2addr_b64 v[10:13], v5 offset0:32 offset1:40
	ds_load_b128 v[14:17], v6 offset:32
	ds_load_b128 v[18:21], v6 offset:48
	s_waitcnt lgkmcnt(1)
	v_fma_f64 v[1:2], -v[10:11], v[14:15], v[1:2]
	s_delay_alu instid0(VALU_DEP_1) | instskip(SKIP_4) | instid1(VALU_DEP_1)
	v_fma_f64 v[1:2], -v[12:13], v[16:17], v[1:2]
	ds_load_2addr_b64 v[10:13], v5 offset0:48 offset1:56
	v_add_nc_u32_e32 v5, 0x200, v5
	s_waitcnt lgkmcnt(0)
	v_fma_f64 v[1:2], -v[10:11], v[18:19], v[1:2]
	v_fma_f64 v[1:2], -v[12:13], v[20:21], v[1:2]
	s_cbranch_scc1 .LBB72_36
; %bb.37:                               ;   in Loop: Header=BB72_33 Depth=1
	s_set_inst_prefetch_distance 0x2
	s_and_b32 s11, s7, 7
	s_delay_alu instid0(SALU_CYCLE_1)
	s_cmp_eq_u32 s11, 0
	s_cbranch_scc0 .LBB72_39
	s_branch .LBB72_32
.LBB72_38:                              ;   in Loop: Header=BB72_33 Depth=1
	s_mov_b32 s10, 0
	s_and_b32 s11, s7, 7
	s_delay_alu instid0(SALU_CYCLE_1)
	s_cmp_eq_u32 s11, 0
	s_cbranch_scc1 .LBB72_32
.LBB72_39:                              ;   in Loop: Header=BB72_33 Depth=1
	v_lshl_add_u32 v5, s10, 6, v3
	s_and_b32 s11, s9, 7
	s_lshl_b32 s10, s10, 3
.LBB72_40:                              ;   Parent Loop BB72_33 Depth=1
                                        ; =>  This Inner Loop Header: Depth=2
	s_delay_alu instid0(SALU_CYCLE_1)
	s_add_i32 s13, s5, s10
	s_add_i32 s11, s11, -1
	v_mov_b32_e32 v8, s13
	s_add_i32 s10, s10, 8
	s_cmp_lg_u32 s11, 0
	ds_load_b64 v[6:7], v5
	ds_load_b64 v[10:11], v8
	v_add_nc_u32_e32 v5, 64, v5
	s_waitcnt lgkmcnt(0)
	v_fma_f64 v[1:2], -v[6:7], v[10:11], v[1:2]
	s_cbranch_scc1 .LBB72_40
	s_branch .LBB72_32
.LBB72_41:
	s_mov_b32 s5, 0
.LBB72_42:
	s_delay_alu instid0(SALU_CYCLE_1)
	s_and_b32 vcc_lo, exec_lo, s5
	s_cbranch_vccz .LBB72_66
; %bb.43:
	s_cmp_gt_i32 s6, 7
	s_cbranch_scc0 .LBB72_45
; %bb.44:
	s_lshl_b32 s8, s15, 3
	s_add_i32 s5, s12, -2
	v_or_b32_e32 v1, s8, v0
	s_add_i32 s4, s5, s8
	s_lshl_b32 s13, s12, 3
	s_lshl_b32 s4, s4, 3
	s_add_i32 s9, s13, -16
	v_dual_mov_b32 v1, s4 :: v_dual_lshlrev_b32 v38, 3, v1
	s_sub_i32 s7, s13, 24
	s_mul_i32 s4, s15, 0x48
	s_sub_i32 s10, s13, 32
	ds_load_b64 v[5:6], v38 offset:512
	ds_load_2addr_b64 v[1:4], v1 offset1:1
	v_or_b32_e32 v7, s9, v0
	v_or_b32_e32 v8, s7, v0
	s_add_i32 s11, s4, 0xffffffb8
	v_or_b32_e32 v10, s10, v0
	s_add_i32 s14, s12, -4
	v_mov_b32_e32 v11, s11
	s_add_i32 s16, s14, s7
	v_lshlrev_b32_e32 v7, 3, v7
	s_lshl_b32 s16, s16, 3
	v_lshlrev_b32_e32 v39, 3, v8
	v_lshlrev_b32_e32 v14, 3, v10
	ds_load_b64 v[10:11], v11
	ds_load_b64 v[7:8], v7 offset:512
	ds_load_b64 v[12:13], v39 offset:512
	;; [unrolled: 1-line block ×3, first 2 shown]
	s_add_i32 s9, s14, s8
	s_lshl_b32 s5, s5, 3
	s_lshl_b32 s9, s9, 3
	s_add_i32 s10, s12, -6
	s_sub_i32 s11, s13, 40
	s_add_i32 s17, s4, 0xffffff28
	s_waitcnt lgkmcnt(4)
	v_mul_f64 v[20:21], v[5:6], v[3:4]
	s_waitcnt lgkmcnt(2)
	s_delay_alu instid0(VALU_DEP_1) | instskip(SKIP_2) | instid1(SALU_CYCLE_1)
	v_fma_f64 v[16:17], -v[20:21], v[1:2], v[7:8]
	v_mov_b32_e32 v1, s9
	s_add_i32 s9, s14, s5
	s_lshl_b32 s9, s9, 3
	ds_load_2addr_b64 v[1:4], v1 offset1:1
	v_mov_b32_e32 v5, s9
	s_add_i32 s9, s10, s8
	s_delay_alu instid0(SALU_CYCLE_1)
	s_lshl_b32 s9, s9, 3
	ds_load_2addr_b64 v[5:8], v5 offset1:1
	s_waitcnt lgkmcnt(1)
	v_fma_f64 v[3:4], -v[20:21], v[3:4], v[12:13]
	v_fma_f64 v[18:19], -v[20:21], v[1:2], v[14:15]
	v_or_b32_e32 v1, s11, v0
	v_mov_b32_e32 v2, s9
	s_sub_i32 s9, s13, 56
	s_delay_alu instid0(SALU_CYCLE_1) | instskip(NEXT) | instid1(VALU_DEP_3)
	v_or_b32_e32 v15, s9, v0
	v_lshlrev_b32_e32 v40, 3, v1
	v_mul_f64 v[22:23], v[16:17], v[10:11]
	v_mov_b32_e32 v10, s16
	s_sub_i32 s16, s13, 48
	s_sub_i32 s13, s13, 64
	v_or_b32_e32 v14, s16, v0
	s_add_i32 s16, s10, s5
	v_or_b32_e32 v16, s13, v0
	s_lshl_b32 s13, s16, 3
	s_add_i32 s16, s10, s7
	v_mov_b32_e32 v28, s13
	s_add_i32 s13, s12, -8
	s_lshl_b32 s16, s16, 3
	v_dual_mov_b32 v17, s17 :: v_dual_lshlrev_b32 v32, 3, v16
	v_lshlrev_b32_e32 v29, 3, v14
	s_add_i32 s8, s13, s8
	s_add_i32 s7, s13, s7
	s_lshl_b32 s8, s8, 3
	s_lshl_b32 s7, s7, 3
	s_add_i32 s9, s13, s9
	s_delay_alu instid0(SALU_CYCLE_1)
	s_lshl_b32 s9, s9, 3
	s_waitcnt lgkmcnt(0)
	v_fma_f64 v[7:8], -v[22:23], v[7:8], v[3:4]
	ds_load_2addr_b64 v[1:4], v2 offset1:1
	ds_load_b64 v[24:25], v40 offset:512
	ds_load_2addr_b64 v[10:13], v10 offset1:1
	v_fma_f64 v[5:6], -v[22:23], v[5:6], v[18:19]
	s_waitcnt lgkmcnt(1)
	v_fma_f64 v[3:4], -v[20:21], v[3:4], v[24:25]
	s_waitcnt lgkmcnt(0)
	v_mul_f64 v[24:25], v[7:8], v[12:13]
	s_delay_alu instid0(VALU_DEP_1) | instskip(SKIP_2) | instid1(SALU_CYCLE_1)
	v_fma_f64 v[36:37], -v[24:25], v[10:11], v[5:6]
	v_mov_b32_e32 v5, s16
	s_add_i32 s16, s13, s5
	s_lshl_b32 s16, s16, 3
	v_lshlrev_b32_e32 v41, 3, v15
	ds_load_b64 v[26:27], v17
	ds_load_2addr_b64 v[14:17], v28 offset1:1
	ds_load_b64 v[28:29], v29 offset:512
	ds_load_b64 v[30:31], v41 offset:512
	;; [unrolled: 1-line block ×3, first 2 shown]
	s_waitcnt lgkmcnt(3)
	v_fma_f64 v[34:35], -v[22:23], v[16:17], v[3:4]
	v_mov_b32_e32 v16, s16
	s_waitcnt lgkmcnt(2)
	v_fma_f64 v[28:29], -v[20:21], v[1:2], v[28:29]
	v_mov_b32_e32 v1, s8
	ds_load_2addr_b64 v[1:4], v1 offset1:1
	ds_load_2addr_b64 v[5:8], v5 offset1:1
	s_lshl_b32 s8, s14, 3
	s_delay_alu instid0(SALU_CYCLE_1) | instskip(NEXT) | instid1(SALU_CYCLE_1)
	s_add_i32 s14, s10, s8
	s_lshl_b32 s14, s14, 3
	v_mul_f64 v[26:27], v[36:37], v[26:27]
	v_mov_b32_e32 v10, s14
	ds_load_2addr_b64 v[10:13], v10 offset1:1
	ds_load_2addr_b64 v[16:19], v16 offset1:1
	s_add_i32 s14, s10, s11
	s_delay_alu instid0(SALU_CYCLE_1)
	s_lshl_b32 s14, s14, 3
	s_waitcnt lgkmcnt(3)
	v_fma_f64 v[3:4], -v[20:21], v[3:4], v[30:31]
	v_fma_f64 v[32:33], -v[20:21], v[1:2], v[32:33]
	v_mov_b32_e32 v1, s7
	s_add_i32 s7, s13, s8
	s_delay_alu instid0(SALU_CYCLE_1)
	s_lshl_b32 s7, s7, 3
	s_waitcnt lgkmcnt(2)
	v_fma_f64 v[7:8], -v[24:25], v[7:8], v[34:35]
	v_fma_f64 v[14:15], -v[22:23], v[14:15], v[28:29]
	s_waitcnt lgkmcnt(0)
	v_fma_f64 v[18:19], -v[22:23], v[18:19], v[3:4]
	s_delay_alu instid0(VALU_DEP_3) | instskip(SKIP_1) | instid1(VALU_DEP_4)
	v_fma_f64 v[30:31], -v[26:27], v[12:13], v[7:8]
	v_mov_b32_e32 v13, s7
	v_fma_f64 v[28:29], -v[24:25], v[5:6], v[14:15]
	v_mov_b32_e32 v5, s14
	ds_load_2addr_b64 v[1:4], v1 offset1:1
	ds_load_2addr_b64 v[5:8], v5 offset1:1
	s_add_i32 s14, s4, 0xfffffe98
	s_add_i32 s7, s13, s11
	v_mov_b32_e32 v12, s14
	ds_load_b64 v[34:35], v12
	ds_load_2addr_b64 v[12:15], v13 offset1:1
	s_lshl_b32 s7, s7, 3
	s_waitcnt lgkmcnt(3)
	v_fma_f64 v[3:4], -v[24:25], v[3:4], v[18:19]
	s_waitcnt lgkmcnt(2)
	v_mul_f64 v[18:19], v[30:31], v[7:8]
	v_fma_f64 v[7:8], -v[22:23], v[16:17], v[32:33]
	v_fma_f64 v[10:11], -v[26:27], v[10:11], v[28:29]
	s_waitcnt lgkmcnt(0)
	s_delay_alu instid0(VALU_DEP_4) | instskip(NEXT) | instid1(VALU_DEP_3)
	v_fma_f64 v[14:15], -v[26:27], v[14:15], v[3:4]
	v_fma_f64 v[16:17], -v[24:25], v[1:2], v[7:8]
	s_delay_alu instid0(VALU_DEP_3) | instskip(SKIP_2) | instid1(SALU_CYCLE_1)
	v_fma_f64 v[10:11], -v[18:19], v[5:6], v[10:11]
	v_mov_b32_e32 v1, s7
	s_lshl_b32 s7, s10, 3
	s_add_i32 s10, s13, s7
	ds_load_2addr_b64 v[1:4], v1 offset1:1
	s_lshl_b32 s10, s10, 3
	s_delay_alu instid0(SALU_CYCLE_1)
	v_mov_b32_e32 v5, s10
	s_add_i32 s10, s4, 0xfffffe50
	s_addk_i32 s4, 0xfe08
	ds_load_2addr_b64 v[5:8], v5 offset1:1
	s_waitcnt lgkmcnt(1)
	v_fma_f64 v[3:4], -v[18:19], v[3:4], v[14:15]
	v_fma_f64 v[12:13], -v[26:27], v[12:13], v[16:17]
	v_mul_f64 v[10:11], v[10:11], v[34:35]
	s_delay_alu instid0(VALU_DEP_2) | instskip(SKIP_1) | instid1(VALU_DEP_2)
	v_fma_f64 v[1:2], -v[18:19], v[1:2], v[12:13]
	s_waitcnt lgkmcnt(0)
	v_fma_f64 v[3:4], -v[10:11], v[7:8], v[3:4]
	v_mov_b32_e32 v7, s10
	ds_load_b64 v[7:8], v7
	v_fma_f64 v[1:2], -v[10:11], v[5:6], v[1:2]
	s_waitcnt lgkmcnt(0)
	v_mul_f64 v[3:4], v[3:4], v[7:8]
	v_mov_b32_e32 v5, s9
	v_or_b32_e32 v7, s7, v0
	ds_load_b64 v[5:6], v5
	v_lshlrev_b32_e32 v7, 3, v7
	s_waitcnt lgkmcnt(0)
	v_fma_f64 v[1:2], -v[3:4], v[5:6], v[1:2]
	v_mov_b32_e32 v5, s4
	s_add_i32 s4, s12, -9
	ds_load_b64 v[5:6], v5
	ds_store_b64 v38, v[20:21] offset:512
	ds_store_b64 v39, v[24:25] offset:512
	;; [unrolled: 1-line block ×4, first 2 shown]
	v_lshl_or_b32 v3, s13, 6, v9
	s_waitcnt lgkmcnt(4)
	v_mul_f64 v[1:2], v[1:2], v[5:6]
	v_or_b32_e32 v5, s5, v0
	v_or_b32_e32 v6, s8, v0
	s_delay_alu instid0(VALU_DEP_2) | instskip(NEXT) | instid1(VALU_DEP_2)
	v_lshlrev_b32_e32 v5, 3, v5
	v_lshlrev_b32_e32 v6, 3, v6
	ds_store_b64 v5, v[22:23] offset:512
	ds_store_b64 v6, v[26:27] offset:512
	;; [unrolled: 1-line block ×4, first 2 shown]
	s_cmp_gt_i32 s4, -1
	s_cbranch_scc1 .LBB72_46
	s_branch .LBB72_66
.LBB72_45:
	s_mov_b32 s4, s15
	s_delay_alu instid0(SALU_CYCLE_1)
	s_cmp_gt_i32 s4, -1
	s_cbranch_scc0 .LBB72_66
.LBB72_46:
	s_cmp_lt_u32 s4, 3
	s_cbranch_scc1 .LBB72_52
; %bb.47:
	s_lshl_b32 s5, s12, 6
	s_lshl_b32 s7, s4, 3
	v_lshl_or_b32 v1, v0, 3, s5
	s_add_i32 s5, s5, s7
	s_delay_alu instid0(SALU_CYCLE_1) | instskip(NEXT) | instid1(VALU_DEP_1)
	s_addk_i32 s5, 0xffa8
	v_add_nc_u32_e32 v10, 0x1c0, v1
.LBB72_48:                              ; =>This Loop Header: Depth=1
                                        ;     Child Loop BB72_49 Depth 2
	s_lshl_b32 s7, s4, 3
	s_cmp_le_i32 s15, s4
	v_or_b32_e32 v1, s7, v0
	s_mov_b32 s8, s5
	s_mov_b32 s9, s15
	s_delay_alu instid0(VALU_DEP_1)
	v_dual_mov_b32 v12, v10 :: v_dual_lshlrev_b32 v11, 3, v1
	ds_load_2addr_b64 v[5:8], v11 offset0:56 offset1:64
	ds_load_2addr_b64 v[1:4], v11 offset0:40 offset1:48
	s_cbranch_scc1 .LBB72_50
	.p2align	6
.LBB72_49:                              ;   Parent Loop BB72_48 Depth=1
                                        ; =>  This Inner Loop Header: Depth=2
	v_mov_b32_e32 v17, s8
	s_add_i32 s9, s9, -1
	s_sub_i32 s8, s8, 64
	s_cmp_gt_i32 s9, s4
	ds_load_b64 v[21:22], v12
	ds_load_2addr_b64 v[13:16], v17 offset0:2 offset1:3
	ds_load_2addr_b64 v[17:20], v17 offset1:1
	v_subrev_nc_u32_e32 v12, 64, v12
	s_waitcnt lgkmcnt(1)
	v_fma_f64 v[7:8], -v[21:22], v[15:16], v[7:8]
	v_fma_f64 v[5:6], -v[21:22], v[13:14], v[5:6]
	s_waitcnt lgkmcnt(0)
	v_fma_f64 v[3:4], -v[21:22], v[19:20], v[3:4]
	v_fma_f64 v[1:2], -v[21:22], v[17:18], v[1:2]
	s_cbranch_scc1 .LBB72_49
.LBB72_50:                              ;   in Loop: Header=BB72_48 Depth=1
	s_add_i32 s8, s4, -1
	s_sub_i32 s5, s5, 32
	s_add_i32 s9, s8, s7
	s_lshl_b32 s8, s8, 3
	s_lshl_b32 s9, s9, 3
	s_delay_alu instid0(SALU_CYCLE_1) | instskip(SKIP_1) | instid1(SALU_CYCLE_1)
	v_dual_mov_b32 v12, s9 :: v_dual_add_nc_u32 v11, 0x200, v11
	s_mul_i32 s9, s4, 0x48
	s_add_i32 s10, s9, 0xffffffb8
	s_addk_i32 s9, 0xff28
	ds_load_2addr_b64 v[12:15], v12 offset1:1
	v_mov_b32_e32 v16, s10
	s_add_i32 s10, s4, -3
	s_delay_alu instid0(SALU_CYCLE_1)
	s_add_i32 s11, s10, s7
	s_add_i32 s7, s7, -16
	ds_load_b64 v[16:17], v16
	s_lshl_b32 s11, s11, 3
	s_waitcnt lgkmcnt(1)
	v_mul_f64 v[18:19], v[7:8], v[14:15]
	s_delay_alu instid0(VALU_DEP_1)
	v_fma_f64 v[20:21], -v[18:19], v[12:13], v[5:6]
	v_mov_b32_e32 v5, s11
	s_add_i32 s11, s10, s8
	ds_store_b64 v11, v[18:19]
	s_lshl_b32 s11, s11, 3
	v_lshl_or_b32 v11, s10, 6, v9
	ds_load_2addr_b64 v[5:8], v5 offset1:1
	v_mov_b32_e32 v12, s11
	s_add_i32 s11, s10, s7
	s_delay_alu instid0(SALU_CYCLE_1)
	s_lshl_b32 s11, s11, 3
	ds_load_2addr_b64 v[12:15], v12 offset1:1
	s_waitcnt lgkmcnt(1)
	v_fma_f64 v[3:4], -v[18:19], v[7:8], v[3:4]
	v_fma_f64 v[5:6], -v[18:19], v[5:6], v[1:2]
	v_mov_b32_e32 v1, s11
	v_mul_f64 v[7:8], v[20:21], v[16:17]
	v_mov_b32_e32 v16, s9
	ds_load_b64 v[16:17], v16
	s_waitcnt lgkmcnt(1)
	v_fma_f64 v[14:15], -v[7:8], v[14:15], v[3:4]
	ds_load_2addr_b64 v[1:4], v1 offset1:1
	v_fma_f64 v[5:6], -v[7:8], v[12:13], v[5:6]
	s_waitcnt lgkmcnt(0)
	v_mul_f64 v[3:4], v[14:15], v[3:4]
	s_delay_alu instid0(VALU_DEP_1) | instskip(SKIP_4) | instid1(VALU_DEP_2)
	v_fma_f64 v[1:2], -v[3:4], v[1:2], v[5:6]
	v_or_b32_e32 v5, s8, v0
	v_or_b32_e32 v6, s7, v0
	s_add_i32 s7, s4, -4
	s_cmp_gt_i32 s4, 6
	v_lshlrev_b32_e32 v5, 3, v5
	s_delay_alu instid0(VALU_DEP_2)
	v_lshlrev_b32_e32 v6, 3, v6
	v_mul_f64 v[1:2], v[1:2], v[16:17]
	ds_store_b64 v5, v[7:8] offset:512
	ds_store_b64 v6, v[3:4] offset:512
	;; [unrolled: 1-line block ×3, first 2 shown]
	s_cbranch_scc0 .LBB72_53
; %bb.51:                               ;   in Loop: Header=BB72_48 Depth=1
	s_mov_b32 s4, s7
	s_branch .LBB72_48
.LBB72_52:
	s_mov_b32 s7, s4
.LBB72_53:
	s_delay_alu instid0(SALU_CYCLE_1)
	s_cmp_lt_i32 s7, 0
	s_cbranch_scc1 .LBB72_66
; %bb.54:
	s_bitcmp1_b32 s7, 0
	s_cselect_b32 s4, -1, 0
	s_delay_alu instid0(SALU_CYCLE_1)
	s_and_b32 vcc_lo, exec_lo, s4
	s_mov_b32 s4, s7
	s_cbranch_vccnz .LBB72_59
; %bb.55:
	s_lshl_b32 s4, s7, 3
	s_cmp_le_i32 s15, s7
	v_or_b32_e32 v1, s4, v0
	s_delay_alu instid0(VALU_DEP_1)
	v_lshlrev_b32_e32 v3, 3, v1
	ds_load_b64 v[1:2], v3 offset:512
	s_cbranch_scc1 .LBB72_58
; %bb.56:
	s_lshl_b32 s5, s12, 6
	s_delay_alu instid0(SALU_CYCLE_1) | instskip(SKIP_1) | instid1(SALU_CYCLE_1)
	v_lshl_or_b32 v4, v0, 3, s5
	s_add_i32 s5, s5, s4
	s_sub_i32 s4, s5, 64
	s_mov_b32 s5, s15
	s_delay_alu instid0(VALU_DEP_1)
	v_add_nc_u32_e32 v4, 0x1c0, v4
.LBB72_57:                              ; =>This Inner Loop Header: Depth=1
	v_mov_b32_e32 v7, s4
	s_add_i32 s5, s5, -1
	s_sub_i32 s4, s4, 64
	s_cmp_gt_i32 s5, s7
	ds_load_b64 v[5:6], v4
	ds_load_b64 v[7:8], v7
	v_subrev_nc_u32_e32 v4, 64, v4
	s_waitcnt lgkmcnt(0)
	v_fma_f64 v[1:2], -v[5:6], v[7:8], v[1:2]
	s_cbranch_scc1 .LBB72_57
.LBB72_58:
	s_mul_i32 s4, s7, 0x48
	s_delay_alu instid0(SALU_CYCLE_1)
	v_dual_mov_b32 v4, s4 :: v_dual_add_nc_u32 v3, 0x200, v3
	s_add_i32 s4, s7, -1
	ds_load_b64 v[4:5], v4
	s_waitcnt lgkmcnt(0)
	v_mul_f64 v[1:2], v[1:2], v[4:5]
	ds_store_b64 v3, v[1:2]
.LBB72_59:
	s_cmp_eq_u32 s7, 0
	s_cbranch_scc1 .LBB72_66
; %bb.60:
	s_lshl_b32 s5, s12, 6
	s_lshl_b32 s7, s4, 3
	v_lshl_or_b32 v1, v0, 3, s5
	s_add_i32 s7, s5, s7
	s_delay_alu instid0(SALU_CYCLE_1) | instskip(SKIP_1) | instid1(VALU_DEP_1)
	s_sub_i32 s5, s7, 64
	s_addk_i32 s7, 0xffb8
	v_add_nc_u32_e32 v5, 0x1c0, v1
	s_branch .LBB72_62
.LBB72_61:                              ;   in Loop: Header=BB72_62 Depth=1
	s_addk_i32 s8, 0xffb8
	s_delay_alu instid0(SALU_CYCLE_1)
	v_dual_mov_b32 v2, s8 :: v_dual_add_nc_u32 v1, 0x200, v6
	s_add_i32 s8, s4, -2
	s_add_i32 s5, s5, -16
	;; [unrolled: 1-line block ×3, first 2 shown]
	s_cmp_lt_i32 s4, 2
	ds_load_b64 v[6:7], v2
	s_mov_b32 s4, s8
	s_waitcnt lgkmcnt(0)
	v_mul_f64 v[2:3], v[3:4], v[6:7]
	ds_store_b64 v1, v[2:3]
	s_cbranch_scc1 .LBB72_66
.LBB72_62:                              ; =>This Loop Header: Depth=1
                                        ;     Child Loop BB72_63 Depth 2
                                        ;     Child Loop BB72_65 Depth 2
	v_lshl_or_b32 v3, s4, 6, v9
	s_delay_alu instid0(VALU_DEP_2)
	v_mov_b32_e32 v4, v5
	s_cmp_le_i32 s15, s4
	s_mov_b32 s8, s5
	s_mov_b32 s9, s15
	ds_load_b64 v[1:2], v3 offset:512
	s_cbranch_scc1 .LBB72_64
.LBB72_63:                              ;   Parent Loop BB72_62 Depth=1
                                        ; =>  This Inner Loop Header: Depth=2
	v_mov_b32_e32 v8, s8
	s_add_i32 s9, s9, -1
	s_sub_i32 s8, s8, 64
	s_cmp_gt_i32 s9, s4
	ds_load_b64 v[6:7], v4
	ds_load_b64 v[10:11], v8
	v_subrev_nc_u32_e32 v4, 64, v4
	s_waitcnt lgkmcnt(0)
	v_fma_f64 v[1:2], -v[6:7], v[10:11], v[1:2]
	s_cbranch_scc1 .LBB72_63
.LBB72_64:                              ;   in Loop: Header=BB72_62 Depth=1
	s_mul_i32 s8, s4, 0x48
	v_add_nc_u32_e32 v7, 0x200, v3
	v_mov_b32_e32 v3, s8
	s_lshl_b32 s9, s4, 6
	s_mov_b32 s10, s12
	s_sub_i32 s9, s9, 64
	s_cmp_lt_i32 s15, s4
	ds_load_b64 v[10:11], v3
	v_lshl_or_b32 v6, v0, 3, s9
	s_mov_b32 s9, s7
	ds_load_b64 v[3:4], v6 offset:512
	s_waitcnt lgkmcnt(1)
	v_mul_f64 v[10:11], v[1:2], v[10:11]
	v_mov_b32_e32 v1, v5
	ds_store_b64 v7, v[10:11]
	s_cbranch_scc1 .LBB72_61
.LBB72_65:                              ;   Parent Loop BB72_62 Depth=1
                                        ; =>  This Inner Loop Header: Depth=2
	v_mov_b32_e32 v2, s9
	s_add_i32 s10, s10, -1
	s_sub_i32 s9, s9, 64
	s_cmp_gt_i32 s10, s4
	ds_load_b64 v[7:8], v1
	ds_load_b64 v[10:11], v2
	v_subrev_nc_u32_e32 v1, 64, v1
	s_waitcnt lgkmcnt(0)
	v_fma_f64 v[3:4], -v[7:8], v[10:11], v[3:4]
	s_cbranch_scc1 .LBB72_65
	s_branch .LBB72_61
.LBB72_66:
	s_waitcnt vmcnt(0) lgkmcnt(0)
	s_waitcnt_vscnt null, 0x0
	; wave barrier
	s_waitcnt lgkmcnt(0)
	buffer_gl0_inv
	s_and_saveexec_b32 s4, s3
	s_cbranch_execz .LBB72_75
; %bb.67:
	v_mad_i64_i32 v[1:2], null, s0, v0, 0
	ds_load_b64 v[3:4], v9 offset:512
	s_cmp_eq_u32 s6, 1
	v_lshlrev_b64 v[0:1], 3, v[1:2]
	s_delay_alu instid0(VALU_DEP_1) | instskip(NEXT) | instid1(VALU_DEP_2)
	v_add_co_u32 v0, vcc_lo, s1, v0
	v_add_co_ci_u32_e32 v1, vcc_lo, s2, v1, vcc_lo
	s_waitcnt lgkmcnt(0)
	global_store_b64 v[0:1], v[3:4], off
	s_cbranch_scc1 .LBB72_75
; %bb.68:
	v_or_b32_e32 v2, 0x200, v9
	s_cmp_eq_u32 s6, 2
	ds_load_b64 v[3:4], v2 offset:64
	s_waitcnt lgkmcnt(0)
	global_store_b64 v[0:1], v[3:4], off offset:8
	s_cbranch_scc1 .LBB72_75
; %bb.69:
	ds_load_b64 v[3:4], v2 offset:128
	s_cmp_eq_u32 s6, 3
	s_waitcnt lgkmcnt(0)
	global_store_b64 v[0:1], v[3:4], off offset:16
	s_cbranch_scc1 .LBB72_75
; %bb.70:
	ds_load_b64 v[3:4], v2 offset:192
	s_cmp_eq_u32 s6, 4
	;; [unrolled: 6-line block ×5, first 2 shown]
	s_waitcnt lgkmcnt(0)
	global_store_b64 v[0:1], v[3:4], off offset:48
	s_cbranch_scc1 .LBB72_75
; %bb.74:
	ds_load_b64 v[2:3], v2 offset:448
	s_waitcnt lgkmcnt(0)
	global_store_b64 v[0:1], v[2:3], off offset:56
.LBB72_75:
	s_nop 0
	s_sendmsg sendmsg(MSG_DEALLOC_VGPRS)
	s_endpgm
	.section	.rodata,"a",@progbits
	.p2align	6, 0x0
	.amdhsa_kernel _ZL38rocblas_trsm_small_left_device_sharedBILi8ELi8ELb0EddPKPKdPKPdEv13rocblas_fill_18rocblas_operation_17rocblas_diagonal_iiT3_T4_lilT5_lili
		.amdhsa_group_segment_fixed_size 1024
		.amdhsa_private_segment_fixed_size 0
		.amdhsa_kernarg_size 360
		.amdhsa_user_sgpr_count 14
		.amdhsa_user_sgpr_dispatch_ptr 0
		.amdhsa_user_sgpr_queue_ptr 0
		.amdhsa_user_sgpr_kernarg_segment_ptr 1
		.amdhsa_user_sgpr_dispatch_id 0
		.amdhsa_user_sgpr_private_segment_size 0
		.amdhsa_wavefront_size32 1
		.amdhsa_uses_dynamic_stack 0
		.amdhsa_enable_private_segment 0
		.amdhsa_system_sgpr_workgroup_id_x 1
		.amdhsa_system_sgpr_workgroup_id_y 0
		.amdhsa_system_sgpr_workgroup_id_z 1
		.amdhsa_system_sgpr_workgroup_info 0
		.amdhsa_system_vgpr_workitem_id 0
		.amdhsa_next_free_vgpr 49
		.amdhsa_next_free_sgpr 32
		.amdhsa_reserve_vcc 1
		.amdhsa_float_round_mode_32 0
		.amdhsa_float_round_mode_16_64 0
		.amdhsa_float_denorm_mode_32 3
		.amdhsa_float_denorm_mode_16_64 3
		.amdhsa_dx10_clamp 1
		.amdhsa_ieee_mode 1
		.amdhsa_fp16_overflow 0
		.amdhsa_workgroup_processor_mode 1
		.amdhsa_memory_ordered 1
		.amdhsa_forward_progress 0
		.amdhsa_shared_vgpr_count 0
		.amdhsa_exception_fp_ieee_invalid_op 0
		.amdhsa_exception_fp_denorm_src 0
		.amdhsa_exception_fp_ieee_div_zero 0
		.amdhsa_exception_fp_ieee_overflow 0
		.amdhsa_exception_fp_ieee_underflow 0
		.amdhsa_exception_fp_ieee_inexact 0
		.amdhsa_exception_int_div_zero 0
	.end_amdhsa_kernel
	.section	.text._ZL38rocblas_trsm_small_left_device_sharedBILi8ELi8ELb0EddPKPKdPKPdEv13rocblas_fill_18rocblas_operation_17rocblas_diagonal_iiT3_T4_lilT5_lili,"axG",@progbits,_ZL38rocblas_trsm_small_left_device_sharedBILi8ELi8ELb0EddPKPKdPKPdEv13rocblas_fill_18rocblas_operation_17rocblas_diagonal_iiT3_T4_lilT5_lili,comdat
.Lfunc_end72:
	.size	_ZL38rocblas_trsm_small_left_device_sharedBILi8ELi8ELb0EddPKPKdPKPdEv13rocblas_fill_18rocblas_operation_17rocblas_diagonal_iiT3_T4_lilT5_lili, .Lfunc_end72-_ZL38rocblas_trsm_small_left_device_sharedBILi8ELi8ELb0EddPKPKdPKPdEv13rocblas_fill_18rocblas_operation_17rocblas_diagonal_iiT3_T4_lilT5_lili
                                        ; -- End function
	.section	.AMDGPU.csdata,"",@progbits
; Kernel info:
; codeLenInByte = 5500
; NumSgprs: 34
; NumVgprs: 49
; ScratchSize: 0
; MemoryBound: 0
; FloatMode: 240
; IeeeMode: 1
; LDSByteSize: 1024 bytes/workgroup (compile time only)
; SGPRBlocks: 4
; VGPRBlocks: 6
; NumSGPRsForWavesPerEU: 34
; NumVGPRsForWavesPerEU: 49
; Occupancy: 16
; WaveLimiterHint : 1
; COMPUTE_PGM_RSRC2:SCRATCH_EN: 0
; COMPUTE_PGM_RSRC2:USER_SGPR: 14
; COMPUTE_PGM_RSRC2:TRAP_HANDLER: 0
; COMPUTE_PGM_RSRC2:TGID_X_EN: 1
; COMPUTE_PGM_RSRC2:TGID_Y_EN: 0
; COMPUTE_PGM_RSRC2:TGID_Z_EN: 1
; COMPUTE_PGM_RSRC2:TIDIG_COMP_CNT: 0
	.section	.text._ZL30rocblas_trsm_small_left_deviceILi8ELi8ELb0EddPKPKdPKPdEv13rocblas_fill_18rocblas_operation_17rocblas_diagonal_iiT3_T4_lilT5_lili,"axG",@progbits,_ZL30rocblas_trsm_small_left_deviceILi8ELi8ELb0EddPKPKdPKPdEv13rocblas_fill_18rocblas_operation_17rocblas_diagonal_iiT3_T4_lilT5_lili,comdat
	.globl	_ZL30rocblas_trsm_small_left_deviceILi8ELi8ELb0EddPKPKdPKPdEv13rocblas_fill_18rocblas_operation_17rocblas_diagonal_iiT3_T4_lilT5_lili ; -- Begin function _ZL30rocblas_trsm_small_left_deviceILi8ELi8ELb0EddPKPKdPKPdEv13rocblas_fill_18rocblas_operation_17rocblas_diagonal_iiT3_T4_lilT5_lili
	.p2align	8
	.type	_ZL30rocblas_trsm_small_left_deviceILi8ELi8ELb0EddPKPKdPKPdEv13rocblas_fill_18rocblas_operation_17rocblas_diagonal_iiT3_T4_lilT5_lili,@function
_ZL30rocblas_trsm_small_left_deviceILi8ELi8ELb0EddPKPKdPKPdEv13rocblas_fill_18rocblas_operation_17rocblas_diagonal_iiT3_T4_lilT5_lili: ; @_ZL30rocblas_trsm_small_left_deviceILi8ELi8ELb0EddPKPKdPKPdEv13rocblas_fill_18rocblas_operation_17rocblas_diagonal_iiT3_T4_lilT5_lili
; %bb.0:
	s_load_b128 s[16:19], s[0:1], 0x40
	s_mov_b32 s2, s15
	s_mov_b32 s3, 0
	s_clause 0x1
	s_load_b128 s[8:11], s[0:1], 0x4
	s_load_b64 s[20:21], s[0:1], 0x28
	s_lshl_b64 s[24:25], s[2:3], 3
	s_waitcnt lgkmcnt(0)
	s_add_u32 s12, s16, s24
	s_addc_u32 s13, s17, s25
	s_load_b128 s[4:7], s[0:1], 0x18
	s_load_b64 s[16:17], s[12:13], 0x0
	s_min_i32 s2, s10, 8
	s_mov_b32 s13, exec_lo
	s_add_i32 s12, s2, -1
	v_cmpx_gt_i32_e64 s2, v0
	s_cbranch_execz .LBB73_10
; %bb.1:
	s_load_b32 s22, s[0:1], 0x30
	v_lshlrev_b32_e32 v3, 3, v0
	s_waitcnt lgkmcnt(0)
	s_ashr_i32 s23, s22, 31
	s_add_u32 s6, s6, s24
	s_addc_u32 s7, s7, s25
	s_cmp_lt_u32 s12, 3
	s_load_b64 s[6:7], s[6:7], 0x0
	s_cbranch_scc1 .LBB73_4
; %bb.2:
	s_lshl_b64 s[24:25], s[20:21], 3
	v_mov_b32_e32 v4, v3
	s_waitcnt lgkmcnt(0)
	s_add_u32 s3, s6, s24
	s_addc_u32 s15, s7, s25
	v_add_co_u32 v1, s3, s3, v3
	s_delay_alu instid0(VALU_DEP_1)
	v_add_co_ci_u32_e64 v2, null, s15, 0, s3
	s_and_b32 s3, s2, -4
	s_mul_hi_i32 s15, s22, 24
	s_mul_i32 s30, s22, 24
	s_lshl_b64 s[24:25], s[22:23], 5
	s_lshl_b64 s[26:27], s[22:23], 4
	;; [unrolled: 1-line block ×3, first 2 shown]
	s_mov_b32 s31, 0
	.p2align	6
.LBB73_3:                               ; =>This Inner Loop Header: Depth=1
	v_add_co_u32 v5, vcc_lo, v1, s28
	v_add_co_ci_u32_e32 v6, vcc_lo, s29, v2, vcc_lo
	v_add_co_u32 v7, vcc_lo, v1, s26
	v_add_co_ci_u32_e32 v8, vcc_lo, s27, v2, vcc_lo
	;; [unrolled: 2-line block ×3, first 2 shown]
	s_clause 0x3
	global_load_b64 v[11:12], v[1:2], off
	global_load_b64 v[5:6], v[5:6], off
	;; [unrolled: 1-line block ×4, first 2 shown]
	v_add_co_u32 v1, vcc_lo, v1, s24
	v_add_co_ci_u32_e32 v2, vcc_lo, s25, v2, vcc_lo
	s_add_i32 s31, s31, 4
	s_waitcnt vmcnt(2)
	ds_store_2addr_b64 v4, v[11:12], v[5:6] offset1:8
	s_waitcnt vmcnt(0)
	ds_store_2addr_b64 v4, v[7:8], v[9:10] offset0:16 offset1:24
	v_add_nc_u32_e32 v4, 0x100, v4
	s_cmp_eq_u32 s3, s31
	s_cbranch_scc0 .LBB73_3
.LBB73_4:
	s_and_b32 s15, s2, 3
	s_delay_alu instid0(SALU_CYCLE_1)
	s_cmp_eq_u32 s15, 0
	s_cbranch_scc1 .LBB73_7
; %bb.5:
	s_mul_i32 s25, s23, s3
	s_mul_hi_u32 s26, s22, s3
	s_mul_i32 s24, s22, s3
	s_add_i32 s25, s26, s25
	s_lshl_b64 s[20:21], s[20:21], 3
	s_lshl_b64 s[24:25], s[24:25], 3
	v_lshl_or_b32 v4, s3, 6, v3
	s_add_u32 s3, s24, s20
	s_addc_u32 s20, s25, s21
	s_waitcnt lgkmcnt(0)
	s_add_u32 s3, s6, s3
	s_addc_u32 s6, s7, s20
	v_add_co_u32 v1, s3, s3, v3
	s_delay_alu instid0(VALU_DEP_1)
	v_add_co_ci_u32_e64 v2, null, s6, 0, s3
	s_lshl_b64 s[6:7], s[22:23], 3
.LBB73_6:                               ; =>This Inner Loop Header: Depth=1
	global_load_b64 v[5:6], v[1:2], off
	v_add_co_u32 v1, vcc_lo, v1, s6
	v_add_co_ci_u32_e32 v2, vcc_lo, s7, v2, vcc_lo
	s_add_i32 s15, s15, -1
	s_delay_alu instid0(SALU_CYCLE_1)
	s_cmp_lg_u32 s15, 0
	s_waitcnt vmcnt(0)
	ds_store_b64 v4, v[5:6]
	v_add_nc_u32_e32 v4, 64, v4
	s_cbranch_scc1 .LBB73_6
.LBB73_7:
	v_mul_u32_u24_e32 v3, 9, v0
	v_mov_b32_e32 v1, 0
	v_mov_b32_e32 v2, 0x3ff00000
	s_cmpk_lg_i32 s9, 0x84
	s_delay_alu instid0(VALU_DEP_3)
	v_lshlrev_b32_e32 v3, 3, v3
	s_cbranch_scc0 .LBB73_9
; %bb.8:
	ds_load_b64 v[1:2], v3
	s_waitcnt lgkmcnt(0)
	v_div_scale_f64 v[4:5], null, v[1:2], v[1:2], 1.0
	s_delay_alu instid0(VALU_DEP_1) | instskip(SKIP_2) | instid1(VALU_DEP_1)
	v_rcp_f64_e32 v[6:7], v[4:5]
	s_waitcnt_depctr 0xfff
	v_fma_f64 v[8:9], -v[4:5], v[6:7], 1.0
	v_fma_f64 v[6:7], v[6:7], v[8:9], v[6:7]
	s_delay_alu instid0(VALU_DEP_1) | instskip(NEXT) | instid1(VALU_DEP_1)
	v_fma_f64 v[8:9], -v[4:5], v[6:7], 1.0
	v_fma_f64 v[6:7], v[6:7], v[8:9], v[6:7]
	v_div_scale_f64 v[8:9], vcc_lo, 1.0, v[1:2], 1.0
	s_delay_alu instid0(VALU_DEP_1) | instskip(NEXT) | instid1(VALU_DEP_1)
	v_mul_f64 v[10:11], v[8:9], v[6:7]
	v_fma_f64 v[4:5], -v[4:5], v[10:11], v[8:9]
	s_delay_alu instid0(VALU_DEP_1) | instskip(NEXT) | instid1(VALU_DEP_1)
	v_div_fmas_f64 v[4:5], v[4:5], v[6:7], v[10:11]
	v_div_fixup_f64 v[1:2], v[4:5], v[1:2], 1.0
.LBB73_9:
	ds_store_b64 v3, v[1:2]
.LBB73_10:
	s_or_b32 exec_lo, exec_lo, s13
	s_load_b32 s3, s[0:1], 0x68
	s_waitcnt lgkmcnt(0)
	s_lshl_b32 s6, s14, 3
	s_delay_alu instid0(SALU_CYCLE_1) | instskip(SKIP_2) | instid1(SALU_CYCLE_1)
	s_sub_i32 s7, s11, s6
	; wave barrier
	buffer_gl0_inv
	s_add_i32 s3, s3, -1
	s_cmp_ge_u32 s14, s3
	s_cselect_b32 s3, s7, 8
	s_delay_alu instid0(SALU_CYCLE_1)
	v_cmp_gt_i32_e32 vcc_lo, s3, v0
	s_mov_b32 s3, -1
	s_and_saveexec_b32 s7, vcc_lo
	s_cbranch_execz .LBB73_58
; %bb.11:
	s_load_b32 s0, s[0:1], 0x50
	v_add_nc_u32_e32 v2, s6, v0
	s_waitcnt lgkmcnt(0)
	s_delay_alu instid0(VALU_DEP_1) | instskip(SKIP_1) | instid1(SALU_CYCLE_1)
	v_mad_i64_i32 v[0:1], null, s0, v2, 0
	s_lshl_b64 s[0:1], s[18:19], 3
	s_add_u32 s6, s16, s0
	s_addc_u32 s7, s17, s1
	s_cmpk_eq_i32 s8, 0x6f
	s_delay_alu instid0(VALU_DEP_1) | instskip(NEXT) | instid1(VALU_DEP_1)
	v_lshlrev_b64 v[2:3], 3, v[0:1]
	v_add_co_u32 v0, vcc_lo, s6, v2
	s_delay_alu instid0(VALU_DEP_2)
	v_add_co_ci_u32_e32 v1, vcc_lo, s7, v3, vcc_lo
	s_cbranch_scc1 .LBB73_34
; %bb.12:
	s_cmp_gt_i32 s10, 7
	s_cbranch_scc0 .LBB73_14
; %bb.13:
	s_clause 0x3
	global_load_b128 v[4:7], v[0:1], off
	global_load_b128 v[8:11], v[0:1], off offset:16
	global_load_b128 v[12:15], v[0:1], off offset:32
	;; [unrolled: 1-line block ×3, first 2 shown]
	v_mov_b32_e32 v46, 0
	s_mov_b32 s6, 8
	ds_load_2addr_b64 v[20:23], v46 offset1:18
	ds_load_b128 v[24:27], v46 offset:64
	ds_load_b128 v[28:31], v46 offset:128
	;; [unrolled: 1-line block ×4, first 2 shown]
	s_waitcnt vmcnt(3)
	v_mul_f64 v[4:5], v[4:5], s[4:5]
	s_waitcnt lgkmcnt(4)
	s_delay_alu instid0(VALU_DEP_1) | instskip(SKIP_1) | instid1(VALU_DEP_1)
	v_mul_f64 v[4:5], v[4:5], v[20:21]
	s_waitcnt lgkmcnt(3)
	v_mul_f64 v[20:21], v[4:5], v[24:25]
	s_waitcnt lgkmcnt(2)
	v_mul_f64 v[24:25], v[4:5], v[28:29]
	s_delay_alu instid0(VALU_DEP_2) | instskip(SKIP_3) | instid1(VALU_DEP_3)
	v_fma_f64 v[6:7], v[6:7], s[4:5], -v[20:21]
	s_waitcnt lgkmcnt(1)
	v_mul_f64 v[20:21], v[4:5], v[32:33]
	s_waitcnt vmcnt(2)
	v_fma_f64 v[8:9], v[8:9], s[4:5], -v[24:25]
	s_delay_alu instid0(VALU_DEP_3)
	v_mul_f64 v[6:7], v[6:7], v[26:27]
	ds_load_b128 v[24:27], v46 offset:256
	ds_load_b128 v[40:43], v46 offset:272
	v_fma_f64 v[20:21], v[10:11], s[4:5], -v[20:21]
	s_waitcnt lgkmcnt(1)
	v_mul_f64 v[24:25], v[4:5], v[24:25]
	v_fma_f64 v[32:33], -v[6:7], v[30:31], v[8:9]
	ds_load_b128 v[8:11], v46 offset:320
	ds_load_b128 v[28:31], v46 offset:336
	s_waitcnt lgkmcnt(1)
	v_mul_f64 v[44:45], v[4:5], v[8:9]
	s_waitcnt vmcnt(1)
	v_fma_f64 v[12:13], v[12:13], s[4:5], -v[24:25]
	v_fma_f64 v[24:25], -v[6:7], v[34:35], v[20:21]
	v_mul_f64 v[8:9], v[32:33], v[22:23]
	ds_load_b128 v[20:23], v46 offset:384
	v_fma_f64 v[32:33], v[14:15], s[4:5], -v[44:45]
	s_waitcnt lgkmcnt(0)
	v_mul_f64 v[20:21], v[4:5], v[20:21]
	v_fma_f64 v[34:35], -v[6:7], v[26:27], v[12:13]
	v_fma_f64 v[36:37], -v[8:9], v[36:37], v[24:25]
	ds_load_b128 v[12:15], v46 offset:448
	ds_load_b128 v[24:27], v46 offset:464
	s_waitcnt lgkmcnt(1)
	v_mul_f64 v[12:13], v[4:5], v[12:13]
	s_waitcnt vmcnt(0)
	v_fma_f64 v[16:17], v[16:17], s[4:5], -v[20:21]
	v_fma_f64 v[20:21], -v[6:7], v[10:11], v[32:33]
	v_fma_f64 v[32:33], -v[8:9], v[40:41], v[34:35]
	v_mul_f64 v[10:11], v[36:37], v[38:39]
	v_fma_f64 v[40:41], v[18:19], s[4:5], -v[12:13]
	v_fma_f64 v[36:37], -v[6:7], v[22:23], v[16:17]
	v_fma_f64 v[28:29], -v[8:9], v[28:29], v[20:21]
	s_delay_alu instid0(VALU_DEP_4)
	v_fma_f64 v[38:39], -v[10:11], v[42:43], v[32:33]
	ds_load_b128 v[16:19], v46 offset:400
	ds_load_2addr_b64 v[20:23], v46 offset0:36 offset1:54
	ds_load_b128 v[32:35], v46 offset:416
	s_waitcnt lgkmcnt(2)
	v_fma_f64 v[36:37], -v[8:9], v[16:17], v[36:37]
	v_fma_f64 v[28:29], -v[10:11], v[30:31], v[28:29]
	s_waitcnt lgkmcnt(1)
	v_mul_f64 v[12:13], v[38:39], v[20:21]
	v_fma_f64 v[20:21], -v[6:7], v[14:15], v[40:41]
	ds_load_b128 v[14:17], v46 offset:352
	v_fma_f64 v[18:19], -v[10:11], v[18:19], v[36:37]
	s_waitcnt lgkmcnt(0)
	v_fma_f64 v[14:15], -v[12:13], v[14:15], v[28:29]
	v_fma_f64 v[20:21], -v[8:9], v[24:25], v[20:21]
	s_delay_alu instid0(VALU_DEP_3) | instskip(NEXT) | instid1(VALU_DEP_3)
	v_fma_f64 v[28:29], -v[12:13], v[32:33], v[18:19]
	v_mul_f64 v[14:15], v[14:15], v[16:17]
	s_delay_alu instid0(VALU_DEP_3)
	v_fma_f64 v[20:21], -v[10:11], v[26:27], v[20:21]
	ds_load_b128 v[16:19], v46 offset:480
	ds_load_b128 v[24:27], v46 offset:496
	s_clause 0x1
	global_store_b128 v[0:1], v[4:7], off
	global_store_b128 v[0:1], v[8:11], off offset:16
	v_fma_f64 v[28:29], -v[14:15], v[34:35], v[28:29]
	s_waitcnt lgkmcnt(1)
	v_fma_f64 v[20:21], -v[12:13], v[16:17], v[20:21]
	s_delay_alu instid0(VALU_DEP_2) | instskip(NEXT) | instid1(VALU_DEP_2)
	v_mul_f64 v[16:17], v[28:29], v[22:23]
	v_fma_f64 v[18:19], -v[14:15], v[18:19], v[20:21]
	s_waitcnt lgkmcnt(0)
	s_delay_alu instid0(VALU_DEP_1) | instskip(NEXT) | instid1(VALU_DEP_1)
	v_fma_f64 v[18:19], -v[16:17], v[24:25], v[18:19]
	v_mul_f64 v[18:19], v[18:19], v[26:27]
	s_clause 0x1
	global_store_b128 v[0:1], v[12:15], off offset:32
	global_store_b128 v[0:1], v[16:19], off offset:48
	s_cmp_lt_i32 s6, s2
	s_cbranch_scc1 .LBB73_15
	s_branch .LBB73_33
.LBB73_14:
	s_mov_b32 s6, 0
	s_delay_alu instid0(SALU_CYCLE_1)
	s_cmp_lt_i32 s6, s2
	s_cbranch_scc0 .LBB73_33
.LBB73_15:
	s_or_b32 s3, s6, 3
	s_delay_alu instid0(SALU_CYCLE_1)
	s_cmp_ge_u32 s3, s2
	s_cbranch_scc1 .LBB73_21
; %bb.16:
	s_lshl_b32 s3, s6, 6
	s_add_u32 s7, s16, s0
	s_addc_u32 s8, s17, s1
	v_add_co_u32 v4, vcc_lo, s7, v2
	v_add_co_ci_u32_e32 v5, vcc_lo, s8, v3, vcc_lo
	s_mov_b32 s7, 0
	s_delay_alu instid0(VALU_DEP_2) | instskip(NEXT) | instid1(VALU_DEP_2)
	v_add_co_u32 v4, vcc_lo, v4, 16
	v_add_co_ci_u32_e32 v5, vcc_lo, 0, v5, vcc_lo
.LBB73_17:                              ; =>This Loop Header: Depth=1
                                        ;     Child Loop BB73_18 Depth 2
	s_lshl_b64 s[8:9], s[6:7], 3
	s_cmp_eq_u32 s6, 0
	v_add_co_u32 v6, vcc_lo, v0, s8
	v_add_co_ci_u32_e32 v7, vcc_lo, s9, v1, vcc_lo
	s_mov_b32 s8, s6
	s_mov_b32 s9, s3
	s_clause 0x1
	global_load_b128 v[8:11], v[6:7], off
	global_load_b128 v[16:19], v[6:7], off offset:16
	s_waitcnt vmcnt(1)
	v_mul_f64 v[14:15], v[8:9], s[4:5]
	v_mul_f64 v[10:11], v[10:11], s[4:5]
	s_waitcnt vmcnt(0)
	v_mul_f64 v[12:13], v[16:17], s[4:5]
	v_mul_f64 v[8:9], v[18:19], s[4:5]
	v_dual_mov_b32 v17, v5 :: v_dual_mov_b32 v16, v4
	s_cbranch_scc1 .LBB73_19
.LBB73_18:                              ;   Parent Loop BB73_17 Depth=1
                                        ; =>  This Inner Loop Header: Depth=2
	s_clause 0x1
	global_load_b128 v[18:21], v[16:17], off offset:-16
	global_load_b128 v[22:25], v[16:17], off
	v_mov_b32_e32 v54, s9
	v_add_co_u32 v16, vcc_lo, v16, 32
	v_add_co_ci_u32_e32 v17, vcc_lo, 0, v17, vcc_lo
	ds_load_b128 v[26:29], v54
	ds_load_b128 v[30:33], v54 offset:64
	ds_load_b128 v[34:37], v54 offset:128
	;; [unrolled: 1-line block ×7, first 2 shown]
	s_add_i32 s8, s8, -4
	s_add_i32 s9, s9, 32
	s_cmp_lg_u32 s8, 0
	s_waitcnt vmcnt(1) lgkmcnt(7)
	v_fma_f64 v[14:15], -v[18:19], v[26:27], v[14:15]
	s_waitcnt lgkmcnt(6)
	v_fma_f64 v[10:11], -v[18:19], v[30:31], v[10:11]
	s_waitcnt lgkmcnt(5)
	;; [unrolled: 2-line block ×3, first 2 shown]
	v_fma_f64 v[8:9], -v[18:19], v[38:39], v[8:9]
	s_delay_alu instid0(VALU_DEP_4) | instskip(NEXT) | instid1(VALU_DEP_4)
	v_fma_f64 v[14:15], -v[20:21], v[28:29], v[14:15]
	v_fma_f64 v[10:11], -v[20:21], v[32:33], v[10:11]
	s_delay_alu instid0(VALU_DEP_4) | instskip(NEXT) | instid1(VALU_DEP_4)
	v_fma_f64 v[12:13], -v[20:21], v[36:37], v[12:13]
	v_fma_f64 v[8:9], -v[20:21], v[40:41], v[8:9]
	s_waitcnt vmcnt(0) lgkmcnt(3)
	s_delay_alu instid0(VALU_DEP_4) | instskip(SKIP_1) | instid1(VALU_DEP_4)
	v_fma_f64 v[14:15], -v[22:23], v[42:43], v[14:15]
	s_waitcnt lgkmcnt(2)
	v_fma_f64 v[10:11], -v[22:23], v[46:47], v[10:11]
	s_waitcnt lgkmcnt(1)
	s_delay_alu instid0(VALU_DEP_4) | instskip(SKIP_1) | instid1(VALU_DEP_4)
	v_fma_f64 v[12:13], -v[22:23], v[50:51], v[12:13]
	s_waitcnt lgkmcnt(0)
	v_fma_f64 v[8:9], -v[22:23], v[54:55], v[8:9]
	s_delay_alu instid0(VALU_DEP_4) | instskip(NEXT) | instid1(VALU_DEP_4)
	v_fma_f64 v[14:15], -v[24:25], v[44:45], v[14:15]
	v_fma_f64 v[10:11], -v[24:25], v[48:49], v[10:11]
	s_delay_alu instid0(VALU_DEP_4) | instskip(NEXT) | instid1(VALU_DEP_4)
	v_fma_f64 v[12:13], -v[24:25], v[52:53], v[12:13]
	v_fma_f64 v[8:9], -v[24:25], v[56:57], v[8:9]
	s_cbranch_scc1 .LBB73_18
.LBB73_19:                              ;   in Loop: Header=BB73_17 Depth=1
	s_mul_i32 s8, s6, 0x48
	s_addk_i32 s3, 0x100
	v_mov_b32_e32 v16, s8
	s_lshl_b32 s8, s6, 3
	s_delay_alu instid0(SALU_CYCLE_1) | instskip(NEXT) | instid1(SALU_CYCLE_1)
	s_add_i32 s8, s6, s8
	s_lshl_b32 s8, s8, 3
	ds_load_2addr_b64 v[16:19], v16 offset1:18
	v_mov_b32_e32 v28, s8
	s_add_i32 s8, s6, 4
	s_add_i32 s6, s6, 7
	ds_load_b128 v[20:23], v28 offset:64
	ds_load_b128 v[24:27], v28 offset:128
	s_cmp_lt_i32 s6, s2
	s_waitcnt lgkmcnt(2)
	v_mul_f64 v[14:15], v[14:15], v[16:17]
	s_waitcnt lgkmcnt(1)
	s_delay_alu instid0(VALU_DEP_1) | instskip(SKIP_2) | instid1(VALU_DEP_2)
	v_fma_f64 v[10:11], -v[14:15], v[20:21], v[10:11]
	s_waitcnt lgkmcnt(0)
	v_fma_f64 v[24:25], -v[14:15], v[24:25], v[12:13]
	v_mul_f64 v[16:17], v[10:11], v[22:23]
	ds_load_b128 v[10:13], v28 offset:192
	ds_load_b128 v[20:23], v28 offset:208
	s_waitcnt lgkmcnt(1)
	v_fma_f64 v[10:11], -v[14:15], v[10:11], v[8:9]
	v_fma_f64 v[24:25], -v[16:17], v[26:27], v[24:25]
	s_delay_alu instid0(VALU_DEP_2) | instskip(NEXT) | instid1(VALU_DEP_2)
	v_fma_f64 v[10:11], -v[16:17], v[12:13], v[10:11]
	v_mul_f64 v[8:9], v[24:25], v[18:19]
	s_waitcnt lgkmcnt(0)
	s_delay_alu instid0(VALU_DEP_1) | instskip(NEXT) | instid1(VALU_DEP_1)
	v_fma_f64 v[10:11], -v[8:9], v[20:21], v[10:11]
	v_mul_f64 v[10:11], v[10:11], v[22:23]
	s_clause 0x1
	global_store_b128 v[6:7], v[14:17], off
	global_store_b128 v[6:7], v[8:11], off offset:16
	s_cbranch_scc0 .LBB73_22
; %bb.20:                               ;   in Loop: Header=BB73_17 Depth=1
	s_mov_b32 s6, s8
	s_branch .LBB73_17
.LBB73_21:
	s_mov_b32 s8, s6
.LBB73_22:
	s_delay_alu instid0(SALU_CYCLE_1)
	s_cmp_ge_i32 s8, s2
	s_cbranch_scc1 .LBB73_33
; %bb.23:
	s_add_i32 s3, s8, -1
	s_lshl_b32 s11, s8, 6
	s_add_u32 s6, s16, s0
	s_addc_u32 s7, s17, s1
	v_add_co_u32 v12, vcc_lo, s6, v2
	v_add_co_ci_u32_e32 v13, vcc_lo, s7, v3, vcc_lo
	s_mov_b32 s7, 0
	s_delay_alu instid0(VALU_DEP_2) | instskip(NEXT) | instid1(VALU_DEP_2)
	v_add_co_u32 v4, vcc_lo, v12, 56
	v_add_co_ci_u32_e32 v5, vcc_lo, 0, v13, vcc_lo
	s_mov_b32 s14, s8
	s_mov_b32 s13, 0
	s_branch .LBB73_25
.LBB73_24:                              ;   in Loop: Header=BB73_25 Depth=1
	s_mul_i32 s6, s8, 0x48
	s_add_i32 s8, s8, 1
	v_mov_b32_e32 v10, s6
	s_add_i32 s13, s13, 1
	s_add_i32 s11, s11, 64
	s_cmp_ge_i32 s8, s2
	ds_load_b64 v[10:11], v10
	s_waitcnt lgkmcnt(0)
	v_mul_f64 v[8:9], v[8:9], v[10:11]
	v_add_nc_u16 v10, s14, 1
	s_delay_alu instid0(VALU_DEP_1)
	v_readfirstlane_b32 s14, v10
	global_store_b64 v[6:7], v[8:9], off
	s_cbranch_scc1 .LBB73_33
.LBB73_25:                              ; =>This Loop Header: Depth=1
                                        ;     Child Loop BB73_28 Depth 2
                                        ;     Child Loop BB73_32 Depth 2
	s_ashr_i32 s9, s8, 31
	s_delay_alu instid0(SALU_CYCLE_1)
	s_lshl_b64 s[18:19], s[8:9], 3
	s_cmp_eq_u32 s8, 0
	v_add_co_u32 v6, vcc_lo, v0, s18
	v_add_co_ci_u32_e32 v7, vcc_lo, s19, v1, vcc_lo
	global_load_b64 v[8:9], v[6:7], off
	s_waitcnt vmcnt(0)
	v_mul_f64 v[8:9], v[8:9], s[4:5]
	s_cbranch_scc1 .LBB73_24
; %bb.26:                               ;   in Loop: Header=BB73_25 Depth=1
	s_add_i32 s6, s3, s13
	s_delay_alu instid0(SALU_CYCLE_1)
	s_cmp_lt_u32 s6, 7
	s_cbranch_scc1 .LBB73_30
; %bb.27:                               ;   in Loop: Header=BB73_25 Depth=1
	v_dual_mov_b32 v11, v5 :: v_dual_mov_b32 v10, v4
	s_and_b32 s6, s8, -8
	s_mov_b32 s9, 0
	s_mov_b32 s15, s11
	s_set_inst_prefetch_distance 0x1
	.p2align	6
.LBB73_28:                              ;   Parent Loop BB73_25 Depth=1
                                        ; =>  This Inner Loop Header: Depth=2
	s_clause 0x3
	global_load_b128 v[14:17], v[10:11], off offset:-56
	global_load_b128 v[18:21], v[10:11], off offset:-40
	;; [unrolled: 1-line block ×4, first 2 shown]
	v_mov_b32_e32 v38, s15
	v_add_co_u32 v10, vcc_lo, v10, 64
	v_add_co_ci_u32_e32 v11, vcc_lo, 0, v11, vcc_lo
	ds_load_b128 v[30:33], v38
	ds_load_b128 v[34:37], v38 offset:16
	s_add_i32 s9, s9, 8
	s_add_i32 s15, s15, 64
	s_cmp_lg_u32 s6, s9
	s_waitcnt vmcnt(3) lgkmcnt(1)
	v_fma_f64 v[8:9], -v[14:15], v[30:31], v[8:9]
	s_delay_alu instid0(VALU_DEP_1) | instskip(SKIP_1) | instid1(VALU_DEP_1)
	v_fma_f64 v[8:9], -v[16:17], v[32:33], v[8:9]
	s_waitcnt vmcnt(2) lgkmcnt(0)
	v_fma_f64 v[8:9], -v[18:19], v[34:35], v[8:9]
	s_delay_alu instid0(VALU_DEP_1) | instskip(SKIP_4) | instid1(VALU_DEP_1)
	v_fma_f64 v[8:9], -v[20:21], v[36:37], v[8:9]
	ds_load_b128 v[14:17], v38 offset:32
	ds_load_b128 v[18:21], v38 offset:48
	s_waitcnt vmcnt(1) lgkmcnt(1)
	v_fma_f64 v[8:9], -v[22:23], v[14:15], v[8:9]
	v_fma_f64 v[8:9], -v[24:25], v[16:17], v[8:9]
	s_waitcnt vmcnt(0) lgkmcnt(0)
	s_delay_alu instid0(VALU_DEP_1) | instskip(NEXT) | instid1(VALU_DEP_1)
	v_fma_f64 v[8:9], -v[26:27], v[18:19], v[8:9]
	v_fma_f64 v[8:9], -v[28:29], v[20:21], v[8:9]
	s_cbranch_scc1 .LBB73_28
; %bb.29:                               ;   in Loop: Header=BB73_25 Depth=1
	s_set_inst_prefetch_distance 0x2
	s_and_b32 s9, s8, 7
	s_delay_alu instid0(SALU_CYCLE_1)
	s_cmp_eq_u32 s9, 0
	s_cbranch_scc0 .LBB73_31
	s_branch .LBB73_24
.LBB73_30:                              ;   in Loop: Header=BB73_25 Depth=1
	s_mov_b32 s6, 0
	s_and_b32 s9, s8, 7
	s_delay_alu instid0(SALU_CYCLE_1)
	s_cmp_eq_u32 s9, 0
	s_cbranch_scc1 .LBB73_24
.LBB73_31:                              ;   in Loop: Header=BB73_25 Depth=1
	s_lshl_b64 s[18:19], s[6:7], 3
	s_and_b32 s9, s14, 7
	v_add_co_u32 v10, vcc_lo, v12, s18
	v_add_co_ci_u32_e32 v11, vcc_lo, s19, v13, vcc_lo
	s_lshl_b32 s6, s6, 3
.LBB73_32:                              ;   Parent Loop BB73_25 Depth=1
                                        ; =>  This Inner Loop Header: Depth=2
	global_load_b64 v[14:15], v[10:11], off
	s_add_i32 s15, s11, s6
	v_add_co_u32 v10, vcc_lo, v10, 8
	v_mov_b32_e32 v16, s15
	v_add_co_ci_u32_e32 v11, vcc_lo, 0, v11, vcc_lo
	s_add_i32 s9, s9, -1
	s_add_i32 s6, s6, 8
	ds_load_b64 v[16:17], v16
	s_cmp_lg_u32 s9, 0
	s_waitcnt vmcnt(0) lgkmcnt(0)
	v_fma_f64 v[8:9], -v[14:15], v[16:17], v[8:9]
	s_cbranch_scc1 .LBB73_32
	s_branch .LBB73_24
.LBB73_33:
	s_mov_b32 s3, 0
.LBB73_34:
	s_delay_alu instid0(SALU_CYCLE_1)
	s_and_b32 vcc_lo, exec_lo, s3
	s_cbranch_vccz .LBB73_58
; %bb.35:
	s_cmp_gt_i32 s10, 7
	s_cbranch_scc0 .LBB73_37
; %bb.36:
	s_ashr_i32 s13, s12, 31
	s_mov_b32 s3, 0
	s_lshl_b64 s[6:7], s[12:13], 3
	s_lshl_b32 s8, s12, 3
	v_add_co_u32 v30, vcc_lo, v0, s6
	v_add_co_ci_u32_e32 v31, vcc_lo, s7, v1, vcc_lo
	s_lshl_b64 s[6:7], s[2:3], 3
	s_add_i32 s9, s2, -4
	v_add_co_u32 v12, vcc_lo, v0, s6
	global_load_b64 v[16:17], v[30:31], off
	v_add_co_ci_u32_e32 v13, vcc_lo, s7, v1, vcc_lo
	s_clause 0x3
	global_load_b64 v[24:25], v[12:13], off offset:-16
	global_load_b128 v[4:7], v[12:13], off offset:-32
	global_load_b128 v[8:11], v[12:13], off offset:-48
	;; [unrolled: 1-line block ×3, first 2 shown]
	s_add_i32 s6, s2, -2
	s_delay_alu instid0(SALU_CYCLE_1) | instskip(SKIP_3) | instid1(SALU_CYCLE_1)
	s_add_i32 s3, s6, s8
	s_lshl_b32 s10, s6, 3
	s_lshl_b32 s3, s3, 3
	s_add_i32 s6, s9, s10
	s_lshl_b32 s6, s6, 3
	s_waitcnt vmcnt(4)
	v_mul_f64 v[20:21], v[16:17], s[4:5]
	v_mov_b32_e32 v16, s3
	s_mul_i32 s3, s12, 0x48
	s_delay_alu instid0(SALU_CYCLE_1) | instskip(SKIP_3) | instid1(SALU_CYCLE_1)
	s_add_i32 s7, s3, 0xffffffb8
	ds_load_2addr_b64 v[16:19], v16 offset1:1
	v_mov_b32_e32 v22, s7
	s_add_i32 s7, s9, s8
	s_lshl_b32 s7, s7, 3
	ds_load_b64 v[26:27], v22
	s_waitcnt lgkmcnt(1)
	v_mul_f64 v[32:33], v[20:21], v[18:19]
	v_mov_b32_e32 v20, s6
	s_add_i32 s6, s2, -6
	ds_load_2addr_b64 v[20:23], v20 offset1:1
	v_mul_f64 v[28:29], v[32:33], v[16:17]
	v_mov_b32_e32 v16, s7
	s_add_i32 s7, s6, s8
	s_delay_alu instid0(SALU_CYCLE_1)
	s_lshl_b32 s7, s7, 3
	ds_load_2addr_b64 v[16:19], v16 offset1:1
	s_waitcnt lgkmcnt(0)
	v_mul_f64 v[18:19], v[32:33], v[18:19]
	s_waitcnt vmcnt(3)
	v_fma_f64 v[24:25], v[24:25], s[4:5], -v[28:29]
	v_mul_f64 v[28:29], v[32:33], v[16:17]
	v_mov_b32_e32 v16, s7
	s_add_i32 s7, s6, s10
	s_delay_alu instid0(SALU_CYCLE_1) | instskip(SKIP_1) | instid1(VALU_DEP_4)
	s_lshl_b32 s7, s7, 3
	s_waitcnt vmcnt(2)
	v_fma_f64 v[6:7], v[6:7], s[4:5], -v[18:19]
	ds_load_2addr_b64 v[16:19], v16 offset1:1
	v_mul_f64 v[34:35], v[24:25], v[26:27]
	v_mov_b32_e32 v24, s7
	v_fma_f64 v[28:29], v[4:5], s[4:5], -v[28:29]
	s_lshl_b32 s7, s2, 3
	s_delay_alu instid0(SALU_CYCLE_1)
	s_sub_i32 s11, s7, 24
	ds_load_2addr_b64 v[24:27], v24 offset1:1
	s_add_i32 s13, s9, s11
	s_waitcnt lgkmcnt(1)
	v_mul_f64 v[18:19], v[32:33], v[18:19]
	v_mul_f64 v[38:39], v[32:33], v[16:17]
	s_lshl_b32 s13, s13, 3
	s_delay_alu instid0(SALU_CYCLE_1) | instskip(SKIP_1) | instid1(SALU_CYCLE_1)
	v_mov_b32_e32 v4, s13
	s_add_i32 s13, s3, 0xffffff28
	v_mov_b32_e32 v36, s13
	s_add_i32 s13, s2, -8
	s_delay_alu instid0(SALU_CYCLE_1) | instskip(NEXT) | instid1(SALU_CYCLE_1)
	s_add_i32 s8, s13, s8
	s_lshl_b32 s8, s8, 3
	ds_load_b64 v[36:37], v36
	v_mov_b32_e32 v16, s8
	s_add_i32 s8, s13, s10
	s_add_i32 s10, s13, s11
	s_lshl_b32 s8, s8, 3
	s_lshl_b32 s10, s10, 3
	v_fma_f64 v[22:23], -v[34:35], v[22:23], v[6:7]
	ds_load_2addr_b64 v[4:7], v4 offset1:1
	v_fma_f64 v[28:29], -v[34:35], v[20:21], v[28:29]
	v_mov_b32_e32 v20, s8
	s_add_i32 s8, s6, s11
	s_delay_alu instid0(SALU_CYCLE_1)
	s_lshl_b32 s8, s8, 3
	s_waitcnt vmcnt(1)
	v_fma_f64 v[10:11], v[10:11], s[4:5], -v[18:19]
	v_fma_f64 v[38:39], v[8:9], s[4:5], -v[38:39]
	v_mov_b32_e32 v8, s8
	ds_load_2addr_b64 v[16:19], v16 offset1:1
	s_lshl_b32 s8, s9, 3
	s_delay_alu instid0(SALU_CYCLE_1)
	s_add_i32 s9, s6, s8
	s_add_i32 s8, s13, s8
	s_lshl_b32 s9, s9, 3
	s_lshl_b32 s8, s8, 3
	s_waitcnt lgkmcnt(3)
	v_fma_f64 v[40:41], -v[34:35], v[26:27], v[10:11]
	ds_load_2addr_b64 v[8:11], v8 offset1:1
	s_waitcnt lgkmcnt(2)
	v_mul_f64 v[6:7], v[22:23], v[6:7]
	ds_load_2addr_b64 v[20:23], v20 offset1:1
	s_waitcnt lgkmcnt(2)
	v_mul_f64 v[18:19], v[32:33], v[18:19]
	v_mov_b32_e32 v26, s9
	v_mul_f64 v[16:17], v[32:33], v[16:17]
	s_sub_i32 s9, s7, 40
	s_add_i32 s7, s7, s13
	s_add_i32 s11, s6, s9
	s_lshl_b32 s6, s6, 3
	s_lshl_b32 s11, s11, 3
	s_add_i32 s6, s13, s6
	s_delay_alu instid0(SALU_CYCLE_1)
	s_lshl_b32 s6, s6, 3
	v_fma_f64 v[4:5], -v[6:7], v[4:5], v[28:29]
	ds_load_2addr_b64 v[26:29], v26 offset1:1
	s_waitcnt vmcnt(0)
	v_fma_f64 v[14:15], v[14:15], s[4:5], -v[18:19]
	v_fma_f64 v[18:19], -v[34:35], v[24:25], v[38:39]
	s_waitcnt lgkmcnt(2)
	v_fma_f64 v[10:11], -v[6:7], v[10:11], v[40:41]
	v_mul_f64 v[4:5], v[4:5], v[36:37]
	v_fma_f64 v[36:37], v[12:13], s[4:5], -v[16:17]
	s_waitcnt lgkmcnt(1)
	v_fma_f64 v[22:23], -v[34:35], v[22:23], v[14:15]
	v_fma_f64 v[24:25], -v[6:7], v[8:9], v[18:19]
	v_mov_b32_e32 v8, s10
	v_mov_b32_e32 v12, s11
	s_add_i32 s10, s3, 0xfffffe98
	s_delay_alu instid0(SALU_CYCLE_1) | instskip(SKIP_1) | instid1(SALU_CYCLE_1)
	v_dual_mov_b32 v17, s8 :: v_dual_mov_b32 v16, s10
	s_add_i32 s8, s13, s9
	s_lshl_b32 s8, s8, 3
	s_waitcnt lgkmcnt(0)
	v_fma_f64 v[28:29], -v[4:5], v[28:29], v[10:11]
	ds_load_2addr_b64 v[8:11], v8 offset1:1
	ds_load_2addr_b64 v[12:15], v12 offset1:1
	ds_load_b64 v[38:39], v16
	ds_load_2addr_b64 v[16:19], v17 offset1:1
	v_fma_f64 v[24:25], -v[4:5], v[26:27], v[24:25]
	s_waitcnt lgkmcnt(3)
	v_fma_f64 v[22:23], -v[6:7], v[10:11], v[22:23]
	s_waitcnt lgkmcnt(2)
	v_mul_f64 v[10:11], v[28:29], v[14:15]
	v_fma_f64 v[14:15], -v[34:35], v[20:21], v[36:37]
	s_waitcnt lgkmcnt(0)
	s_delay_alu instid0(VALU_DEP_3) | instskip(NEXT) | instid1(VALU_DEP_3)
	v_fma_f64 v[22:23], -v[4:5], v[18:19], v[22:23]
	v_fma_f64 v[24:25], -v[10:11], v[12:13], v[24:25]
	s_delay_alu instid0(VALU_DEP_3)
	v_fma_f64 v[26:27], -v[6:7], v[8:9], v[14:15]
	v_mov_b32_e32 v8, s8
	ds_load_2addr_b64 v[12:15], v8 offset1:1
	v_mov_b32_e32 v8, s6
	s_add_i32 s6, s3, 0xfffffe50
	s_addk_i32 s3, 0xfe08
	ds_load_2addr_b64 v[18:21], v8 offset1:1
	s_waitcnt lgkmcnt(1)
	v_fma_f64 v[14:15], -v[10:11], v[14:15], v[22:23]
	v_mul_f64 v[8:9], v[24:25], v[38:39]
	v_fma_f64 v[16:17], -v[4:5], v[16:17], v[26:27]
	s_waitcnt lgkmcnt(0)
	s_delay_alu instid0(VALU_DEP_2) | instskip(NEXT) | instid1(VALU_DEP_2)
	v_fma_f64 v[14:15], -v[8:9], v[20:21], v[14:15]
	v_fma_f64 v[12:13], -v[10:11], v[12:13], v[16:17]
	v_mov_b32_e32 v16, s6
	s_lshl_b32 s6, s7, 3
	s_delay_alu instid0(SALU_CYCLE_1)
	s_addk_i32 s6, 0xfe40
	ds_load_b64 v[16:17], v16
	s_waitcnt lgkmcnt(0)
	v_mul_f64 v[14:15], v[14:15], v[16:17]
	v_fma_f64 v[12:13], -v[8:9], v[18:19], v[12:13]
	v_mov_b32_e32 v16, s6
	ds_load_b64 v[16:17], v16
	s_waitcnt lgkmcnt(0)
	v_fma_f64 v[12:13], -v[14:15], v[16:17], v[12:13]
	v_mov_b32_e32 v16, s3
	s_ashr_i32 s3, s2, 31
	s_delay_alu instid0(SALU_CYCLE_1)
	s_lshl_b64 s[6:7], s[2:3], 3
	ds_load_b64 v[16:17], v16
	s_waitcnt lgkmcnt(0)
	v_mul_f64 v[12:13], v[12:13], v[16:17]
	v_add_co_u32 v16, vcc_lo, v0, s6
	v_add_co_ci_u32_e32 v17, vcc_lo, s7, v1, vcc_lo
	s_add_i32 s6, s2, -9
	s_clause 0x4
	global_store_b64 v[30:31], v[32:33], off
	global_store_b64 v[16:17], v[34:35], off offset:-16
	global_store_b128 v[16:17], v[4:7], off offset:-32
	global_store_b128 v[16:17], v[8:11], off offset:-48
	;; [unrolled: 1-line block ×3, first 2 shown]
	s_cmp_gt_i32 s6, -1
	s_cbranch_scc1 .LBB73_38
	s_branch .LBB73_58
.LBB73_37:
	s_mov_b32 s6, s12
	s_delay_alu instid0(SALU_CYCLE_1)
	s_cmp_gt_i32 s6, -1
	s_cbranch_scc0 .LBB73_58
.LBB73_38:
	s_cmp_lt_u32 s6, 3
	s_cbranch_scc1 .LBB73_44
; %bb.39:
	s_lshl_b32 s3, s2, 6
	s_lshl_b32 s7, s6, 3
	s_ashr_i32 s13, s12, 31
	s_add_i32 s3, s3, s7
	s_lshl_b64 s[8:9], s[12:13], 3
	s_addk_i32 s3, 0xffa8
	s_add_u32 s7, s16, s8
	s_addc_u32 s8, s17, s9
	s_add_u32 s7, s7, s0
	s_addc_u32 s8, s8, s1
	v_add_co_u32 v4, vcc_lo, s7, v2
	v_add_co_ci_u32_e32 v5, vcc_lo, s8, v3, vcc_lo
	s_mov_b32 s7, 0
.LBB73_40:                              ; =>This Loop Header: Depth=1
                                        ;     Child Loop BB73_41 Depth 2
	s_delay_alu instid0(SALU_CYCLE_1)
	s_lshl_b64 s[8:9], s[6:7], 3
	s_cmp_le_i32 s12, s6
	v_add_co_u32 v10, vcc_lo, v0, s8
	v_add_co_ci_u32_e32 v11, vcc_lo, s9, v1, vcc_lo
	s_mov_b32 s8, s3
	s_mov_b32 s9, s12
	s_clause 0x1
	global_load_b128 v[6:9], v[10:11], off offset:-8
	global_load_b128 v[14:17], v[10:11], off offset:-24
	s_waitcnt vmcnt(1)
	v_mul_f64 v[10:11], v[8:9], s[4:5]
	v_mul_f64 v[12:13], v[6:7], s[4:5]
	s_waitcnt vmcnt(0)
	v_mul_f64 v[8:9], v[16:17], s[4:5]
	v_mul_f64 v[6:7], v[14:15], s[4:5]
	v_dual_mov_b32 v15, v5 :: v_dual_mov_b32 v14, v4
	s_cbranch_scc1 .LBB73_42
	.p2align	6
.LBB73_41:                              ;   Parent Loop BB73_40 Depth=1
                                        ; =>  This Inner Loop Header: Depth=2
	global_load_b64 v[24:25], v[14:15], off
	v_mov_b32_e32 v20, s8
	v_add_co_u32 v14, vcc_lo, v14, -8
	v_add_co_ci_u32_e32 v15, vcc_lo, -1, v15, vcc_lo
	ds_load_2addr_b64 v[16:19], v20 offset0:2 offset1:3
	ds_load_2addr_b64 v[20:23], v20 offset1:1
	s_add_i32 s9, s9, -1
	s_sub_i32 s8, s8, 64
	s_cmp_gt_i32 s9, s6
	s_waitcnt vmcnt(0) lgkmcnt(1)
	v_fma_f64 v[10:11], -v[24:25], v[18:19], v[10:11]
	v_fma_f64 v[12:13], -v[24:25], v[16:17], v[12:13]
	s_waitcnt lgkmcnt(0)
	v_fma_f64 v[8:9], -v[24:25], v[22:23], v[8:9]
	v_fma_f64 v[6:7], -v[24:25], v[20:21], v[6:7]
	s_cbranch_scc1 .LBB73_41
.LBB73_42:                              ;   in Loop: Header=BB73_40 Depth=1
	s_add_i32 s8, s6, -1
	s_lshl_b32 s9, s6, 3
	s_sub_i32 s3, s3, 32
	s_add_i32 s10, s8, s9
	s_lshl_b32 s8, s8, 3
	s_lshl_b32 s10, s10, 3
	s_delay_alu instid0(SALU_CYCLE_1) | instskip(SKIP_1) | instid1(SALU_CYCLE_1)
	v_mov_b32_e32 v14, s10
	s_mul_i32 s10, s6, 0x48
	s_add_i32 s11, s10, 0xffffffb8
	ds_load_2addr_b64 v[14:17], v14 offset1:1
	v_mov_b32_e32 v18, s11
	s_add_i32 s11, s6, -3
	s_delay_alu instid0(SALU_CYCLE_1)
	s_add_i32 s9, s11, s9
	s_add_i32 s11, s11, s8
	ds_load_b64 v[20:21], v18
	s_lshl_b32 s9, s9, 3
	s_lshl_b32 s8, s11, 3
	s_waitcnt lgkmcnt(1)
	v_mul_f64 v[10:11], v[10:11], v[16:17]
	v_mov_b32_e32 v16, s8
	s_add_i32 s8, s9, 0xffffff80
	ds_load_2addr_b64 v[16:19], v16 offset1:1
	v_fma_f64 v[22:23], -v[10:11], v[14:15], v[12:13]
	v_mov_b32_e32 v12, s9
	s_ashr_i32 s9, s6, 31
	ds_load_2addr_b64 v[12:15], v12 offset1:1
	s_waitcnt lgkmcnt(0)
	v_fma_f64 v[14:15], -v[10:11], v[14:15], v[8:9]
	v_fma_f64 v[6:7], -v[10:11], v[12:13], v[6:7]
	v_mov_b32_e32 v12, s8
	s_add_i32 s8, s10, 0xffffff28
	v_mul_f64 v[8:9], v[22:23], v[20:21]
	v_mov_b32_e32 v20, s8
	s_mov_b32 s8, s6
	s_delay_alu instid0(SALU_CYCLE_1)
	s_lshl_b64 s[8:9], s[8:9], 3
	ds_load_b64 v[20:21], v20
	v_fma_f64 v[18:19], -v[8:9], v[18:19], v[14:15]
	ds_load_2addr_b64 v[12:15], v12 offset1:1
	v_fma_f64 v[6:7], -v[8:9], v[16:17], v[6:7]
	s_waitcnt lgkmcnt(0)
	v_mul_f64 v[14:15], v[18:19], v[14:15]
	s_delay_alu instid0(VALU_DEP_1) | instskip(NEXT) | instid1(VALU_DEP_1)
	v_fma_f64 v[6:7], -v[14:15], v[12:13], v[6:7]
	v_mul_f64 v[12:13], v[6:7], v[20:21]
	v_add_co_u32 v6, vcc_lo, v0, s8
	v_add_co_ci_u32_e32 v7, vcc_lo, s9, v1, vcc_lo
	s_add_i32 s8, s6, -4
	s_cmp_gt_i32 s6, 6
	s_clause 0x1
	global_store_b128 v[6:7], v[8:11], off offset:-8
	global_store_b128 v[6:7], v[12:15], off offset:-24
	s_cbranch_scc0 .LBB73_45
; %bb.43:                               ;   in Loop: Header=BB73_40 Depth=1
	s_mov_b32 s6, s8
	s_branch .LBB73_40
.LBB73_44:
	s_mov_b32 s8, s6
.LBB73_45:
	s_delay_alu instid0(SALU_CYCLE_1)
	s_cmp_lt_i32 s8, 0
	s_cbranch_scc1 .LBB73_58
; %bb.46:
	s_bitcmp1_b32 s8, 0
	s_mov_b32 s6, s8
	s_cselect_b32 s3, -1, 0
	s_delay_alu instid0(SALU_CYCLE_1)
	s_and_b32 vcc_lo, exec_lo, s3
	s_cbranch_vccnz .LBB73_51
; %bb.47:
	s_mov_b32 s9, 0
	s_delay_alu instid0(SALU_CYCLE_1)
	s_lshl_b64 s[6:7], s[8:9], 3
	s_cmp_le_i32 s12, s8
	v_add_co_u32 v4, vcc_lo, v0, s6
	v_add_co_ci_u32_e32 v5, vcc_lo, s7, v1, vcc_lo
	global_load_b64 v[6:7], v[4:5], off
	s_waitcnt vmcnt(0)
	v_mul_f64 v[6:7], v[6:7], s[4:5]
	s_cbranch_scc1 .LBB73_50
; %bb.48:
	s_lshl_b32 s3, s2, 6
	s_lshl_b32 s6, s8, 3
	s_ashr_i32 s13, s12, 31
	s_add_i32 s3, s3, s6
	s_lshl_b64 s[6:7], s[12:13], 3
	s_sub_i32 s3, s3, 64
	s_add_u32 s6, s16, s6
	s_addc_u32 s7, s17, s7
	s_add_u32 s6, s6, s0
	s_addc_u32 s7, s7, s1
	v_add_co_u32 v8, vcc_lo, s6, v2
	v_add_co_ci_u32_e32 v9, vcc_lo, s7, v3, vcc_lo
	s_mov_b32 s6, s12
.LBB73_49:                              ; =>This Inner Loop Header: Depth=1
	global_load_b64 v[10:11], v[8:9], off
	v_mov_b32_e32 v12, s3
	v_add_co_u32 v8, vcc_lo, v8, -8
	v_add_co_ci_u32_e32 v9, vcc_lo, -1, v9, vcc_lo
	ds_load_b64 v[12:13], v12
	s_add_i32 s6, s6, -1
	s_sub_i32 s3, s3, 64
	s_cmp_gt_i32 s6, s8
	s_waitcnt vmcnt(0) lgkmcnt(0)
	v_fma_f64 v[6:7], -v[10:11], v[12:13], v[6:7]
	s_cbranch_scc1 .LBB73_49
.LBB73_50:
	s_mul_i32 s3, s8, 0x48
	s_add_i32 s6, s8, -1
	v_mov_b32_e32 v8, s3
	ds_load_b64 v[8:9], v8
	s_waitcnt lgkmcnt(0)
	v_mul_f64 v[6:7], v[6:7], v[8:9]
	global_store_b64 v[4:5], v[6:7], off
.LBB73_51:
	s_cmp_eq_u32 s8, 0
	s_mov_b32 s7, 0
	s_cbranch_scc1 .LBB73_58
; %bb.52:
	s_lshl_b32 s3, s2, 6
	s_lshl_b32 s8, s6, 3
	s_ashr_i32 s13, s12, 31
	s_add_i32 s10, s3, s8
	s_lshl_b64 s[8:9], s[12:13], 3
	s_sub_i32 s3, s10, 64
	s_add_u32 s8, s16, s8
	s_addc_u32 s9, s17, s9
	s_add_u32 s0, s8, s0
	s_addc_u32 s1, s9, s1
	v_add_co_u32 v2, vcc_lo, s0, v2
	v_add_co_ci_u32_e32 v3, vcc_lo, s1, v3, vcc_lo
	s_add_i32 s0, s10, 0xffffffb8
	s_branch .LBB73_54
.LBB73_53:                              ;   in Loop: Header=BB73_54 Depth=1
	s_addk_i32 s1, 0xffb8
	s_add_i32 s3, s3, -16
	v_mov_b32_e32 v8, s1
	s_add_i32 s1, s6, -2
	s_add_i32 s0, s0, -16
	s_cmp_lt_i32 s6, 2
	s_mov_b32 s6, s1
	ds_load_b64 v[8:9], v8
	s_waitcnt lgkmcnt(0)
	v_mul_f64 v[6:7], v[6:7], v[8:9]
	global_store_b64 v[4:5], v[6:7], off offset:-8
	s_cbranch_scc1 .LBB73_58
.LBB73_54:                              ; =>This Loop Header: Depth=1
                                        ;     Child Loop BB73_55 Depth 2
                                        ;     Child Loop BB73_57 Depth 2
	s_lshl_b64 s[8:9], s[6:7], 3
	s_delay_alu instid0(VALU_DEP_1)
	v_dual_mov_b32 v7, v3 :: v_dual_mov_b32 v6, v2
	v_add_co_u32 v4, vcc_lo, v0, s8
	v_add_co_ci_u32_e32 v5, vcc_lo, s9, v1, vcc_lo
	s_cmp_le_i32 s12, s6
	s_mov_b32 s1, s3
	s_mov_b32 s8, s12
	global_load_b64 v[4:5], v[4:5], off
	s_waitcnt vmcnt(0)
	v_mul_f64 v[4:5], v[4:5], s[4:5]
	s_cbranch_scc1 .LBB73_56
.LBB73_55:                              ;   Parent Loop BB73_54 Depth=1
                                        ; =>  This Inner Loop Header: Depth=2
	global_load_b64 v[8:9], v[6:7], off
	v_mov_b32_e32 v10, s1
	v_add_co_u32 v6, vcc_lo, v6, -8
	v_add_co_ci_u32_e32 v7, vcc_lo, -1, v7, vcc_lo
	ds_load_b64 v[10:11], v10
	s_add_i32 s8, s8, -1
	s_sub_i32 s1, s1, 64
	s_cmp_gt_i32 s8, s6
	s_waitcnt vmcnt(0) lgkmcnt(0)
	v_fma_f64 v[4:5], -v[8:9], v[10:11], v[4:5]
	s_cbranch_scc1 .LBB73_55
.LBB73_56:                              ;   in Loop: Header=BB73_54 Depth=1
	s_add_i32 s8, s6, -1
	s_mov_b32 s9, s7
	s_mul_i32 s1, s6, 0x48
	s_lshl_b64 s[8:9], s[8:9], 3
	v_mov_b32_e32 v8, s1
	v_add_co_u32 v6, vcc_lo, v0, s8
	v_add_co_ci_u32_e32 v7, vcc_lo, s9, v1, vcc_lo
	ds_load_b64 v[8:9], v8
	s_ashr_i32 s9, s6, 31
	s_mov_b32 s8, s6
	global_load_b64 v[6:7], v[6:7], off
	s_lshl_b64 s[8:9], s[8:9], 3
	s_cmp_lt_i32 s12, s6
	s_waitcnt lgkmcnt(0)
	v_mul_f64 v[10:11], v[4:5], v[8:9]
	v_add_co_u32 v4, vcc_lo, v0, s8
	v_add_co_ci_u32_e32 v5, vcc_lo, s9, v1, vcc_lo
	v_dual_mov_b32 v9, v3 :: v_dual_mov_b32 v8, v2
	s_mov_b32 s8, s0
	s_mov_b32 s9, s2
	global_store_b64 v[4:5], v[10:11], off
	s_waitcnt vmcnt(0)
	v_mul_f64 v[6:7], v[6:7], s[4:5]
	s_cbranch_scc1 .LBB73_53
.LBB73_57:                              ;   Parent Loop BB73_54 Depth=1
                                        ; =>  This Inner Loop Header: Depth=2
	global_load_b64 v[10:11], v[8:9], off
	v_mov_b32_e32 v12, s8
	v_add_co_u32 v8, vcc_lo, v8, -8
	v_add_co_ci_u32_e32 v9, vcc_lo, -1, v9, vcc_lo
	ds_load_b64 v[12:13], v12
	s_add_i32 s9, s9, -1
	s_sub_i32 s8, s8, 64
	s_cmp_gt_i32 s9, s6
	s_waitcnt vmcnt(0) lgkmcnt(0)
	v_fma_f64 v[6:7], -v[10:11], v[12:13], v[6:7]
	s_cbranch_scc1 .LBB73_57
	s_branch .LBB73_53
.LBB73_58:
	s_nop 0
	s_sendmsg sendmsg(MSG_DEALLOC_VGPRS)
	s_endpgm
	.section	.rodata,"a",@progbits
	.p2align	6, 0x0
	.amdhsa_kernel _ZL30rocblas_trsm_small_left_deviceILi8ELi8ELb0EddPKPKdPKPdEv13rocblas_fill_18rocblas_operation_17rocblas_diagonal_iiT3_T4_lilT5_lili
		.amdhsa_group_segment_fixed_size 512
		.amdhsa_private_segment_fixed_size 0
		.amdhsa_kernarg_size 360
		.amdhsa_user_sgpr_count 14
		.amdhsa_user_sgpr_dispatch_ptr 0
		.amdhsa_user_sgpr_queue_ptr 0
		.amdhsa_user_sgpr_kernarg_segment_ptr 1
		.amdhsa_user_sgpr_dispatch_id 0
		.amdhsa_user_sgpr_private_segment_size 0
		.amdhsa_wavefront_size32 1
		.amdhsa_uses_dynamic_stack 0
		.amdhsa_enable_private_segment 0
		.amdhsa_system_sgpr_workgroup_id_x 1
		.amdhsa_system_sgpr_workgroup_id_y 0
		.amdhsa_system_sgpr_workgroup_id_z 1
		.amdhsa_system_sgpr_workgroup_info 0
		.amdhsa_system_vgpr_workitem_id 0
		.amdhsa_next_free_vgpr 58
		.amdhsa_next_free_sgpr 32
		.amdhsa_reserve_vcc 1
		.amdhsa_float_round_mode_32 0
		.amdhsa_float_round_mode_16_64 0
		.amdhsa_float_denorm_mode_32 3
		.amdhsa_float_denorm_mode_16_64 3
		.amdhsa_dx10_clamp 1
		.amdhsa_ieee_mode 1
		.amdhsa_fp16_overflow 0
		.amdhsa_workgroup_processor_mode 1
		.amdhsa_memory_ordered 1
		.amdhsa_forward_progress 0
		.amdhsa_shared_vgpr_count 0
		.amdhsa_exception_fp_ieee_invalid_op 0
		.amdhsa_exception_fp_denorm_src 0
		.amdhsa_exception_fp_ieee_div_zero 0
		.amdhsa_exception_fp_ieee_overflow 0
		.amdhsa_exception_fp_ieee_underflow 0
		.amdhsa_exception_fp_ieee_inexact 0
		.amdhsa_exception_int_div_zero 0
	.end_amdhsa_kernel
	.section	.text._ZL30rocblas_trsm_small_left_deviceILi8ELi8ELb0EddPKPKdPKPdEv13rocblas_fill_18rocblas_operation_17rocblas_diagonal_iiT3_T4_lilT5_lili,"axG",@progbits,_ZL30rocblas_trsm_small_left_deviceILi8ELi8ELb0EddPKPKdPKPdEv13rocblas_fill_18rocblas_operation_17rocblas_diagonal_iiT3_T4_lilT5_lili,comdat
.Lfunc_end73:
	.size	_ZL30rocblas_trsm_small_left_deviceILi8ELi8ELb0EddPKPKdPKPdEv13rocblas_fill_18rocblas_operation_17rocblas_diagonal_iiT3_T4_lilT5_lili, .Lfunc_end73-_ZL30rocblas_trsm_small_left_deviceILi8ELi8ELb0EddPKPKdPKPdEv13rocblas_fill_18rocblas_operation_17rocblas_diagonal_iiT3_T4_lilT5_lili
                                        ; -- End function
	.section	.AMDGPU.csdata,"",@progbits
; Kernel info:
; codeLenInByte = 5240
; NumSgprs: 34
; NumVgprs: 58
; ScratchSize: 0
; MemoryBound: 0
; FloatMode: 240
; IeeeMode: 1
; LDSByteSize: 512 bytes/workgroup (compile time only)
; SGPRBlocks: 4
; VGPRBlocks: 7
; NumSGPRsForWavesPerEU: 34
; NumVGPRsForWavesPerEU: 58
; Occupancy: 16
; WaveLimiterHint : 1
; COMPUTE_PGM_RSRC2:SCRATCH_EN: 0
; COMPUTE_PGM_RSRC2:USER_SGPR: 14
; COMPUTE_PGM_RSRC2:TRAP_HANDLER: 0
; COMPUTE_PGM_RSRC2:TGID_X_EN: 1
; COMPUTE_PGM_RSRC2:TGID_Y_EN: 0
; COMPUTE_PGM_RSRC2:TGID_Z_EN: 1
; COMPUTE_PGM_RSRC2:TIDIG_COMP_CNT: 0
	.section	.text._ZL38rocblas_trsm_small_left_device_sharedBILi8ELi8ELb1EddPKPKdPKPdEv13rocblas_fill_18rocblas_operation_17rocblas_diagonal_iiT3_T4_lilT5_lili,"axG",@progbits,_ZL38rocblas_trsm_small_left_device_sharedBILi8ELi8ELb1EddPKPKdPKPdEv13rocblas_fill_18rocblas_operation_17rocblas_diagonal_iiT3_T4_lilT5_lili,comdat
	.globl	_ZL38rocblas_trsm_small_left_device_sharedBILi8ELi8ELb1EddPKPKdPKPdEv13rocblas_fill_18rocblas_operation_17rocblas_diagonal_iiT3_T4_lilT5_lili ; -- Begin function _ZL38rocblas_trsm_small_left_device_sharedBILi8ELi8ELb1EddPKPKdPKPdEv13rocblas_fill_18rocblas_operation_17rocblas_diagonal_iiT3_T4_lilT5_lili
	.p2align	8
	.type	_ZL38rocblas_trsm_small_left_device_sharedBILi8ELi8ELb1EddPKPKdPKPdEv13rocblas_fill_18rocblas_operation_17rocblas_diagonal_iiT3_T4_lilT5_lili,@function
_ZL38rocblas_trsm_small_left_device_sharedBILi8ELi8ELb1EddPKPKdPKPdEv13rocblas_fill_18rocblas_operation_17rocblas_diagonal_iiT3_T4_lilT5_lili: ; @_ZL38rocblas_trsm_small_left_device_sharedBILi8ELi8ELb1EddPKPKdPKPdEv13rocblas_fill_18rocblas_operation_17rocblas_diagonal_iiT3_T4_lilT5_lili
; %bb.0:
	s_load_b128 s[16:19], s[0:1], 0x40
	s_mov_b32 s12, s15
	s_mov_b32 s13, 0
	s_clause 0x1
	s_load_b128 s[4:7], s[0:1], 0x4
	s_load_b64 s[20:21], s[0:1], 0x28
	s_lshl_b64 s[22:23], s[12:13], 3
	s_mov_b32 s28, exec_lo
	s_waitcnt lgkmcnt(0)
	s_add_u32 s2, s16, s22
	s_addc_u32 s3, s17, s23
	s_load_b128 s[8:11], s[0:1], 0x18
	s_load_b64 s[2:3], s[2:3], 0x0
	s_min_i32 s12, s6, 8
	s_delay_alu instid0(SALU_CYCLE_1)
	s_add_i32 s15, s12, -1
	v_cmpx_gt_i32_e64 s12, v0
	s_cbranch_execz .LBB74_10
; %bb.1:
	s_load_b32 s16, s[0:1], 0x30
	s_waitcnt lgkmcnt(0)
	s_ashr_i32 s17, s16, 31
	s_add_u32 s10, s10, s22
	s_addc_u32 s11, s11, s23
	s_cmp_lt_u32 s15, 3
	s_load_b64 s[10:11], s[10:11], 0x0
	s_cbranch_scc1 .LBB74_4
; %bb.2:
	v_lshlrev_b32_e32 v3, 3, v0
	s_lshl_b64 s[22:23], s[20:21], 3
	s_mul_hi_i32 s29, s16, 24
	s_waitcnt lgkmcnt(0)
	s_add_u32 s13, s10, s22
	s_addc_u32 s22, s11, s23
	v_add_co_u32 v1, s13, s13, v3
	s_delay_alu instid0(VALU_DEP_1)
	v_add_co_ci_u32_e64 v2, null, s22, 0, s13
	s_and_b32 s13, s12, -4
	s_mul_i32 s30, s16, 24
	s_lshl_b64 s[22:23], s[16:17], 5
	s_lshl_b64 s[24:25], s[16:17], 4
	s_lshl_b64 s[26:27], s[16:17], 3
	s_mov_b32 s31, 0
	.p2align	6
.LBB74_3:                               ; =>This Inner Loop Header: Depth=1
	v_add_co_u32 v4, vcc_lo, v1, s26
	v_add_co_ci_u32_e32 v5, vcc_lo, s27, v2, vcc_lo
	v_add_co_u32 v6, vcc_lo, v1, s24
	v_add_co_ci_u32_e32 v7, vcc_lo, s25, v2, vcc_lo
	;; [unrolled: 2-line block ×3, first 2 shown]
	s_clause 0x3
	global_load_b64 v[10:11], v[1:2], off
	global_load_b64 v[4:5], v[4:5], off
	;; [unrolled: 1-line block ×4, first 2 shown]
	v_add_co_u32 v1, vcc_lo, v1, s22
	v_add_co_ci_u32_e32 v2, vcc_lo, s23, v2, vcc_lo
	s_add_i32 s31, s31, 4
	s_waitcnt vmcnt(2)
	ds_store_2addr_b64 v3, v[10:11], v[4:5] offset1:8
	s_waitcnt vmcnt(0)
	ds_store_2addr_b64 v3, v[6:7], v[8:9] offset0:16 offset1:24
	v_add_nc_u32_e32 v3, 0x100, v3
	s_cmp_eq_u32 s13, s31
	s_cbranch_scc0 .LBB74_3
.LBB74_4:
	s_and_b32 s22, s12, 3
	s_delay_alu instid0(SALU_CYCLE_1)
	s_cmp_eq_u32 s22, 0
	s_cbranch_scc1 .LBB74_7
; %bb.5:
	s_mul_i32 s23, s17, s13
	s_mul_hi_u32 s24, s16, s13
	v_lshlrev_b32_e32 v1, 3, v0
	s_add_i32 s25, s24, s23
	s_mul_i32 s24, s16, s13
	s_lshl_b64 s[20:21], s[20:21], 3
	s_lshl_b64 s[24:25], s[24:25], 3
	v_lshl_or_b32 v3, s13, 6, v1
	s_add_u32 s13, s24, s20
	s_addc_u32 s20, s25, s21
	s_waitcnt lgkmcnt(0)
	s_add_u32 s10, s10, s13
	s_addc_u32 s11, s11, s20
	v_add_co_u32 v1, s10, s10, v1
	s_delay_alu instid0(VALU_DEP_1)
	v_add_co_ci_u32_e64 v2, null, s11, 0, s10
	s_lshl_b64 s[10:11], s[16:17], 3
.LBB74_6:                               ; =>This Inner Loop Header: Depth=1
	global_load_b64 v[4:5], v[1:2], off
	v_add_co_u32 v1, vcc_lo, v1, s10
	v_add_co_ci_u32_e32 v2, vcc_lo, s11, v2, vcc_lo
	s_add_i32 s22, s22, -1
	s_delay_alu instid0(SALU_CYCLE_1)
	s_cmp_lg_u32 s22, 0
	s_waitcnt vmcnt(0)
	ds_store_b64 v3, v[4:5]
	v_add_nc_u32_e32 v3, 64, v3
	s_cbranch_scc1 .LBB74_6
.LBB74_7:
	v_mul_u32_u24_e32 v3, 9, v0
	v_mov_b32_e32 v1, 0
	v_mov_b32_e32 v2, 0x3ff00000
	s_cmpk_lg_i32 s5, 0x84
	s_delay_alu instid0(VALU_DEP_3)
	v_lshlrev_b32_e32 v3, 3, v3
	s_cbranch_scc0 .LBB74_9
; %bb.8:
	ds_load_b64 v[1:2], v3
	s_waitcnt lgkmcnt(0)
	v_div_scale_f64 v[4:5], null, v[1:2], v[1:2], 1.0
	s_delay_alu instid0(VALU_DEP_1) | instskip(SKIP_2) | instid1(VALU_DEP_1)
	v_rcp_f64_e32 v[6:7], v[4:5]
	s_waitcnt_depctr 0xfff
	v_fma_f64 v[8:9], -v[4:5], v[6:7], 1.0
	v_fma_f64 v[6:7], v[6:7], v[8:9], v[6:7]
	s_delay_alu instid0(VALU_DEP_1) | instskip(NEXT) | instid1(VALU_DEP_1)
	v_fma_f64 v[8:9], -v[4:5], v[6:7], 1.0
	v_fma_f64 v[6:7], v[6:7], v[8:9], v[6:7]
	v_div_scale_f64 v[8:9], vcc_lo, 1.0, v[1:2], 1.0
	s_delay_alu instid0(VALU_DEP_1) | instskip(NEXT) | instid1(VALU_DEP_1)
	v_mul_f64 v[10:11], v[8:9], v[6:7]
	v_fma_f64 v[4:5], -v[4:5], v[10:11], v[8:9]
	s_delay_alu instid0(VALU_DEP_1) | instskip(NEXT) | instid1(VALU_DEP_1)
	v_div_fmas_f64 v[4:5], v[4:5], v[6:7], v[10:11]
	v_div_fixup_f64 v[1:2], v[4:5], v[1:2], 1.0
.LBB74_9:
	ds_store_b64 v3, v[1:2]
.LBB74_10:
	s_or_b32 exec_lo, exec_lo, s28
	s_clause 0x1
	s_load_b32 s5, s[0:1], 0x68
	s_load_b32 s0, s[0:1], 0x50
	s_waitcnt lgkmcnt(0)
	s_lshl_b64 s[10:11], s[18:19], 3
	v_lshlrev_b32_e32 v9, 3, v0
	s_add_u32 s1, s2, s10
	s_addc_u32 s10, s3, s11
	s_lshl_b32 s2, s14, 3
	s_delay_alu instid0(SALU_CYCLE_1)
	s_sub_i32 s7, s7, s2
	s_add_i32 s5, s5, -1
	s_mul_hi_i32 s3, s0, s2
	s_cmp_ge_u32 s14, s5
	s_mul_i32 s2, s0, s2
	s_cselect_b32 s5, s7, 8
	s_lshl_b64 s[2:3], s[2:3], 3
	v_cmp_gt_i32_e32 vcc_lo, s5, v0
	s_add_u32 s1, s1, s2
	s_addc_u32 s2, s10, s3
	s_cmp_gt_i32 s6, 0
	s_mov_b32 s5, -1
	s_cselect_b32 s3, -1, 0
	s_delay_alu instid0(SALU_CYCLE_1) | instskip(NEXT) | instid1(SALU_CYCLE_1)
	s_and_b32 s3, vcc_lo, s3
	s_and_saveexec_b32 s7, s3
	s_cbranch_execz .LBB74_19
; %bb.11:
	v_mad_i64_i32 v[1:2], null, s0, v0, 0
	s_cmp_eq_u32 s6, 1
	s_delay_alu instid0(VALU_DEP_1) | instskip(NEXT) | instid1(VALU_DEP_1)
	v_lshlrev_b64 v[1:2], 3, v[1:2]
	v_add_co_u32 v1, vcc_lo, s1, v1
	s_delay_alu instid0(VALU_DEP_2)
	v_add_co_ci_u32_e32 v2, vcc_lo, s2, v2, vcc_lo
	global_load_b64 v[3:4], v[1:2], off
	s_waitcnt vmcnt(0)
	v_mul_f64 v[3:4], v[3:4], s[8:9]
	ds_store_b64 v9, v[3:4] offset:512
	s_cbranch_scc1 .LBB74_19
; %bb.12:
	global_load_b64 v[3:4], v[1:2], off offset:8
	s_cmp_eq_u32 s6, 2
	s_waitcnt vmcnt(0)
	v_mul_f64 v[4:5], v[3:4], s[8:9]
	v_or_b32_e32 v3, 0x200, v9
	ds_store_b64 v3, v[4:5] offset:64
	s_cbranch_scc1 .LBB74_19
; %bb.13:
	global_load_b64 v[4:5], v[1:2], off offset:16
	s_cmp_eq_u32 s6, 3
	s_waitcnt vmcnt(0)
	v_mul_f64 v[4:5], v[4:5], s[8:9]
	ds_store_b64 v3, v[4:5] offset:128
	s_cbranch_scc1 .LBB74_19
; %bb.14:
	global_load_b64 v[4:5], v[1:2], off offset:24
	s_cmp_eq_u32 s6, 4
	s_waitcnt vmcnt(0)
	v_mul_f64 v[4:5], v[4:5], s[8:9]
	;; [unrolled: 7-line block ×5, first 2 shown]
	ds_store_b64 v3, v[4:5] offset:384
	s_cbranch_scc1 .LBB74_19
; %bb.18:
	global_load_b64 v[1:2], v[1:2], off offset:56
	s_waitcnt vmcnt(0)
	v_mul_f64 v[1:2], v[1:2], s[8:9]
	ds_store_b64 v3, v[1:2] offset:448
.LBB74_19:
	s_or_b32 exec_lo, exec_lo, s7
	s_cmpk_eq_i32 s4, 0x6f
	s_waitcnt vmcnt(0) lgkmcnt(0)
	s_waitcnt_vscnt null, 0x0
	; wave barrier
	s_waitcnt lgkmcnt(0)
	buffer_gl0_inv
	s_cbranch_scc1 .LBB74_44
; %bb.20:
	s_cmp_gt_i32 s6, 7
	s_cbranch_scc0 .LBB74_22
; %bb.21:
	s_mul_i32 s4, s15, 0x48
	v_lshl_or_b32 v42, s15, 6, v9
	s_add_i32 s10, s4, 0xffffffb8
	s_delay_alu instid0(SALU_CYCLE_1)
	v_dual_mov_b32 v1, s4 :: v_dual_mov_b32 v4, s10
	s_lshl_b32 s5, s12, 3
	ds_load_b64 v[5:6], v42 offset:512
	ds_load_b64 v[7:8], v1
	s_add_i32 s7, s5, -16
	s_sub_i32 s8, s5, 24
	s_sub_i32 s9, s5, 32
	v_or_b32_e32 v1, s7, v0
	v_or_b32_e32 v2, s8, v0
	;; [unrolled: 1-line block ×3, first 2 shown]
	s_add_i32 s8, s8, s15
	s_add_i32 s9, s9, s15
	s_lshl_b32 s7, s8, 3
	v_lshlrev_b32_e32 v10, 3, v1
	v_lshlrev_b32_e32 v43, 3, v2
	v_lshlrev_b32_e32 v44, 3, v3
	ds_load_2addr_b64 v[1:4], v4 offset1:1
	ds_load_b64 v[10:11], v10 offset:512
	ds_load_b64 v[12:13], v43 offset:512
	;; [unrolled: 1-line block ×3, first 2 shown]
	s_sub_i32 s8, s5, 48
	s_waitcnt lgkmcnt(4)
	v_mul_f64 v[24:25], v[5:6], v[7:8]
	s_waitcnt lgkmcnt(2)
	s_delay_alu instid0(VALU_DEP_1)
	v_fma_f64 v[7:8], -v[24:25], v[3:4], v[10:11]
	v_mov_b32_e32 v3, s7
	s_add_i32 s7, s4, 0xffffff70
	ds_load_b64 v[10:11], v3
	v_mov_b32_e32 v3, s7
	s_lshl_b32 s7, s9, 3
	s_sub_i32 s9, s5, 56
	s_add_i32 s7, s7, -8
	ds_load_2addr_b64 v[3:6], v3 offset1:1
	s_waitcnt lgkmcnt(1)
	v_fma_f64 v[20:21], -v[24:25], v[10:11], v[12:13]
	v_mul_f64 v[26:27], v[7:8], v[1:2]
	v_mov_b32_e32 v1, s7
	s_add_i32 s7, s4, 0xffffff28
	ds_load_2addr_b64 v[10:13], v1 offset1:1
	v_mov_b32_e32 v1, s7
	s_sub_i32 s7, s5, 40
	s_sub_i32 s5, s5, 64
	s_delay_alu instid0(SALU_CYCLE_1) | instskip(SKIP_1) | instid1(SALU_CYCLE_1)
	v_or_b32_e32 v7, s5, v0
	s_add_i32 s5, s5, s15
	s_lshl_b32 s5, s5, 3
	s_delay_alu instid0(VALU_DEP_1)
	v_lshlrev_b32_e32 v48, 3, v7
	ds_load_2addr_b64 v[14:17], v1 offset1:1
	s_waitcnt lgkmcnt(1)
	v_fma_f64 v[1:2], -v[24:25], v[12:13], v[18:19]
	v_fma_f64 v[12:13], -v[26:27], v[5:6], v[20:21]
	v_or_b32_e32 v5, s7, v0
	s_add_i32 s7, s7, s15
	s_delay_alu instid0(SALU_CYCLE_1)
	s_lshl_b32 s7, s7, 3
	s_delay_alu instid0(VALU_DEP_1) | instid1(SALU_CYCLE_1)
	v_dual_mov_b32 v6, s7 :: v_dual_lshlrev_b32 v45, 3, v5
	ds_load_b64 v[18:19], v6
	ds_load_b64 v[20:21], v45 offset:512
	v_or_b32_e32 v5, s8, v0
	s_add_i32 s7, s7, -16
	s_add_i32 s8, s8, s15
	v_or_b32_e32 v6, s9, v0
	s_add_i32 s9, s9, s15
	v_dual_mov_b32 v5, s7 :: v_dual_lshlrev_b32 v46, 3, v5
	s_lshl_b32 s7, s8, 3
	s_delay_alu instid0(SALU_CYCLE_1) | instskip(SKIP_4) | instid1(SALU_CYCLE_1)
	s_add_i32 s8, s7, -8
	s_sub_i32 s7, s7, 24
	v_fma_f64 v[10:11], -v[26:27], v[10:11], v[1:2]
	v_mov_b32_e32 v1, s8
	s_lshl_b32 s8, s9, 3
	s_add_i32 s9, s8, -8
	s_waitcnt lgkmcnt(0)
	v_fma_f64 v[18:19], -v[24:25], v[18:19], v[20:21]
	v_mul_f64 v[32:33], v[12:13], v[3:4]
	s_delay_alu instid0(VALU_DEP_1) | instskip(SKIP_2) | instid1(SALU_CYCLE_1)
	v_fma_f64 v[20:21], -v[32:33], v[16:17], v[10:11]
	v_mov_b32_e32 v10, s9
	s_sub_i32 s9, s8, 24
	v_dual_mov_b32 v16, s9 :: v_dual_lshlrev_b32 v47, 3, v6
	ds_load_b64 v[22:23], v46 offset:512
	ds_load_b64 v[28:29], v47 offset:512
	;; [unrolled: 1-line block ×3, first 2 shown]
	ds_load_2addr_b64 v[5:8], v5 offset1:1
	ds_load_2addr_b64 v[1:4], v1 offset1:1
	;; [unrolled: 1-line block ×3, first 2 shown]
	s_add_i32 s9, s4, 0xfffffee0
	s_waitcnt lgkmcnt(2)
	v_fma_f64 v[7:8], -v[26:27], v[7:8], v[18:19]
	s_waitcnt lgkmcnt(1)
	v_fma_f64 v[3:4], -v[24:25], v[3:4], v[22:23]
	;; [unrolled: 2-line block ×3, first 2 shown]
	v_mov_b32_e32 v12, s5
	ds_load_2addr_b64 v[16:19], v16 offset1:1
	v_mul_f64 v[38:39], v[20:21], v[14:15]
	v_fma_f64 v[36:37], -v[32:33], v[5:6], v[7:8]
	v_fma_f64 v[34:35], -v[26:27], v[1:2], v[3:4]
	v_mov_b32_e32 v5, s9
	s_add_i32 s9, s5, -16
	s_delay_alu instid0(SALU_CYCLE_1)
	v_dual_mov_b32 v1, s7 :: v_dual_mov_b32 v20, s9
	ds_load_2addr_b64 v[1:4], v1 offset1:1
	ds_load_2addr_b64 v[5:8], v5 offset1:1
	ds_load_b64 v[40:41], v12
	v_fma_f64 v[10:11], -v[26:27], v[10:11], v[28:29]
	s_add_i32 s7, s4, 0xfffffe98
	s_delay_alu instid0(SALU_CYCLE_1)
	v_mov_b32_e32 v12, s7
	ds_load_2addr_b64 v[12:15], v12 offset1:1
	ds_load_2addr_b64 v[20:23], v20 offset1:1
	s_sub_i32 s7, s8, 40
	s_sub_i32 s8, s5, 32
	;; [unrolled: 1-line block ×3, first 2 shown]
	s_waitcnt lgkmcnt(2)
	v_fma_f64 v[28:29], -v[24:25], v[40:41], v[30:31]
	v_fma_f64 v[7:8], -v[38:39], v[7:8], v[36:37]
	v_fma_f64 v[3:4], -v[32:33], v[3:4], v[34:35]
	v_fma_f64 v[10:11], -v[32:33], v[18:19], v[10:11]
	s_delay_alu instid0(VALU_DEP_3) | instskip(NEXT) | instid1(VALU_DEP_3)
	v_mul_f64 v[18:19], v[7:8], v[5:6]
	v_fma_f64 v[1:2], -v[38:39], v[1:2], v[3:4]
	s_waitcnt lgkmcnt(0)
	v_fma_f64 v[3:4], -v[26:27], v[22:23], v[28:29]
	v_mov_b32_e32 v5, s8
	v_fma_f64 v[10:11], -v[38:39], v[16:17], v[10:11]
	s_delay_alu instid0(VALU_DEP_4) | instskip(NEXT) | instid1(VALU_DEP_4)
	v_fma_f64 v[22:23], -v[18:19], v[14:15], v[1:2]
	v_fma_f64 v[20:21], -v[32:33], v[20:21], v[3:4]
	v_mov_b32_e32 v1, s7
	ds_load_2addr_b64 v[1:4], v1 offset1:1
	ds_load_2addr_b64 v[5:8], v5 offset1:1
	v_mov_b32_e32 v14, s5
	s_add_i32 s5, s4, 0xfffffe50
	s_addk_i32 s4, 0xfe08
	ds_load_2addr_b64 v[14:17], v14 offset1:1
	s_waitcnt lgkmcnt(2)
	v_fma_f64 v[3:4], -v[18:19], v[3:4], v[10:11]
	v_mul_f64 v[10:11], v[22:23], v[12:13]
	s_waitcnt lgkmcnt(1)
	v_fma_f64 v[7:8], -v[38:39], v[7:8], v[20:21]
	s_delay_alu instid0(VALU_DEP_2) | instskip(NEXT) | instid1(VALU_DEP_2)
	v_fma_f64 v[1:2], -v[10:11], v[1:2], v[3:4]
	v_fma_f64 v[3:4], -v[18:19], v[5:6], v[7:8]
	v_mov_b32_e32 v5, s5
	ds_load_b64 v[5:6], v5
	s_waitcnt lgkmcnt(0)
	v_mul_f64 v[1:2], v[1:2], v[5:6]
	v_fma_f64 v[3:4], -v[10:11], v[16:17], v[3:4]
	v_mov_b32_e32 v5, s4
	s_lshl_b32 s4, s12, 6
	s_delay_alu instid0(SALU_CYCLE_1)
	s_addk_i32 s4, 0xff80
	ds_load_b64 v[5:6], v5
	ds_store_b64 v42, v[24:25] offset:512
	ds_store_b64 v43, v[32:33] offset:512
	;; [unrolled: 1-line block ×6, first 2 shown]
	v_fma_f64 v[3:4], -v[1:2], v[14:15], v[3:4]
	s_waitcnt lgkmcnt(6)
	s_delay_alu instid0(VALU_DEP_1)
	v_mul_f64 v[3:4], v[3:4], v[5:6]
	v_or_b32_e32 v5, s4, v9
	s_add_i32 s4, s12, -9
	ds_store_b64 v5, v[26:27] offset:512
	ds_store_b64 v48, v[3:4] offset:512
	s_cmp_gt_i32 s4, -1
	s_cbranch_scc1 .LBB74_23
	s_branch .LBB74_43
.LBB74_22:
	s_mov_b32 s4, s15
	s_delay_alu instid0(SALU_CYCLE_1)
	s_cmp_gt_i32 s4, -1
	s_cbranch_scc0 .LBB74_43
.LBB74_23:
	s_cmp_lt_u32 s4, 3
	s_cbranch_scc1 .LBB74_29
; %bb.24:
	v_lshl_or_b32 v1, s12, 6, v9
	s_lshl_b32 s5, s4, 6
	s_lshl_b32 s7, s12, 3
	s_delay_alu instid0(SALU_CYCLE_1) | instskip(NEXT) | instid1(VALU_DEP_1)
	s_add_i32 s5, s5, s7
	v_add_nc_u32_e32 v10, 0x1c0, v1
	s_addk_i32 s5, 0xff38
.LBB74_25:                              ; =>This Loop Header: Depth=1
                                        ;     Child Loop BB74_26 Depth 2
	s_lshl_b32 s7, s4, 3
	s_mov_b32 s10, s15
	s_add_i32 s9, s7, -8
	v_or_b32_e32 v1, s7, v0
	s_add_i32 s8, s7, -16
	v_or_b32_e32 v2, s9, v0
	s_sub_i32 s7, s7, 24
	v_or_b32_e32 v3, s8, v0
	v_or_b32_e32 v4, s7, v0
	v_dual_mov_b32 v14, v10 :: v_dual_lshlrev_b32 v13, 3, v1
	v_lshlrev_b32_e32 v1, 3, v2
	s_delay_alu instid0(VALU_DEP_4) | instskip(NEXT) | instid1(VALU_DEP_4)
	v_lshlrev_b32_e32 v12, 3, v3
	v_lshlrev_b32_e32 v11, 3, v4
	ds_load_b64 v[7:8], v13 offset:512
	ds_load_b64 v[5:6], v1 offset:512
	;; [unrolled: 1-line block ×4, first 2 shown]
	s_cmp_le_i32 s15, s4
	s_mov_b32 s9, s5
	s_cbranch_scc1 .LBB74_27
	.p2align	6
.LBB74_26:                              ;   Parent Loop BB74_25 Depth=1
                                        ; =>  This Inner Loop Header: Depth=2
	v_mov_b32_e32 v19, s9
	s_add_i32 s10, s10, -1
	s_add_i32 s9, s9, -8
	s_cmp_gt_i32 s10, s4
	ds_load_b64 v[23:24], v14
	ds_load_2addr_b64 v[15:18], v19 offset0:16 offset1:24
	ds_load_2addr_b64 v[19:22], v19 offset1:8
	v_subrev_nc_u32_e32 v14, 64, v14
	s_waitcnt lgkmcnt(1)
	v_fma_f64 v[7:8], -v[23:24], v[17:18], v[7:8]
	v_fma_f64 v[5:6], -v[23:24], v[15:16], v[5:6]
	s_waitcnt lgkmcnt(0)
	v_fma_f64 v[3:4], -v[23:24], v[21:22], v[3:4]
	v_fma_f64 v[1:2], -v[23:24], v[19:20], v[1:2]
	s_cbranch_scc1 .LBB74_26
.LBB74_27:                              ;   in Loop: Header=BB74_25 Depth=1
	s_mul_i32 s9, s4, 0x48
	s_delay_alu instid0(SALU_CYCLE_1)
	v_dual_mov_b32 v14, s9 :: v_dual_add_nc_u32 v13, 0x200, v13
	s_add_i32 s10, s9, 0xffffffb8
	s_add_i32 s8, s8, s4
	;; [unrolled: 1-line block ×3, first 2 shown]
	s_lshl_b32 s8, s8, 3
	ds_load_b64 v[18:19], v14
	v_mov_b32_e32 v14, s10
	s_lshl_b32 s7, s7, 3
	s_addk_i32 s5, 0xff00
	s_add_i32 s7, s7, -8
	ds_load_2addr_b64 v[14:17], v14 offset1:1
	s_waitcnt lgkmcnt(1)
	v_mul_f64 v[22:23], v[7:8], v[18:19]
	s_waitcnt lgkmcnt(0)
	s_delay_alu instid0(VALU_DEP_1)
	v_fma_f64 v[16:17], -v[22:23], v[16:17], v[5:6]
	v_mov_b32_e32 v5, s8
	s_add_i32 s8, s9, 0xffffff70
	ds_store_b64 v13, v[22:23]
	ds_load_b64 v[18:19], v5
	v_mul_f64 v[24:25], v[16:17], v[14:15]
	v_mov_b32_e32 v14, s7
	s_add_i32 s7, s9, 0xffffff28
	ds_load_2addr_b64 v[14:17], v14 offset1:1
	s_waitcnt lgkmcnt(1)
	v_fma_f64 v[3:4], -v[22:23], v[18:19], v[3:4]
	v_dual_mov_b32 v5, s8 :: v_dual_mov_b32 v18, s7
	s_lshl_b32 s7, s4, 6
	s_delay_alu instid0(SALU_CYCLE_1)
	s_sub_i32 s7, s7, 64
	ds_load_2addr_b64 v[5:8], v5 offset1:1
	ds_load_2addr_b64 v[18:21], v18 offset1:1
	s_waitcnt lgkmcnt(2)
	v_fma_f64 v[1:2], -v[22:23], v[16:17], v[1:2]
	s_waitcnt lgkmcnt(1)
	v_fma_f64 v[3:4], -v[24:25], v[7:8], v[3:4]
	s_delay_alu instid0(VALU_DEP_2) | instskip(NEXT) | instid1(VALU_DEP_2)
	v_fma_f64 v[1:2], -v[24:25], v[14:15], v[1:2]
	v_mul_f64 v[3:4], v[3:4], v[5:6]
	v_lshl_or_b32 v5, v0, 3, s7
	s_add_i32 s7, s4, -4
	s_cmp_gt_i32 s4, 6
	s_waitcnt lgkmcnt(0)
	s_delay_alu instid0(VALU_DEP_2)
	v_fma_f64 v[1:2], -v[3:4], v[20:21], v[1:2]
	ds_store_b64 v12, v[3:4] offset:512
	v_mul_f64 v[1:2], v[1:2], v[18:19]
	ds_store_b64 v5, v[24:25] offset:512
	ds_store_b64 v11, v[1:2] offset:512
	s_cbranch_scc0 .LBB74_30
; %bb.28:                               ;   in Loop: Header=BB74_25 Depth=1
	s_mov_b32 s4, s7
	s_branch .LBB74_25
.LBB74_29:
	s_mov_b32 s7, s4
.LBB74_30:
	s_delay_alu instid0(SALU_CYCLE_1)
	s_cmp_lt_i32 s7, 0
	s_cbranch_scc1 .LBB74_43
; %bb.31:
	s_bitcmp1_b32 s7, 0
	s_cselect_b32 s4, -1, 0
	s_delay_alu instid0(SALU_CYCLE_1)
	s_and_b32 vcc_lo, exec_lo, s4
	s_mov_b32 s4, s7
	s_cbranch_vccnz .LBB74_36
; %bb.32:
	v_lshl_or_b32 v3, s7, 6, v9
	s_cmp_le_i32 s15, s7
	ds_load_b64 v[1:2], v3 offset:512
	s_cbranch_scc1 .LBB74_35
; %bb.33:
	v_lshl_or_b32 v4, s12, 6, v9
	s_lshl_b32 s4, s7, 6
	s_lshl_b32 s5, s12, 3
	s_delay_alu instid0(SALU_CYCLE_1) | instskip(NEXT) | instid1(VALU_DEP_1)
	s_add_i32 s4, s4, s5
	v_add_nc_u32_e32 v4, 0x1c0, v4
	s_add_i32 s4, s4, -8
	s_mov_b32 s5, s15
.LBB74_34:                              ; =>This Inner Loop Header: Depth=1
	v_mov_b32_e32 v7, s4
	s_add_i32 s5, s5, -1
	s_add_i32 s4, s4, -8
	s_cmp_gt_i32 s5, s7
	ds_load_b64 v[5:6], v4
	ds_load_b64 v[7:8], v7
	v_subrev_nc_u32_e32 v4, 64, v4
	s_waitcnt lgkmcnt(0)
	v_fma_f64 v[1:2], -v[5:6], v[7:8], v[1:2]
	s_cbranch_scc1 .LBB74_34
.LBB74_35:
	s_mul_i32 s4, s7, 0x48
	s_delay_alu instid0(SALU_CYCLE_1)
	v_dual_mov_b32 v4, s4 :: v_dual_add_nc_u32 v3, 0x200, v3
	s_add_i32 s4, s7, -1
	ds_load_b64 v[4:5], v4
	s_waitcnt lgkmcnt(0)
	v_mul_f64 v[1:2], v[1:2], v[4:5]
	ds_store_b64 v3, v[1:2]
.LBB74_36:
	s_cmp_eq_u32 s7, 0
	s_cbranch_scc1 .LBB74_43
; %bb.37:
	v_lshl_or_b32 v1, s12, 6, v9
	s_lshl_b32 s5, s4, 6
	s_lshl_b32 s7, s12, 3
	s_delay_alu instid0(SALU_CYCLE_1) | instskip(NEXT) | instid1(VALU_DEP_1)
	s_add_i32 s7, s5, s7
	v_add_nc_u32_e32 v5, 0x1c0, v1
	s_add_i32 s5, s7, -8
	s_addk_i32 s7, 0xffb8
	s_branch .LBB74_39
.LBB74_38:                              ;   in Loop: Header=BB74_39 Depth=1
	s_addk_i32 s8, 0xffb8
	s_delay_alu instid0(SALU_CYCLE_1)
	v_dual_mov_b32 v2, s8 :: v_dual_add_nc_u32 v1, 0x200, v6
	s_add_i32 s8, s4, -2
	s_addk_i32 s5, 0xff80
	s_addk_i32 s7, 0xff80
	s_cmp_lt_i32 s4, 2
	ds_load_b64 v[6:7], v2
	s_mov_b32 s4, s8
	s_waitcnt lgkmcnt(0)
	v_mul_f64 v[2:3], v[3:4], v[6:7]
	ds_store_b64 v1, v[2:3]
	s_cbranch_scc1 .LBB74_43
.LBB74_39:                              ; =>This Loop Header: Depth=1
                                        ;     Child Loop BB74_40 Depth 2
                                        ;     Child Loop BB74_42 Depth 2
	v_lshl_or_b32 v3, s4, 6, v9
	v_mov_b32_e32 v4, v5
	s_cmp_le_i32 s15, s4
	s_mov_b32 s8, s5
	s_mov_b32 s9, s15
	ds_load_b64 v[1:2], v3 offset:512
	s_cbranch_scc1 .LBB74_41
.LBB74_40:                              ;   Parent Loop BB74_39 Depth=1
                                        ; =>  This Inner Loop Header: Depth=2
	v_mov_b32_e32 v8, s8
	s_add_i32 s9, s9, -1
	s_add_i32 s8, s8, -8
	s_cmp_gt_i32 s9, s4
	ds_load_b64 v[6:7], v4
	ds_load_b64 v[10:11], v8
	v_subrev_nc_u32_e32 v4, 64, v4
	s_waitcnt lgkmcnt(0)
	v_fma_f64 v[1:2], -v[6:7], v[10:11], v[1:2]
	s_cbranch_scc1 .LBB74_40
.LBB74_41:                              ;   in Loop: Header=BB74_39 Depth=1
	s_mul_i32 s8, s4, 0x48
	v_add_nc_u32_e32 v7, 0x200, v3
	v_mov_b32_e32 v3, s8
	s_lshl_b32 s9, s4, 6
	s_mov_b32 s10, s12
	s_sub_i32 s9, s9, 64
	s_cmp_lt_i32 s15, s4
	ds_load_b64 v[10:11], v3
	v_lshl_or_b32 v6, v0, 3, s9
	s_mov_b32 s9, s7
	ds_load_b64 v[3:4], v6 offset:512
	s_waitcnt lgkmcnt(1)
	v_mul_f64 v[10:11], v[1:2], v[10:11]
	v_mov_b32_e32 v1, v5
	ds_store_b64 v7, v[10:11]
	s_cbranch_scc1 .LBB74_38
.LBB74_42:                              ;   Parent Loop BB74_39 Depth=1
                                        ; =>  This Inner Loop Header: Depth=2
	v_mov_b32_e32 v2, s9
	s_add_i32 s10, s10, -1
	s_add_i32 s9, s9, -8
	s_cmp_gt_i32 s10, s4
	ds_load_b64 v[7:8], v1
	ds_load_b64 v[10:11], v2
	v_subrev_nc_u32_e32 v1, 64, v1
	s_waitcnt lgkmcnt(0)
	v_fma_f64 v[3:4], -v[7:8], v[10:11], v[3:4]
	s_cbranch_scc1 .LBB74_42
	s_branch .LBB74_38
.LBB74_43:
	s_mov_b32 s5, 0
.LBB74_44:
	s_delay_alu instid0(SALU_CYCLE_1)
	s_and_b32 vcc_lo, exec_lo, s5
	s_cbranch_vccz .LBB74_66
; %bb.45:
	s_cmp_gt_i32 s6, 7
	s_cbranch_scc0 .LBB74_47
; %bb.46:
	v_mov_b32_e32 v42, 0
	s_mov_b32 s4, 8
	ds_load_2addr_b64 v[1:4], v9 offset0:64 offset1:72
	ds_load_b128 v[5:8], v42
	ds_load_b128 v[10:13], v42 offset:16
	s_waitcnt lgkmcnt(1)
	v_mul_f64 v[30:31], v[1:2], v[5:6]
	s_delay_alu instid0(VALU_DEP_1)
	v_fma_f64 v[18:19], -v[30:31], v[7:8], v[3:4]
	ds_load_2addr_b64 v[1:4], v9 offset0:80 offset1:88
	ds_load_2addr_b64 v[5:8], v42 offset0:9 offset1:10
	;; [unrolled: 1-line block ×3, first 2 shown]
	s_waitcnt lgkmcnt(2)
	v_fma_f64 v[1:2], -v[30:31], v[10:11], v[1:2]
	v_fma_f64 v[26:27], -v[30:31], v[12:13], v[3:4]
	s_waitcnt lgkmcnt(1)
	v_mul_f64 v[32:33], v[18:19], v[5:6]
	s_delay_alu instid0(VALU_DEP_1)
	v_fma_f64 v[28:29], -v[32:33], v[7:8], v[1:2]
	ds_load_2addr_b64 v[1:4], v9 offset0:96 offset1:104
	ds_load_b128 v[5:8], v42 offset:32
	ds_load_b128 v[10:13], v42 offset:144
	ds_load_2addr_b64 v[18:21], v42 offset0:13 offset1:14
	ds_load_b128 v[22:25], v42 offset:48
	s_waitcnt lgkmcnt(3)
	v_fma_f64 v[1:2], -v[30:31], v[5:6], v[1:2]
	v_fma_f64 v[5:6], -v[32:33], v[14:15], v[26:27]
	;; [unrolled: 1-line block ×3, first 2 shown]
	s_waitcnt lgkmcnt(2)
	v_mul_f64 v[34:35], v[28:29], v[10:11]
	s_delay_alu instid0(VALU_DEP_4) | instskip(SKIP_1) | instid1(VALU_DEP_3)
	v_fma_f64 v[38:39], -v[32:33], v[16:17], v[1:2]
	s_waitcnt lgkmcnt(1)
	v_fma_f64 v[18:19], -v[32:33], v[18:19], v[36:37]
	s_delay_alu instid0(VALU_DEP_3)
	v_fma_f64 v[40:41], -v[34:35], v[12:13], v[5:6]
	ds_load_2addr_b64 v[1:4], v9 offset0:112 offset1:120
	ds_load_b128 v[5:8], v42 offset:160
	ds_load_2addr_b64 v[10:13], v42 offset0:27 offset1:28
	ds_load_2addr_b64 v[14:17], v42 offset0:29 offset1:30
	ds_load_b128 v[26:29], v42 offset:176
	s_waitcnt lgkmcnt(4)
	v_fma_f64 v[1:2], -v[30:31], v[22:23], v[1:2]
	s_waitcnt lgkmcnt(3)
	v_fma_f64 v[5:6], -v[34:35], v[5:6], v[38:39]
	v_fma_f64 v[24:25], -v[30:31], v[24:25], v[3:4]
	;; [unrolled: 1-line block ×3, first 2 shown]
	s_waitcnt lgkmcnt(2)
	v_mul_f64 v[22:23], v[40:41], v[10:11]
	v_fma_f64 v[20:21], -v[32:33], v[20:21], v[1:2]
	s_delay_alu instid0(VALU_DEP_2)
	v_fma_f64 v[36:37], -v[22:23], v[12:13], v[5:6]
	ds_load_b128 v[1:4], v42 offset:288
	ds_load_2addr_b64 v[5:8], v42 offset0:15 offset1:31
	ds_load_b128 v[10:13], v42 offset:304
	s_waitcnt lgkmcnt(4)
	v_fma_f64 v[14:15], -v[22:23], v[14:15], v[18:19]
	s_waitcnt lgkmcnt(3)
	v_fma_f64 v[20:21], -v[34:35], v[26:27], v[20:21]
	s_waitcnt lgkmcnt(2)
	v_mul_f64 v[18:19], v[36:37], v[1:2]
	s_waitcnt lgkmcnt(1)
	v_fma_f64 v[1:2], -v[32:33], v[5:6], v[24:25]
	s_delay_alu instid0(VALU_DEP_3) | instskip(NEXT) | instid1(VALU_DEP_3)
	v_fma_f64 v[5:6], -v[22:23], v[16:17], v[20:21]
	v_fma_f64 v[20:21], -v[18:19], v[3:4], v[14:15]
	s_delay_alu instid0(VALU_DEP_3)
	v_fma_f64 v[24:25], -v[34:35], v[28:29], v[1:2]
	ds_load_2addr_b64 v[1:4], v42 offset0:45 offset1:46
	ds_load_b128 v[14:17], v42 offset:432
	s_waitcnt lgkmcnt(2)
	v_fma_f64 v[5:6], -v[18:19], v[10:11], v[5:6]
	s_waitcnt lgkmcnt(1)
	v_mul_f64 v[10:11], v[20:21], v[1:2]
	v_fma_f64 v[1:2], -v[22:23], v[7:8], v[24:25]
	s_delay_alu instid0(VALU_DEP_2) | instskip(NEXT) | instid1(VALU_DEP_2)
	v_fma_f64 v[5:6], -v[10:11], v[3:4], v[5:6]
	v_fma_f64 v[7:8], -v[18:19], v[12:13], v[1:2]
	ds_load_2addr_b64 v[1:4], v42 offset0:47 offset1:63
	ds_store_2addr_b64 v9, v[30:31], v[32:33] offset0:64 offset1:72
	ds_store_2addr_b64 v9, v[34:35], v[22:23] offset0:80 offset1:88
	;; [unrolled: 1-line block ×3, first 2 shown]
	s_waitcnt lgkmcnt(4)
	v_mul_f64 v[5:6], v[5:6], v[14:15]
	s_waitcnt lgkmcnt(3)
	v_fma_f64 v[1:2], -v[10:11], v[1:2], v[7:8]
	s_delay_alu instid0(VALU_DEP_1) | instskip(NEXT) | instid1(VALU_DEP_1)
	v_fma_f64 v[1:2], -v[5:6], v[16:17], v[1:2]
	v_mul_f64 v[1:2], v[1:2], v[3:4]
	ds_store_2addr_b64 v9, v[5:6], v[1:2] offset0:112 offset1:120
	s_cmp_lt_i32 s4, s12
	s_cbranch_scc1 .LBB74_48
	s_branch .LBB74_66
.LBB74_47:
	s_mov_b32 s4, 0
	s_delay_alu instid0(SALU_CYCLE_1)
	s_cmp_lt_i32 s4, s12
	s_cbranch_scc0 .LBB74_66
.LBB74_48:
	s_or_b32 s5, s4, 3
	s_delay_alu instid0(SALU_CYCLE_1)
	s_cmp_ge_u32 s5, s12
	s_cbranch_scc1 .LBB74_54
; %bb.49:
	v_lshl_or_b32 v10, v0, 3, 0x200
	s_lshl_b32 s5, s4, 3
.LBB74_50:                              ; =>This Loop Header: Depth=1
                                        ;     Child Loop BB74_51 Depth 2
	v_lshl_or_b32 v11, s4, 6, v9
	s_delay_alu instid0(VALU_DEP_2)
	v_mov_b32_e32 v12, v10
	s_cmp_eq_u32 s4, 0
	s_mov_b32 s7, s4
	s_mov_b32 s8, s5
	ds_load_2addr_b64 v[5:8], v11 offset0:64 offset1:72
	ds_load_2addr_b64 v[1:4], v11 offset0:80 offset1:88
	s_cbranch_scc1 .LBB74_52
.LBB74_51:                              ;   Parent Loop BB74_50 Depth=1
                                        ; =>  This Inner Loop Header: Depth=2
	v_mov_b32_e32 v25, s8
	s_add_i32 s7, s7, -4
	s_addk_i32 s8, 0x100
	s_cmp_lg_u32 s7, 0
	ds_load_2addr_b64 v[13:16], v12 offset1:8
	ds_load_b128 v[17:20], v25
	ds_load_b128 v[21:24], v25 offset:16
	s_waitcnt lgkmcnt(1)
	v_fma_f64 v[17:18], -v[13:14], v[17:18], v[5:6]
	v_fma_f64 v[19:20], -v[13:14], v[19:20], v[7:8]
	s_waitcnt lgkmcnt(0)
	v_fma_f64 v[21:22], -v[13:14], v[21:22], v[1:2]
	v_fma_f64 v[13:14], -v[13:14], v[23:24], v[3:4]
	ds_load_b128 v[1:4], v25 offset:64
	ds_load_b128 v[5:8], v25 offset:80
	s_waitcnt lgkmcnt(1)
	v_fma_f64 v[17:18], -v[15:16], v[1:2], v[17:18]
	v_fma_f64 v[19:20], -v[15:16], v[3:4], v[19:20]
	s_waitcnt lgkmcnt(0)
	v_fma_f64 v[21:22], -v[15:16], v[5:6], v[21:22]
	v_fma_f64 v[23:24], -v[15:16], v[7:8], v[13:14]
	ds_load_2addr_b64 v[1:4], v12 offset0:16 offset1:24
	ds_load_b128 v[5:8], v25 offset:128
	ds_load_b128 v[13:16], v25 offset:144
	v_add_nc_u32_e32 v12, 0x100, v12
	s_waitcnt lgkmcnt(1)
	v_fma_f64 v[17:18], -v[1:2], v[5:6], v[17:18]
	v_fma_f64 v[19:20], -v[1:2], v[7:8], v[19:20]
	s_waitcnt lgkmcnt(0)
	v_fma_f64 v[21:22], -v[1:2], v[13:14], v[21:22]
	v_fma_f64 v[23:24], -v[1:2], v[15:16], v[23:24]
	ds_load_b128 v[5:8], v25 offset:192
	ds_load_b128 v[13:16], v25 offset:208
	s_waitcnt lgkmcnt(1)
	v_fma_f64 v[5:6], -v[3:4], v[5:6], v[17:18]
	v_fma_f64 v[7:8], -v[3:4], v[7:8], v[19:20]
	s_waitcnt lgkmcnt(0)
	v_fma_f64 v[1:2], -v[3:4], v[13:14], v[21:22]
	v_fma_f64 v[3:4], -v[3:4], v[15:16], v[23:24]
	s_cbranch_scc1 .LBB74_51
.LBB74_52:                              ;   in Loop: Header=BB74_50 Depth=1
	s_mul_i32 s7, s4, 0x48
	s_delay_alu instid0(SALU_CYCLE_1)
	v_dual_mov_b32 v24, s7 :: v_dual_add_nc_u32 v11, 0x200, v11
	s_lshl_b32 s7, s4, 3
	s_add_i32 s5, s5, 32
	s_or_b32 s7, s7, 8
	ds_load_b128 v[12:15], v24
	ds_load_b128 v[16:19], v24 offset:16
	s_add_i32 s8, s4, s7
	s_delay_alu instid0(SALU_CYCLE_1) | instskip(SKIP_2) | instid1(VALU_DEP_1)
	s_lshl_b32 s8, s8, 3
	s_waitcnt lgkmcnt(1)
	v_mul_f64 v[20:21], v[5:6], v[12:13]
	v_fma_f64 v[22:23], -v[20:21], v[14:15], v[7:8]
	ds_load_2addr_b64 v[5:8], v24 offset0:9 offset1:10
	ds_load_b128 v[12:15], v24 offset:144
	s_waitcnt lgkmcnt(2)
	v_fma_f64 v[1:2], -v[20:21], v[16:17], v[1:2]
	v_fma_f64 v[3:4], -v[20:21], v[18:19], v[3:4]
	s_waitcnt lgkmcnt(1)
	v_mul_f64 v[5:6], v[22:23], v[5:6]
	s_delay_alu instid0(VALU_DEP_1)
	v_fma_f64 v[1:2], -v[5:6], v[7:8], v[1:2]
	v_mov_b32_e32 v7, s8
	ds_load_b64 v[7:8], v7 offset:24
	ds_load_b64 v[16:17], v24 offset:216
	s_waitcnt lgkmcnt(1)
	v_fma_f64 v[3:4], -v[5:6], v[7:8], v[3:4]
	v_or_b32_e32 v7, s7, v0
	s_lshl_b32 s7, s4, 6
	s_delay_alu instid0(SALU_CYCLE_1) | instskip(SKIP_1) | instid1(VALU_DEP_2)
	v_lshl_or_b32 v8, v0, 3, s7
	s_add_i32 s7, s4, 4
	v_lshlrev_b32_e32 v7, 3, v7
	s_add_i32 s4, s4, 7
	s_delay_alu instid0(SALU_CYCLE_1) | instskip(SKIP_1) | instid1(VALU_DEP_1)
	s_cmp_lt_i32 s4, s12
	v_mul_f64 v[1:2], v[1:2], v[12:13]
	v_fma_f64 v[3:4], -v[1:2], v[14:15], v[3:4]
	s_waitcnt lgkmcnt(0)
	s_delay_alu instid0(VALU_DEP_1)
	v_mul_f64 v[3:4], v[3:4], v[16:17]
	ds_store_b64 v11, v[20:21]
	ds_store_b64 v7, v[5:6] offset:512
	ds_store_2addr_b64 v8, v[1:2], v[3:4] offset0:80 offset1:88
	s_cbranch_scc0 .LBB74_55
; %bb.53:                               ;   in Loop: Header=BB74_50 Depth=1
	s_mov_b32 s4, s7
	s_branch .LBB74_50
.LBB74_54:
	s_mov_b32 s7, s4
.LBB74_55:
	s_delay_alu instid0(SALU_CYCLE_1)
	s_cmp_ge_i32 s7, s12
	s_cbranch_scc1 .LBB74_66
; %bb.56:
	v_lshl_or_b32 v3, v0, 3, 0x200
	s_add_i32 s4, s7, -1
	s_lshl_b32 s5, s7, 3
	s_mov_b32 s8, 0
	s_mov_b32 s9, s7
	s_branch .LBB74_58
.LBB74_57:                              ;   in Loop: Header=BB74_58 Depth=1
	s_mul_i32 s10, s7, 0x48
	s_delay_alu instid0(SALU_CYCLE_1)
	v_dual_mov_b32 v5, s10 :: v_dual_add_nc_u32 v4, 0x200, v4
	s_add_i32 s7, s7, 1
	s_add_i32 s8, s8, 1
	;; [unrolled: 1-line block ×3, first 2 shown]
	s_cmp_ge_i32 s7, s12
	ds_load_b64 v[5:6], v5
	s_waitcnt lgkmcnt(0)
	v_mul_f64 v[1:2], v[1:2], v[5:6]
	v_add_nc_u16 v5, s9, 1
	s_delay_alu instid0(VALU_DEP_1)
	v_readfirstlane_b32 s9, v5
	ds_store_b64 v4, v[1:2]
	s_cbranch_scc1 .LBB74_66
.LBB74_58:                              ; =>This Loop Header: Depth=1
                                        ;     Child Loop BB74_61 Depth 2
                                        ;     Child Loop BB74_65 Depth 2
	v_lshl_or_b32 v4, s7, 6, v9
	s_cmp_eq_u32 s7, 0
	ds_load_b64 v[1:2], v4 offset:512
	s_cbranch_scc1 .LBB74_57
; %bb.59:                               ;   in Loop: Header=BB74_58 Depth=1
	s_add_i32 s10, s4, s8
	s_delay_alu instid0(SALU_CYCLE_1)
	s_cmp_lt_u32 s10, 7
	s_cbranch_scc1 .LBB74_63
; %bb.60:                               ;   in Loop: Header=BB74_58 Depth=1
	v_mov_b32_e32 v5, v3
	s_and_b32 s10, s7, -8
	s_mov_b32 s11, 0
	s_mov_b32 s13, s5
	s_set_inst_prefetch_distance 0x1
	.p2align	6
.LBB74_61:                              ;   Parent Loop BB74_58 Depth=1
                                        ; =>  This Inner Loop Header: Depth=2
	v_mov_b32_e32 v6, s13
	s_add_i32 s11, s11, 8
	s_addk_i32 s13, 0x200
	s_cmp_lg_u32 s10, s11
	ds_load_2addr_b64 v[10:13], v5 offset1:8
	ds_load_2addr_b64 v[14:17], v6 offset1:8
	s_waitcnt lgkmcnt(0)
	v_fma_f64 v[1:2], -v[10:11], v[14:15], v[1:2]
	s_delay_alu instid0(VALU_DEP_1) | instskip(SKIP_4) | instid1(VALU_DEP_1)
	v_fma_f64 v[1:2], -v[12:13], v[16:17], v[1:2]
	ds_load_2addr_b64 v[10:13], v5 offset0:16 offset1:24
	ds_load_2addr_b64 v[14:17], v6 offset0:16 offset1:24
	s_waitcnt lgkmcnt(0)
	v_fma_f64 v[1:2], -v[10:11], v[14:15], v[1:2]
	v_fma_f64 v[1:2], -v[12:13], v[16:17], v[1:2]
	ds_load_2addr_b64 v[10:13], v5 offset0:32 offset1:40
	ds_load_2addr_b64 v[14:17], v6 offset0:32 offset1:40
	s_waitcnt lgkmcnt(0)
	v_fma_f64 v[1:2], -v[10:11], v[14:15], v[1:2]
	s_delay_alu instid0(VALU_DEP_1)
	v_fma_f64 v[1:2], -v[12:13], v[16:17], v[1:2]
	ds_load_2addr_b64 v[10:13], v5 offset0:48 offset1:56
	ds_load_2addr_b64 v[14:17], v6 offset0:48 offset1:56
	v_add_nc_u32_e32 v5, 0x200, v5
	s_waitcnt lgkmcnt(0)
	v_fma_f64 v[1:2], -v[10:11], v[14:15], v[1:2]
	s_delay_alu instid0(VALU_DEP_1)
	v_fma_f64 v[1:2], -v[12:13], v[16:17], v[1:2]
	s_cbranch_scc1 .LBB74_61
; %bb.62:                               ;   in Loop: Header=BB74_58 Depth=1
	s_set_inst_prefetch_distance 0x2
	s_and_b32 s11, s7, 7
	s_delay_alu instid0(SALU_CYCLE_1)
	s_cmp_eq_u32 s11, 0
	s_cbranch_scc0 .LBB74_64
	s_branch .LBB74_57
.LBB74_63:                              ;   in Loop: Header=BB74_58 Depth=1
	s_mov_b32 s10, 0
	s_and_b32 s11, s7, 7
	s_delay_alu instid0(SALU_CYCLE_1)
	s_cmp_eq_u32 s11, 0
	s_cbranch_scc1 .LBB74_57
.LBB74_64:                              ;   in Loop: Header=BB74_58 Depth=1
	s_and_b32 s11, s9, 7
	s_lshl_b32 s10, s10, 6
.LBB74_65:                              ;   Parent Loop BB74_58 Depth=1
                                        ; =>  This Inner Loop Header: Depth=2
	s_delay_alu instid0(SALU_CYCLE_1)
	s_add_i32 s13, s5, s10
	v_add_nc_u32_e32 v5, s10, v3
	v_mov_b32_e32 v7, s13
	s_add_i32 s11, s11, -1
	s_add_i32 s10, s10, 64
	s_cmp_lg_u32 s11, 0
	ds_load_b64 v[5:6], v5
	ds_load_b64 v[7:8], v7
	s_waitcnt lgkmcnt(0)
	v_fma_f64 v[1:2], -v[5:6], v[7:8], v[1:2]
	s_cbranch_scc1 .LBB74_65
	s_branch .LBB74_57
.LBB74_66:
	s_waitcnt vmcnt(0) lgkmcnt(0)
	s_waitcnt_vscnt null, 0x0
	; wave barrier
	s_waitcnt lgkmcnt(0)
	buffer_gl0_inv
	s_and_saveexec_b32 s4, s3
	s_cbranch_execz .LBB74_75
; %bb.67:
	v_mad_i64_i32 v[1:2], null, s0, v0, 0
	ds_load_b64 v[3:4], v9 offset:512
	s_cmp_eq_u32 s6, 1
	v_lshlrev_b64 v[0:1], 3, v[1:2]
	s_delay_alu instid0(VALU_DEP_1) | instskip(NEXT) | instid1(VALU_DEP_2)
	v_add_co_u32 v0, vcc_lo, s1, v0
	v_add_co_ci_u32_e32 v1, vcc_lo, s2, v1, vcc_lo
	s_waitcnt lgkmcnt(0)
	global_store_b64 v[0:1], v[3:4], off
	s_cbranch_scc1 .LBB74_75
; %bb.68:
	v_or_b32_e32 v2, 0x200, v9
	s_cmp_eq_u32 s6, 2
	ds_load_b64 v[3:4], v2 offset:64
	s_waitcnt lgkmcnt(0)
	global_store_b64 v[0:1], v[3:4], off offset:8
	s_cbranch_scc1 .LBB74_75
; %bb.69:
	ds_load_b64 v[3:4], v2 offset:128
	s_cmp_eq_u32 s6, 3
	s_waitcnt lgkmcnt(0)
	global_store_b64 v[0:1], v[3:4], off offset:16
	s_cbranch_scc1 .LBB74_75
; %bb.70:
	ds_load_b64 v[3:4], v2 offset:192
	s_cmp_eq_u32 s6, 4
	;; [unrolled: 6-line block ×5, first 2 shown]
	s_waitcnt lgkmcnt(0)
	global_store_b64 v[0:1], v[3:4], off offset:48
	s_cbranch_scc1 .LBB74_75
; %bb.74:
	ds_load_b64 v[2:3], v2 offset:448
	s_waitcnt lgkmcnt(0)
	global_store_b64 v[0:1], v[2:3], off offset:56
.LBB74_75:
	s_nop 0
	s_sendmsg sendmsg(MSG_DEALLOC_VGPRS)
	s_endpgm
	.section	.rodata,"a",@progbits
	.p2align	6, 0x0
	.amdhsa_kernel _ZL38rocblas_trsm_small_left_device_sharedBILi8ELi8ELb1EddPKPKdPKPdEv13rocblas_fill_18rocblas_operation_17rocblas_diagonal_iiT3_T4_lilT5_lili
		.amdhsa_group_segment_fixed_size 1024
		.amdhsa_private_segment_fixed_size 0
		.amdhsa_kernarg_size 360
		.amdhsa_user_sgpr_count 14
		.amdhsa_user_sgpr_dispatch_ptr 0
		.amdhsa_user_sgpr_queue_ptr 0
		.amdhsa_user_sgpr_kernarg_segment_ptr 1
		.amdhsa_user_sgpr_dispatch_id 0
		.amdhsa_user_sgpr_private_segment_size 0
		.amdhsa_wavefront_size32 1
		.amdhsa_uses_dynamic_stack 0
		.amdhsa_enable_private_segment 0
		.amdhsa_system_sgpr_workgroup_id_x 1
		.amdhsa_system_sgpr_workgroup_id_y 0
		.amdhsa_system_sgpr_workgroup_id_z 1
		.amdhsa_system_sgpr_workgroup_info 0
		.amdhsa_system_vgpr_workitem_id 0
		.amdhsa_next_free_vgpr 49
		.amdhsa_next_free_sgpr 32
		.amdhsa_reserve_vcc 1
		.amdhsa_float_round_mode_32 0
		.amdhsa_float_round_mode_16_64 0
		.amdhsa_float_denorm_mode_32 3
		.amdhsa_float_denorm_mode_16_64 3
		.amdhsa_dx10_clamp 1
		.amdhsa_ieee_mode 1
		.amdhsa_fp16_overflow 0
		.amdhsa_workgroup_processor_mode 1
		.amdhsa_memory_ordered 1
		.amdhsa_forward_progress 0
		.amdhsa_shared_vgpr_count 0
		.amdhsa_exception_fp_ieee_invalid_op 0
		.amdhsa_exception_fp_denorm_src 0
		.amdhsa_exception_fp_ieee_div_zero 0
		.amdhsa_exception_fp_ieee_overflow 0
		.amdhsa_exception_fp_ieee_underflow 0
		.amdhsa_exception_fp_ieee_inexact 0
		.amdhsa_exception_int_div_zero 0
	.end_amdhsa_kernel
	.section	.text._ZL38rocblas_trsm_small_left_device_sharedBILi8ELi8ELb1EddPKPKdPKPdEv13rocblas_fill_18rocblas_operation_17rocblas_diagonal_iiT3_T4_lilT5_lili,"axG",@progbits,_ZL38rocblas_trsm_small_left_device_sharedBILi8ELi8ELb1EddPKPKdPKPdEv13rocblas_fill_18rocblas_operation_17rocblas_diagonal_iiT3_T4_lilT5_lili,comdat
.Lfunc_end74:
	.size	_ZL38rocblas_trsm_small_left_device_sharedBILi8ELi8ELb1EddPKPKdPKPdEv13rocblas_fill_18rocblas_operation_17rocblas_diagonal_iiT3_T4_lilT5_lili, .Lfunc_end74-_ZL38rocblas_trsm_small_left_device_sharedBILi8ELi8ELb1EddPKPKdPKPdEv13rocblas_fill_18rocblas_operation_17rocblas_diagonal_iiT3_T4_lilT5_lili
                                        ; -- End function
	.section	.AMDGPU.csdata,"",@progbits
; Kernel info:
; codeLenInByte = 5412
; NumSgprs: 34
; NumVgprs: 49
; ScratchSize: 0
; MemoryBound: 0
; FloatMode: 240
; IeeeMode: 1
; LDSByteSize: 1024 bytes/workgroup (compile time only)
; SGPRBlocks: 4
; VGPRBlocks: 6
; NumSGPRsForWavesPerEU: 34
; NumVGPRsForWavesPerEU: 49
; Occupancy: 16
; WaveLimiterHint : 1
; COMPUTE_PGM_RSRC2:SCRATCH_EN: 0
; COMPUTE_PGM_RSRC2:USER_SGPR: 14
; COMPUTE_PGM_RSRC2:TRAP_HANDLER: 0
; COMPUTE_PGM_RSRC2:TGID_X_EN: 1
; COMPUTE_PGM_RSRC2:TGID_Y_EN: 0
; COMPUTE_PGM_RSRC2:TGID_Z_EN: 1
; COMPUTE_PGM_RSRC2:TIDIG_COMP_CNT: 0
	.section	.text._ZL30rocblas_trsm_small_left_deviceILi8ELi8ELb1EddPKPKdPKPdEv13rocblas_fill_18rocblas_operation_17rocblas_diagonal_iiT3_T4_lilT5_lili,"axG",@progbits,_ZL30rocblas_trsm_small_left_deviceILi8ELi8ELb1EddPKPKdPKPdEv13rocblas_fill_18rocblas_operation_17rocblas_diagonal_iiT3_T4_lilT5_lili,comdat
	.globl	_ZL30rocblas_trsm_small_left_deviceILi8ELi8ELb1EddPKPKdPKPdEv13rocblas_fill_18rocblas_operation_17rocblas_diagonal_iiT3_T4_lilT5_lili ; -- Begin function _ZL30rocblas_trsm_small_left_deviceILi8ELi8ELb1EddPKPKdPKPdEv13rocblas_fill_18rocblas_operation_17rocblas_diagonal_iiT3_T4_lilT5_lili
	.p2align	8
	.type	_ZL30rocblas_trsm_small_left_deviceILi8ELi8ELb1EddPKPKdPKPdEv13rocblas_fill_18rocblas_operation_17rocblas_diagonal_iiT3_T4_lilT5_lili,@function
_ZL30rocblas_trsm_small_left_deviceILi8ELi8ELb1EddPKPKdPKPdEv13rocblas_fill_18rocblas_operation_17rocblas_diagonal_iiT3_T4_lilT5_lili: ; @_ZL30rocblas_trsm_small_left_deviceILi8ELi8ELb1EddPKPKdPKPdEv13rocblas_fill_18rocblas_operation_17rocblas_diagonal_iiT3_T4_lilT5_lili
; %bb.0:
	s_load_b128 s[16:19], s[0:1], 0x40
	s_mov_b32 s2, s15
	s_mov_b32 s3, 0
	s_clause 0x1
	s_load_b128 s[8:11], s[0:1], 0x4
	s_load_b64 s[20:21], s[0:1], 0x28
	s_lshl_b64 s[24:25], s[2:3], 3
	s_mov_b32 s15, exec_lo
	s_waitcnt lgkmcnt(0)
	s_add_u32 s12, s16, s24
	s_addc_u32 s13, s17, s25
	s_load_b128 s[4:7], s[0:1], 0x18
	s_load_b64 s[12:13], s[12:13], 0x0
	s_min_i32 s2, s10, 8
	s_delay_alu instid0(SALU_CYCLE_1)
	s_add_i32 s16, s2, -1
	v_cmpx_gt_i32_e64 s2, v0
	s_cbranch_execz .LBB75_10
; %bb.1:
	s_load_b32 s22, s[0:1], 0x30
	v_lshlrev_b32_e32 v3, 3, v0
	s_waitcnt lgkmcnt(0)
	s_ashr_i32 s23, s22, 31
	s_add_u32 s6, s6, s24
	s_addc_u32 s7, s7, s25
	s_cmp_lt_u32 s16, 3
	s_load_b64 s[6:7], s[6:7], 0x0
	s_cbranch_scc1 .LBB75_4
; %bb.2:
	s_lshl_b64 s[24:25], s[20:21], 3
	v_mov_b32_e32 v4, v3
	s_waitcnt lgkmcnt(0)
	s_add_u32 s3, s6, s24
	s_addc_u32 s17, s7, s25
	v_add_co_u32 v1, s3, s3, v3
	s_delay_alu instid0(VALU_DEP_1)
	v_add_co_ci_u32_e64 v2, null, s17, 0, s3
	s_and_b32 s3, s2, -4
	s_mul_hi_i32 s17, s22, 24
	s_mul_i32 s30, s22, 24
	s_lshl_b64 s[24:25], s[22:23], 5
	s_lshl_b64 s[26:27], s[22:23], 4
	;; [unrolled: 1-line block ×3, first 2 shown]
	s_mov_b32 s31, 0
	.p2align	6
.LBB75_3:                               ; =>This Inner Loop Header: Depth=1
	v_add_co_u32 v5, vcc_lo, v1, s28
	v_add_co_ci_u32_e32 v6, vcc_lo, s29, v2, vcc_lo
	v_add_co_u32 v7, vcc_lo, v1, s26
	v_add_co_ci_u32_e32 v8, vcc_lo, s27, v2, vcc_lo
	;; [unrolled: 2-line block ×3, first 2 shown]
	s_clause 0x3
	global_load_b64 v[11:12], v[1:2], off
	global_load_b64 v[5:6], v[5:6], off
	;; [unrolled: 1-line block ×4, first 2 shown]
	v_add_co_u32 v1, vcc_lo, v1, s24
	v_add_co_ci_u32_e32 v2, vcc_lo, s25, v2, vcc_lo
	s_add_i32 s31, s31, 4
	s_waitcnt vmcnt(2)
	ds_store_2addr_b64 v4, v[11:12], v[5:6] offset1:8
	s_waitcnt vmcnt(0)
	ds_store_2addr_b64 v4, v[7:8], v[9:10] offset0:16 offset1:24
	v_add_nc_u32_e32 v4, 0x100, v4
	s_cmp_eq_u32 s3, s31
	s_cbranch_scc0 .LBB75_3
.LBB75_4:
	s_and_b32 s17, s2, 3
	s_delay_alu instid0(SALU_CYCLE_1)
	s_cmp_eq_u32 s17, 0
	s_cbranch_scc1 .LBB75_7
; %bb.5:
	s_mul_i32 s25, s23, s3
	s_mul_hi_u32 s26, s22, s3
	s_mul_i32 s24, s22, s3
	s_add_i32 s25, s26, s25
	s_lshl_b64 s[20:21], s[20:21], 3
	s_lshl_b64 s[24:25], s[24:25], 3
	v_lshl_or_b32 v4, s3, 6, v3
	s_add_u32 s3, s24, s20
	s_addc_u32 s20, s25, s21
	s_waitcnt lgkmcnt(0)
	s_add_u32 s3, s6, s3
	s_addc_u32 s6, s7, s20
	v_add_co_u32 v1, s3, s3, v3
	s_delay_alu instid0(VALU_DEP_1)
	v_add_co_ci_u32_e64 v2, null, s6, 0, s3
	s_lshl_b64 s[6:7], s[22:23], 3
.LBB75_6:                               ; =>This Inner Loop Header: Depth=1
	global_load_b64 v[5:6], v[1:2], off
	v_add_co_u32 v1, vcc_lo, v1, s6
	v_add_co_ci_u32_e32 v2, vcc_lo, s7, v2, vcc_lo
	s_add_i32 s17, s17, -1
	s_delay_alu instid0(SALU_CYCLE_1)
	s_cmp_lg_u32 s17, 0
	s_waitcnt vmcnt(0)
	ds_store_b64 v4, v[5:6]
	v_add_nc_u32_e32 v4, 64, v4
	s_cbranch_scc1 .LBB75_6
.LBB75_7:
	v_mul_u32_u24_e32 v3, 9, v0
	v_mov_b32_e32 v1, 0
	v_mov_b32_e32 v2, 0x3ff00000
	s_cmpk_lg_i32 s9, 0x84
	s_delay_alu instid0(VALU_DEP_3)
	v_lshlrev_b32_e32 v3, 3, v3
	s_cbranch_scc0 .LBB75_9
; %bb.8:
	ds_load_b64 v[1:2], v3
	s_waitcnt lgkmcnt(0)
	v_div_scale_f64 v[4:5], null, v[1:2], v[1:2], 1.0
	s_delay_alu instid0(VALU_DEP_1) | instskip(SKIP_2) | instid1(VALU_DEP_1)
	v_rcp_f64_e32 v[6:7], v[4:5]
	s_waitcnt_depctr 0xfff
	v_fma_f64 v[8:9], -v[4:5], v[6:7], 1.0
	v_fma_f64 v[6:7], v[6:7], v[8:9], v[6:7]
	s_delay_alu instid0(VALU_DEP_1) | instskip(NEXT) | instid1(VALU_DEP_1)
	v_fma_f64 v[8:9], -v[4:5], v[6:7], 1.0
	v_fma_f64 v[6:7], v[6:7], v[8:9], v[6:7]
	v_div_scale_f64 v[8:9], vcc_lo, 1.0, v[1:2], 1.0
	s_delay_alu instid0(VALU_DEP_1) | instskip(NEXT) | instid1(VALU_DEP_1)
	v_mul_f64 v[10:11], v[8:9], v[6:7]
	v_fma_f64 v[4:5], -v[4:5], v[10:11], v[8:9]
	s_delay_alu instid0(VALU_DEP_1) | instskip(NEXT) | instid1(VALU_DEP_1)
	v_div_fmas_f64 v[4:5], v[4:5], v[6:7], v[10:11]
	v_div_fixup_f64 v[1:2], v[4:5], v[1:2], 1.0
.LBB75_9:
	ds_store_b64 v3, v[1:2]
.LBB75_10:
	s_or_b32 exec_lo, exec_lo, s15
	s_load_b32 s3, s[0:1], 0x68
	s_waitcnt lgkmcnt(0)
	s_lshl_b32 s6, s14, 3
	s_delay_alu instid0(SALU_CYCLE_1) | instskip(SKIP_2) | instid1(SALU_CYCLE_1)
	s_sub_i32 s7, s11, s6
	; wave barrier
	buffer_gl0_inv
	s_add_i32 s3, s3, -1
	s_cmp_ge_u32 s14, s3
	s_cselect_b32 s3, s7, 8
	s_delay_alu instid0(SALU_CYCLE_1)
	v_cmp_gt_i32_e32 vcc_lo, s3, v0
	s_mov_b32 s3, -1
	s_and_saveexec_b32 s7, vcc_lo
	s_cbranch_execz .LBB75_58
; %bb.11:
	s_load_b32 s0, s[0:1], 0x50
	v_add_nc_u32_e32 v2, s6, v0
	s_waitcnt lgkmcnt(0)
	s_delay_alu instid0(VALU_DEP_1) | instskip(SKIP_1) | instid1(SALU_CYCLE_1)
	v_mad_i64_i32 v[0:1], null, s0, v2, 0
	s_lshl_b64 s[0:1], s[18:19], 3
	s_add_u32 s6, s12, s0
	s_addc_u32 s7, s13, s1
	s_cmpk_eq_i32 s8, 0x6f
	s_delay_alu instid0(VALU_DEP_1) | instskip(NEXT) | instid1(VALU_DEP_1)
	v_lshlrev_b64 v[2:3], 3, v[0:1]
	v_add_co_u32 v0, vcc_lo, s6, v2
	s_delay_alu instid0(VALU_DEP_2)
	v_add_co_ci_u32_e32 v1, vcc_lo, s7, v3, vcc_lo
	s_cbranch_scc1 .LBB75_36
; %bb.12:
	s_cmp_gt_i32 s10, 7
	s_cbranch_scc0 .LBB75_14
; %bb.13:
	s_ashr_i32 s17, s16, 31
	s_mov_b32 s3, 0
	s_lshl_b64 s[6:7], s[16:17], 3
	s_delay_alu instid0(SALU_CYCLE_1)
	v_add_co_u32 v36, vcc_lo, v0, s6
	v_add_co_ci_u32_e32 v37, vcc_lo, s7, v1, vcc_lo
	s_lshl_b64 s[6:7], s[2:3], 3
	s_mul_i32 s3, s16, 0x48
	v_add_co_u32 v12, vcc_lo, v0, s6
	global_load_b64 v[16:17], v[36:37], off
	v_add_co_ci_u32_e32 v13, vcc_lo, s7, v1, vcc_lo
	s_clause 0x3
	global_load_b64 v[22:23], v[12:13], off offset:-16
	global_load_b128 v[4:7], v[12:13], off offset:-32
	global_load_b128 v[8:11], v[12:13], off offset:-48
	;; [unrolled: 1-line block ×3, first 2 shown]
	s_add_i32 s6, s3, 0xffffffb8
	s_add_i32 s8, s3, 0xfffffee0
	s_waitcnt vmcnt(4)
	v_mul_f64 v[20:21], v[16:17], s[4:5]
	v_mov_b32_e32 v16, s3
	ds_load_b64 v[24:25], v16
	v_mov_b32_e32 v16, s6
	s_lshl_b32 s6, s2, 3
	s_delay_alu instid0(SALU_CYCLE_1) | instskip(SKIP_2) | instid1(SALU_CYCLE_1)
	s_add_i32 s6, s6, s16
	ds_load_2addr_b64 v[16:19], v16 offset1:1
	s_lshl_b32 s6, s6, 3
	s_add_i32 s7, s6, 0xffffff40
	s_waitcnt lgkmcnt(1)
	v_mul_f64 v[38:39], v[20:21], v[24:25]
	s_waitcnt lgkmcnt(0)
	s_delay_alu instid0(VALU_DEP_1)
	v_mul_f64 v[24:25], v[38:39], v[18:19]
	v_mov_b32_e32 v18, s7
	s_add_i32 s7, s3, 0xffffff70
	ds_load_b64 v[26:27], v18
	v_mov_b32_e32 v18, s7
	s_add_i32 s7, s6, 0xfffffef8
	ds_load_2addr_b64 v[18:21], v18 offset1:1
	s_waitcnt lgkmcnt(1)
	v_mul_f64 v[30:31], v[38:39], v[26:27]
	s_waitcnt vmcnt(3)
	v_fma_f64 v[32:33], v[22:23], s[4:5], -v[24:25]
	v_mov_b32_e32 v22, s7
	s_add_i32 s7, s3, 0xffffff28
	s_delay_alu instid0(SALU_CYCLE_1)
	v_mov_b32_e32 v26, s7
	s_add_i32 s7, s6, 0xfffffec0
	ds_load_2addr_b64 v[22:25], v22 offset1:1
	ds_load_2addr_b64 v[26:29], v26 offset1:1
	s_waitcnt lgkmcnt(1)
	v_mul_f64 v[24:25], v[38:39], v[24:25]
	s_waitcnt vmcnt(2)
	v_fma_f64 v[6:7], v[6:7], s[4:5], -v[30:31]
	v_mul_f64 v[40:41], v[32:33], v[16:17]
	v_mov_b32_e32 v16, s7
	s_add_i32 s7, s6, 0xfffffeb0
	s_delay_alu instid0(SALU_CYCLE_1)
	v_mov_b32_e32 v30, s7
	s_add_i32 s7, s6, 0xfffffe78
	ds_load_b64 v[16:17], v16
	ds_load_2addr_b64 v[30:33], v30 offset1:1
	v_fma_f64 v[24:25], v[4:5], s[4:5], -v[24:25]
	v_mov_b32_e32 v4, s7
	s_add_i32 s7, s6, 0xfffffe38
	v_fma_f64 v[20:21], -v[40:41], v[20:21], v[6:7]
	ds_load_2addr_b64 v[4:7], v4 offset1:1
	s_waitcnt lgkmcnt(2)
	v_mul_f64 v[16:17], v[38:39], v[16:17]
	s_waitcnt lgkmcnt(0)
	v_mul_f64 v[34:35], v[38:39], v[6:7]
	v_fma_f64 v[24:25], -v[40:41], v[22:23], v[24:25]
	v_mul_f64 v[6:7], v[20:21], v[18:19]
	s_waitcnt vmcnt(1)
	s_delay_alu instid0(VALU_DEP_4) | instskip(SKIP_2) | instid1(SALU_CYCLE_1)
	v_fma_f64 v[10:11], v[10:11], s[4:5], -v[16:17]
	v_mov_b32_e32 v16, s7
	s_add_i32 s7, s6, 0xfffffe28
	v_mov_b32_e32 v20, s7
	s_add_i32 s7, s6, 0xfffffe00
	ds_load_2addr_b64 v[16:19], v16 offset1:1
	ds_load_2addr_b64 v[20:23], v20 offset1:1
	v_fma_f64 v[34:35], v[8:9], s[4:5], -v[34:35]
	v_mov_b32_e32 v8, s7
	s_add_i32 s7, s6, 0xfffffdf0
	v_fma_f64 v[24:25], -v[6:7], v[28:29], v[24:25]
	ds_load_b64 v[28:29], v8
	s_waitcnt lgkmcnt(2)
	v_mul_f64 v[18:19], v[38:39], v[18:19]
	v_fma_f64 v[32:33], -v[40:41], v[32:33], v[10:11]
	v_mov_b32_e32 v8, s7
	s_add_i32 s7, s6, 0xfffffe68
	ds_load_2addr_b64 v[8:11], v8 offset1:1
	s_waitcnt lgkmcnt(1)
	v_mul_f64 v[44:45], v[38:39], v[28:29]
	v_mov_b32_e32 v28, s8
	s_add_i32 s8, s6, 0xfffffde0
	s_waitcnt vmcnt(0)
	v_fma_f64 v[14:15], v[14:15], s[4:5], -v[18:19]
	v_fma_f64 v[18:19], -v[40:41], v[4:5], v[34:35]
	v_fma_f64 v[42:43], -v[6:7], v[30:31], v[32:33]
	v_mul_f64 v[4:5], v[24:25], v[26:27]
	v_mov_b32_e32 v24, s7
	ds_load_2addr_b64 v[24:27], v24 offset1:1
	ds_load_2addr_b64 v[28:31], v28 offset1:1
	s_add_i32 s7, s3, 0xfffffe98
	s_delay_alu instid0(SALU_CYCLE_1)
	v_mov_b32_e32 v32, s7
	s_add_i32 s7, s6, 0xfffffe18
	s_addk_i32 s6, 0xfdd0
	ds_load_2addr_b64 v[32:35], v32 offset1:1
	v_fma_f64 v[14:15], -v[40:41], v[16:17], v[14:15]
	s_waitcnt lgkmcnt(2)
	v_fma_f64 v[16:17], -v[6:7], v[26:27], v[18:19]
	v_fma_f64 v[26:27], v[12:13], s[4:5], -v[44:45]
	s_waitcnt lgkmcnt(1)
	v_fma_f64 v[18:19], -v[4:5], v[30:31], v[42:43]
	s_delay_alu instid0(VALU_DEP_4) | instskip(NEXT) | instid1(VALU_DEP_4)
	v_fma_f64 v[14:15], -v[6:7], v[22:23], v[14:15]
	v_fma_f64 v[16:17], -v[4:5], v[24:25], v[16:17]
	s_delay_alu instid0(VALU_DEP_4) | instskip(NEXT) | instid1(VALU_DEP_4)
	v_fma_f64 v[10:11], -v[40:41], v[10:11], v[26:27]
	v_mul_f64 v[12:13], v[18:19], v[28:29]
	v_mov_b32_e32 v18, s6
	s_add_i32 s6, s3, 0xfffffe50
	s_addk_i32 s3, 0xfe08
	v_fma_f64 v[22:23], -v[4:5], v[20:21], v[14:15]
	v_mov_b32_e32 v14, s8
	v_fma_f64 v[26:27], -v[6:7], v[8:9], v[10:11]
	s_waitcnt lgkmcnt(0)
	v_fma_f64 v[24:25], -v[12:13], v[34:35], v[16:17]
	v_mov_b32_e32 v8, s7
	ds_load_2addr_b64 v[8:11], v8 offset1:1
	ds_load_2addr_b64 v[14:17], v14 offset1:1
	;; [unrolled: 1-line block ×3, first 2 shown]
	s_waitcnt lgkmcnt(2)
	v_fma_f64 v[22:23], -v[12:13], v[10:11], v[22:23]
	s_waitcnt lgkmcnt(1)
	v_fma_f64 v[16:17], -v[4:5], v[16:17], v[26:27]
	v_mul_f64 v[10:11], v[24:25], v[32:33]
	s_delay_alu instid0(VALU_DEP_2) | instskip(NEXT) | instid1(VALU_DEP_2)
	v_fma_f64 v[14:15], -v[12:13], v[14:15], v[16:17]
	v_fma_f64 v[8:9], -v[10:11], v[8:9], v[22:23]
	v_mov_b32_e32 v16, s6
	ds_load_b64 v[16:17], v16
	s_waitcnt lgkmcnt(0)
	v_mul_f64 v[16:17], v[8:9], v[16:17]
	v_fma_f64 v[8:9], -v[10:11], v[20:21], v[14:15]
	v_mov_b32_e32 v14, s3
	s_ashr_i32 s3, s2, 31
	s_delay_alu instid0(SALU_CYCLE_1) | instskip(SKIP_3) | instid1(VALU_DEP_1)
	s_lshl_b64 s[6:7], s[2:3], 3
	ds_load_b64 v[14:15], v14
	v_fma_f64 v[8:9], -v[16:17], v[18:19], v[8:9]
	s_waitcnt lgkmcnt(0)
	v_mul_f64 v[14:15], v[8:9], v[14:15]
	v_add_co_u32 v8, vcc_lo, v0, s6
	v_add_co_ci_u32_e32 v9, vcc_lo, s7, v1, vcc_lo
	s_add_i32 s6, s2, -9
	s_clause 0x4
	global_store_b64 v[36:37], v[38:39], off
	global_store_b64 v[8:9], v[40:41], off offset:-16
	global_store_b128 v[8:9], v[4:7], off offset:-32
	global_store_b128 v[8:9], v[10:13], off offset:-48
	;; [unrolled: 1-line block ×3, first 2 shown]
	s_cmp_gt_i32 s6, -1
	s_cbranch_scc1 .LBB75_15
	s_branch .LBB75_35
.LBB75_14:
	s_mov_b32 s6, s16
	s_delay_alu instid0(SALU_CYCLE_1)
	s_cmp_gt_i32 s6, -1
	s_cbranch_scc0 .LBB75_35
.LBB75_15:
	s_cmp_lt_u32 s6, 3
	s_cbranch_scc1 .LBB75_21
; %bb.16:
	s_lshl_b32 s3, s6, 6
	s_lshl_b32 s7, s2, 3
	s_ashr_i32 s17, s16, 31
	s_add_i32 s3, s3, s7
	s_lshl_b64 s[8:9], s[16:17], 3
	s_addk_i32 s3, 0xff38
	s_add_u32 s7, s12, s8
	s_addc_u32 s8, s13, s9
	s_add_u32 s7, s7, s0
	s_addc_u32 s8, s8, s1
	v_add_co_u32 v4, vcc_lo, s7, v2
	v_add_co_ci_u32_e32 v5, vcc_lo, s8, v3, vcc_lo
	s_mov_b32 s7, 0
.LBB75_17:                              ; =>This Loop Header: Depth=1
                                        ;     Child Loop BB75_18 Depth 2
	s_delay_alu instid0(SALU_CYCLE_1)
	s_lshl_b64 s[8:9], s[6:7], 3
	s_cmp_le_i32 s16, s6
	v_add_co_u32 v10, vcc_lo, v0, s8
	v_add_co_ci_u32_e32 v11, vcc_lo, s9, v1, vcc_lo
	s_mov_b32 s8, s3
	s_mov_b32 s9, s16
	s_clause 0x1
	global_load_b128 v[6:9], v[10:11], off offset:-8
	global_load_b128 v[14:17], v[10:11], off offset:-24
	s_waitcnt vmcnt(1)
	v_mul_f64 v[12:13], v[8:9], s[4:5]
	v_mul_f64 v[10:11], v[6:7], s[4:5]
	s_waitcnt vmcnt(0)
	v_mul_f64 v[8:9], v[16:17], s[4:5]
	v_mul_f64 v[6:7], v[14:15], s[4:5]
	v_dual_mov_b32 v15, v5 :: v_dual_mov_b32 v14, v4
	s_cbranch_scc1 .LBB75_19
	.p2align	6
.LBB75_18:                              ;   Parent Loop BB75_17 Depth=1
                                        ; =>  This Inner Loop Header: Depth=2
	global_load_b64 v[24:25], v[14:15], off
	v_mov_b32_e32 v20, s8
	v_add_co_u32 v14, vcc_lo, v14, -8
	v_add_co_ci_u32_e32 v15, vcc_lo, -1, v15, vcc_lo
	ds_load_2addr_b64 v[16:19], v20 offset0:16 offset1:24
	ds_load_2addr_b64 v[20:23], v20 offset1:8
	s_add_i32 s9, s9, -1
	s_add_i32 s8, s8, -8
	s_cmp_gt_i32 s9, s6
	s_waitcnt vmcnt(0) lgkmcnt(1)
	v_fma_f64 v[12:13], -v[24:25], v[18:19], v[12:13]
	v_fma_f64 v[10:11], -v[24:25], v[16:17], v[10:11]
	s_waitcnt lgkmcnt(0)
	v_fma_f64 v[8:9], -v[24:25], v[22:23], v[8:9]
	v_fma_f64 v[6:7], -v[24:25], v[20:21], v[6:7]
	s_cbranch_scc1 .LBB75_18
.LBB75_19:                              ;   in Loop: Header=BB75_17 Depth=1
	s_mul_i32 s8, s6, 0x48
	s_addk_i32 s3, 0xff00
	v_mov_b32_e32 v14, s8
	s_add_i32 s9, s8, 0xffffffb8
	ds_load_b64 v[18:19], v14
	v_mov_b32_e32 v14, s9
	s_lshl_b32 s9, s6, 3
	s_delay_alu instid0(SALU_CYCLE_1) | instskip(SKIP_2) | instid1(SALU_CYCLE_1)
	s_add_i32 s9, s9, s6
	ds_load_2addr_b64 v[14:17], v14 offset1:1
	s_lshl_b32 s9, s9, 3
	s_add_i32 s11, s9, 0xffffff80
	s_addk_i32 s9, 0xff38
	s_waitcnt lgkmcnt(1)
	v_mul_f64 v[12:13], v[12:13], v[18:19]
	s_waitcnt lgkmcnt(0)
	s_delay_alu instid0(VALU_DEP_1)
	v_fma_f64 v[10:11], -v[12:13], v[16:17], v[10:11]
	v_mov_b32_e32 v16, s11
	s_add_i32 s11, s8, 0xffffff70
	s_addk_i32 s8, 0xff28
	ds_load_b64 v[20:21], v16
	v_mov_b32_e32 v16, s11
	ds_load_2addr_b64 v[16:19], v16 offset1:1
	s_waitcnt lgkmcnt(1)
	v_fma_f64 v[8:9], -v[12:13], v[20:21], v[8:9]
	v_mul_f64 v[10:11], v[10:11], v[14:15]
	v_mov_b32_e32 v14, s9
	s_ashr_i32 s9, s6, 31
	ds_load_2addr_b64 v[20:23], v14 offset1:1
	v_mov_b32_e32 v14, s8
	s_mov_b32 s8, s6
	s_delay_alu instid0(SALU_CYCLE_1)
	s_lshl_b64 s[8:9], s[8:9], 3
	ds_load_2addr_b64 v[24:27], v14 offset1:1
	v_add_co_u32 v14, vcc_lo, v0, s8
	v_add_co_ci_u32_e32 v15, vcc_lo, s9, v1, vcc_lo
	s_add_i32 s8, s6, -4
	s_cmp_gt_i32 s6, 6
	s_waitcnt lgkmcnt(1)
	v_fma_f64 v[6:7], -v[12:13], v[22:23], v[6:7]
	v_fma_f64 v[8:9], -v[10:11], v[18:19], v[8:9]
	s_delay_alu instid0(VALU_DEP_2) | instskip(NEXT) | instid1(VALU_DEP_2)
	v_fma_f64 v[6:7], -v[10:11], v[20:21], v[6:7]
	v_mul_f64 v[8:9], v[8:9], v[16:17]
	s_waitcnt lgkmcnt(0)
	s_delay_alu instid0(VALU_DEP_1) | instskip(NEXT) | instid1(VALU_DEP_1)
	v_fma_f64 v[6:7], -v[8:9], v[26:27], v[6:7]
	v_mul_f64 v[6:7], v[6:7], v[24:25]
	s_clause 0x1
	global_store_b128 v[14:15], v[10:13], off offset:-8
	global_store_b128 v[14:15], v[6:9], off offset:-24
	s_cbranch_scc0 .LBB75_22
; %bb.20:                               ;   in Loop: Header=BB75_17 Depth=1
	s_mov_b32 s6, s8
	s_branch .LBB75_17
.LBB75_21:
	s_mov_b32 s8, s6
.LBB75_22:
	s_delay_alu instid0(SALU_CYCLE_1)
	s_cmp_lt_i32 s8, 0
	s_cbranch_scc1 .LBB75_35
; %bb.23:
	s_bitcmp1_b32 s8, 0
	s_mov_b32 s6, s8
	s_cselect_b32 s3, -1, 0
	s_delay_alu instid0(SALU_CYCLE_1)
	s_and_b32 vcc_lo, exec_lo, s3
	s_cbranch_vccnz .LBB75_28
; %bb.24:
	s_mov_b32 s9, 0
	s_delay_alu instid0(SALU_CYCLE_1)
	s_lshl_b64 s[6:7], s[8:9], 3
	s_cmp_le_i32 s16, s8
	v_add_co_u32 v4, vcc_lo, v0, s6
	v_add_co_ci_u32_e32 v5, vcc_lo, s7, v1, vcc_lo
	global_load_b64 v[6:7], v[4:5], off
	s_waitcnt vmcnt(0)
	v_mul_f64 v[6:7], v[6:7], s[4:5]
	s_cbranch_scc1 .LBB75_27
; %bb.25:
	s_lshl_b32 s3, s8, 6
	s_lshl_b32 s6, s2, 3
	s_ashr_i32 s17, s16, 31
	s_add_i32 s3, s3, s6
	s_lshl_b64 s[6:7], s[16:17], 3
	s_add_i32 s3, s3, -8
	s_add_u32 s6, s12, s6
	s_addc_u32 s7, s13, s7
	s_add_u32 s6, s6, s0
	s_addc_u32 s7, s7, s1
	v_add_co_u32 v8, vcc_lo, s6, v2
	v_add_co_ci_u32_e32 v9, vcc_lo, s7, v3, vcc_lo
	s_mov_b32 s6, s16
.LBB75_26:                              ; =>This Inner Loop Header: Depth=1
	global_load_b64 v[10:11], v[8:9], off
	v_mov_b32_e32 v12, s3
	v_add_co_u32 v8, vcc_lo, v8, -8
	v_add_co_ci_u32_e32 v9, vcc_lo, -1, v9, vcc_lo
	ds_load_b64 v[12:13], v12
	s_add_i32 s6, s6, -1
	s_add_i32 s3, s3, -8
	s_cmp_gt_i32 s6, s8
	s_waitcnt vmcnt(0) lgkmcnt(0)
	v_fma_f64 v[6:7], -v[10:11], v[12:13], v[6:7]
	s_cbranch_scc1 .LBB75_26
.LBB75_27:
	s_mul_i32 s3, s8, 0x48
	s_add_i32 s6, s8, -1
	v_mov_b32_e32 v8, s3
	ds_load_b64 v[8:9], v8
	s_waitcnt lgkmcnt(0)
	v_mul_f64 v[6:7], v[6:7], v[8:9]
	global_store_b64 v[4:5], v[6:7], off
.LBB75_28:
	s_cmp_eq_u32 s8, 0
	s_mov_b32 s7, 0
	s_cbranch_scc1 .LBB75_35
; %bb.29:
	s_lshl_b32 s3, s6, 6
	s_lshl_b32 s8, s2, 3
	s_ashr_i32 s17, s16, 31
	s_add_i32 s11, s3, s8
	s_lshl_b64 s[8:9], s[16:17], 3
	s_add_i32 s3, s11, -8
	s_add_u32 s8, s12, s8
	s_addc_u32 s9, s13, s9
	s_add_u32 s8, s8, s0
	s_addc_u32 s9, s9, s1
	v_add_co_u32 v4, vcc_lo, s8, v2
	v_add_co_ci_u32_e32 v5, vcc_lo, s9, v3, vcc_lo
	s_add_i32 s8, s11, 0xffffffb8
	s_branch .LBB75_31
.LBB75_30:                              ;   in Loop: Header=BB75_31 Depth=1
	s_addk_i32 s9, 0xffb8
	s_addk_i32 s3, 0xff80
	v_mov_b32_e32 v10, s9
	s_add_i32 s9, s6, -2
	s_addk_i32 s8, 0xff80
	s_cmp_lt_i32 s6, 2
	s_mov_b32 s6, s9
	ds_load_b64 v[10:11], v10
	s_waitcnt lgkmcnt(0)
	v_mul_f64 v[8:9], v[8:9], v[10:11]
	global_store_b64 v[6:7], v[8:9], off offset:-8
	s_cbranch_scc1 .LBB75_35
.LBB75_31:                              ; =>This Loop Header: Depth=1
                                        ;     Child Loop BB75_32 Depth 2
                                        ;     Child Loop BB75_34 Depth 2
	s_lshl_b64 s[14:15], s[6:7], 3
	s_delay_alu instid0(VALU_DEP_1)
	v_dual_mov_b32 v9, v5 :: v_dual_mov_b32 v8, v4
	v_add_co_u32 v6, vcc_lo, v0, s14
	v_add_co_ci_u32_e32 v7, vcc_lo, s15, v1, vcc_lo
	s_cmp_le_i32 s16, s6
	s_mov_b32 s9, s3
	s_mov_b32 s11, s16
	global_load_b64 v[6:7], v[6:7], off
	s_waitcnt vmcnt(0)
	v_mul_f64 v[6:7], v[6:7], s[4:5]
	s_cbranch_scc1 .LBB75_33
.LBB75_32:                              ;   Parent Loop BB75_31 Depth=1
                                        ; =>  This Inner Loop Header: Depth=2
	global_load_b64 v[10:11], v[8:9], off
	v_mov_b32_e32 v12, s9
	v_add_co_u32 v8, vcc_lo, v8, -8
	v_add_co_ci_u32_e32 v9, vcc_lo, -1, v9, vcc_lo
	ds_load_b64 v[12:13], v12
	s_add_i32 s11, s11, -1
	s_add_i32 s9, s9, -8
	s_cmp_gt_i32 s11, s6
	s_waitcnt vmcnt(0) lgkmcnt(0)
	v_fma_f64 v[6:7], -v[10:11], v[12:13], v[6:7]
	s_cbranch_scc1 .LBB75_32
.LBB75_33:                              ;   in Loop: Header=BB75_31 Depth=1
	s_add_i32 s14, s6, -1
	s_mov_b32 s15, s7
	s_mul_i32 s9, s6, 0x48
	s_lshl_b64 s[14:15], s[14:15], 3
	v_mov_b32_e32 v10, s9
	v_add_co_u32 v8, vcc_lo, v0, s14
	v_add_co_ci_u32_e32 v9, vcc_lo, s15, v1, vcc_lo
	ds_load_b64 v[10:11], v10
	s_ashr_i32 s15, s6, 31
	s_mov_b32 s14, s6
	global_load_b64 v[8:9], v[8:9], off
	s_lshl_b64 s[14:15], s[14:15], 3
	s_cmp_lt_i32 s16, s6
	s_mov_b32 s11, s8
	s_waitcnt lgkmcnt(0)
	v_mul_f64 v[12:13], v[6:7], v[10:11]
	v_add_co_u32 v6, vcc_lo, v0, s14
	v_add_co_ci_u32_e32 v7, vcc_lo, s15, v1, vcc_lo
	v_dual_mov_b32 v11, v5 :: v_dual_mov_b32 v10, v4
	s_mov_b32 s14, s2
	global_store_b64 v[6:7], v[12:13], off
	s_waitcnt vmcnt(0)
	v_mul_f64 v[8:9], v[8:9], s[4:5]
	s_cbranch_scc1 .LBB75_30
.LBB75_34:                              ;   Parent Loop BB75_31 Depth=1
                                        ; =>  This Inner Loop Header: Depth=2
	global_load_b64 v[12:13], v[10:11], off
	v_mov_b32_e32 v14, s11
	v_add_co_u32 v10, vcc_lo, v10, -8
	v_add_co_ci_u32_e32 v11, vcc_lo, -1, v11, vcc_lo
	ds_load_b64 v[14:15], v14
	s_add_i32 s14, s14, -1
	s_add_i32 s11, s11, -8
	s_cmp_gt_i32 s14, s6
	s_waitcnt vmcnt(0) lgkmcnt(0)
	v_fma_f64 v[8:9], -v[12:13], v[14:15], v[8:9]
	s_cbranch_scc1 .LBB75_34
	s_branch .LBB75_30
.LBB75_35:
	s_mov_b32 s3, 0
.LBB75_36:
	s_delay_alu instid0(SALU_CYCLE_1)
	s_and_b32 vcc_lo, exec_lo, s3
	s_cbranch_vccz .LBB75_58
; %bb.37:
	s_cmp_gt_i32 s10, 7
	s_cbranch_scc0 .LBB75_39
; %bb.38:
	s_clause 0x3
	global_load_b128 v[4:7], v[0:1], off
	global_load_b128 v[8:11], v[0:1], off offset:16
	global_load_b128 v[12:15], v[0:1], off offset:32
	;; [unrolled: 1-line block ×3, first 2 shown]
	v_mov_b32_e32 v44, 0
	s_mov_b32 s6, 8
	ds_load_b128 v[20:23], v44
	ds_load_b128 v[24:27], v44 offset:16
	s_waitcnt vmcnt(3)
	v_mul_f64 v[4:5], v[4:5], s[4:5]
	s_waitcnt lgkmcnt(1)
	s_delay_alu instid0(VALU_DEP_1) | instskip(NEXT) | instid1(VALU_DEP_1)
	v_mul_f64 v[4:5], v[4:5], v[20:21]
	v_mul_f64 v[20:21], v[4:5], v[22:23]
	s_waitcnt lgkmcnt(0)
	v_mul_f64 v[24:25], v[4:5], v[24:25]
	v_mul_f64 v[36:37], v[4:5], v[26:27]
	s_delay_alu instid0(VALU_DEP_3)
	v_fma_f64 v[6:7], v[6:7], s[4:5], -v[20:21]
	ds_load_2addr_b64 v[20:23], v44 offset0:9 offset1:10
	ds_load_2addr_b64 v[28:31], v44 offset0:11 offset1:12
	s_waitcnt vmcnt(2)
	v_fma_f64 v[8:9], v[8:9], s[4:5], -v[24:25]
	ds_load_b128 v[24:27], v44 offset:32
	ds_load_b128 v[32:35], v44 offset:48
	v_fma_f64 v[36:37], v[10:11], s[4:5], -v[36:37]
	s_waitcnt lgkmcnt(1)
	v_mul_f64 v[24:25], v[4:5], v[24:25]
	v_mul_f64 v[26:27], v[4:5], v[26:27]
	s_waitcnt lgkmcnt(0)
	v_mul_f64 v[32:33], v[4:5], v[32:33]
	v_mul_f64 v[6:7], v[6:7], v[20:21]
	s_waitcnt vmcnt(1)
	s_delay_alu instid0(VALU_DEP_4) | instskip(NEXT) | instid1(VALU_DEP_4)
	v_fma_f64 v[12:13], v[12:13], s[4:5], -v[24:25]
	v_fma_f64 v[14:15], v[14:15], s[4:5], -v[26:27]
	s_waitcnt vmcnt(0)
	s_delay_alu instid0(VALU_DEP_4) | instskip(NEXT) | instid1(VALU_DEP_4)
	v_fma_f64 v[16:17], v[16:17], s[4:5], -v[32:33]
	v_fma_f64 v[38:39], -v[6:7], v[22:23], v[8:9]
	ds_load_b128 v[8:11], v44 offset:144
	ds_load_2addr_b64 v[20:23], v44 offset0:13 offset1:14
	v_fma_f64 v[24:25], -v[6:7], v[28:29], v[36:37]
	v_fma_f64 v[40:41], -v[6:7], v[30:31], v[12:13]
	s_waitcnt lgkmcnt(0)
	v_fma_f64 v[14:15], -v[6:7], v[20:21], v[14:15]
	v_fma_f64 v[32:33], -v[6:7], v[22:23], v[16:17]
	v_mul_f64 v[8:9], v[38:39], v[8:9]
	s_delay_alu instid0(VALU_DEP_1)
	v_fma_f64 v[42:43], -v[8:9], v[10:11], v[24:25]
	ds_load_b128 v[10:13], v44 offset:160
	ds_load_2addr_b64 v[24:27], v44 offset0:27 offset1:28
	ds_load_2addr_b64 v[28:31], v44 offset0:29 offset1:30
	ds_load_b128 v[36:39], v44 offset:176
	s_waitcnt lgkmcnt(3)
	v_fma_f64 v[20:21], -v[8:9], v[10:11], v[40:41]
	s_waitcnt lgkmcnt(0)
	v_fma_f64 v[32:33], -v[8:9], v[36:37], v[32:33]
	v_mul_f64 v[10:11], v[42:43], v[24:25]
	v_mul_f64 v[24:25], v[4:5], v[34:35]
	v_fma_f64 v[34:35], -v[8:9], v[12:13], v[14:15]
	s_delay_alu instid0(VALU_DEP_3) | instskip(NEXT) | instid1(VALU_DEP_3)
	v_fma_f64 v[26:27], -v[10:11], v[26:27], v[20:21]
	v_fma_f64 v[24:25], v[18:19], s[4:5], -v[24:25]
	ds_load_b128 v[12:15], v44 offset:288
	ds_load_2addr_b64 v[16:19], v44 offset0:15 offset1:31
	ds_load_b128 v[20:23], v44 offset:304
	v_fma_f64 v[28:29], -v[10:11], v[28:29], v[34:35]
	v_fma_f64 v[30:31], -v[10:11], v[30:31], v[32:33]
	s_waitcnt lgkmcnt(2)
	v_mul_f64 v[12:13], v[26:27], v[12:13]
	s_waitcnt lgkmcnt(1)
	v_fma_f64 v[16:17], -v[6:7], v[16:17], v[24:25]
	s_delay_alu instid0(VALU_DEP_2) | instskip(NEXT) | instid1(VALU_DEP_2)
	v_fma_f64 v[28:29], -v[12:13], v[14:15], v[28:29]
	v_fma_f64 v[32:33], -v[8:9], v[38:39], v[16:17]
	ds_load_2addr_b64 v[14:17], v44 offset0:45 offset1:46
	ds_load_b128 v[24:27], v44 offset:432
	s_waitcnt lgkmcnt(2)
	v_fma_f64 v[20:21], -v[12:13], v[20:21], v[30:31]
	s_waitcnt lgkmcnt(1)
	v_mul_f64 v[14:15], v[28:29], v[14:15]
	v_fma_f64 v[18:19], -v[10:11], v[18:19], v[32:33]
	s_delay_alu instid0(VALU_DEP_2) | instskip(NEXT) | instid1(VALU_DEP_2)
	v_fma_f64 v[20:21], -v[14:15], v[16:17], v[20:21]
	v_fma_f64 v[22:23], -v[12:13], v[22:23], v[18:19]
	ds_load_2addr_b64 v[16:19], v44 offset0:47 offset1:63
	s_clause 0x1
	global_store_b128 v[0:1], v[4:7], off
	global_store_b128 v[0:1], v[8:11], off offset:16
	s_waitcnt lgkmcnt(1)
	v_mul_f64 v[20:21], v[20:21], v[24:25]
	s_waitcnt lgkmcnt(0)
	v_fma_f64 v[16:17], -v[14:15], v[16:17], v[22:23]
	s_delay_alu instid0(VALU_DEP_1) | instskip(NEXT) | instid1(VALU_DEP_1)
	v_fma_f64 v[16:17], -v[20:21], v[26:27], v[16:17]
	v_mul_f64 v[22:23], v[16:17], v[18:19]
	s_clause 0x1
	global_store_b128 v[0:1], v[12:15], off offset:32
	global_store_b128 v[0:1], v[20:23], off offset:48
	s_cmp_lt_i32 s6, s2
	s_cbranch_scc1 .LBB75_40
	s_branch .LBB75_58
.LBB75_39:
	s_mov_b32 s6, 0
	s_delay_alu instid0(SALU_CYCLE_1)
	s_cmp_lt_i32 s6, s2
	s_cbranch_scc0 .LBB75_58
.LBB75_40:
	s_or_b32 s3, s6, 3
	s_delay_alu instid0(SALU_CYCLE_1)
	s_cmp_ge_u32 s3, s2
	s_cbranch_scc1 .LBB75_46
; %bb.41:
	s_lshl_b32 s3, s6, 3
	s_add_u32 s7, s12, s0
	s_addc_u32 s8, s13, s1
	v_add_co_u32 v4, vcc_lo, s7, v2
	v_add_co_ci_u32_e32 v5, vcc_lo, s8, v3, vcc_lo
	s_mov_b32 s7, 0
	s_delay_alu instid0(VALU_DEP_2) | instskip(NEXT) | instid1(VALU_DEP_2)
	v_add_co_u32 v4, vcc_lo, v4, 16
	v_add_co_ci_u32_e32 v5, vcc_lo, 0, v5, vcc_lo
.LBB75_42:                              ; =>This Loop Header: Depth=1
                                        ;     Child Loop BB75_43 Depth 2
	s_lshl_b64 s[8:9], s[6:7], 3
	s_cmp_eq_u32 s6, 0
	v_add_co_u32 v6, vcc_lo, v0, s8
	v_add_co_ci_u32_e32 v7, vcc_lo, s9, v1, vcc_lo
	s_mov_b32 s8, s6
	s_mov_b32 s9, s3
	s_clause 0x1
	global_load_b128 v[8:11], v[6:7], off
	global_load_b128 v[18:21], v[6:7], off offset:16
	s_waitcnt vmcnt(1)
	v_mul_f64 v[16:17], v[8:9], s[4:5]
	v_mul_f64 v[14:15], v[10:11], s[4:5]
	s_waitcnt vmcnt(0)
	v_mul_f64 v[12:13], v[18:19], s[4:5]
	v_mul_f64 v[8:9], v[20:21], s[4:5]
	v_dual_mov_b32 v11, v5 :: v_dual_mov_b32 v10, v4
	s_cbranch_scc1 .LBB75_44
.LBB75_43:                              ;   Parent Loop BB75_42 Depth=1
                                        ; =>  This Inner Loop Header: Depth=2
	s_clause 0x1
	global_load_b128 v[18:21], v[10:11], off offset:-16
	global_load_b128 v[22:25], v[10:11], off
	v_mov_b32_e32 v34, s9
	v_add_co_u32 v10, vcc_lo, v10, 32
	v_add_co_ci_u32_e32 v11, vcc_lo, 0, v11, vcc_lo
	ds_load_b128 v[26:29], v34
	ds_load_b128 v[30:33], v34 offset:16
	s_add_i32 s8, s8, -4
	s_addk_i32 s9, 0x100
	s_cmp_lg_u32 s8, 0
	s_waitcnt vmcnt(1) lgkmcnt(1)
	v_fma_f64 v[26:27], -v[18:19], v[26:27], v[16:17]
	v_fma_f64 v[28:29], -v[18:19], v[28:29], v[14:15]
	s_waitcnt lgkmcnt(0)
	v_fma_f64 v[30:31], -v[18:19], v[30:31], v[12:13]
	v_fma_f64 v[8:9], -v[18:19], v[32:33], v[8:9]
	ds_load_b128 v[12:15], v34 offset:64
	ds_load_b128 v[16:19], v34 offset:80
	s_waitcnt lgkmcnt(1)
	v_fma_f64 v[26:27], -v[20:21], v[12:13], v[26:27]
	v_fma_f64 v[28:29], -v[20:21], v[14:15], v[28:29]
	s_waitcnt lgkmcnt(0)
	v_fma_f64 v[30:31], -v[20:21], v[16:17], v[30:31]
	v_fma_f64 v[8:9], -v[20:21], v[18:19], v[8:9]
	ds_load_b128 v[12:15], v34 offset:128
	ds_load_b128 v[16:19], v34 offset:144
	s_waitcnt vmcnt(0) lgkmcnt(1)
	v_fma_f64 v[26:27], -v[22:23], v[12:13], v[26:27]
	v_fma_f64 v[28:29], -v[22:23], v[14:15], v[28:29]
	s_waitcnt lgkmcnt(0)
	v_fma_f64 v[30:31], -v[22:23], v[16:17], v[30:31]
	v_fma_f64 v[8:9], -v[22:23], v[18:19], v[8:9]
	ds_load_b128 v[12:15], v34 offset:192
	ds_load_b128 v[18:21], v34 offset:208
	s_waitcnt lgkmcnt(1)
	v_fma_f64 v[16:17], -v[24:25], v[12:13], v[26:27]
	v_fma_f64 v[14:15], -v[24:25], v[14:15], v[28:29]
	s_waitcnt lgkmcnt(0)
	v_fma_f64 v[12:13], -v[24:25], v[18:19], v[30:31]
	v_fma_f64 v[8:9], -v[24:25], v[20:21], v[8:9]
	s_cbranch_scc1 .LBB75_43
.LBB75_44:                              ;   in Loop: Header=BB75_42 Depth=1
	s_mul_i32 s8, s6, 0x48
	s_add_i32 s3, s3, 32
	v_mov_b32_e32 v28, s8
	s_lshl_b32 s8, s6, 3
	ds_load_b128 v[18:21], v28
	ds_load_b128 v[22:25], v28 offset:16
	s_add_i32 s8, s6, s8
	s_delay_alu instid0(SALU_CYCLE_1) | instskip(SKIP_2) | instid1(VALU_DEP_1)
	s_lshl_b32 s8, s8, 3
	s_waitcnt lgkmcnt(1)
	v_mul_f64 v[10:11], v[16:17], v[18:19]
	v_fma_f64 v[26:27], -v[10:11], v[20:21], v[14:15]
	ds_load_2addr_b64 v[14:17], v28 offset0:9 offset1:10
	ds_load_b128 v[18:21], v28 offset:144
	s_waitcnt lgkmcnt(2)
	v_fma_f64 v[22:23], -v[10:11], v[22:23], v[12:13]
	v_fma_f64 v[8:9], -v[10:11], v[24:25], v[8:9]
	s_waitcnt lgkmcnt(1)
	v_mul_f64 v[12:13], v[26:27], v[14:15]
	s_delay_alu instid0(VALU_DEP_1)
	v_fma_f64 v[14:15], -v[12:13], v[16:17], v[22:23]
	v_mov_b32_e32 v16, s8
	s_add_i32 s8, s6, 4
	s_add_i32 s6, s6, 7
	ds_load_b64 v[16:17], v16 offset:88
	ds_load_b64 v[22:23], v28 offset:216
	s_cmp_lt_i32 s6, s2
	s_waitcnt lgkmcnt(1)
	v_fma_f64 v[8:9], -v[12:13], v[16:17], v[8:9]
	v_mul_f64 v[14:15], v[14:15], v[18:19]
	s_delay_alu instid0(VALU_DEP_1) | instskip(SKIP_1) | instid1(VALU_DEP_1)
	v_fma_f64 v[8:9], -v[14:15], v[20:21], v[8:9]
	s_waitcnt lgkmcnt(0)
	v_mul_f64 v[16:17], v[8:9], v[22:23]
	s_clause 0x1
	global_store_b128 v[6:7], v[10:13], off
	global_store_b128 v[6:7], v[14:17], off offset:16
	s_cbranch_scc0 .LBB75_47
; %bb.45:                               ;   in Loop: Header=BB75_42 Depth=1
	s_mov_b32 s6, s8
	s_branch .LBB75_42
.LBB75_46:
	s_mov_b32 s8, s6
.LBB75_47:
	s_delay_alu instid0(SALU_CYCLE_1)
	s_cmp_ge_i32 s8, s2
	s_cbranch_scc1 .LBB75_58
; %bb.48:
	s_add_i32 s3, s8, -1
	s_lshl_b32 s6, s8, 3
	s_add_u32 s0, s12, s0
	s_addc_u32 s1, s13, s1
	v_add_co_u32 v10, vcc_lo, s0, v2
	v_add_co_ci_u32_e32 v11, vcc_lo, s1, v3, vcc_lo
	s_mov_b32 s1, 0
	s_delay_alu instid0(VALU_DEP_2) | instskip(NEXT) | instid1(VALU_DEP_2)
	v_add_co_u32 v2, vcc_lo, v10, 56
	v_add_co_ci_u32_e32 v3, vcc_lo, 0, v11, vcc_lo
	s_mov_b32 s10, s8
	s_mov_b32 s7, 0
	s_branch .LBB75_50
.LBB75_49:                              ;   in Loop: Header=BB75_50 Depth=1
	s_mul_i32 s0, s8, 0x48
	s_add_i32 s8, s8, 1
	v_mov_b32_e32 v8, s0
	s_add_i32 s7, s7, 1
	s_add_i32 s6, s6, 8
	s_cmp_ge_i32 s8, s2
	ds_load_b64 v[8:9], v8
	s_waitcnt lgkmcnt(0)
	v_mul_f64 v[6:7], v[6:7], v[8:9]
	v_add_nc_u16 v8, s10, 1
	s_delay_alu instid0(VALU_DEP_1)
	v_readfirstlane_b32 s10, v8
	global_store_b64 v[4:5], v[6:7], off
	s_cbranch_scc1 .LBB75_58
.LBB75_50:                              ; =>This Loop Header: Depth=1
                                        ;     Child Loop BB75_53 Depth 2
                                        ;     Child Loop BB75_57 Depth 2
	s_ashr_i32 s9, s8, 31
	s_delay_alu instid0(SALU_CYCLE_1)
	s_lshl_b64 s[12:13], s[8:9], 3
	s_cmp_eq_u32 s8, 0
	v_add_co_u32 v4, vcc_lo, v0, s12
	v_add_co_ci_u32_e32 v5, vcc_lo, s13, v1, vcc_lo
	global_load_b64 v[6:7], v[4:5], off
	s_waitcnt vmcnt(0)
	v_mul_f64 v[6:7], v[6:7], s[4:5]
	s_cbranch_scc1 .LBB75_49
; %bb.51:                               ;   in Loop: Header=BB75_50 Depth=1
	s_add_i32 s0, s3, s7
	s_delay_alu instid0(SALU_CYCLE_1)
	s_cmp_lt_u32 s0, 7
	s_cbranch_scc1 .LBB75_55
; %bb.52:                               ;   in Loop: Header=BB75_50 Depth=1
	v_dual_mov_b32 v9, v3 :: v_dual_mov_b32 v8, v2
	s_and_b32 s0, s8, -8
	s_mov_b32 s9, 0
	s_mov_b32 s11, s6
	s_set_inst_prefetch_distance 0x1
	.p2align	6
.LBB75_53:                              ;   Parent Loop BB75_50 Depth=1
                                        ; =>  This Inner Loop Header: Depth=2
	s_clause 0x3
	global_load_b128 v[12:15], v[8:9], off offset:-56
	global_load_b128 v[16:19], v[8:9], off offset:-40
	;; [unrolled: 1-line block ×4, first 2 shown]
	v_mov_b32_e32 v32, s11
	v_add_co_u32 v8, vcc_lo, v8, 64
	v_add_co_ci_u32_e32 v9, vcc_lo, 0, v9, vcc_lo
	ds_load_2addr_b64 v[28:31], v32 offset1:8
	s_add_i32 s9, s9, 8
	s_addk_i32 s11, 0x200
	s_cmp_lg_u32 s0, s9
	s_waitcnt vmcnt(3) lgkmcnt(0)
	v_fma_f64 v[6:7], -v[12:13], v[28:29], v[6:7]
	s_delay_alu instid0(VALU_DEP_1) | instskip(SKIP_3) | instid1(VALU_DEP_1)
	v_fma_f64 v[6:7], -v[14:15], v[30:31], v[6:7]
	ds_load_2addr_b64 v[12:15], v32 offset0:16 offset1:24
	s_waitcnt vmcnt(2) lgkmcnt(0)
	v_fma_f64 v[6:7], -v[16:17], v[12:13], v[6:7]
	v_fma_f64 v[6:7], -v[18:19], v[14:15], v[6:7]
	ds_load_2addr_b64 v[12:15], v32 offset0:32 offset1:40
	s_waitcnt vmcnt(1) lgkmcnt(0)
	v_fma_f64 v[6:7], -v[20:21], v[12:13], v[6:7]
	s_delay_alu instid0(VALU_DEP_1) | instskip(SKIP_3) | instid1(VALU_DEP_1)
	v_fma_f64 v[6:7], -v[22:23], v[14:15], v[6:7]
	ds_load_2addr_b64 v[12:15], v32 offset0:48 offset1:56
	s_waitcnt vmcnt(0) lgkmcnt(0)
	v_fma_f64 v[6:7], -v[24:25], v[12:13], v[6:7]
	v_fma_f64 v[6:7], -v[26:27], v[14:15], v[6:7]
	s_cbranch_scc1 .LBB75_53
; %bb.54:                               ;   in Loop: Header=BB75_50 Depth=1
	s_set_inst_prefetch_distance 0x2
	s_and_b32 s9, s8, 7
	s_delay_alu instid0(SALU_CYCLE_1)
	s_cmp_eq_u32 s9, 0
	s_cbranch_scc0 .LBB75_56
	s_branch .LBB75_49
.LBB75_55:                              ;   in Loop: Header=BB75_50 Depth=1
	s_mov_b32 s0, 0
	s_and_b32 s9, s8, 7
	s_delay_alu instid0(SALU_CYCLE_1)
	s_cmp_eq_u32 s9, 0
	s_cbranch_scc1 .LBB75_49
.LBB75_56:                              ;   in Loop: Header=BB75_50 Depth=1
	s_lshl_b64 s[12:13], s[0:1], 3
	s_and_b32 s9, s10, 7
	v_add_co_u32 v8, vcc_lo, v10, s12
	v_add_co_ci_u32_e32 v9, vcc_lo, s13, v11, vcc_lo
	s_lshl_b32 s0, s0, 6
.LBB75_57:                              ;   Parent Loop BB75_50 Depth=1
                                        ; =>  This Inner Loop Header: Depth=2
	global_load_b64 v[12:13], v[8:9], off
	s_add_i32 s11, s6, s0
	v_add_co_u32 v8, vcc_lo, v8, 8
	v_mov_b32_e32 v14, s11
	v_add_co_ci_u32_e32 v9, vcc_lo, 0, v9, vcc_lo
	s_add_i32 s9, s9, -1
	s_add_i32 s0, s0, 64
	ds_load_b64 v[14:15], v14
	s_cmp_lg_u32 s9, 0
	s_waitcnt vmcnt(0) lgkmcnt(0)
	v_fma_f64 v[6:7], -v[12:13], v[14:15], v[6:7]
	s_cbranch_scc1 .LBB75_57
	s_branch .LBB75_49
.LBB75_58:
	s_nop 0
	s_sendmsg sendmsg(MSG_DEALLOC_VGPRS)
	s_endpgm
	.section	.rodata,"a",@progbits
	.p2align	6, 0x0
	.amdhsa_kernel _ZL30rocblas_trsm_small_left_deviceILi8ELi8ELb1EddPKPKdPKPdEv13rocblas_fill_18rocblas_operation_17rocblas_diagonal_iiT3_T4_lilT5_lili
		.amdhsa_group_segment_fixed_size 512
		.amdhsa_private_segment_fixed_size 0
		.amdhsa_kernarg_size 360
		.amdhsa_user_sgpr_count 14
		.amdhsa_user_sgpr_dispatch_ptr 0
		.amdhsa_user_sgpr_queue_ptr 0
		.amdhsa_user_sgpr_kernarg_segment_ptr 1
		.amdhsa_user_sgpr_dispatch_id 0
		.amdhsa_user_sgpr_private_segment_size 0
		.amdhsa_wavefront_size32 1
		.amdhsa_uses_dynamic_stack 0
		.amdhsa_enable_private_segment 0
		.amdhsa_system_sgpr_workgroup_id_x 1
		.amdhsa_system_sgpr_workgroup_id_y 0
		.amdhsa_system_sgpr_workgroup_id_z 1
		.amdhsa_system_sgpr_workgroup_info 0
		.amdhsa_system_vgpr_workitem_id 0
		.amdhsa_next_free_vgpr 46
		.amdhsa_next_free_sgpr 32
		.amdhsa_reserve_vcc 1
		.amdhsa_float_round_mode_32 0
		.amdhsa_float_round_mode_16_64 0
		.amdhsa_float_denorm_mode_32 3
		.amdhsa_float_denorm_mode_16_64 3
		.amdhsa_dx10_clamp 1
		.amdhsa_ieee_mode 1
		.amdhsa_fp16_overflow 0
		.amdhsa_workgroup_processor_mode 1
		.amdhsa_memory_ordered 1
		.amdhsa_forward_progress 0
		.amdhsa_shared_vgpr_count 0
		.amdhsa_exception_fp_ieee_invalid_op 0
		.amdhsa_exception_fp_denorm_src 0
		.amdhsa_exception_fp_ieee_div_zero 0
		.amdhsa_exception_fp_ieee_overflow 0
		.amdhsa_exception_fp_ieee_underflow 0
		.amdhsa_exception_fp_ieee_inexact 0
		.amdhsa_exception_int_div_zero 0
	.end_amdhsa_kernel
	.section	.text._ZL30rocblas_trsm_small_left_deviceILi8ELi8ELb1EddPKPKdPKPdEv13rocblas_fill_18rocblas_operation_17rocblas_diagonal_iiT3_T4_lilT5_lili,"axG",@progbits,_ZL30rocblas_trsm_small_left_deviceILi8ELi8ELb1EddPKPKdPKPdEv13rocblas_fill_18rocblas_operation_17rocblas_diagonal_iiT3_T4_lilT5_lili,comdat
.Lfunc_end75:
	.size	_ZL30rocblas_trsm_small_left_deviceILi8ELi8ELb1EddPKPKdPKPdEv13rocblas_fill_18rocblas_operation_17rocblas_diagonal_iiT3_T4_lilT5_lili, .Lfunc_end75-_ZL30rocblas_trsm_small_left_deviceILi8ELi8ELb1EddPKPKdPKPdEv13rocblas_fill_18rocblas_operation_17rocblas_diagonal_iiT3_T4_lilT5_lili
                                        ; -- End function
	.section	.AMDGPU.csdata,"",@progbits
; Kernel info:
; codeLenInByte = 5140
; NumSgprs: 34
; NumVgprs: 46
; ScratchSize: 0
; MemoryBound: 0
; FloatMode: 240
; IeeeMode: 1
; LDSByteSize: 512 bytes/workgroup (compile time only)
; SGPRBlocks: 4
; VGPRBlocks: 5
; NumSGPRsForWavesPerEU: 34
; NumVGPRsForWavesPerEU: 46
; Occupancy: 16
; WaveLimiterHint : 1
; COMPUTE_PGM_RSRC2:SCRATCH_EN: 0
; COMPUTE_PGM_RSRC2:USER_SGPR: 14
; COMPUTE_PGM_RSRC2:TRAP_HANDLER: 0
; COMPUTE_PGM_RSRC2:TGID_X_EN: 1
; COMPUTE_PGM_RSRC2:TGID_Y_EN: 0
; COMPUTE_PGM_RSRC2:TGID_Z_EN: 1
; COMPUTE_PGM_RSRC2:TIDIG_COMP_CNT: 0
	.section	.text._ZL31rocblas_trsm_small_right_deviceIddPKPKdPKPdLi8EEv13rocblas_fill_18rocblas_operation_17rocblas_diagonal_iiT0_T1_lilT2_lili,"axG",@progbits,_ZL31rocblas_trsm_small_right_deviceIddPKPKdPKPdLi8EEv13rocblas_fill_18rocblas_operation_17rocblas_diagonal_iiT0_T1_lilT2_lili,comdat
	.globl	_ZL31rocblas_trsm_small_right_deviceIddPKPKdPKPdLi8EEv13rocblas_fill_18rocblas_operation_17rocblas_diagonal_iiT0_T1_lilT2_lili ; -- Begin function _ZL31rocblas_trsm_small_right_deviceIddPKPKdPKPdLi8EEv13rocblas_fill_18rocblas_operation_17rocblas_diagonal_iiT0_T1_lilT2_lili
	.p2align	8
	.type	_ZL31rocblas_trsm_small_right_deviceIddPKPKdPKPdLi8EEv13rocblas_fill_18rocblas_operation_17rocblas_diagonal_iiT0_T1_lilT2_lili,@function
_ZL31rocblas_trsm_small_right_deviceIddPKPKdPKPdLi8EEv13rocblas_fill_18rocblas_operation_17rocblas_diagonal_iiT0_T1_lilT2_lili: ; @_ZL31rocblas_trsm_small_right_deviceIddPKPKdPKPdLi8EEv13rocblas_fill_18rocblas_operation_17rocblas_diagonal_iiT0_T1_lilT2_lili
; %bb.0:
	s_load_b128 s[16:19], s[0:1], 0x40
	s_mov_b32 s12, s15
	s_mov_b32 s13, 0
	s_clause 0x1
	s_load_b32 s28, s[0:1], 0x10
	s_load_b128 s[4:7], s[0:1], 0x0
	s_lshl_b64 s[22:23], s[12:13], 3
	s_mov_b32 s12, exec_lo
	s_waitcnt lgkmcnt(0)
	s_add_u32 s2, s16, s22
	s_addc_u32 s3, s17, s23
	s_clause 0x1
	s_load_b128 s[8:11], s[0:1], 0x18
	s_load_b64 s[16:17], s[0:1], 0x28
	s_load_b64 s[2:3], s[2:3], 0x0
	s_min_i32 s29, s28, 8
	s_delay_alu instid0(SALU_CYCLE_1)
	s_add_i32 s30, s29, -1
	v_cmpx_gt_i32_e64 s29, v0
	s_cbranch_execz .LBB76_9
; %bb.1:
	s_load_b32 s20, s[0:1], 0x30
	s_waitcnt lgkmcnt(0)
	s_ashr_i32 s21, s20, 31
	s_add_u32 s10, s10, s22
	s_addc_u32 s11, s11, s23
	s_cmp_lt_u32 s30, 3
	s_load_b64 s[10:11], s[10:11], 0x0
	s_cbranch_scc1 .LBB76_4
; %bb.2:
	v_lshlrev_b32_e32 v3, 3, v0
	s_lshl_b64 s[22:23], s[16:17], 3
	s_mul_i32 s31, s20, 24
	s_waitcnt lgkmcnt(0)
	s_add_u32 s13, s10, s22
	s_addc_u32 s15, s11, s23
	v_add_co_u32 v1, s13, s13, v3
	s_delay_alu instid0(VALU_DEP_1)
	v_add_co_ci_u32_e64 v2, null, s15, 0, s13
	s_and_b32 s13, s29, -4
	s_mul_hi_i32 s15, s20, 24
	s_lshl_b64 s[22:23], s[20:21], 5
	s_lshl_b64 s[24:25], s[20:21], 4
	;; [unrolled: 1-line block ×3, first 2 shown]
	s_mov_b32 s33, 0
	.p2align	6
.LBB76_3:                               ; =>This Inner Loop Header: Depth=1
	v_add_co_u32 v4, vcc_lo, v1, s26
	v_add_co_ci_u32_e32 v5, vcc_lo, s27, v2, vcc_lo
	v_add_co_u32 v6, vcc_lo, v1, s24
	v_add_co_ci_u32_e32 v7, vcc_lo, s25, v2, vcc_lo
	;; [unrolled: 2-line block ×3, first 2 shown]
	s_clause 0x3
	global_load_b64 v[10:11], v[1:2], off
	global_load_b64 v[4:5], v[4:5], off
	;; [unrolled: 1-line block ×4, first 2 shown]
	v_add_co_u32 v1, vcc_lo, v1, s22
	v_add_co_ci_u32_e32 v2, vcc_lo, s23, v2, vcc_lo
	s_add_i32 s33, s33, 4
	s_waitcnt vmcnt(2)
	ds_store_2addr_b64 v3, v[10:11], v[4:5] offset1:8
	s_waitcnt vmcnt(0)
	ds_store_2addr_b64 v3, v[6:7], v[8:9] offset0:16 offset1:24
	v_add_nc_u32_e32 v3, 0x100, v3
	s_cmp_eq_u32 s13, s33
	s_cbranch_scc0 .LBB76_3
.LBB76_4:
	s_and_b32 s15, s29, 3
	s_delay_alu instid0(SALU_CYCLE_1)
	s_cmp_eq_u32 s15, 0
	s_cbranch_scc1 .LBB76_7
; %bb.5:
	s_mul_i32 s22, s21, s13
	s_mul_hi_u32 s23, s20, s13
	v_lshlrev_b32_e32 v1, 3, v0
	s_add_i32 s23, s23, s22
	s_mul_i32 s22, s20, s13
	s_lshl_b64 s[16:17], s[16:17], 3
	s_lshl_b64 s[22:23], s[22:23], 3
	v_lshl_or_b32 v3, s13, 6, v1
	s_add_u32 s13, s22, s16
	s_addc_u32 s16, s23, s17
	s_waitcnt lgkmcnt(0)
	s_add_u32 s10, s10, s13
	s_addc_u32 s11, s11, s16
	v_add_co_u32 v1, s10, s10, v1
	s_delay_alu instid0(VALU_DEP_1)
	v_add_co_ci_u32_e64 v2, null, s11, 0, s10
	s_lshl_b64 s[10:11], s[20:21], 3
.LBB76_6:                               ; =>This Inner Loop Header: Depth=1
	global_load_b64 v[4:5], v[1:2], off
	v_add_co_u32 v1, vcc_lo, v1, s10
	v_add_co_ci_u32_e32 v2, vcc_lo, s11, v2, vcc_lo
	s_add_i32 s15, s15, -1
	s_delay_alu instid0(SALU_CYCLE_1)
	s_cmp_lg_u32 s15, 0
	s_waitcnt vmcnt(0)
	ds_store_b64 v3, v[4:5]
	v_add_nc_u32_e32 v3, 64, v3
	s_cbranch_scc1 .LBB76_6
.LBB76_7:
	s_cmpk_eq_i32 s6, 0x84
	s_cbranch_scc0 .LBB76_9
; %bb.8:
	v_mul_u32_u24_e32 v2, 9, v0
	v_mov_b32_e32 v1, 0
	s_delay_alu instid0(VALU_DEP_2)
	v_dual_mov_b32 v2, 0x3ff00000 :: v_dual_lshlrev_b32 v3, 3, v2
	ds_store_b64 v3, v[1:2]
.LBB76_9:
	s_or_b32 exec_lo, exec_lo, s12
	s_load_b32 s6, s[0:1], 0x68
	s_waitcnt lgkmcnt(0)
	s_lshl_b64 s[10:11], s[18:19], 3
	s_load_b32 s0, s[0:1], 0x50
	s_add_u32 s1, s2, s10
	s_addc_u32 s12, s3, s11
	s_lshl_b32 s13, s14, 3
	s_mov_b32 s22, 0
	s_sub_i32 s7, s7, s13
	s_add_i32 s6, s6, -1
	s_delay_alu instid0(SALU_CYCLE_1) | instskip(SKIP_4) | instid1(SALU_CYCLE_1)
	s_cmp_ge_u32 s14, s6
	s_cselect_b32 s13, s7, 8
	s_ashr_i32 s15, s14, 31
	v_cmp_gt_i32_e32 vcc_lo, s13, v0
	s_lshl_b64 s[6:7], s[14:15], 6
	s_add_u32 s18, s1, s6
	s_addc_u32 s19, s12, s7
	s_cmp_gt_i32 s28, 0
	s_cselect_b32 s1, -1, 0
	s_delay_alu instid0(SALU_CYCLE_1) | instskip(NEXT) | instid1(SALU_CYCLE_1)
	s_and_b32 s20, vcc_lo, s1
	s_and_saveexec_b32 s21, s20
	s_cbranch_execz .LBB76_16
; %bb.10:
	s_waitcnt lgkmcnt(0)
	s_ashr_i32 s1, s0, 31
	s_cmp_lt_u32 s28, 4
	s_cbranch_scc1 .LBB76_13
; %bb.11:
	v_lshlrev_b32_e32 v1, 3, v0
	v_lshl_or_b32 v3, v0, 3, 0x200
	s_and_b32 s22, s28, 0x7ffffffc
	s_mul_hi_i32 s23, s0, 24
	s_mul_i32 s24, s0, 24
	v_add_co_u32 v1, s12, s18, v1
	s_delay_alu instid0(VALU_DEP_1)
	v_add_co_ci_u32_e64 v2, null, s19, 0, s12
	s_lshl_b64 s[12:13], s[0:1], 5
	s_lshl_b64 s[14:15], s[0:1], 4
	;; [unrolled: 1-line block ×3, first 2 shown]
	s_mov_b32 s25, 0
	s_set_inst_prefetch_distance 0x1
	.p2align	6
.LBB76_12:                              ; =>This Inner Loop Header: Depth=1
	v_add_co_u32 v4, vcc_lo, v1, s16
	v_add_co_ci_u32_e32 v5, vcc_lo, s17, v2, vcc_lo
	v_add_co_u32 v6, vcc_lo, v1, s14
	v_add_co_ci_u32_e32 v7, vcc_lo, s15, v2, vcc_lo
	;; [unrolled: 2-line block ×3, first 2 shown]
	s_clause 0x3
	global_load_b64 v[10:11], v[1:2], off
	global_load_b64 v[4:5], v[4:5], off
	global_load_b64 v[6:7], v[6:7], off
	global_load_b64 v[8:9], v[8:9], off
	v_add_co_u32 v1, vcc_lo, v1, s12
	v_add_co_ci_u32_e32 v2, vcc_lo, s13, v2, vcc_lo
	s_add_i32 s25, s25, 4
	s_delay_alu instid0(SALU_CYCLE_1)
	s_cmp_lg_u32 s22, s25
	s_waitcnt vmcnt(3)
	v_mul_f64 v[10:11], v[10:11], s[8:9]
	s_waitcnt vmcnt(2)
	v_mul_f64 v[4:5], v[4:5], s[8:9]
	;; [unrolled: 2-line block ×4, first 2 shown]
	ds_store_2addr_b64 v3, v[10:11], v[4:5] offset1:8
	ds_store_2addr_b64 v3, v[6:7], v[8:9] offset0:16 offset1:24
	v_add_nc_u32_e32 v3, 0x100, v3
	s_cbranch_scc1 .LBB76_12
.LBB76_13:
	s_set_inst_prefetch_distance 0x2
	s_and_b32 s14, s28, 3
	s_delay_alu instid0(SALU_CYCLE_1)
	s_cmp_eq_u32 s14, 0
	s_cbranch_scc1 .LBB76_16
; %bb.14:
	s_mul_hi_i32 s13, s0, s22
	s_mul_i32 s12, s0, s22
	v_lshlrev_b32_e32 v1, 3, v0
	s_lshl_b64 s[12:13], s[12:13], 3
	s_delay_alu instid0(SALU_CYCLE_1)
	s_add_u32 s12, s12, s6
	s_addc_u32 s13, s13, s7
	s_add_u32 s12, s12, s10
	v_lshl_or_b32 v2, s22, 6, v1
	s_addc_u32 s13, s13, s11
	s_add_u32 s12, s2, s12
	s_addc_u32 s13, s3, s13
	v_add_co_u32 v1, s12, s12, v1
	v_add_nc_u32_e32 v3, 0x200, v2
	v_add_co_ci_u32_e64 v2, null, s13, 0, s12
	s_lshl_b64 s[12:13], s[0:1], 3
.LBB76_15:                              ; =>This Inner Loop Header: Depth=1
	global_load_b64 v[4:5], v[1:2], off
	v_add_co_u32 v1, vcc_lo, v1, s12
	v_add_co_ci_u32_e32 v2, vcc_lo, s13, v2, vcc_lo
	s_add_i32 s14, s14, -1
	s_delay_alu instid0(SALU_CYCLE_1)
	s_cmp_lg_u32 s14, 0
	s_waitcnt vmcnt(0)
	v_mul_f64 v[4:5], v[4:5], s[8:9]
	ds_store_b64 v3, v[4:5]
	v_add_nc_u32_e32 v3, 64, v3
	s_cbranch_scc1 .LBB76_15
.LBB76_16:
	s_or_b32 exec_lo, exec_lo, s21
	s_cmpk_eq_i32 s5, 0x6f
	s_waitcnt lgkmcnt(0)
	s_cselect_b32 s1, -1, 0
	s_cmpk_eq_i32 s4, 0x79
	; wave barrier
	buffer_gl0_inv
	s_cselect_b32 s8, -1, 0
	s_cmpk_lg_i32 s4, 0x79
	s_cselect_b32 s5, -1, 0
	s_and_b32 s8, s8, s1
	s_delay_alu instid0(SALU_CYCLE_1)
	s_and_not1_b32 vcc_lo, exec_lo, s8
	s_mov_b32 s8, -1
	s_cbranch_vccz .LBB76_80
; %bb.17:
	s_cmpk_lg_i32 s4, 0x7a
	s_cselect_b32 s4, -1, 0
	s_xor_b32 s1, s1, -1
	s_delay_alu instid0(SALU_CYCLE_1)
	s_or_b32 s4, s4, s1
	s_cmp_gt_i32 s28, 3
	s_cselect_b32 s1, -1, 0
	s_and_b32 vcc_lo, exec_lo, s4
	s_mov_b32 s4, -1
	s_cbranch_vccz .LBB76_59
; %bb.18:
	s_and_not1_b32 vcc_lo, exec_lo, s5
	s_cbranch_vccnz .LBB76_38
; %bb.19:
	s_and_not1_b32 vcc_lo, exec_lo, s1
	s_mov_b32 s8, 0
	s_cbranch_vccnz .LBB76_26
; %bb.20:
	v_lshl_or_b32 v9, v0, 3, 0x200
	s_mov_b32 s4, 0
	s_mov_b32 s5, 0
.LBB76_21:                              ; =>This Loop Header: Depth=1
                                        ;     Child Loop BB76_23 Depth 2
	s_delay_alu instid0(SALU_CYCLE_1) | instskip(NEXT) | instid1(SALU_CYCLE_1)
	s_lshl_b32 s9, s5, 3
	s_or_b32 s8, s9, 8
	v_or_b32_e32 v1, s9, v0
	v_or_b32_e32 v2, s8, v0
	s_lshl_b32 s9, s5, 6
	s_cmp_eq_u32 s5, 0
	v_lshl_or_b32 v13, v0, 3, s9
	v_lshlrev_b32_e32 v10, 3, v1
	v_lshlrev_b32_e32 v11, 3, v2
	ds_load_b64 v[7:8], v10 offset:512
	ds_load_b64 v[5:6], v11 offset:512
	ds_load_2addr_b64 v[1:4], v13 offset0:80 offset1:88
	s_cbranch_scc1 .LBB76_24
; %bb.22:                               ;   in Loop: Header=BB76_21 Depth=1
	v_mov_b32_e32 v12, v9
	s_mov_b32 s9, 0
	s_mov_b32 s12, s4
	.p2align	6
.LBB76_23:                              ;   Parent Loop BB76_21 Depth=1
                                        ; =>  This Inner Loop Header: Depth=2
	s_delay_alu instid0(SALU_CYCLE_1)
	v_mov_b32_e32 v18, s12
	s_add_i32 s9, s9, 1
	s_add_i32 s12, s12, 64
	s_cmp_ge_u32 s9, s5
	ds_load_b64 v[22:23], v12
	ds_load_b128 v[14:17], v18
	ds_load_b128 v[18:21], v18 offset:16
	v_add_nc_u32_e32 v12, 64, v12
	s_waitcnt lgkmcnt(1)
	v_fma_f64 v[7:8], -v[22:23], v[14:15], v[7:8]
	v_fma_f64 v[5:6], -v[22:23], v[16:17], v[5:6]
	s_waitcnt lgkmcnt(0)
	v_fma_f64 v[1:2], -v[22:23], v[18:19], v[1:2]
	v_fma_f64 v[3:4], -v[22:23], v[20:21], v[3:4]
	s_cbranch_scc0 .LBB76_23
.LBB76_24:                              ;   in Loop: Header=BB76_21 Depth=1
	s_mul_i32 s9, s5, 0x48
	s_delay_alu instid0(SALU_CYCLE_1)
	v_dual_mov_b32 v34, s9 :: v_dual_add_nc_u32 v11, 0x200, v11
	s_add_i32 s8, s8, s5
	v_add_nc_u32_e32 v12, 0x280, v13
	s_lshl_b32 s8, s8, 3
	v_add_nc_u32_e32 v13, 0x2c0, v13
	ds_load_b128 v[14:17], v34
	ds_load_b128 v[18:21], v34 offset:16
	v_add_nc_u32_e32 v10, 0x200, v10
	s_add_i32 s4, s4, 32
	s_waitcnt lgkmcnt(1)
	v_div_scale_f64 v[22:23], null, v[14:15], v[14:15], v[7:8]
	v_div_scale_f64 v[28:29], vcc_lo, v[7:8], v[14:15], v[7:8]
	s_delay_alu instid0(VALU_DEP_2) | instskip(SKIP_2) | instid1(VALU_DEP_1)
	v_rcp_f64_e32 v[24:25], v[22:23]
	s_waitcnt_depctr 0xfff
	v_fma_f64 v[26:27], -v[22:23], v[24:25], 1.0
	v_fma_f64 v[24:25], v[24:25], v[26:27], v[24:25]
	s_delay_alu instid0(VALU_DEP_1) | instskip(NEXT) | instid1(VALU_DEP_1)
	v_fma_f64 v[26:27], -v[22:23], v[24:25], 1.0
	v_fma_f64 v[24:25], v[24:25], v[26:27], v[24:25]
	s_delay_alu instid0(VALU_DEP_1) | instskip(NEXT) | instid1(VALU_DEP_1)
	v_mul_f64 v[26:27], v[28:29], v[24:25]
	v_fma_f64 v[22:23], -v[22:23], v[26:27], v[28:29]
	s_delay_alu instid0(VALU_DEP_1) | instskip(NEXT) | instid1(VALU_DEP_1)
	v_div_fmas_f64 v[22:23], v[22:23], v[24:25], v[26:27]
	v_div_fixup_f64 v[22:23], v[22:23], v[14:15], v[7:8]
	s_delay_alu instid0(VALU_DEP_1)
	v_fma_f64 v[24:25], -v[22:23], v[16:17], v[5:6]
	ds_load_2addr_b64 v[5:8], v34 offset0:9 offset1:10
	ds_load_b128 v[14:17], v34 offset:144
	s_waitcnt lgkmcnt(2)
	v_fma_f64 v[1:2], -v[22:23], v[18:19], v[1:2]
	v_fma_f64 v[3:4], -v[22:23], v[20:21], v[3:4]
	s_waitcnt lgkmcnt(1)
	v_div_scale_f64 v[26:27], null, v[5:6], v[5:6], v[24:25]
	v_div_scale_f64 v[32:33], vcc_lo, v[24:25], v[5:6], v[24:25]
	s_delay_alu instid0(VALU_DEP_2) | instskip(SKIP_2) | instid1(VALU_DEP_1)
	v_rcp_f64_e32 v[28:29], v[26:27]
	s_waitcnt_depctr 0xfff
	v_fma_f64 v[30:31], -v[26:27], v[28:29], 1.0
	v_fma_f64 v[28:29], v[28:29], v[30:31], v[28:29]
	s_delay_alu instid0(VALU_DEP_1) | instskip(NEXT) | instid1(VALU_DEP_1)
	v_fma_f64 v[30:31], -v[26:27], v[28:29], 1.0
	v_fma_f64 v[28:29], v[28:29], v[30:31], v[28:29]
	s_delay_alu instid0(VALU_DEP_1) | instskip(NEXT) | instid1(VALU_DEP_1)
	v_mul_f64 v[30:31], v[32:33], v[28:29]
	v_fma_f64 v[26:27], -v[26:27], v[30:31], v[32:33]
	s_delay_alu instid0(VALU_DEP_1) | instskip(NEXT) | instid1(VALU_DEP_1)
	v_div_fmas_f64 v[26:27], v[26:27], v[28:29], v[30:31]
	v_div_fixup_f64 v[5:6], v[26:27], v[5:6], v[24:25]
	s_delay_alu instid0(VALU_DEP_1) | instskip(SKIP_1) | instid1(VALU_DEP_1)
	v_fma_f64 v[1:2], -v[5:6], v[7:8], v[1:2]
	s_waitcnt lgkmcnt(0)
	v_div_scale_f64 v[7:8], null, v[14:15], v[14:15], v[1:2]
	v_div_scale_f64 v[26:27], vcc_lo, v[1:2], v[14:15], v[1:2]
	s_delay_alu instid0(VALU_DEP_2) | instskip(SKIP_2) | instid1(VALU_DEP_1)
	v_rcp_f64_e32 v[18:19], v[7:8]
	s_waitcnt_depctr 0xfff
	v_fma_f64 v[24:25], -v[7:8], v[18:19], 1.0
	v_fma_f64 v[18:19], v[18:19], v[24:25], v[18:19]
	s_delay_alu instid0(VALU_DEP_1) | instskip(NEXT) | instid1(VALU_DEP_1)
	v_fma_f64 v[24:25], -v[7:8], v[18:19], 1.0
	v_fma_f64 v[18:19], v[18:19], v[24:25], v[18:19]
	s_delay_alu instid0(VALU_DEP_1) | instskip(NEXT) | instid1(VALU_DEP_1)
	v_mul_f64 v[24:25], v[26:27], v[18:19]
	v_fma_f64 v[7:8], -v[7:8], v[24:25], v[26:27]
	s_delay_alu instid0(VALU_DEP_1)
	v_div_fmas_f64 v[7:8], v[7:8], v[18:19], v[24:25]
	v_mov_b32_e32 v18, s8
	s_add_i32 s8, s5, 4
	s_add_i32 s5, s5, 7
	ds_load_b64 v[18:19], v18 offset:24
	ds_load_b64 v[20:21], v34 offset:216
	s_cmp_ge_i32 s5, s29
	s_waitcnt lgkmcnt(1)
	v_fma_f64 v[3:4], -v[5:6], v[18:19], v[3:4]
	v_div_fixup_f64 v[1:2], v[7:8], v[14:15], v[1:2]
	s_delay_alu instid0(VALU_DEP_1) | instskip(SKIP_1) | instid1(VALU_DEP_1)
	v_fma_f64 v[3:4], -v[1:2], v[16:17], v[3:4]
	s_waitcnt lgkmcnt(0)
	v_div_scale_f64 v[7:8], null, v[20:21], v[20:21], v[3:4]
	s_delay_alu instid0(VALU_DEP_1) | instskip(SKIP_2) | instid1(VALU_DEP_1)
	v_rcp_f64_e32 v[14:15], v[7:8]
	s_waitcnt_depctr 0xfff
	v_fma_f64 v[16:17], -v[7:8], v[14:15], 1.0
	v_fma_f64 v[14:15], v[14:15], v[16:17], v[14:15]
	s_delay_alu instid0(VALU_DEP_1) | instskip(NEXT) | instid1(VALU_DEP_1)
	v_fma_f64 v[16:17], -v[7:8], v[14:15], 1.0
	v_fma_f64 v[14:15], v[14:15], v[16:17], v[14:15]
	v_div_scale_f64 v[16:17], vcc_lo, v[3:4], v[20:21], v[3:4]
	s_delay_alu instid0(VALU_DEP_1) | instskip(NEXT) | instid1(VALU_DEP_1)
	v_mul_f64 v[18:19], v[16:17], v[14:15]
	v_fma_f64 v[7:8], -v[7:8], v[18:19], v[16:17]
	s_delay_alu instid0(VALU_DEP_1) | instskip(NEXT) | instid1(VALU_DEP_1)
	v_div_fmas_f64 v[7:8], v[7:8], v[14:15], v[18:19]
	v_div_fixup_f64 v[3:4], v[7:8], v[20:21], v[3:4]
	ds_store_b64 v10, v[22:23]
	ds_store_b64 v11, v[5:6]
	;; [unrolled: 1-line block ×4, first 2 shown]
	s_cbranch_scc1 .LBB76_26
; %bb.25:                               ;   in Loop: Header=BB76_21 Depth=1
	s_mov_b32 s5, s8
	s_branch .LBB76_21
.LBB76_26:
	s_cmp_ge_i32 s8, s29
	s_cbranch_scc1 .LBB76_37
; %bb.27:
	v_lshl_or_b32 v3, v0, 3, 0x200
	v_lshlrev_b32_e32 v4, 3, v0
	s_add_i32 s4, s8, -1
	s_lshl_b32 s5, s8, 3
	s_mov_b32 s9, 0
	s_mov_b32 s12, s8
	s_branch .LBB76_29
.LBB76_28:                              ;   in Loop: Header=BB76_29 Depth=1
	s_mul_i32 s13, s8, 0x48
	s_delay_alu instid0(SALU_CYCLE_1)
	v_dual_mov_b32 v6, s13 :: v_dual_add_nc_u32 v5, 0x200, v5
	s_add_i32 s8, s8, 1
	s_add_i32 s9, s9, 1
	;; [unrolled: 1-line block ×3, first 2 shown]
	s_cmp_ge_i32 s8, s29
	ds_load_b64 v[6:7], v6
	s_waitcnt lgkmcnt(0)
	v_div_scale_f64 v[8:9], null, v[6:7], v[6:7], v[1:2]
	s_delay_alu instid0(VALU_DEP_1) | instskip(SKIP_2) | instid1(VALU_DEP_1)
	v_rcp_f64_e32 v[10:11], v[8:9]
	s_waitcnt_depctr 0xfff
	v_fma_f64 v[12:13], -v[8:9], v[10:11], 1.0
	v_fma_f64 v[10:11], v[10:11], v[12:13], v[10:11]
	s_delay_alu instid0(VALU_DEP_1) | instskip(NEXT) | instid1(VALU_DEP_1)
	v_fma_f64 v[12:13], -v[8:9], v[10:11], 1.0
	v_fma_f64 v[10:11], v[10:11], v[12:13], v[10:11]
	v_div_scale_f64 v[12:13], vcc_lo, v[1:2], v[6:7], v[1:2]
	s_delay_alu instid0(VALU_DEP_1) | instskip(NEXT) | instid1(VALU_DEP_1)
	v_mul_f64 v[14:15], v[12:13], v[10:11]
	v_fma_f64 v[8:9], -v[8:9], v[14:15], v[12:13]
	s_delay_alu instid0(VALU_DEP_1) | instskip(NEXT) | instid1(VALU_DEP_1)
	v_div_fmas_f64 v[8:9], v[8:9], v[10:11], v[14:15]
	v_div_fixup_f64 v[1:2], v[8:9], v[6:7], v[1:2]
	v_add_nc_u16 v6, s12, 1
	s_delay_alu instid0(VALU_DEP_1)
	v_readfirstlane_b32 s12, v6
	ds_store_b64 v5, v[1:2]
	s_cbranch_scc1 .LBB76_37
.LBB76_29:                              ; =>This Loop Header: Depth=1
                                        ;     Child Loop BB76_32 Depth 2
                                        ;     Child Loop BB76_36 Depth 2
	v_lshl_or_b32 v5, s8, 6, v4
	s_cmp_eq_u32 s8, 0
	ds_load_b64 v[1:2], v5 offset:512
	s_cbranch_scc1 .LBB76_28
; %bb.30:                               ;   in Loop: Header=BB76_29 Depth=1
	s_add_i32 s13, s4, s9
	s_delay_alu instid0(SALU_CYCLE_1)
	s_cmp_lt_u32 s13, 7
	s_cbranch_scc1 .LBB76_34
; %bb.31:                               ;   in Loop: Header=BB76_29 Depth=1
	v_mov_b32_e32 v6, v3
	s_and_b32 s13, s8, -8
	s_mov_b32 s14, 0
	s_mov_b32 s15, s5
	s_set_inst_prefetch_distance 0x1
	.p2align	6
.LBB76_32:                              ;   Parent Loop BB76_29 Depth=1
                                        ; =>  This Inner Loop Header: Depth=2
	v_mov_b32_e32 v15, s15
	s_add_i32 s14, s14, 8
	s_addk_i32 s15, 0x200
	s_cmp_eq_u32 s13, s14
	ds_load_2addr_b64 v[7:10], v6 offset1:8
	ds_load_2addr_b64 v[11:14], v15 offset1:8
	s_waitcnt lgkmcnt(0)
	v_fma_f64 v[1:2], -v[7:8], v[11:12], v[1:2]
	s_delay_alu instid0(VALU_DEP_1) | instskip(SKIP_4) | instid1(VALU_DEP_1)
	v_fma_f64 v[1:2], -v[9:10], v[13:14], v[1:2]
	ds_load_2addr_b64 v[7:10], v6 offset0:16 offset1:24
	ds_load_2addr_b64 v[11:14], v15 offset0:16 offset1:24
	s_waitcnt lgkmcnt(0)
	v_fma_f64 v[1:2], -v[7:8], v[11:12], v[1:2]
	v_fma_f64 v[1:2], -v[9:10], v[13:14], v[1:2]
	ds_load_2addr_b64 v[7:10], v6 offset0:32 offset1:40
	ds_load_2addr_b64 v[11:14], v15 offset0:32 offset1:40
	s_waitcnt lgkmcnt(0)
	v_fma_f64 v[1:2], -v[7:8], v[11:12], v[1:2]
	s_delay_alu instid0(VALU_DEP_1)
	v_fma_f64 v[1:2], -v[9:10], v[13:14], v[1:2]
	ds_load_2addr_b64 v[7:10], v6 offset0:48 offset1:56
	ds_load_2addr_b64 v[11:14], v15 offset0:48 offset1:56
	v_add_nc_u32_e32 v6, 0x200, v6
	s_waitcnt lgkmcnt(0)
	v_fma_f64 v[1:2], -v[7:8], v[11:12], v[1:2]
	s_delay_alu instid0(VALU_DEP_1)
	v_fma_f64 v[1:2], -v[9:10], v[13:14], v[1:2]
	s_cbranch_scc0 .LBB76_32
; %bb.33:                               ;   in Loop: Header=BB76_29 Depth=1
	s_set_inst_prefetch_distance 0x2
	s_and_b32 s14, s8, 7
	s_delay_alu instid0(SALU_CYCLE_1)
	s_cmp_eq_u32 s14, 0
	s_cbranch_scc0 .LBB76_35
	s_branch .LBB76_28
.LBB76_34:                              ;   in Loop: Header=BB76_29 Depth=1
	s_mov_b32 s13, 0
	s_and_b32 s14, s8, 7
	s_delay_alu instid0(SALU_CYCLE_1)
	s_cmp_eq_u32 s14, 0
	s_cbranch_scc1 .LBB76_28
.LBB76_35:                              ;   in Loop: Header=BB76_29 Depth=1
	s_and_b32 s14, s12, 7
	s_lshl_b32 s13, s13, 6
.LBB76_36:                              ;   Parent Loop BB76_29 Depth=1
                                        ; =>  This Inner Loop Header: Depth=2
	s_delay_alu instid0(SALU_CYCLE_1)
	s_add_i32 s15, s5, s13
	v_add_nc_u32_e32 v6, s13, v3
	v_mov_b32_e32 v8, s15
	s_add_i32 s14, s14, -1
	s_add_i32 s13, s13, 64
	s_cmp_lg_u32 s14, 0
	ds_load_b64 v[6:7], v6
	ds_load_b64 v[8:9], v8
	s_waitcnt lgkmcnt(0)
	v_fma_f64 v[1:2], -v[6:7], v[8:9], v[1:2]
	s_cbranch_scc1 .LBB76_36
	s_branch .LBB76_28
.LBB76_37:
	s_mov_b32 s4, 0
.LBB76_38:
	s_delay_alu instid0(SALU_CYCLE_1)
	s_and_b32 vcc_lo, exec_lo, s4
	s_cbranch_vccz .LBB76_58
; %bb.39:
	s_and_not1_b32 vcc_lo, exec_lo, s1
	s_mov_b32 s8, s30
	s_cbranch_vccnz .LBB76_45
; %bb.40:
	v_lshlrev_b32_e32 v9, 3, v0
	s_mul_i32 s4, s29, 0x48
	s_mov_b32 s5, s30
	s_addk_i32 s4, 0xfee0
	s_delay_alu instid0(VALU_DEP_1) | instskip(NEXT) | instid1(VALU_DEP_1)
	v_lshl_or_b32 v1, s29, 6, v9
	v_add_nc_u32_e32 v10, 0x100, v1
.LBB76_41:                              ; =>This Loop Header: Depth=1
                                        ;     Child Loop BB76_42 Depth 2
	s_add_i32 s14, s5, -1
	s_lshl_b32 s13, s5, 3
	s_lshl_b32 s12, s14, 3
	v_or_b32_e32 v1, s13, v0
	s_add_i32 s8, s13, -16
	v_or_b32_e32 v2, s12, v0
	v_or_b32_e32 v3, s8, v0
	s_add_i32 s9, s5, -3
	v_lshlrev_b32_e32 v11, 3, v1
	v_lshl_or_b32 v14, s9, 6, v9
	v_dual_mov_b32 v15, v10 :: v_dual_lshlrev_b32 v12, 3, v2
	v_lshlrev_b32_e32 v13, 3, v3
	ds_load_b64 v[7:8], v11 offset:512
	ds_load_b64 v[5:6], v12 offset:512
	;; [unrolled: 1-line block ×4, first 2 shown]
	s_cmp_le_i32 s30, s5
	s_mov_b32 s15, s4
	s_mov_b32 s16, s30
	s_cbranch_scc1 .LBB76_43
.LBB76_42:                              ;   Parent Loop BB76_41 Depth=1
                                        ; =>  This Inner Loop Header: Depth=2
	v_mov_b32_e32 v28, s15
	s_add_i32 s16, s16, -4
	s_addk_i32 s15, 0xff00
	s_cmp_le_i32 s16, s5
	ds_load_2addr_b64 v[16:19], v15 offset0:16 offset1:24
	ds_load_2addr_b64 v[20:23], v28 offset0:26 offset1:27
	;; [unrolled: 1-line block ×3, first 2 shown]
	s_waitcnt lgkmcnt(1)
	v_fma_f64 v[22:23], -v[18:19], v[22:23], v[7:8]
	v_fma_f64 v[20:21], -v[18:19], v[20:21], v[5:6]
	s_waitcnt lgkmcnt(0)
	v_fma_f64 v[26:27], -v[18:19], v[26:27], v[3:4]
	v_fma_f64 v[18:19], -v[18:19], v[24:25], v[1:2]
	ds_load_2addr_b64 v[1:4], v28 offset0:18 offset1:19
	ds_load_2addr_b64 v[5:8], v28 offset0:16 offset1:17
	s_waitcnt lgkmcnt(1)
	v_fma_f64 v[22:23], -v[16:17], v[3:4], v[22:23]
	v_fma_f64 v[20:21], -v[16:17], v[1:2], v[20:21]
	s_waitcnt lgkmcnt(0)
	v_fma_f64 v[24:25], -v[16:17], v[7:8], v[26:27]
	v_fma_f64 v[26:27], -v[16:17], v[5:6], v[18:19]
	ds_load_2addr_b64 v[1:4], v15 offset1:8
	ds_load_2addr_b64 v[5:8], v28 offset0:10 offset1:11
	ds_load_2addr_b64 v[16:19], v28 offset0:8 offset1:9
	v_add_nc_u32_e32 v15, 0xffffff00, v15
	s_waitcnt lgkmcnt(1)
	v_fma_f64 v[7:8], -v[3:4], v[7:8], v[22:23]
	v_fma_f64 v[20:21], -v[3:4], v[5:6], v[20:21]
	s_waitcnt lgkmcnt(0)
	v_fma_f64 v[22:23], -v[3:4], v[18:19], v[24:25]
	v_fma_f64 v[24:25], -v[3:4], v[16:17], v[26:27]
	ds_load_2addr_b64 v[3:6], v28 offset0:2 offset1:3
	ds_load_2addr_b64 v[16:19], v28 offset1:1
	s_waitcnt lgkmcnt(1)
	v_fma_f64 v[7:8], -v[1:2], v[5:6], v[7:8]
	v_fma_f64 v[5:6], -v[1:2], v[3:4], v[20:21]
	s_waitcnt lgkmcnt(0)
	v_fma_f64 v[3:4], -v[1:2], v[18:19], v[22:23]
	v_fma_f64 v[1:2], -v[1:2], v[16:17], v[24:25]
	s_cbranch_scc0 .LBB76_42
.LBB76_43:                              ;   in Loop: Header=BB76_41 Depth=1
	s_add_i32 s14, s13, s14
	s_add_i32 s13, s13, s9
	s_lshl_b32 s14, s14, 3
	s_delay_alu instid0(SALU_CYCLE_1) | instskip(SKIP_3) | instid1(SALU_CYCLE_1)
	v_dual_mov_b32 v15, s14 :: v_dual_add_nc_u32 v12, 0x200, v12
	s_mul_i32 s14, s5, 0x48
	s_lshl_b32 s13, s13, 3
	s_add_i32 s15, s14, 0xffffffb8
	v_dual_mov_b32 v19, s15 :: v_dual_add_nc_u32 v14, 0x200, v14
	ds_load_2addr_b64 v[15:18], v15 offset1:1
	s_add_i32 s12, s12, s9
	s_add_i32 s8, s8, s9
	s_lshl_b32 s12, s12, 3
	ds_load_b64 v[19:20], v19
	s_lshl_b32 s8, s8, 3
	v_add_nc_u32_e32 v11, 0x200, v11
	v_add_nc_u32_e32 v13, 0x200, v13
	s_sub_i32 s4, s4, 32
	s_waitcnt lgkmcnt(1)
	v_div_scale_f64 v[21:22], null, v[17:18], v[17:18], v[7:8]
	v_div_scale_f64 v[27:28], vcc_lo, v[7:8], v[17:18], v[7:8]
	s_delay_alu instid0(VALU_DEP_2) | instskip(SKIP_2) | instid1(VALU_DEP_1)
	v_rcp_f64_e32 v[23:24], v[21:22]
	s_waitcnt_depctr 0xfff
	v_fma_f64 v[25:26], -v[21:22], v[23:24], 1.0
	v_fma_f64 v[23:24], v[23:24], v[25:26], v[23:24]
	s_delay_alu instid0(VALU_DEP_1) | instskip(NEXT) | instid1(VALU_DEP_1)
	v_fma_f64 v[25:26], -v[21:22], v[23:24], 1.0
	v_fma_f64 v[23:24], v[23:24], v[25:26], v[23:24]
	s_delay_alu instid0(VALU_DEP_1) | instskip(NEXT) | instid1(VALU_DEP_1)
	v_mul_f64 v[25:26], v[27:28], v[23:24]
	v_fma_f64 v[21:22], -v[21:22], v[25:26], v[27:28]
	s_delay_alu instid0(VALU_DEP_1) | instskip(NEXT) | instid1(VALU_DEP_1)
	v_div_fmas_f64 v[21:22], v[21:22], v[23:24], v[25:26]
	v_div_fixup_f64 v[21:22], v[21:22], v[17:18], v[7:8]
	s_delay_alu instid0(VALU_DEP_1) | instskip(SKIP_1) | instid1(VALU_DEP_1)
	v_fma_f64 v[23:24], -v[21:22], v[15:16], v[5:6]
	s_waitcnt lgkmcnt(0)
	v_div_scale_f64 v[5:6], null, v[19:20], v[19:20], v[23:24]
	v_div_scale_f64 v[17:18], vcc_lo, v[23:24], v[19:20], v[23:24]
	s_delay_alu instid0(VALU_DEP_2) | instskip(SKIP_2) | instid1(VALU_DEP_1)
	v_rcp_f64_e32 v[7:8], v[5:6]
	s_waitcnt_depctr 0xfff
	v_fma_f64 v[15:16], -v[5:6], v[7:8], 1.0
	v_fma_f64 v[7:8], v[7:8], v[15:16], v[7:8]
	s_delay_alu instid0(VALU_DEP_1) | instskip(NEXT) | instid1(VALU_DEP_1)
	v_fma_f64 v[15:16], -v[5:6], v[7:8], 1.0
	v_fma_f64 v[7:8], v[7:8], v[15:16], v[7:8]
	s_delay_alu instid0(VALU_DEP_1) | instskip(NEXT) | instid1(VALU_DEP_1)
	v_mul_f64 v[15:16], v[17:18], v[7:8]
	v_fma_f64 v[5:6], -v[5:6], v[15:16], v[17:18]
	s_delay_alu instid0(VALU_DEP_1)
	v_div_fmas_f64 v[25:26], v[5:6], v[7:8], v[15:16]
	v_mov_b32_e32 v5, s13
	v_mov_b32_e32 v15, s12
	ds_load_2addr_b64 v[5:8], v5 offset1:1
	ds_load_2addr_b64 v[15:18], v15 offset1:1
	s_waitcnt lgkmcnt(1)
	v_fma_f64 v[3:4], -v[21:22], v[7:8], v[3:4]
	v_fma_f64 v[1:2], -v[21:22], v[5:6], v[1:2]
	v_div_fixup_f64 v[7:8], v[25:26], v[19:20], v[23:24]
	s_waitcnt lgkmcnt(0)
	s_delay_alu instid0(VALU_DEP_1) | instskip(SKIP_2) | instid1(VALU_DEP_4)
	v_fma_f64 v[3:4], -v[7:8], v[17:18], v[3:4]
	v_mov_b32_e32 v17, s8
	s_add_i32 s8, s14, 0xffffff28
	v_fma_f64 v[1:2], -v[7:8], v[15:16], v[1:2]
	v_mov_b32_e32 v23, s8
	s_add_i32 s8, s5, -4
	ds_load_2addr_b64 v[17:20], v17 offset1:1
	s_cmp_lt_i32 s5, 7
	ds_load_b64 v[23:24], v23
	s_waitcnt lgkmcnt(1)
	v_div_scale_f64 v[25:26], null, v[19:20], v[19:20], v[3:4]
	v_div_scale_f64 v[31:32], vcc_lo, v[3:4], v[19:20], v[3:4]
	s_delay_alu instid0(VALU_DEP_2) | instskip(SKIP_2) | instid1(VALU_DEP_1)
	v_rcp_f64_e32 v[27:28], v[25:26]
	s_waitcnt_depctr 0xfff
	v_fma_f64 v[29:30], -v[25:26], v[27:28], 1.0
	v_fma_f64 v[27:28], v[27:28], v[29:30], v[27:28]
	s_delay_alu instid0(VALU_DEP_1) | instskip(NEXT) | instid1(VALU_DEP_1)
	v_fma_f64 v[29:30], -v[25:26], v[27:28], 1.0
	v_fma_f64 v[27:28], v[27:28], v[29:30], v[27:28]
	s_delay_alu instid0(VALU_DEP_1) | instskip(NEXT) | instid1(VALU_DEP_1)
	v_mul_f64 v[29:30], v[31:32], v[27:28]
	v_fma_f64 v[25:26], -v[25:26], v[29:30], v[31:32]
	s_delay_alu instid0(VALU_DEP_1) | instskip(NEXT) | instid1(VALU_DEP_1)
	v_div_fmas_f64 v[5:6], v[25:26], v[27:28], v[29:30]
	v_div_fixup_f64 v[3:4], v[5:6], v[19:20], v[3:4]
	s_delay_alu instid0(VALU_DEP_1) | instskip(SKIP_1) | instid1(VALU_DEP_1)
	v_fma_f64 v[1:2], -v[3:4], v[17:18], v[1:2]
	s_waitcnt lgkmcnt(0)
	v_div_scale_f64 v[5:6], null, v[23:24], v[23:24], v[1:2]
	s_delay_alu instid0(VALU_DEP_1) | instskip(SKIP_2) | instid1(VALU_DEP_1)
	v_rcp_f64_e32 v[15:16], v[5:6]
	s_waitcnt_depctr 0xfff
	v_fma_f64 v[17:18], -v[5:6], v[15:16], 1.0
	v_fma_f64 v[15:16], v[15:16], v[17:18], v[15:16]
	s_delay_alu instid0(VALU_DEP_1) | instskip(NEXT) | instid1(VALU_DEP_1)
	v_fma_f64 v[17:18], -v[5:6], v[15:16], 1.0
	v_fma_f64 v[15:16], v[15:16], v[17:18], v[15:16]
	v_div_scale_f64 v[17:18], vcc_lo, v[1:2], v[23:24], v[1:2]
	s_delay_alu instid0(VALU_DEP_1) | instskip(NEXT) | instid1(VALU_DEP_1)
	v_mul_f64 v[19:20], v[17:18], v[15:16]
	v_fma_f64 v[5:6], -v[5:6], v[19:20], v[17:18]
	s_delay_alu instid0(VALU_DEP_1) | instskip(NEXT) | instid1(VALU_DEP_1)
	v_div_fmas_f64 v[5:6], v[5:6], v[15:16], v[19:20]
	v_div_fixup_f64 v[1:2], v[5:6], v[23:24], v[1:2]
	ds_store_b64 v11, v[21:22]
	ds_store_b64 v12, v[7:8]
	;; [unrolled: 1-line block ×4, first 2 shown]
	s_cbranch_scc1 .LBB76_45
; %bb.44:                               ;   in Loop: Header=BB76_41 Depth=1
	s_mov_b32 s5, s8
	s_branch .LBB76_41
.LBB76_45:
	s_cmp_lt_i32 s8, 0
	s_cbranch_scc1 .LBB76_58
; %bb.46:
	s_bitcmp1_b32 s8, 0
	s_cselect_b32 s4, -1, 0
	s_delay_alu instid0(SALU_CYCLE_1)
	s_and_b32 vcc_lo, exec_lo, s4
	s_mov_b32 s4, s8
	s_cbranch_vccnz .LBB76_51
; %bb.47:
	s_lshl_b32 s4, s8, 3
	s_cmp_le_i32 s30, s8
	v_or_b32_e32 v1, s4, v0
	s_delay_alu instid0(VALU_DEP_1)
	v_lshlrev_b32_e32 v3, 3, v1
	ds_load_b64 v[1:2], v3 offset:512
	s_cbranch_scc1 .LBB76_50
; %bb.48:
	s_lshl_b32 s5, s29, 6
	s_delay_alu instid0(SALU_CYCLE_1) | instskip(SKIP_1) | instid1(SALU_CYCLE_1)
	v_lshl_or_b32 v4, v0, 3, s5
	s_add_i32 s5, s5, s4
	s_sub_i32 s4, s5, 64
	s_mov_b32 s5, s30
	s_delay_alu instid0(VALU_DEP_1)
	v_add_nc_u32_e32 v4, 0x1c0, v4
.LBB76_49:                              ; =>This Inner Loop Header: Depth=1
	v_mov_b32_e32 v7, s4
	s_add_i32 s5, s5, -1
	s_sub_i32 s4, s4, 64
	s_cmp_gt_i32 s5, s8
	ds_load_b64 v[5:6], v4
	ds_load_b64 v[7:8], v7
	v_subrev_nc_u32_e32 v4, 64, v4
	s_waitcnt lgkmcnt(0)
	v_fma_f64 v[1:2], -v[5:6], v[7:8], v[1:2]
	s_cbranch_scc1 .LBB76_49
.LBB76_50:
	s_mul_i32 s4, s8, 0x48
	s_delay_alu instid0(SALU_CYCLE_1) | instskip(SKIP_4) | instid1(VALU_DEP_1)
	v_dual_mov_b32 v4, s4 :: v_dual_add_nc_u32 v3, 0x200, v3
	s_add_i32 s4, s8, -1
	ds_load_b64 v[4:5], v4
	s_waitcnt lgkmcnt(0)
	v_div_scale_f64 v[6:7], null, v[4:5], v[4:5], v[1:2]
	v_rcp_f64_e32 v[8:9], v[6:7]
	s_waitcnt_depctr 0xfff
	v_fma_f64 v[10:11], -v[6:7], v[8:9], 1.0
	s_delay_alu instid0(VALU_DEP_1) | instskip(NEXT) | instid1(VALU_DEP_1)
	v_fma_f64 v[8:9], v[8:9], v[10:11], v[8:9]
	v_fma_f64 v[10:11], -v[6:7], v[8:9], 1.0
	s_delay_alu instid0(VALU_DEP_1) | instskip(SKIP_1) | instid1(VALU_DEP_1)
	v_fma_f64 v[8:9], v[8:9], v[10:11], v[8:9]
	v_div_scale_f64 v[10:11], vcc_lo, v[1:2], v[4:5], v[1:2]
	v_mul_f64 v[12:13], v[10:11], v[8:9]
	s_delay_alu instid0(VALU_DEP_1) | instskip(NEXT) | instid1(VALU_DEP_1)
	v_fma_f64 v[6:7], -v[6:7], v[12:13], v[10:11]
	v_div_fmas_f64 v[6:7], v[6:7], v[8:9], v[12:13]
	s_delay_alu instid0(VALU_DEP_1)
	v_div_fixup_f64 v[1:2], v[6:7], v[4:5], v[1:2]
	ds_store_b64 v3, v[1:2]
.LBB76_51:
	s_cmp_eq_u32 s8, 0
	s_cbranch_scc1 .LBB76_58
; %bb.52:
	s_lshl_b32 s5, s29, 6
	s_lshl_b32 s8, s4, 3
	v_lshl_or_b32 v1, v0, 3, s5
	v_lshlrev_b32_e32 v6, 3, v0
	s_add_i32 s8, s5, s8
	s_delay_alu instid0(SALU_CYCLE_1) | instskip(NEXT) | instid1(VALU_DEP_2)
	s_sub_i32 s5, s8, 64
	v_add_nc_u32_e32 v5, 0x1c0, v1
	s_addk_i32 s8, 0xffb8
	s_branch .LBB76_54
.LBB76_53:                              ;   in Loop: Header=BB76_54 Depth=1
	s_addk_i32 s9, 0xffb8
	s_delay_alu instid0(SALU_CYCLE_1)
	v_dual_mov_b32 v2, s9 :: v_dual_add_nc_u32 v1, 0x200, v7
	s_add_i32 s9, s4, -2
	s_add_i32 s5, s5, -16
	s_add_i32 s8, s8, -16
	s_cmp_lt_i32 s4, 2
	ds_load_b64 v[7:8], v2
	s_mov_b32 s4, s9
	s_waitcnt lgkmcnt(0)
	v_div_scale_f64 v[9:10], null, v[7:8], v[7:8], v[3:4]
	s_delay_alu instid0(VALU_DEP_1) | instskip(SKIP_2) | instid1(VALU_DEP_1)
	v_rcp_f64_e32 v[11:12], v[9:10]
	s_waitcnt_depctr 0xfff
	v_fma_f64 v[13:14], -v[9:10], v[11:12], 1.0
	v_fma_f64 v[11:12], v[11:12], v[13:14], v[11:12]
	s_delay_alu instid0(VALU_DEP_1) | instskip(NEXT) | instid1(VALU_DEP_1)
	v_fma_f64 v[13:14], -v[9:10], v[11:12], 1.0
	v_fma_f64 v[11:12], v[11:12], v[13:14], v[11:12]
	v_div_scale_f64 v[13:14], vcc_lo, v[3:4], v[7:8], v[3:4]
	s_delay_alu instid0(VALU_DEP_1) | instskip(NEXT) | instid1(VALU_DEP_1)
	v_mul_f64 v[15:16], v[13:14], v[11:12]
	v_fma_f64 v[9:10], -v[9:10], v[15:16], v[13:14]
	s_delay_alu instid0(VALU_DEP_1) | instskip(NEXT) | instid1(VALU_DEP_1)
	v_div_fmas_f64 v[9:10], v[9:10], v[11:12], v[15:16]
	v_div_fixup_f64 v[2:3], v[9:10], v[7:8], v[3:4]
	ds_store_b64 v1, v[2:3]
	s_cbranch_scc1 .LBB76_58
.LBB76_54:                              ; =>This Loop Header: Depth=1
                                        ;     Child Loop BB76_55 Depth 2
                                        ;     Child Loop BB76_57 Depth 2
	v_lshl_or_b32 v3, s4, 6, v6
	s_delay_alu instid0(VALU_DEP_2)
	v_mov_b32_e32 v4, v5
	s_cmp_le_i32 s30, s4
	s_mov_b32 s9, s5
	s_mov_b32 s12, s30
	ds_load_b64 v[1:2], v3 offset:512
	s_cbranch_scc1 .LBB76_56
.LBB76_55:                              ;   Parent Loop BB76_54 Depth=1
                                        ; =>  This Inner Loop Header: Depth=2
	v_mov_b32_e32 v9, s9
	s_add_i32 s12, s12, -1
	s_sub_i32 s9, s9, 64
	s_cmp_le_i32 s12, s4
	ds_load_b64 v[7:8], v4
	ds_load_b64 v[9:10], v9
	v_subrev_nc_u32_e32 v4, 64, v4
	s_waitcnt lgkmcnt(0)
	v_fma_f64 v[1:2], -v[7:8], v[9:10], v[1:2]
	s_cbranch_scc0 .LBB76_55
.LBB76_56:                              ;   in Loop: Header=BB76_54 Depth=1
	s_mul_i32 s9, s4, 0x48
	s_delay_alu instid0(SALU_CYCLE_1)
	v_dual_mov_b32 v3, s9 :: v_dual_add_nc_u32 v8, 0x200, v3
	s_lshl_b32 s12, s4, 6
	s_mov_b32 s13, s29
	s_sub_i32 s12, s12, 64
	s_cmp_lt_i32 s30, s4
	ds_load_b64 v[9:10], v3
	v_lshl_or_b32 v7, v0, 3, s12
	s_mov_b32 s12, s8
	ds_load_b64 v[3:4], v7 offset:512
	s_waitcnt lgkmcnt(1)
	v_div_scale_f64 v[11:12], null, v[9:10], v[9:10], v[1:2]
	s_delay_alu instid0(VALU_DEP_1) | instskip(SKIP_2) | instid1(VALU_DEP_1)
	v_rcp_f64_e32 v[13:14], v[11:12]
	s_waitcnt_depctr 0xfff
	v_fma_f64 v[15:16], -v[11:12], v[13:14], 1.0
	v_fma_f64 v[13:14], v[13:14], v[15:16], v[13:14]
	s_delay_alu instid0(VALU_DEP_1) | instskip(NEXT) | instid1(VALU_DEP_1)
	v_fma_f64 v[15:16], -v[11:12], v[13:14], 1.0
	v_fma_f64 v[13:14], v[13:14], v[15:16], v[13:14]
	v_div_scale_f64 v[15:16], vcc_lo, v[1:2], v[9:10], v[1:2]
	s_delay_alu instid0(VALU_DEP_1) | instskip(NEXT) | instid1(VALU_DEP_1)
	v_mul_f64 v[17:18], v[15:16], v[13:14]
	v_fma_f64 v[11:12], -v[11:12], v[17:18], v[15:16]
	s_delay_alu instid0(VALU_DEP_1) | instskip(NEXT) | instid1(VALU_DEP_1)
	v_div_fmas_f64 v[11:12], v[11:12], v[13:14], v[17:18]
	v_div_fixup_f64 v[9:10], v[11:12], v[9:10], v[1:2]
	v_mov_b32_e32 v1, v5
	ds_store_b64 v8, v[9:10]
	s_cbranch_scc1 .LBB76_53
.LBB76_57:                              ;   Parent Loop BB76_54 Depth=1
                                        ; =>  This Inner Loop Header: Depth=2
	v_mov_b32_e32 v2, s12
	s_add_i32 s13, s13, -1
	s_sub_i32 s12, s12, 64
	s_cmp_gt_i32 s13, s4
	ds_load_b64 v[8:9], v1
	ds_load_b64 v[10:11], v2
	v_subrev_nc_u32_e32 v1, 64, v1
	s_waitcnt lgkmcnt(0)
	v_fma_f64 v[3:4], -v[8:9], v[10:11], v[3:4]
	s_cbranch_scc1 .LBB76_57
	s_branch .LBB76_53
.LBB76_58:
	s_mov_b32 s4, 0
.LBB76_59:
	s_delay_alu instid0(SALU_CYCLE_1)
	s_and_not1_b32 vcc_lo, exec_lo, s4
	s_cbranch_vccnz .LBB76_79
; %bb.60:
	s_and_not1_b32 vcc_lo, exec_lo, s1
	s_mov_b32 s5, s30
	s_cbranch_vccnz .LBB76_66
; %bb.61:
	v_lshlrev_b32_e32 v9, 3, v0
	s_mul_i32 s1, s29, 0x48
	s_mov_b32 s4, s30
	s_addk_i32 s1, 0xfee0
	s_delay_alu instid0(VALU_DEP_1) | instskip(NEXT) | instid1(VALU_DEP_1)
	v_lshl_or_b32 v1, s29, 6, v9
	v_add_nc_u32_e32 v10, 0x100, v1
.LBB76_62:                              ; =>This Loop Header: Depth=1
                                        ;     Child Loop BB76_63 Depth 2
	s_lshl_b32 s5, s4, 3
	s_add_i32 s8, s4, -1
	v_or_b32_e32 v1, s5, v0
	s_add_i32 s9, s5, -16
	s_sub_i32 s5, s5, 24
	v_or_b32_e32 v2, s9, v0
	v_or_b32_e32 v3, s5, v0
	v_lshlrev_b32_e32 v11, 3, v1
	v_lshl_or_b32 v12, s8, 6, v9
	v_mov_b32_e32 v15, v10
	v_lshlrev_b32_e32 v13, 3, v2
	v_lshlrev_b32_e32 v14, 3, v3
	ds_load_b64 v[7:8], v11 offset:512
	ds_load_b64 v[5:6], v12 offset:512
	;; [unrolled: 1-line block ×4, first 2 shown]
	s_cmp_le_i32 s30, s4
	s_mov_b32 s12, s1
	s_mov_b32 s13, s30
	s_cbranch_scc1 .LBB76_64
.LBB76_63:                              ;   Parent Loop BB76_62 Depth=1
                                        ; =>  This Inner Loop Header: Depth=2
	v_mov_b32_e32 v48, s12
	s_add_i32 s13, s13, -4
	s_sub_i32 s12, s12, 32
	s_cmp_le_i32 s13, s4
	ds_load_2addr_b64 v[16:19], v15 offset0:16 offset1:24
	ds_load_2addr_b64 v[20:23], v48 offset0:26 offset1:27
	;; [unrolled: 1-line block ×8, first 2 shown]
	ds_load_2addr_b64 v[48:51], v48 offset1:1
	s_waitcnt lgkmcnt(7)
	v_fma_f64 v[7:8], -v[18:19], v[22:23], v[7:8]
	s_waitcnt lgkmcnt(6)
	v_fma_f64 v[5:6], -v[18:19], v[26:27], v[5:6]
	s_waitcnt lgkmcnt(5)
	v_fma_f64 v[3:4], -v[18:19], v[30:31], v[3:4]
	s_waitcnt lgkmcnt(4)
	v_fma_f64 v[1:2], -v[18:19], v[34:35], v[1:2]
	s_delay_alu instid0(VALU_DEP_4) | instskip(NEXT) | instid1(VALU_DEP_4)
	v_fma_f64 v[7:8], -v[16:17], v[20:21], v[7:8]
	v_fma_f64 v[5:6], -v[16:17], v[24:25], v[5:6]
	s_delay_alu instid0(VALU_DEP_4) | instskip(NEXT) | instid1(VALU_DEP_4)
	v_fma_f64 v[18:19], -v[16:17], v[28:29], v[3:4]
	v_fma_f64 v[16:17], -v[16:17], v[32:33], v[1:2]
	ds_load_2addr_b64 v[1:4], v15 offset1:8
	v_add_nc_u32_e32 v15, 0xffffff00, v15
	s_waitcnt lgkmcnt(0)
	v_fma_f64 v[7:8], -v[3:4], v[38:39], v[7:8]
	v_fma_f64 v[5:6], -v[3:4], v[42:43], v[5:6]
	;; [unrolled: 1-line block ×4, first 2 shown]
	s_delay_alu instid0(VALU_DEP_4) | instskip(NEXT) | instid1(VALU_DEP_4)
	v_fma_f64 v[7:8], -v[1:2], v[36:37], v[7:8]
	v_fma_f64 v[5:6], -v[1:2], v[40:41], v[5:6]
	s_delay_alu instid0(VALU_DEP_4) | instskip(NEXT) | instid1(VALU_DEP_4)
	v_fma_f64 v[3:4], -v[1:2], v[44:45], v[18:19]
	v_fma_f64 v[1:2], -v[1:2], v[48:49], v[16:17]
	s_cbranch_scc0 .LBB76_63
.LBB76_64:                              ;   in Loop: Header=BB76_62 Depth=1
	s_mul_i32 s12, s4, 0x48
	s_delay_alu instid0(SALU_CYCLE_1)
	v_dual_mov_b32 v15, s12 :: v_dual_add_nc_u32 v12, 0x200, v12
	s_add_i32 s13, s12, 0xffffffb8
	v_add_nc_u32_e32 v14, 0x200, v14
	s_add_i32 s9, s9, s4
	s_add_i32 s5, s5, s8
	ds_load_b64 v[19:20], v15
	v_mov_b32_e32 v15, s13
	s_lshl_b32 s9, s9, 3
	s_lshl_b32 s5, s5, 3
	v_add_nc_u32_e32 v11, 0x200, v11
	v_add_nc_u32_e32 v13, 0x200, v13
	ds_load_2addr_b64 v[15:18], v15 offset1:1
	s_addk_i32 s1, 0xff00
	s_waitcnt lgkmcnt(1)
	v_div_scale_f64 v[21:22], null, v[19:20], v[19:20], v[7:8]
	v_div_scale_f64 v[27:28], vcc_lo, v[7:8], v[19:20], v[7:8]
	s_delay_alu instid0(VALU_DEP_2) | instskip(SKIP_2) | instid1(VALU_DEP_1)
	v_rcp_f64_e32 v[23:24], v[21:22]
	s_waitcnt_depctr 0xfff
	v_fma_f64 v[25:26], -v[21:22], v[23:24], 1.0
	v_fma_f64 v[23:24], v[23:24], v[25:26], v[23:24]
	s_delay_alu instid0(VALU_DEP_1) | instskip(NEXT) | instid1(VALU_DEP_1)
	v_fma_f64 v[25:26], -v[21:22], v[23:24], 1.0
	v_fma_f64 v[23:24], v[23:24], v[25:26], v[23:24]
	s_delay_alu instid0(VALU_DEP_1) | instskip(NEXT) | instid1(VALU_DEP_1)
	v_mul_f64 v[25:26], v[27:28], v[23:24]
	v_fma_f64 v[21:22], -v[21:22], v[25:26], v[27:28]
	s_delay_alu instid0(VALU_DEP_1) | instskip(NEXT) | instid1(VALU_DEP_1)
	v_div_fmas_f64 v[21:22], v[21:22], v[23:24], v[25:26]
	v_div_fixup_f64 v[23:24], v[21:22], v[19:20], v[7:8]
	s_waitcnt lgkmcnt(0)
	s_delay_alu instid0(VALU_DEP_1) | instskip(NEXT) | instid1(VALU_DEP_1)
	v_fma_f64 v[17:18], -v[23:24], v[17:18], v[5:6]
	v_div_scale_f64 v[5:6], null, v[15:16], v[15:16], v[17:18]
	v_div_scale_f64 v[21:22], vcc_lo, v[17:18], v[15:16], v[17:18]
	s_delay_alu instid0(VALU_DEP_2) | instskip(SKIP_2) | instid1(VALU_DEP_1)
	v_rcp_f64_e32 v[7:8], v[5:6]
	s_waitcnt_depctr 0xfff
	v_fma_f64 v[19:20], -v[5:6], v[7:8], 1.0
	v_fma_f64 v[7:8], v[7:8], v[19:20], v[7:8]
	s_delay_alu instid0(VALU_DEP_1) | instskip(NEXT) | instid1(VALU_DEP_1)
	v_fma_f64 v[19:20], -v[5:6], v[7:8], 1.0
	v_fma_f64 v[7:8], v[7:8], v[19:20], v[7:8]
	s_delay_alu instid0(VALU_DEP_1) | instskip(NEXT) | instid1(VALU_DEP_1)
	v_mul_f64 v[19:20], v[21:22], v[7:8]
	v_fma_f64 v[5:6], -v[5:6], v[19:20], v[21:22]
	s_delay_alu instid0(VALU_DEP_1)
	v_div_fmas_f64 v[19:20], v[5:6], v[7:8], v[19:20]
	v_mov_b32_e32 v5, s9
	s_add_i32 s9, s12, 0xffffff70
	ds_load_b64 v[21:22], v5
	v_mov_b32_e32 v5, s9
	ds_load_2addr_b64 v[5:8], v5 offset1:1
	s_waitcnt lgkmcnt(1)
	v_fma_f64 v[3:4], -v[23:24], v[21:22], v[3:4]
	v_div_fixup_f64 v[25:26], v[19:20], v[15:16], v[17:18]
	s_waitcnt lgkmcnt(0)
	s_delay_alu instid0(VALU_DEP_1) | instskip(NEXT) | instid1(VALU_DEP_1)
	v_fma_f64 v[3:4], -v[25:26], v[7:8], v[3:4]
	v_div_scale_f64 v[7:8], null, v[5:6], v[5:6], v[3:4]
	v_div_scale_f64 v[19:20], vcc_lo, v[3:4], v[5:6], v[3:4]
	s_delay_alu instid0(VALU_DEP_2) | instskip(SKIP_2) | instid1(VALU_DEP_1)
	v_rcp_f64_e32 v[15:16], v[7:8]
	s_waitcnt_depctr 0xfff
	v_fma_f64 v[17:18], -v[7:8], v[15:16], 1.0
	v_fma_f64 v[15:16], v[15:16], v[17:18], v[15:16]
	s_delay_alu instid0(VALU_DEP_1) | instskip(NEXT) | instid1(VALU_DEP_1)
	v_fma_f64 v[17:18], -v[7:8], v[15:16], 1.0
	v_fma_f64 v[27:28], v[15:16], v[17:18], v[15:16]
	v_mov_b32_e32 v15, s5
	s_add_i32 s5, s12, 0xffffff28
	ds_load_2addr_b64 v[15:18], v15 offset1:1
	v_mul_f64 v[29:30], v[19:20], v[27:28]
	s_delay_alu instid0(VALU_DEP_1)
	v_fma_f64 v[7:8], -v[7:8], v[29:30], v[19:20]
	v_mov_b32_e32 v19, s5
	s_add_i32 s5, s4, -4
	s_cmp_lt_i32 s4, 7
	ds_load_2addr_b64 v[19:22], v19 offset1:1
	s_waitcnt lgkmcnt(1)
	v_fma_f64 v[1:2], -v[23:24], v[17:18], v[1:2]
	v_div_fmas_f64 v[7:8], v[7:8], v[27:28], v[29:30]
	s_delay_alu instid0(VALU_DEP_2) | instskip(NEXT) | instid1(VALU_DEP_2)
	v_fma_f64 v[1:2], -v[25:26], v[15:16], v[1:2]
	v_div_fixup_f64 v[3:4], v[7:8], v[5:6], v[3:4]
	s_waitcnt lgkmcnt(0)
	s_delay_alu instid0(VALU_DEP_1) | instskip(NEXT) | instid1(VALU_DEP_1)
	v_fma_f64 v[1:2], -v[3:4], v[21:22], v[1:2]
	v_div_scale_f64 v[5:6], null, v[19:20], v[19:20], v[1:2]
	s_delay_alu instid0(VALU_DEP_1) | instskip(SKIP_2) | instid1(VALU_DEP_1)
	v_rcp_f64_e32 v[7:8], v[5:6]
	s_waitcnt_depctr 0xfff
	v_fma_f64 v[15:16], -v[5:6], v[7:8], 1.0
	v_fma_f64 v[7:8], v[7:8], v[15:16], v[7:8]
	s_delay_alu instid0(VALU_DEP_1) | instskip(NEXT) | instid1(VALU_DEP_1)
	v_fma_f64 v[15:16], -v[5:6], v[7:8], 1.0
	v_fma_f64 v[7:8], v[7:8], v[15:16], v[7:8]
	v_div_scale_f64 v[15:16], vcc_lo, v[1:2], v[19:20], v[1:2]
	s_delay_alu instid0(VALU_DEP_1) | instskip(NEXT) | instid1(VALU_DEP_1)
	v_mul_f64 v[17:18], v[15:16], v[7:8]
	v_fma_f64 v[5:6], -v[5:6], v[17:18], v[15:16]
	s_delay_alu instid0(VALU_DEP_1) | instskip(NEXT) | instid1(VALU_DEP_1)
	v_div_fmas_f64 v[5:6], v[5:6], v[7:8], v[17:18]
	v_div_fixup_f64 v[1:2], v[5:6], v[19:20], v[1:2]
	ds_store_b64 v11, v[23:24]
	ds_store_b64 v12, v[25:26]
	ds_store_b64 v13, v[3:4]
	ds_store_b64 v14, v[1:2]
	s_cbranch_scc1 .LBB76_66
; %bb.65:                               ;   in Loop: Header=BB76_62 Depth=1
	s_mov_b32 s4, s5
	s_branch .LBB76_62
.LBB76_66:
	s_cmp_lt_i32 s5, 0
	s_cbranch_scc1 .LBB76_79
; %bb.67:
	s_bitcmp1_b32 s5, 0
	s_cselect_b32 s1, -1, 0
	s_delay_alu instid0(SALU_CYCLE_1)
	s_and_b32 vcc_lo, exec_lo, s1
	s_mov_b32 s1, s5
	s_cbranch_vccnz .LBB76_72
; %bb.68:
	v_lshlrev_b32_e32 v4, 3, v0
	s_cmp_le_i32 s30, s5
	s_delay_alu instid0(VALU_DEP_1)
	v_lshl_or_b32 v3, s5, 6, v4
	ds_load_b64 v[1:2], v3 offset:512
	s_cbranch_scc1 .LBB76_71
; %bb.69:
	v_lshl_or_b32 v4, s29, 6, v4
	s_lshl_b32 s1, s5, 6
	s_lshl_b32 s4, s29, 3
	s_delay_alu instid0(SALU_CYCLE_1) | instskip(NEXT) | instid1(VALU_DEP_1)
	s_add_i32 s1, s1, s4
	v_add_nc_u32_e32 v4, 0x1c0, v4
	s_add_i32 s1, s1, -8
	s_mov_b32 s4, s30
.LBB76_70:                              ; =>This Inner Loop Header: Depth=1
	v_mov_b32_e32 v7, s1
	s_add_i32 s4, s4, -1
	s_add_i32 s1, s1, -8
	s_cmp_gt_i32 s4, s5
	ds_load_b64 v[5:6], v4
	ds_load_b64 v[7:8], v7
	v_subrev_nc_u32_e32 v4, 64, v4
	s_waitcnt lgkmcnt(0)
	v_fma_f64 v[1:2], -v[5:6], v[7:8], v[1:2]
	s_cbranch_scc1 .LBB76_70
.LBB76_71:
	s_mul_i32 s1, s5, 0x48
	s_delay_alu instid0(SALU_CYCLE_1) | instskip(SKIP_4) | instid1(VALU_DEP_1)
	v_dual_mov_b32 v4, s1 :: v_dual_add_nc_u32 v3, 0x200, v3
	s_add_i32 s1, s5, -1
	ds_load_b64 v[4:5], v4
	s_waitcnt lgkmcnt(0)
	v_div_scale_f64 v[6:7], null, v[4:5], v[4:5], v[1:2]
	v_rcp_f64_e32 v[8:9], v[6:7]
	s_waitcnt_depctr 0xfff
	v_fma_f64 v[10:11], -v[6:7], v[8:9], 1.0
	s_delay_alu instid0(VALU_DEP_1) | instskip(NEXT) | instid1(VALU_DEP_1)
	v_fma_f64 v[8:9], v[8:9], v[10:11], v[8:9]
	v_fma_f64 v[10:11], -v[6:7], v[8:9], 1.0
	s_delay_alu instid0(VALU_DEP_1) | instskip(SKIP_1) | instid1(VALU_DEP_1)
	v_fma_f64 v[8:9], v[8:9], v[10:11], v[8:9]
	v_div_scale_f64 v[10:11], vcc_lo, v[1:2], v[4:5], v[1:2]
	v_mul_f64 v[12:13], v[10:11], v[8:9]
	s_delay_alu instid0(VALU_DEP_1) | instskip(NEXT) | instid1(VALU_DEP_1)
	v_fma_f64 v[6:7], -v[6:7], v[12:13], v[10:11]
	v_div_fmas_f64 v[6:7], v[6:7], v[8:9], v[12:13]
	s_delay_alu instid0(VALU_DEP_1)
	v_div_fixup_f64 v[1:2], v[6:7], v[4:5], v[1:2]
	ds_store_b64 v3, v[1:2]
.LBB76_72:
	s_cmp_eq_u32 s5, 0
	s_cbranch_scc1 .LBB76_79
; %bb.73:
	v_lshlrev_b32_e32 v5, 3, v0
	s_lshl_b32 s4, s1, 6
	s_lshl_b32 s5, s29, 3
	s_delay_alu instid0(SALU_CYCLE_1) | instskip(NEXT) | instid1(VALU_DEP_1)
	s_add_i32 s5, s4, s5
	v_lshl_or_b32 v1, s29, 6, v5
	s_add_i32 s4, s5, -8
	s_addk_i32 s5, 0xffb8
	s_delay_alu instid0(VALU_DEP_1)
	v_add_nc_u32_e32 v6, 0x1c0, v1
	s_branch .LBB76_75
.LBB76_74:                              ;   in Loop: Header=BB76_75 Depth=1
	s_addk_i32 s8, 0xffb8
	s_delay_alu instid0(SALU_CYCLE_1)
	v_dual_mov_b32 v2, s8 :: v_dual_add_nc_u32 v1, 0x200, v7
	s_add_i32 s8, s1, -2
	s_addk_i32 s4, 0xff80
	s_addk_i32 s5, 0xff80
	s_cmp_lt_i32 s1, 2
	ds_load_b64 v[7:8], v2
	s_mov_b32 s1, s8
	s_waitcnt lgkmcnt(0)
	v_div_scale_f64 v[9:10], null, v[7:8], v[7:8], v[3:4]
	s_delay_alu instid0(VALU_DEP_1) | instskip(SKIP_2) | instid1(VALU_DEP_1)
	v_rcp_f64_e32 v[11:12], v[9:10]
	s_waitcnt_depctr 0xfff
	v_fma_f64 v[13:14], -v[9:10], v[11:12], 1.0
	v_fma_f64 v[11:12], v[11:12], v[13:14], v[11:12]
	s_delay_alu instid0(VALU_DEP_1) | instskip(NEXT) | instid1(VALU_DEP_1)
	v_fma_f64 v[13:14], -v[9:10], v[11:12], 1.0
	v_fma_f64 v[11:12], v[11:12], v[13:14], v[11:12]
	v_div_scale_f64 v[13:14], vcc_lo, v[3:4], v[7:8], v[3:4]
	s_delay_alu instid0(VALU_DEP_1) | instskip(NEXT) | instid1(VALU_DEP_1)
	v_mul_f64 v[15:16], v[13:14], v[11:12]
	v_fma_f64 v[9:10], -v[9:10], v[15:16], v[13:14]
	s_delay_alu instid0(VALU_DEP_1) | instskip(NEXT) | instid1(VALU_DEP_1)
	v_div_fmas_f64 v[9:10], v[9:10], v[11:12], v[15:16]
	v_div_fixup_f64 v[2:3], v[9:10], v[7:8], v[3:4]
	ds_store_b64 v1, v[2:3]
	s_cbranch_scc1 .LBB76_79
.LBB76_75:                              ; =>This Loop Header: Depth=1
                                        ;     Child Loop BB76_76 Depth 2
                                        ;     Child Loop BB76_78 Depth 2
	v_lshl_or_b32 v3, s1, 6, v5
	s_delay_alu instid0(VALU_DEP_2)
	v_mov_b32_e32 v4, v6
	s_cmp_le_i32 s30, s1
	s_mov_b32 s8, s4
	s_mov_b32 s9, s30
	ds_load_b64 v[1:2], v3 offset:512
	s_cbranch_scc1 .LBB76_77
.LBB76_76:                              ;   Parent Loop BB76_75 Depth=1
                                        ; =>  This Inner Loop Header: Depth=2
	v_mov_b32_e32 v9, s8
	s_add_i32 s9, s9, -1
	s_add_i32 s8, s8, -8
	s_cmp_le_i32 s9, s1
	ds_load_b64 v[7:8], v4
	ds_load_b64 v[9:10], v9
	v_subrev_nc_u32_e32 v4, 64, v4
	s_waitcnt lgkmcnt(0)
	v_fma_f64 v[1:2], -v[7:8], v[9:10], v[1:2]
	s_cbranch_scc0 .LBB76_76
.LBB76_77:                              ;   in Loop: Header=BB76_75 Depth=1
	s_mul_i32 s8, s1, 0x48
	s_delay_alu instid0(SALU_CYCLE_1)
	v_dual_mov_b32 v3, s8 :: v_dual_add_nc_u32 v8, 0x200, v3
	s_lshl_b32 s9, s1, 6
	s_mov_b32 s12, s29
	s_sub_i32 s9, s9, 64
	s_cmp_lt_i32 s30, s1
	ds_load_b64 v[9:10], v3
	v_lshl_or_b32 v7, v0, 3, s9
	s_mov_b32 s9, s5
	ds_load_b64 v[3:4], v7 offset:512
	s_waitcnt lgkmcnt(1)
	v_div_scale_f64 v[11:12], null, v[9:10], v[9:10], v[1:2]
	s_delay_alu instid0(VALU_DEP_1) | instskip(SKIP_2) | instid1(VALU_DEP_1)
	v_rcp_f64_e32 v[13:14], v[11:12]
	s_waitcnt_depctr 0xfff
	v_fma_f64 v[15:16], -v[11:12], v[13:14], 1.0
	v_fma_f64 v[13:14], v[13:14], v[15:16], v[13:14]
	s_delay_alu instid0(VALU_DEP_1) | instskip(NEXT) | instid1(VALU_DEP_1)
	v_fma_f64 v[15:16], -v[11:12], v[13:14], 1.0
	v_fma_f64 v[13:14], v[13:14], v[15:16], v[13:14]
	v_div_scale_f64 v[15:16], vcc_lo, v[1:2], v[9:10], v[1:2]
	s_delay_alu instid0(VALU_DEP_1) | instskip(NEXT) | instid1(VALU_DEP_1)
	v_mul_f64 v[17:18], v[15:16], v[13:14]
	v_fma_f64 v[11:12], -v[11:12], v[17:18], v[15:16]
	s_delay_alu instid0(VALU_DEP_1) | instskip(NEXT) | instid1(VALU_DEP_1)
	v_div_fmas_f64 v[11:12], v[11:12], v[13:14], v[17:18]
	v_div_fixup_f64 v[9:10], v[11:12], v[9:10], v[1:2]
	v_mov_b32_e32 v1, v6
	ds_store_b64 v8, v[9:10]
	s_cbranch_scc1 .LBB76_74
.LBB76_78:                              ;   Parent Loop BB76_75 Depth=1
                                        ; =>  This Inner Loop Header: Depth=2
	v_mov_b32_e32 v2, s9
	s_add_i32 s12, s12, -1
	s_add_i32 s9, s9, -8
	s_cmp_gt_i32 s12, s1
	ds_load_b64 v[8:9], v1
	ds_load_b64 v[10:11], v2
	v_subrev_nc_u32_e32 v1, 64, v1
	s_waitcnt lgkmcnt(0)
	v_fma_f64 v[3:4], -v[8:9], v[10:11], v[3:4]
	s_cbranch_scc1 .LBB76_78
	s_branch .LBB76_74
.LBB76_79:
	s_mov_b32 s8, 0
.LBB76_80:
	s_delay_alu instid0(SALU_CYCLE_1)
	s_and_not1_b32 vcc_lo, exec_lo, s8
	s_cbranch_vccnz .LBB76_99
; %bb.81:
	s_cmp_lt_i32 s28, 4
	s_mov_b32 s4, 0
	s_cbranch_scc1 .LBB76_88
; %bb.82:
	v_lshl_or_b32 v9, v0, 3, 0x200
	s_mov_b32 s1, 0
	s_mov_b32 s5, 0
.LBB76_83:                              ; =>This Loop Header: Depth=1
                                        ;     Child Loop BB76_85 Depth 2
	s_delay_alu instid0(SALU_CYCLE_1) | instskip(NEXT) | instid1(SALU_CYCLE_1)
	s_lshl_b32 s4, s5, 3
	s_or_b32 s9, s4, 8
	v_or_b32_e32 v1, s4, v0
	s_or_b32 s8, s4, 16
	v_or_b32_e32 v2, s9, v0
	;; [unrolled: 2-line block ×3, first 2 shown]
	v_or_b32_e32 v4, s4, v0
	v_lshlrev_b32_e32 v10, 3, v1
	v_lshlrev_b32_e32 v11, 3, v2
	s_cmp_eq_u32 s5, 0
	v_lshlrev_b32_e32 v12, 3, v3
	v_lshlrev_b32_e32 v13, 3, v4
	ds_load_b64 v[7:8], v10 offset:512
	ds_load_b64 v[5:6], v11 offset:512
	;; [unrolled: 1-line block ×4, first 2 shown]
	s_cbranch_scc1 .LBB76_86
; %bb.84:                               ;   in Loop: Header=BB76_83 Depth=1
	v_mov_b32_e32 v14, v9
	s_mov_b32 s12, 0
	s_mov_b32 s13, s1
	.p2align	6
.LBB76_85:                              ;   Parent Loop BB76_83 Depth=1
                                        ; =>  This Inner Loop Header: Depth=2
	s_delay_alu instid0(SALU_CYCLE_1)
	v_mov_b32_e32 v19, s13
	s_add_i32 s12, s12, 1
	s_add_i32 s13, s13, 8
	s_cmp_ge_u32 s12, s5
	ds_load_b64 v[23:24], v14
	ds_load_2addr_b64 v[15:18], v19 offset1:8
	ds_load_2addr_b64 v[19:22], v19 offset0:16 offset1:24
	v_add_nc_u32_e32 v14, 64, v14
	s_waitcnt lgkmcnt(1)
	v_fma_f64 v[7:8], -v[23:24], v[15:16], v[7:8]
	v_fma_f64 v[5:6], -v[23:24], v[17:18], v[5:6]
	s_waitcnt lgkmcnt(0)
	v_fma_f64 v[3:4], -v[23:24], v[19:20], v[3:4]
	v_fma_f64 v[1:2], -v[23:24], v[21:22], v[1:2]
	s_cbranch_scc0 .LBB76_85
.LBB76_86:                              ;   in Loop: Header=BB76_83 Depth=1
	s_mul_i32 s12, s5, 0x48
	s_delay_alu instid0(SALU_CYCLE_1)
	v_dual_mov_b32 v14, s12 :: v_dual_add_nc_u32 v11, 0x200, v11
	s_add_i32 s9, s9, s5
	s_add_i32 s8, s8, s5
	s_lshl_b32 s9, s9, 3
	v_add_nc_u32_e32 v13, 0x200, v13
	ds_load_2addr_b64 v[14:17], v14 offset1:18
	s_lshl_b32 s8, s8, 3
	s_add_i32 s4, s4, s5
	v_add_nc_u32_e32 v10, 0x200, v10
	s_lshl_b32 s4, s4, 3
	v_add_nc_u32_e32 v12, 0x200, v12
	s_addk_i32 s1, 0x100
	s_waitcnt lgkmcnt(0)
	v_div_scale_f64 v[18:19], null, v[14:15], v[14:15], v[7:8]
	v_div_scale_f64 v[24:25], vcc_lo, v[7:8], v[14:15], v[7:8]
	s_delay_alu instid0(VALU_DEP_2) | instskip(SKIP_2) | instid1(VALU_DEP_1)
	v_rcp_f64_e32 v[20:21], v[18:19]
	s_waitcnt_depctr 0xfff
	v_fma_f64 v[22:23], -v[18:19], v[20:21], 1.0
	v_fma_f64 v[20:21], v[20:21], v[22:23], v[20:21]
	s_delay_alu instid0(VALU_DEP_1) | instskip(NEXT) | instid1(VALU_DEP_1)
	v_fma_f64 v[22:23], -v[18:19], v[20:21], 1.0
	v_fma_f64 v[20:21], v[20:21], v[22:23], v[20:21]
	s_delay_alu instid0(VALU_DEP_1) | instskip(NEXT) | instid1(VALU_DEP_1)
	v_mul_f64 v[22:23], v[24:25], v[20:21]
	v_fma_f64 v[18:19], -v[18:19], v[22:23], v[24:25]
	s_delay_alu instid0(VALU_DEP_1) | instskip(NEXT) | instid1(VALU_DEP_1)
	v_div_fmas_f64 v[18:19], v[18:19], v[20:21], v[22:23]
	v_div_fixup_f64 v[7:8], v[18:19], v[14:15], v[7:8]
	v_mov_b32_e32 v14, s9
	ds_load_b128 v[18:21], v14
	v_mov_b32_e32 v14, s8
	ds_load_b128 v[22:25], v14
	s_waitcnt lgkmcnt(1)
	v_fma_f64 v[5:6], -v[7:8], v[18:19], v[5:6]
	s_waitcnt lgkmcnt(0)
	v_fma_f64 v[3:4], -v[7:8], v[22:23], v[3:4]
	s_delay_alu instid0(VALU_DEP_2) | instskip(SKIP_1) | instid1(VALU_DEP_2)
	v_div_scale_f64 v[14:15], null, v[20:21], v[20:21], v[5:6]
	v_div_scale_f64 v[28:29], vcc_lo, v[5:6], v[20:21], v[5:6]
	v_rcp_f64_e32 v[18:19], v[14:15]
	s_waitcnt_depctr 0xfff
	v_fma_f64 v[26:27], -v[14:15], v[18:19], 1.0
	s_delay_alu instid0(VALU_DEP_1) | instskip(NEXT) | instid1(VALU_DEP_1)
	v_fma_f64 v[18:19], v[18:19], v[26:27], v[18:19]
	v_fma_f64 v[26:27], -v[14:15], v[18:19], 1.0
	s_delay_alu instid0(VALU_DEP_1) | instskip(NEXT) | instid1(VALU_DEP_1)
	v_fma_f64 v[18:19], v[18:19], v[26:27], v[18:19]
	v_mul_f64 v[26:27], v[28:29], v[18:19]
	s_delay_alu instid0(VALU_DEP_1) | instskip(NEXT) | instid1(VALU_DEP_1)
	v_fma_f64 v[14:15], -v[14:15], v[26:27], v[28:29]
	v_div_fmas_f64 v[14:15], v[14:15], v[18:19], v[26:27]
	s_delay_alu instid0(VALU_DEP_1) | instskip(NEXT) | instid1(VALU_DEP_1)
	v_div_fixup_f64 v[14:15], v[14:15], v[20:21], v[5:6]
	v_fma_f64 v[22:23], -v[14:15], v[24:25], v[3:4]
	s_delay_alu instid0(VALU_DEP_1) | instskip(SKIP_1) | instid1(VALU_DEP_2)
	v_div_scale_f64 v[3:4], null, v[16:17], v[16:17], v[22:23]
	v_div_scale_f64 v[20:21], vcc_lo, v[22:23], v[16:17], v[22:23]
	v_rcp_f64_e32 v[5:6], v[3:4]
	s_waitcnt_depctr 0xfff
	v_fma_f64 v[18:19], -v[3:4], v[5:6], 1.0
	s_delay_alu instid0(VALU_DEP_1) | instskip(NEXT) | instid1(VALU_DEP_1)
	v_fma_f64 v[5:6], v[5:6], v[18:19], v[5:6]
	v_fma_f64 v[18:19], -v[3:4], v[5:6], 1.0
	s_delay_alu instid0(VALU_DEP_1) | instskip(SKIP_3) | instid1(SALU_CYCLE_1)
	v_fma_f64 v[24:25], v[5:6], v[18:19], v[5:6]
	v_mov_b32_e32 v18, s4
	s_add_i32 s4, s5, 4
	s_add_i32 s5, s5, 7
	s_cmp_ge_i32 s5, s29
	s_delay_alu instid0(VALU_DEP_2) | instskip(NEXT) | instid1(VALU_DEP_1)
	v_mul_f64 v[26:27], v[20:21], v[24:25]
	v_fma_f64 v[28:29], -v[3:4], v[26:27], v[20:21]
	ds_load_b128 v[3:6], v18
	ds_load_b128 v[18:21], v18 offset:16
	s_waitcnt lgkmcnt(1)
	v_fma_f64 v[1:2], -v[7:8], v[3:4], v[1:2]
	v_div_fmas_f64 v[3:4], v[28:29], v[24:25], v[26:27]
	s_delay_alu instid0(VALU_DEP_2) | instskip(NEXT) | instid1(VALU_DEP_2)
	v_fma_f64 v[1:2], -v[14:15], v[5:6], v[1:2]
	v_div_fixup_f64 v[3:4], v[3:4], v[16:17], v[22:23]
	s_waitcnt lgkmcnt(0)
	s_delay_alu instid0(VALU_DEP_1) | instskip(NEXT) | instid1(VALU_DEP_1)
	v_fma_f64 v[1:2], -v[3:4], v[18:19], v[1:2]
	v_div_scale_f64 v[5:6], null, v[20:21], v[20:21], v[1:2]
	s_delay_alu instid0(VALU_DEP_1) | instskip(SKIP_2) | instid1(VALU_DEP_1)
	v_rcp_f64_e32 v[16:17], v[5:6]
	s_waitcnt_depctr 0xfff
	v_fma_f64 v[18:19], -v[5:6], v[16:17], 1.0
	v_fma_f64 v[16:17], v[16:17], v[18:19], v[16:17]
	s_delay_alu instid0(VALU_DEP_1) | instskip(NEXT) | instid1(VALU_DEP_1)
	v_fma_f64 v[18:19], -v[5:6], v[16:17], 1.0
	v_fma_f64 v[16:17], v[16:17], v[18:19], v[16:17]
	v_div_scale_f64 v[18:19], vcc_lo, v[1:2], v[20:21], v[1:2]
	s_delay_alu instid0(VALU_DEP_1) | instskip(NEXT) | instid1(VALU_DEP_1)
	v_mul_f64 v[22:23], v[18:19], v[16:17]
	v_fma_f64 v[5:6], -v[5:6], v[22:23], v[18:19]
	s_delay_alu instid0(VALU_DEP_1) | instskip(NEXT) | instid1(VALU_DEP_1)
	v_div_fmas_f64 v[5:6], v[5:6], v[16:17], v[22:23]
	v_div_fixup_f64 v[1:2], v[5:6], v[20:21], v[1:2]
	ds_store_b64 v10, v[7:8]
	ds_store_b64 v11, v[14:15]
	;; [unrolled: 1-line block ×4, first 2 shown]
	s_cbranch_scc1 .LBB76_88
; %bb.87:                               ;   in Loop: Header=BB76_83 Depth=1
	s_mov_b32 s5, s4
	s_branch .LBB76_83
.LBB76_88:
	s_cmp_ge_i32 s4, s29
	s_cbranch_scc1 .LBB76_99
; %bb.89:
	v_lshl_or_b32 v3, v0, 3, 0x200
	v_lshlrev_b32_e32 v4, 3, v0
	s_add_i32 s1, s4, -1
	s_lshl_b32 s5, s4, 6
	s_mov_b32 s8, 0
	s_mov_b32 s9, s4
	s_branch .LBB76_91
.LBB76_90:                              ;   in Loop: Header=BB76_91 Depth=1
	s_mul_i32 s12, s4, 0x48
	s_delay_alu instid0(SALU_CYCLE_1)
	v_dual_mov_b32 v6, s12 :: v_dual_add_nc_u32 v5, 0x200, v5
	s_add_i32 s4, s4, 1
	s_add_i32 s8, s8, 1
	;; [unrolled: 1-line block ×3, first 2 shown]
	s_cmp_ge_i32 s4, s29
	ds_load_b64 v[6:7], v6
	s_waitcnt lgkmcnt(0)
	v_div_scale_f64 v[8:9], null, v[6:7], v[6:7], v[1:2]
	s_delay_alu instid0(VALU_DEP_1) | instskip(SKIP_2) | instid1(VALU_DEP_1)
	v_rcp_f64_e32 v[10:11], v[8:9]
	s_waitcnt_depctr 0xfff
	v_fma_f64 v[12:13], -v[8:9], v[10:11], 1.0
	v_fma_f64 v[10:11], v[10:11], v[12:13], v[10:11]
	s_delay_alu instid0(VALU_DEP_1) | instskip(NEXT) | instid1(VALU_DEP_1)
	v_fma_f64 v[12:13], -v[8:9], v[10:11], 1.0
	v_fma_f64 v[10:11], v[10:11], v[12:13], v[10:11]
	v_div_scale_f64 v[12:13], vcc_lo, v[1:2], v[6:7], v[1:2]
	s_delay_alu instid0(VALU_DEP_1) | instskip(NEXT) | instid1(VALU_DEP_1)
	v_mul_f64 v[14:15], v[12:13], v[10:11]
	v_fma_f64 v[8:9], -v[8:9], v[14:15], v[12:13]
	s_delay_alu instid0(VALU_DEP_1) | instskip(NEXT) | instid1(VALU_DEP_1)
	v_div_fmas_f64 v[8:9], v[8:9], v[10:11], v[14:15]
	v_div_fixup_f64 v[1:2], v[8:9], v[6:7], v[1:2]
	v_add_nc_u16 v6, s9, 1
	s_delay_alu instid0(VALU_DEP_1)
	v_readfirstlane_b32 s9, v6
	ds_store_b64 v5, v[1:2]
	s_cbranch_scc1 .LBB76_99
.LBB76_91:                              ; =>This Loop Header: Depth=1
                                        ;     Child Loop BB76_94 Depth 2
                                        ;     Child Loop BB76_98 Depth 2
	v_lshl_or_b32 v5, s4, 6, v4
	s_cmp_eq_u32 s4, 0
	ds_load_b64 v[1:2], v5 offset:512
	s_cbranch_scc1 .LBB76_90
; %bb.92:                               ;   in Loop: Header=BB76_91 Depth=1
	s_add_i32 s12, s1, s8
	s_delay_alu instid0(SALU_CYCLE_1)
	s_cmp_lt_u32 s12, 7
	s_cbranch_scc1 .LBB76_96
; %bb.93:                               ;   in Loop: Header=BB76_91 Depth=1
	v_mov_b32_e32 v6, v3
	s_and_b32 s12, s4, -8
	s_mov_b32 s13, 0
	s_mov_b32 s14, s5
	s_set_inst_prefetch_distance 0x1
	.p2align	6
.LBB76_94:                              ;   Parent Loop BB76_91 Depth=1
                                        ; =>  This Inner Loop Header: Depth=2
	v_mov_b32_e32 v19, s14
	s_add_i32 s13, s13, 8
	s_add_i32 s14, s14, 64
	s_cmp_eq_u32 s12, s13
	ds_load_2addr_b64 v[7:10], v6 offset1:8
	ds_load_b128 v[11:14], v19
	ds_load_b128 v[15:18], v19 offset:16
	s_waitcnt lgkmcnt(1)
	v_fma_f64 v[1:2], -v[7:8], v[11:12], v[1:2]
	s_delay_alu instid0(VALU_DEP_1) | instskip(SKIP_3) | instid1(VALU_DEP_1)
	v_fma_f64 v[1:2], -v[9:10], v[13:14], v[1:2]
	ds_load_2addr_b64 v[7:10], v6 offset0:16 offset1:24
	s_waitcnt lgkmcnt(0)
	v_fma_f64 v[1:2], -v[7:8], v[15:16], v[1:2]
	v_fma_f64 v[1:2], -v[9:10], v[17:18], v[1:2]
	ds_load_2addr_b64 v[7:10], v6 offset0:32 offset1:40
	ds_load_b128 v[11:14], v19 offset:32
	ds_load_b128 v[15:18], v19 offset:48
	s_waitcnt lgkmcnt(1)
	v_fma_f64 v[1:2], -v[7:8], v[11:12], v[1:2]
	s_delay_alu instid0(VALU_DEP_1) | instskip(SKIP_4) | instid1(VALU_DEP_1)
	v_fma_f64 v[1:2], -v[9:10], v[13:14], v[1:2]
	ds_load_2addr_b64 v[7:10], v6 offset0:48 offset1:56
	v_add_nc_u32_e32 v6, 0x200, v6
	s_waitcnt lgkmcnt(0)
	v_fma_f64 v[1:2], -v[7:8], v[15:16], v[1:2]
	v_fma_f64 v[1:2], -v[9:10], v[17:18], v[1:2]
	s_cbranch_scc0 .LBB76_94
; %bb.95:                               ;   in Loop: Header=BB76_91 Depth=1
	s_set_inst_prefetch_distance 0x2
	s_and_b32 s13, s4, 7
	s_delay_alu instid0(SALU_CYCLE_1)
	s_cmp_eq_u32 s13, 0
	s_cbranch_scc0 .LBB76_97
	s_branch .LBB76_90
.LBB76_96:                              ;   in Loop: Header=BB76_91 Depth=1
	s_mov_b32 s12, 0
	s_and_b32 s13, s4, 7
	s_delay_alu instid0(SALU_CYCLE_1)
	s_cmp_eq_u32 s13, 0
	s_cbranch_scc1 .LBB76_90
.LBB76_97:                              ;   in Loop: Header=BB76_91 Depth=1
	v_lshl_add_u32 v6, s12, 6, v3
	s_and_b32 s13, s9, 7
	s_lshl_b32 s12, s12, 3
.LBB76_98:                              ;   Parent Loop BB76_91 Depth=1
                                        ; =>  This Inner Loop Header: Depth=2
	s_delay_alu instid0(SALU_CYCLE_1)
	s_add_i32 s14, s5, s12
	s_add_i32 s13, s13, -1
	v_mov_b32_e32 v9, s14
	s_add_i32 s12, s12, 8
	s_cmp_lg_u32 s13, 0
	ds_load_b64 v[7:8], v6
	ds_load_b64 v[9:10], v9
	v_add_nc_u32_e32 v6, 64, v6
	s_waitcnt lgkmcnt(0)
	v_fma_f64 v[1:2], -v[7:8], v[9:10], v[1:2]
	s_cbranch_scc1 .LBB76_98
	s_branch .LBB76_90
.LBB76_99:
	s_and_saveexec_b32 s1, s20
	s_cbranch_execz .LBB76_106
; %bb.100:
	v_lshlrev_b32_e32 v3, 3, v0
	s_ashr_i32 s1, s0, 31
	s_cmp_lt_u32 s28, 4
	s_mov_b32 s14, 0
	s_cbranch_scc1 .LBB76_103
; %bb.101:
	v_add_co_u32 v1, s4, s18, v3
	s_delay_alu instid0(VALU_DEP_1)
	v_add_co_ci_u32_e64 v2, null, s19, 0, s4
	v_lshl_or_b32 v0, v0, 3, 0x200
	s_and_b32 s14, s28, 0x7ffffffc
	s_mul_hi_i32 s15, s0, 24
	s_mul_i32 s16, s0, 24
	s_lshl_b64 s[4:5], s[0:1], 5
	s_lshl_b64 s[8:9], s[0:1], 4
	;; [unrolled: 1-line block ×3, first 2 shown]
	s_mov_b32 s17, 0
	.p2align	6
.LBB76_102:                             ; =>This Inner Loop Header: Depth=1
	ds_load_2addr_b64 v[4:7], v0 offset1:8
	ds_load_2addr_b64 v[8:11], v0 offset0:16 offset1:24
	v_add_co_u32 v12, vcc_lo, v1, s12
	v_add_co_ci_u32_e32 v13, vcc_lo, s13, v2, vcc_lo
	v_add_co_u32 v14, vcc_lo, v1, s8
	v_add_co_ci_u32_e32 v15, vcc_lo, s9, v2, vcc_lo
	v_add_co_u32 v16, vcc_lo, v1, s16
	v_add_co_ci_u32_e32 v17, vcc_lo, s15, v2, vcc_lo
	v_add_nc_u32_e32 v0, 0x100, v0
	s_add_i32 s17, s17, 4
	s_delay_alu instid0(SALU_CYCLE_1)
	s_cmp_lg_u32 s14, s17
	s_waitcnt lgkmcnt(1)
	global_store_b64 v[1:2], v[4:5], off
	v_add_co_u32 v1, vcc_lo, v1, s4
	v_add_co_ci_u32_e32 v2, vcc_lo, s5, v2, vcc_lo
	global_store_b64 v[12:13], v[6:7], off
	s_waitcnt lgkmcnt(0)
	s_clause 0x1
	global_store_b64 v[14:15], v[8:9], off
	global_store_b64 v[16:17], v[10:11], off
	s_cbranch_scc1 .LBB76_102
.LBB76_103:
	s_and_b32 s4, s28, 3
	s_delay_alu instid0(SALU_CYCLE_1)
	s_cmp_eq_u32 s4, 0
	s_cbranch_scc1 .LBB76_106
; %bb.104:
	s_mul_hi_i32 s9, s0, s14
	s_mul_i32 s8, s0, s14
	v_lshl_or_b32 v2, s14, 6, v3
	s_lshl_b64 s[8:9], s[8:9], 3
	s_delay_alu instid0(SALU_CYCLE_1)
	s_add_u32 s5, s8, s6
	s_addc_u32 s6, s9, s7
	s_add_u32 s5, s5, s10
	s_addc_u32 s6, s6, s11
	s_add_u32 s2, s2, s5
	s_addc_u32 s3, s3, s6
	v_add_co_u32 v0, s2, s2, v3
	s_delay_alu instid0(VALU_DEP_1)
	v_add_co_ci_u32_e64 v1, null, s3, 0, s2
	v_add_nc_u32_e32 v2, 0x200, v2
	s_lshl_b64 s[0:1], s[0:1], 3
.LBB76_105:                             ; =>This Inner Loop Header: Depth=1
	ds_load_b64 v[3:4], v2
	v_add_nc_u32_e32 v2, 64, v2
	s_add_i32 s4, s4, -1
	s_delay_alu instid0(SALU_CYCLE_1)
	s_cmp_lg_u32 s4, 0
	s_waitcnt lgkmcnt(0)
	global_store_b64 v[0:1], v[3:4], off
	v_add_co_u32 v0, vcc_lo, v0, s0
	v_add_co_ci_u32_e32 v1, vcc_lo, s1, v1, vcc_lo
	s_cbranch_scc1 .LBB76_105
.LBB76_106:
	s_nop 0
	s_sendmsg sendmsg(MSG_DEALLOC_VGPRS)
	s_endpgm
	.section	.rodata,"a",@progbits
	.p2align	6, 0x0
	.amdhsa_kernel _ZL31rocblas_trsm_small_right_deviceIddPKPKdPKPdLi8EEv13rocblas_fill_18rocblas_operation_17rocblas_diagonal_iiT0_T1_lilT2_lili
		.amdhsa_group_segment_fixed_size 1024
		.amdhsa_private_segment_fixed_size 0
		.amdhsa_kernarg_size 360
		.amdhsa_user_sgpr_count 14
		.amdhsa_user_sgpr_dispatch_ptr 0
		.amdhsa_user_sgpr_queue_ptr 0
		.amdhsa_user_sgpr_kernarg_segment_ptr 1
		.amdhsa_user_sgpr_dispatch_id 0
		.amdhsa_user_sgpr_private_segment_size 0
		.amdhsa_wavefront_size32 1
		.amdhsa_uses_dynamic_stack 0
		.amdhsa_enable_private_segment 0
		.amdhsa_system_sgpr_workgroup_id_x 1
		.amdhsa_system_sgpr_workgroup_id_y 0
		.amdhsa_system_sgpr_workgroup_id_z 1
		.amdhsa_system_sgpr_workgroup_info 0
		.amdhsa_system_vgpr_workitem_id 0
		.amdhsa_next_free_vgpr 52
		.amdhsa_next_free_sgpr 34
		.amdhsa_reserve_vcc 1
		.amdhsa_float_round_mode_32 0
		.amdhsa_float_round_mode_16_64 0
		.amdhsa_float_denorm_mode_32 3
		.amdhsa_float_denorm_mode_16_64 3
		.amdhsa_dx10_clamp 1
		.amdhsa_ieee_mode 1
		.amdhsa_fp16_overflow 0
		.amdhsa_workgroup_processor_mode 1
		.amdhsa_memory_ordered 1
		.amdhsa_forward_progress 0
		.amdhsa_shared_vgpr_count 0
		.amdhsa_exception_fp_ieee_invalid_op 0
		.amdhsa_exception_fp_denorm_src 0
		.amdhsa_exception_fp_ieee_div_zero 0
		.amdhsa_exception_fp_ieee_overflow 0
		.amdhsa_exception_fp_ieee_underflow 0
		.amdhsa_exception_fp_ieee_inexact 0
		.amdhsa_exception_int_div_zero 0
	.end_amdhsa_kernel
	.section	.text._ZL31rocblas_trsm_small_right_deviceIddPKPKdPKPdLi8EEv13rocblas_fill_18rocblas_operation_17rocblas_diagonal_iiT0_T1_lilT2_lili,"axG",@progbits,_ZL31rocblas_trsm_small_right_deviceIddPKPKdPKPdLi8EEv13rocblas_fill_18rocblas_operation_17rocblas_diagonal_iiT0_T1_lilT2_lili,comdat
.Lfunc_end76:
	.size	_ZL31rocblas_trsm_small_right_deviceIddPKPKdPKPdLi8EEv13rocblas_fill_18rocblas_operation_17rocblas_diagonal_iiT0_T1_lilT2_lili, .Lfunc_end76-_ZL31rocblas_trsm_small_right_deviceIddPKPKdPKPdLi8EEv13rocblas_fill_18rocblas_operation_17rocblas_diagonal_iiT0_T1_lilT2_lili
                                        ; -- End function
	.section	.AMDGPU.csdata,"",@progbits
; Kernel info:
; codeLenInByte = 8592
; NumSgprs: 36
; NumVgprs: 52
; ScratchSize: 0
; MemoryBound: 0
; FloatMode: 240
; IeeeMode: 1
; LDSByteSize: 1024 bytes/workgroup (compile time only)
; SGPRBlocks: 4
; VGPRBlocks: 6
; NumSGPRsForWavesPerEU: 36
; NumVGPRsForWavesPerEU: 52
; Occupancy: 16
; WaveLimiterHint : 0
; COMPUTE_PGM_RSRC2:SCRATCH_EN: 0
; COMPUTE_PGM_RSRC2:USER_SGPR: 14
; COMPUTE_PGM_RSRC2:TRAP_HANDLER: 0
; COMPUTE_PGM_RSRC2:TGID_X_EN: 1
; COMPUTE_PGM_RSRC2:TGID_Y_EN: 0
; COMPUTE_PGM_RSRC2:TGID_Z_EN: 1
; COMPUTE_PGM_RSRC2:TIDIG_COMP_CNT: 0
	.section	.text._ZL38rocblas_trsm_small_left_device_sharedBILi12ELi12ELb0EddPKPKdPKPdEv13rocblas_fill_18rocblas_operation_17rocblas_diagonal_iiT3_T4_lilT5_lili,"axG",@progbits,_ZL38rocblas_trsm_small_left_device_sharedBILi12ELi12ELb0EddPKPKdPKPdEv13rocblas_fill_18rocblas_operation_17rocblas_diagonal_iiT3_T4_lilT5_lili,comdat
	.globl	_ZL38rocblas_trsm_small_left_device_sharedBILi12ELi12ELb0EddPKPKdPKPdEv13rocblas_fill_18rocblas_operation_17rocblas_diagonal_iiT3_T4_lilT5_lili ; -- Begin function _ZL38rocblas_trsm_small_left_device_sharedBILi12ELi12ELb0EddPKPKdPKPdEv13rocblas_fill_18rocblas_operation_17rocblas_diagonal_iiT3_T4_lilT5_lili
	.p2align	8
	.type	_ZL38rocblas_trsm_small_left_device_sharedBILi12ELi12ELb0EddPKPKdPKPdEv13rocblas_fill_18rocblas_operation_17rocblas_diagonal_iiT3_T4_lilT5_lili,@function
_ZL38rocblas_trsm_small_left_device_sharedBILi12ELi12ELb0EddPKPKdPKPdEv13rocblas_fill_18rocblas_operation_17rocblas_diagonal_iiT3_T4_lilT5_lili: ; @_ZL38rocblas_trsm_small_left_device_sharedBILi12ELi12ELb0EddPKPKdPKPdEv13rocblas_fill_18rocblas_operation_17rocblas_diagonal_iiT3_T4_lilT5_lili
; %bb.0:
	s_load_b128 s[16:19], s[0:1], 0x40
	s_mov_b32 s20, s15
	s_mov_b32 s21, 0
	s_clause 0x1
	s_load_b128 s[4:7], s[0:1], 0x4
	s_load_b64 s[12:13], s[0:1], 0x28
	s_lshl_b64 s[22:23], s[20:21], 3
	s_mov_b32 s28, exec_lo
	s_waitcnt lgkmcnt(0)
	s_add_u32 s2, s16, s22
	s_addc_u32 s3, s17, s23
	s_load_b128 s[8:11], s[0:1], 0x18
	s_load_b64 s[2:3], s[2:3], 0x0
	s_min_i32 s15, s6, 12
	s_delay_alu instid0(SALU_CYCLE_1)
	s_add_i32 s20, s15, -1
	v_cmpx_gt_i32_e64 s15, v0
	s_cbranch_execz .LBB77_10
; %bb.1:
	s_load_b32 s16, s[0:1], 0x30
	s_waitcnt lgkmcnt(0)
	s_ashr_i32 s17, s16, 31
	s_add_u32 s10, s10, s22
	s_addc_u32 s11, s11, s23
	s_cmp_lt_u32 s20, 3
	s_load_b64 s[10:11], s[10:11], 0x0
	s_cbranch_scc1 .LBB77_4
; %bb.2:
	v_lshlrev_b32_e32 v3, 3, v0
	s_lshl_b64 s[22:23], s[12:13], 3
	s_mul_hi_i32 s29, s16, 24
	s_waitcnt lgkmcnt(0)
	s_add_u32 s21, s10, s22
	s_addc_u32 s22, s11, s23
	v_add_co_u32 v1, s21, s21, v3
	s_delay_alu instid0(VALU_DEP_1)
	v_add_co_ci_u32_e64 v2, null, s22, 0, s21
	s_and_b32 s21, s15, -4
	s_mul_i32 s30, s16, 24
	s_lshl_b64 s[22:23], s[16:17], 5
	s_lshl_b64 s[24:25], s[16:17], 4
	;; [unrolled: 1-line block ×3, first 2 shown]
	s_mov_b32 s31, 0
	.p2align	6
.LBB77_3:                               ; =>This Inner Loop Header: Depth=1
	v_add_co_u32 v4, vcc_lo, v1, s26
	v_add_co_ci_u32_e32 v5, vcc_lo, s27, v2, vcc_lo
	v_add_co_u32 v6, vcc_lo, v1, s24
	v_add_co_ci_u32_e32 v7, vcc_lo, s25, v2, vcc_lo
	;; [unrolled: 2-line block ×3, first 2 shown]
	s_clause 0x3
	global_load_b64 v[10:11], v[1:2], off
	global_load_b64 v[4:5], v[4:5], off
	;; [unrolled: 1-line block ×4, first 2 shown]
	v_add_co_u32 v1, vcc_lo, v1, s22
	v_add_co_ci_u32_e32 v2, vcc_lo, s23, v2, vcc_lo
	s_add_i32 s31, s31, 4
	s_waitcnt vmcnt(2)
	ds_store_2addr_b64 v3, v[10:11], v[4:5] offset1:12
	s_waitcnt vmcnt(0)
	ds_store_2addr_b64 v3, v[6:7], v[8:9] offset0:24 offset1:36
	v_add_nc_u32_e32 v3, 0x180, v3
	s_cmp_eq_u32 s21, s31
	s_cbranch_scc0 .LBB77_3
.LBB77_4:
	s_and_b32 s22, s15, 3
	s_delay_alu instid0(SALU_CYCLE_1)
	s_cmp_eq_u32 s22, 0
	s_cbranch_scc1 .LBB77_7
; %bb.5:
	s_mul_i32 s23, s17, s21
	s_mul_hi_u32 s24, s16, s21
	s_lshl_b64 s[12:13], s[12:13], 3
	s_add_i32 s25, s24, s23
	s_mul_i32 s24, s16, s21
	v_lshlrev_b32_e32 v1, 3, v0
	s_lshl_b64 s[24:25], s[24:25], 3
	s_mulk_i32 s21, 0x60
	s_add_u32 s12, s24, s12
	s_addc_u32 s13, s25, s13
	s_waitcnt lgkmcnt(0)
	s_add_u32 s10, s10, s12
	s_addc_u32 s11, s11, s13
	v_add_co_u32 v1, s10, s10, v1
	v_lshl_add_u32 v3, v0, 3, s21
	v_add_co_ci_u32_e64 v2, null, s11, 0, s10
	s_lshl_b64 s[10:11], s[16:17], 3
.LBB77_6:                               ; =>This Inner Loop Header: Depth=1
	global_load_b64 v[4:5], v[1:2], off
	v_add_co_u32 v1, vcc_lo, v1, s10
	v_add_co_ci_u32_e32 v2, vcc_lo, s11, v2, vcc_lo
	s_add_i32 s22, s22, -1
	s_delay_alu instid0(SALU_CYCLE_1)
	s_cmp_lg_u32 s22, 0
	s_waitcnt vmcnt(0)
	ds_store_b64 v3, v[4:5]
	v_add_nc_u32_e32 v3, 0x60, v3
	s_cbranch_scc1 .LBB77_6
.LBB77_7:
	v_mul_u32_u24_e32 v3, 13, v0
	v_mov_b32_e32 v1, 0
	v_mov_b32_e32 v2, 0x3ff00000
	s_cmpk_lg_i32 s5, 0x84
	s_delay_alu instid0(VALU_DEP_3)
	v_lshlrev_b32_e32 v3, 3, v3
	s_cbranch_scc0 .LBB77_9
; %bb.8:
	ds_load_b64 v[1:2], v3
	s_waitcnt lgkmcnt(0)
	v_div_scale_f64 v[4:5], null, v[1:2], v[1:2], 1.0
	s_delay_alu instid0(VALU_DEP_1) | instskip(SKIP_2) | instid1(VALU_DEP_1)
	v_rcp_f64_e32 v[6:7], v[4:5]
	s_waitcnt_depctr 0xfff
	v_fma_f64 v[8:9], -v[4:5], v[6:7], 1.0
	v_fma_f64 v[6:7], v[6:7], v[8:9], v[6:7]
	s_delay_alu instid0(VALU_DEP_1) | instskip(NEXT) | instid1(VALU_DEP_1)
	v_fma_f64 v[8:9], -v[4:5], v[6:7], 1.0
	v_fma_f64 v[6:7], v[6:7], v[8:9], v[6:7]
	v_div_scale_f64 v[8:9], vcc_lo, 1.0, v[1:2], 1.0
	s_delay_alu instid0(VALU_DEP_1) | instskip(NEXT) | instid1(VALU_DEP_1)
	v_mul_f64 v[10:11], v[8:9], v[6:7]
	v_fma_f64 v[4:5], -v[4:5], v[10:11], v[8:9]
	s_delay_alu instid0(VALU_DEP_1) | instskip(NEXT) | instid1(VALU_DEP_1)
	v_div_fmas_f64 v[4:5], v[4:5], v[6:7], v[10:11]
	v_div_fixup_f64 v[1:2], v[4:5], v[1:2], 1.0
.LBB77_9:
	ds_store_b64 v3, v[1:2]
.LBB77_10:
	s_or_b32 exec_lo, exec_lo, s28
	s_clause 0x1
	s_load_b32 s5, s[0:1], 0x68
	s_load_b32 s16, s[0:1], 0x50
	s_lshl_b64 s[0:1], s[18:19], 3
	s_waitcnt lgkmcnt(0)
	s_mul_i32 s11, s14, -12
	s_mul_i32 s10, s14, 12
	s_ashr_i32 s17, s16, 31
	s_add_u32 s18, s2, s0
	s_addc_u32 s19, s3, s1
	s_add_i32 s5, s5, -1
	s_add_i32 s11, s11, s7
	s_mul_hi_i32 s13, s16, s10
	s_cmp_ge_u32 s14, s5
	s_mul_i32 s12, s16, s10
	s_cselect_b32 s14, s11, 12
	s_lshl_b64 s[12:13], s[12:13], 3
	s_ashr_i32 s11, s10, 31
	s_add_u32 s5, s18, s12
	s_addc_u32 s7, s19, s13
	v_cmp_gt_i32_e32 vcc_lo, s14, v0
	s_cmp_gt_i32 s6, 0
	s_mov_b32 s13, 0
	s_cselect_b32 s12, -1, 0
	s_delay_alu instid0(SALU_CYCLE_1) | instskip(NEXT) | instid1(SALU_CYCLE_1)
	s_and_b32 s14, vcc_lo, s12
	s_and_saveexec_b32 s18, s14
	s_cbranch_execz .LBB77_18
; %bb.11:
	s_cmp_lt_i32 s6, 8
	s_cbranch_scc1 .LBB77_15
; %bb.12:
	v_mad_i64_i32 v[1:2], null, s16, v0, 0
	s_lshl_b32 s12, s15, 3
	s_delay_alu instid0(SALU_CYCLE_1) | instskip(SKIP_1) | instid1(VALU_DEP_1)
	s_and_b32 s19, s12, 64
	s_mov_b64 s[12:13], 0
	v_lshlrev_b64 v[2:3], 3, v[1:2]
	v_lshl_or_b32 v1, v0, 3, 0x480
	s_delay_alu instid0(VALU_DEP_2) | instskip(NEXT) | instid1(VALU_DEP_3)
	v_add_co_u32 v2, vcc_lo, s5, v2
	v_add_co_ci_u32_e32 v3, vcc_lo, s7, v3, vcc_lo
	s_set_inst_prefetch_distance 0x1
	.p2align	6
.LBB77_13:                              ; =>This Inner Loop Header: Depth=1
	s_delay_alu instid0(VALU_DEP_2) | instskip(NEXT) | instid1(VALU_DEP_2)
	v_add_co_u32 v16, vcc_lo, v2, s12
	v_add_co_ci_u32_e32 v17, vcc_lo, s13, v3, vcc_lo
	s_add_u32 s12, s12, 64
	s_addc_u32 s13, s13, 0
	s_cmp_lg_u32 s19, s12
	s_clause 0x3
	global_load_b128 v[4:7], v[16:17], off
	global_load_b128 v[8:11], v[16:17], off offset:16
	global_load_b128 v[12:15], v[16:17], off offset:32
	;; [unrolled: 1-line block ×3, first 2 shown]
	s_waitcnt vmcnt(3)
	v_mul_f64 v[4:5], v[4:5], s[8:9]
	v_mul_f64 v[6:7], v[6:7], s[8:9]
	s_waitcnt vmcnt(2)
	v_mul_f64 v[8:9], v[8:9], s[8:9]
	v_mul_f64 v[10:11], v[10:11], s[8:9]
	;; [unrolled: 3-line block ×4, first 2 shown]
	ds_store_2addr_b64 v1, v[4:5], v[6:7] offset1:12
	ds_store_2addr_b64 v1, v[8:9], v[10:11] offset0:24 offset1:36
	ds_store_2addr_b64 v1, v[12:13], v[14:15] offset0:48 offset1:60
	;; [unrolled: 1-line block ×3, first 2 shown]
	v_add_nc_u32_e32 v1, 0x300, v1
	s_cbranch_scc1 .LBB77_13
; %bb.14:
	s_set_inst_prefetch_distance 0x2
	s_mov_b32 s13, 8
.LBB77_15:
	s_and_b32 s12, s15, 7
	s_delay_alu instid0(SALU_CYCLE_1)
	s_cmp_eq_u32 s12, 0
	s_cbranch_scc1 .LBB77_18
; %bb.16:
	v_lshlrev_b32_e32 v3, 3, v0
	s_lshl_b64 s[22:23], s[10:11], 3
	s_lshl_b32 s19, s13, 3
	s_mulk_i32 s13, 0x60
	s_add_u32 s19, s2, s19
	v_add_co_u32 v4, s21, s22, v3
	s_delay_alu instid0(VALU_DEP_1) | instskip(SKIP_3) | instid1(VALU_DEP_1)
	v_add_co_ci_u32_e64 v5, null, s23, 0, s21
	s_addc_u32 s21, s3, 0
	s_add_u32 s22, s19, s0
	s_addc_u32 s23, s21, s1
	v_mul_lo_u32 v5, v5, s16
	v_mad_u64_u32 v[1:2], null, v4, s16, s[22:23]
	v_mul_lo_u32 v4, v4, s17
	v_add3_u32 v3, s13, v3, 0x480
	s_delay_alu instid0(VALU_DEP_2)
	v_add3_u32 v2, v5, v2, v4
.LBB77_17:                              ; =>This Inner Loop Header: Depth=1
	global_load_b64 v[4:5], v[1:2], off
	v_add_co_u32 v1, vcc_lo, v1, 8
	v_add_co_ci_u32_e32 v2, vcc_lo, 0, v2, vcc_lo
	s_add_i32 s12, s12, -1
	s_delay_alu instid0(SALU_CYCLE_1)
	s_cmp_lg_u32 s12, 0
	s_waitcnt vmcnt(0)
	v_mul_f64 v[4:5], v[4:5], s[8:9]
	ds_store_b64 v3, v[4:5]
	v_add_nc_u32_e32 v3, 0x60, v3
	s_cbranch_scc1 .LBB77_17
.LBB77_18:
	s_or_b32 exec_lo, exec_lo, s18
	s_cmpk_eq_i32 s4, 0x6f
	s_mov_b32 s4, -1
	s_waitcnt vmcnt(0) lgkmcnt(0)
	s_waitcnt_vscnt null, 0x0
	; wave barrier
	s_waitcnt lgkmcnt(0)
	buffer_gl0_inv
	s_cbranch_scc1 .LBB77_43
; %bb.19:
	s_cmp_gt_i32 s6, 11
	s_cselect_b32 s8, -1, 0
	s_delay_alu instid0(SALU_CYCLE_1)
	s_and_b32 vcc_lo, exec_lo, s8
	s_cbranch_vccz .LBB77_21
; %bb.20:
	v_dual_mov_b32 v58, 0 :: v_dual_lshlrev_b32 v57, 3, v0
	s_mov_b32 s4, 12
	ds_load_2addr_b64 v[1:4], v57 offset0:144 offset1:156
	ds_load_2addr_b64 v[5:8], v58 offset1:26
	ds_load_b128 v[9:12], v58 offset:96
	ds_load_b128 v[13:16], v58 offset:192
	v_add_nc_u32_e32 v59, 0x800, v57
	s_waitcnt lgkmcnt(2)
	v_mul_f64 v[41:42], v[1:2], v[5:6]
	s_waitcnt lgkmcnt(1)
	s_delay_alu instid0(VALU_DEP_1)
	v_fma_f64 v[5:6], -v[41:42], v[9:10], v[3:4]
	ds_load_2addr_b64 v[1:4], v57 offset0:168 offset1:180
	s_waitcnt lgkmcnt(0)
	v_fma_f64 v[1:2], -v[41:42], v[13:14], v[1:2]
	v_mul_f64 v[43:44], v[5:6], v[11:12]
	ds_load_b128 v[9:12], v58 offset:288
	ds_load_b128 v[17:20], v58 offset:304
	s_waitcnt lgkmcnt(1)
	v_fma_f64 v[5:6], -v[41:42], v[9:10], v[3:4]
	v_fma_f64 v[9:10], -v[43:44], v[15:16], v[1:2]
	ds_load_2addr_b64 v[1:4], v57 offset0:192 offset1:204
	ds_load_b128 v[13:16], v58 offset:384
	ds_load_b128 v[21:24], v58 offset:400
	s_waitcnt lgkmcnt(1)
	v_fma_f64 v[1:2], -v[41:42], v[13:14], v[1:2]
	v_fma_f64 v[13:14], -v[43:44], v[11:12], v[5:6]
	v_mul_f64 v[45:46], v[9:10], v[7:8]
	ds_load_b128 v[5:8], v58 offset:480
	ds_load_b128 v[9:12], v58 offset:496
	s_waitcnt lgkmcnt(1)
	v_fma_f64 v[5:6], -v[41:42], v[5:6], v[3:4]
	v_fma_f64 v[25:26], -v[43:44], v[15:16], v[1:2]
	;; [unrolled: 1-line block ×3, first 2 shown]
	ds_load_2addr_b64 v[1:4], v57 offset0:216 offset1:228
	ds_load_b128 v[13:16], v58 offset:576
	v_fma_f64 v[21:22], -v[45:46], v[21:22], v[25:26]
	s_waitcnt lgkmcnt(0)
	v_fma_f64 v[1:2], -v[41:42], v[13:14], v[1:2]
	v_fma_f64 v[13:14], -v[43:44], v[7:8], v[5:6]
	v_mul_f64 v[47:48], v[17:18], v[19:20]
	ds_load_b128 v[5:8], v58 offset:672
	ds_load_b128 v[17:20], v58 offset:688
	s_waitcnt lgkmcnt(1)
	v_fma_f64 v[5:6], -v[41:42], v[5:6], v[3:4]
	v_fma_f64 v[37:38], -v[43:44], v[15:16], v[1:2]
	;; [unrolled: 1-line block ×4, first 2 shown]
	ds_load_2addr_b64 v[1:4], v57 offset0:240 offset1:252
	ds_load_b128 v[13:16], v58 offset:768
	ds_load_b128 v[21:24], v58 offset:592
	ds_load_2addr_b64 v[25:28], v58 offset0:52 offset1:78
	ds_load_b128 v[29:32], v58 offset:608
	ds_load_b128 v[33:36], v58 offset:784
	s_waitcnt lgkmcnt(4)
	v_fma_f64 v[1:2], -v[41:42], v[13:14], v[1:2]
	v_fma_f64 v[13:14], -v[43:44], v[7:8], v[5:6]
	s_waitcnt lgkmcnt(3)
	v_fma_f64 v[21:22], -v[45:46], v[21:22], v[37:38]
	v_fma_f64 v[49:50], -v[47:48], v[11:12], v[9:10]
	s_waitcnt lgkmcnt(2)
	v_mul_f64 v[25:26], v[39:40], v[25:26]
	ds_load_b128 v[5:8], v58 offset:864
	ds_load_b128 v[9:12], v58 offset:512
	;; [unrolled: 1-line block ×3, first 2 shown]
	v_fma_f64 v[51:52], -v[43:44], v[15:16], v[1:2]
	s_waitcnt lgkmcnt(2)
	v_fma_f64 v[5:6], -v[41:42], v[5:6], v[3:4]
	v_fma_f64 v[17:18], -v[45:46], v[17:18], v[13:14]
	ds_load_b128 v[1:4], v58 offset:960
	ds_load_2addr_b64 v[13:16], v59 offset0:8 offset1:20
	v_fma_f64 v[21:22], -v[47:48], v[23:24], v[21:22]
	s_waitcnt lgkmcnt(3)
	v_fma_f64 v[9:10], -v[25:26], v[9:10], v[49:50]
	s_waitcnt lgkmcnt(0)
	v_fma_f64 v[1:2], -v[41:42], v[1:2], v[13:14]
	v_fma_f64 v[33:34], -v[45:46], v[33:34], v[51:52]
	;; [unrolled: 1-line block ×5, first 2 shown]
	v_mul_f64 v[51:52], v[9:10], v[11:12]
	ds_load_b128 v[5:8], v58 offset:704
	ds_load_b128 v[9:12], v58 offset:1056
	;; [unrolled: 1-line block ×4, first 2 shown]
	v_fma_f64 v[53:54], -v[43:44], v[3:4], v[1:2]
	v_fma_f64 v[55:56], -v[47:48], v[35:36], v[33:34]
	;; [unrolled: 1-line block ×3, first 2 shown]
	s_waitcnt lgkmcnt(3)
	v_fma_f64 v[5:6], -v[25:26], v[5:6], v[49:50]
	s_waitcnt lgkmcnt(2)
	v_fma_f64 v[9:10], -v[41:42], v[9:10], v[15:16]
	v_fma_f64 v[49:50], -v[51:52], v[31:32], v[29:30]
	ds_load_b128 v[1:4], v58 offset:976
	ds_load_b128 v[13:16], v58 offset:800
	;; [unrolled: 1-line block ×4, first 2 shown]
	s_waitcnt lgkmcnt(3)
	v_fma_f64 v[1:2], -v[45:46], v[1:2], v[53:54]
	v_fma_f64 v[37:38], -v[47:48], v[39:40], v[37:38]
	s_waitcnt lgkmcnt(2)
	v_fma_f64 v[13:14], -v[25:26], v[13:14], v[55:56]
	v_fma_f64 v[39:40], -v[51:52], v[7:8], v[5:6]
	v_mul_f64 v[27:28], v[49:50], v[27:28]
	v_fma_f64 v[49:50], -v[43:44], v[11:12], v[9:10]
	ds_load_b128 v[5:8], v58 offset:896
	ds_load_b128 v[9:12], v58 offset:912
	v_fma_f64 v[1:2], -v[47:48], v[3:4], v[1:2]
	s_waitcnt lgkmcnt(1)
	v_fma_f64 v[3:4], -v[25:26], v[5:6], v[37:38]
	v_fma_f64 v[5:6], -v[51:52], v[15:16], v[13:14]
	v_fma_f64 v[13:14], -v[27:28], v[17:18], v[39:40]
	v_fma_f64 v[15:16], -v[45:46], v[21:22], v[49:50]
	v_fma_f64 v[17:18], -v[25:26], v[33:34], v[1:2]
	v_fma_f64 v[21:22], -v[51:52], v[7:8], v[3:4]
	v_fma_f64 v[29:30], -v[27:28], v[29:30], v[5:6]
	ds_load_b128 v[1:4], v58 offset:1088
	ds_load_b128 v[5:8], v58 offset:1104
	v_mul_f64 v[33:34], v[13:14], v[19:20]
	v_fma_f64 v[13:14], -v[47:48], v[23:24], v[15:16]
	v_fma_f64 v[35:36], -v[51:52], v[35:36], v[17:18]
	s_waitcnt lgkmcnt(2)
	v_fma_f64 v[9:10], -v[27:28], v[9:10], v[21:22]
	s_delay_alu instid0(VALU_DEP_4) | instskip(SKIP_1) | instid1(VALU_DEP_4)
	v_fma_f64 v[29:30], -v[33:34], v[31:32], v[29:30]
	s_waitcnt lgkmcnt(1)
	v_fma_f64 v[1:2], -v[25:26], v[1:2], v[13:14]
	ds_load_b128 v[13:16], v58 offset:1008
	ds_load_2addr_b64 v[17:20], v58 offset0:104 offset1:130
	ds_load_b128 v[21:24], v58 offset:1024
	s_waitcnt lgkmcnt(2)
	v_fma_f64 v[13:14], -v[27:28], v[13:14], v[35:36]
	v_fma_f64 v[9:10], -v[33:34], v[11:12], v[9:10]
	s_waitcnt lgkmcnt(1)
	v_mul_f64 v[11:12], v[29:30], v[17:18]
	v_fma_f64 v[17:18], -v[51:52], v[3:4], v[1:2]
	ds_load_b128 v[1:4], v58 offset:928
	v_fma_f64 v[13:14], -v[33:34], v[15:16], v[13:14]
	s_waitcnt lgkmcnt(0)
	v_fma_f64 v[1:2], -v[11:12], v[1:2], v[9:10]
	v_fma_f64 v[5:6], -v[27:28], v[5:6], v[17:18]
	s_delay_alu instid0(VALU_DEP_3) | instskip(NEXT) | instid1(VALU_DEP_3)
	v_fma_f64 v[9:10], -v[11:12], v[21:22], v[13:14]
	v_mul_f64 v[13:14], v[1:2], v[3:4]
	s_delay_alu instid0(VALU_DEP_3)
	v_fma_f64 v[15:16], -v[33:34], v[7:8], v[5:6]
	ds_load_b128 v[1:4], v58 offset:1120
	ds_load_b128 v[5:8], v58 offset:1136
	ds_store_2addr_b64 v57, v[41:42], v[43:44] offset0:144 offset1:156
	ds_store_2addr_b64 v57, v[45:46], v[47:48] offset0:168 offset1:180
	;; [unrolled: 1-line block ×5, first 2 shown]
	v_fma_f64 v[9:10], -v[13:14], v[23:24], v[9:10]
	s_waitcnt lgkmcnt(6)
	v_fma_f64 v[1:2], -v[11:12], v[1:2], v[15:16]
	s_delay_alu instid0(VALU_DEP_2) | instskip(NEXT) | instid1(VALU_DEP_2)
	v_mul_f64 v[9:10], v[9:10], v[19:20]
	v_fma_f64 v[1:2], -v[13:14], v[3:4], v[1:2]
	s_waitcnt lgkmcnt(5)
	s_delay_alu instid0(VALU_DEP_1) | instskip(NEXT) | instid1(VALU_DEP_1)
	v_fma_f64 v[1:2], -v[9:10], v[5:6], v[1:2]
	v_mul_f64 v[1:2], v[1:2], v[7:8]
	ds_store_2addr_b64 v59, v[9:10], v[1:2] offset0:8 offset1:20
	s_cmp_lt_i32 s4, s15
	s_cbranch_scc1 .LBB77_22
	s_branch .LBB77_42
.LBB77_21:
	s_mov_b32 s4, 0
	s_delay_alu instid0(SALU_CYCLE_1)
	s_cmp_lt_i32 s4, s15
	s_cbranch_scc0 .LBB77_42
.LBB77_22:
	s_add_i32 s9, s4, 7
	s_delay_alu instid0(SALU_CYCLE_1)
	s_cmp_ge_u32 s9, s15
	s_cbranch_scc1 .LBB77_31
; %bb.23:
	s_mul_i32 s12, s4, 12
	s_and_not1_b32 vcc_lo, exec_lo, s8
	v_add_lshl_u32 v18, s12, v0, 3
	s_add_i32 s9, s12, 0x54
	s_delay_alu instid0(SALU_CYCLE_1)
	v_add_lshl_u32 v17, s9, v0, 3
	ds_load_2addr_b64 v[9:12], v18 offset0:144 offset1:156
	ds_load_2addr_b64 v[5:8], v18 offset0:168 offset1:180
	;; [unrolled: 1-line block ×3, first 2 shown]
	ds_load_b64 v[15:16], v18 offset:1728
	ds_load_b64 v[13:14], v17 offset:1152
	s_cbranch_vccnz .LBB77_30
; %bb.24:
	s_max_u32 s13, s4, 1
	s_delay_alu instid0(SALU_CYCLE_1)
	s_cmp_eq_u32 s13, 1
	s_cbranch_scc1 .LBB77_27
; %bb.25:
	v_lshl_or_b32 v19, v0, 3, 0x480
	s_and_b32 s8, s13, 12
	s_mul_i32 s18, s4, 0x60
	s_mov_b32 s19, 0
.LBB77_26:                              ; =>This Inner Loop Header: Depth=1
	v_mov_b32_e32 v52, s18
	s_add_i32 s19, s19, 2
	s_add_i32 s18, s18, 16
	s_cmp_lg_u32 s8, s19
	ds_load_2addr_b64 v[20:23], v19 offset1:12
	ds_load_b128 v[24:27], v52
	ds_load_b128 v[28:31], v52 offset:96
	ds_load_b128 v[32:35], v52 offset:192
	ds_load_b128 v[36:39], v52 offset:288
	ds_load_b128 v[40:43], v52 offset:384
	ds_load_b128 v[44:47], v52 offset:480
	ds_load_b128 v[48:51], v52 offset:576
	ds_load_b128 v[52:55], v52 offset:672
	v_add_nc_u32_e32 v19, 0xc0, v19
	s_waitcnt lgkmcnt(7)
	v_fma_f64 v[9:10], -v[20:21], v[24:25], v[9:10]
	s_waitcnt lgkmcnt(6)
	v_fma_f64 v[11:12], -v[20:21], v[28:29], v[11:12]
	;; [unrolled: 2-line block ×8, first 2 shown]
	v_fma_f64 v[9:10], -v[22:23], v[26:27], v[9:10]
	v_fma_f64 v[11:12], -v[22:23], v[30:31], v[11:12]
	;; [unrolled: 1-line block ×8, first 2 shown]
	s_cbranch_scc1 .LBB77_26
	s_branch .LBB77_28
.LBB77_27:
	s_mov_b32 s8, 0
.LBB77_28:
	s_bitcmp0_b32 s13, 0
	s_cbranch_scc1 .LBB77_30
; %bb.29:
	s_add_i32 s13, s12, s8
	s_mul_i32 s18, s8, 12
	s_lshl_b32 s13, s13, 3
	s_add_i32 s8, s9, s8
	v_mov_b32_e32 v33, s13
	v_add_lshl_u32 v23, s18, v0, 3
	s_lshl_b32 s8, s8, 3
	ds_load_2addr_b64 v[19:22], v33 offset1:12
	ds_load_b64 v[31:32], v23 offset:1152
	v_mov_b32_e32 v35, s8
	ds_load_2addr_b64 v[23:26], v33 offset0:24 offset1:36
	ds_load_2addr_b64 v[27:30], v33 offset0:48 offset1:60
	ds_load_b64 v[33:34], v33 offset:576
	ds_load_b64 v[35:36], v35
	s_waitcnt lgkmcnt(4)
	v_fma_f64 v[9:10], -v[31:32], v[19:20], v[9:10]
	v_fma_f64 v[11:12], -v[31:32], v[21:22], v[11:12]
	s_waitcnt lgkmcnt(3)
	v_fma_f64 v[5:6], -v[31:32], v[23:24], v[5:6]
	v_fma_f64 v[7:8], -v[31:32], v[25:26], v[7:8]
	s_waitcnt lgkmcnt(2)
	v_fma_f64 v[1:2], -v[31:32], v[27:28], v[1:2]
	v_fma_f64 v[3:4], -v[31:32], v[29:30], v[3:4]
	s_waitcnt lgkmcnt(1)
	v_fma_f64 v[15:16], -v[31:32], v[33:34], v[15:16]
	s_waitcnt lgkmcnt(0)
	v_fma_f64 v[13:14], -v[31:32], v[35:36], v[13:14]
.LBB77_30:
	s_mul_i32 s8, s4, 0x68
	s_delay_alu instid0(SALU_CYCLE_1)
	v_dual_mov_b32 v39, s8 :: v_dual_add_nc_u32 v18, 0x480, v18
	s_add_i32 s8, s12, 12
	s_add_i32 s9, s9, s4
	;; [unrolled: 1-line block ×3, first 2 shown]
	s_lshl_b32 s9, s9, 3
	ds_load_2addr_b64 v[19:22], v39 offset1:26
	s_lshl_b32 s13, s13, 3
	v_mov_b32_e32 v42, s9
	s_waitcnt lgkmcnt(0)
	v_mul_f64 v[31:32], v[9:10], v[19:20]
	v_mov_b32_e32 v9, s13
	s_add_i32 s13, s12, 24
	s_delay_alu instid0(SALU_CYCLE_1) | instskip(SKIP_2) | instid1(SALU_CYCLE_1)
	s_add_i32 s18, s13, s4
	ds_load_b128 v[23:26], v9
	s_lshl_b32 s18, s18, 3
	v_mov_b32_e32 v9, s18
	s_add_i32 s18, s12, 36
	s_delay_alu instid0(SALU_CYCLE_1) | instskip(SKIP_2) | instid1(SALU_CYCLE_1)
	s_add_i32 s19, s18, s4
	ds_load_b128 v[27:30], v9
	s_lshl_b32 s19, s19, 3
	v_mov_b32_e32 v19, s19
	s_add_i32 s19, s12, 48
	s_delay_alu instid0(SALU_CYCLE_1) | instskip(NEXT) | instid1(SALU_CYCLE_1)
	s_or_b32 s21, s19, s4
	s_lshl_b32 s21, s21, 3
	s_waitcnt lgkmcnt(1)
	v_fma_f64 v[9:10], -v[31:32], v[23:24], v[11:12]
	s_waitcnt lgkmcnt(0)
	v_fma_f64 v[5:6], -v[31:32], v[27:28], v[5:6]
	v_mov_b32_e32 v27, s21
	s_add_i32 s21, s12, 60
	s_addk_i32 s12, 0x48
	s_add_i32 s22, s21, s4
	s_delay_alu instid0(SALU_CYCLE_1) | instskip(NEXT) | instid1(SALU_CYCLE_1)
	s_lshl_b32 s22, s22, 3
	v_mov_b32_e32 v40, s22
	s_add_i32 s22, s12, s4
	s_add_i32 s4, s4, 8
	s_lshl_b32 s22, s22, 3
	s_delay_alu instid0(SALU_CYCLE_1)
	v_mov_b32_e32 v41, s22
	v_mul_f64 v[33:34], v[9:10], v[25:26]
	ds_load_b128 v[9:12], v19
	ds_load_b128 v[23:26], v19 offset:16
	s_waitcnt lgkmcnt(1)
	v_fma_f64 v[9:10], -v[31:32], v[9:10], v[7:8]
	v_fma_f64 v[19:20], -v[33:34], v[29:30], v[5:6]
	ds_load_b128 v[5:8], v27
	ds_load_b128 v[27:30], v27 offset:16
	s_waitcnt lgkmcnt(1)
	v_fma_f64 v[1:2], -v[31:32], v[5:6], v[1:2]
	v_fma_f64 v[5:6], -v[33:34], v[11:12], v[9:10]
	v_mul_f64 v[35:36], v[19:20], v[21:22]
	ds_load_b128 v[9:12], v40
	ds_load_b128 v[19:22], v40 offset:16
	s_waitcnt lgkmcnt(1)
	v_fma_f64 v[9:10], -v[31:32], v[9:10], v[3:4]
	v_fma_f64 v[7:8], -v[33:34], v[7:8], v[1:2]
	ds_load_b128 v[1:4], v41
	v_fma_f64 v[5:6], -v[35:36], v[23:24], v[5:6]
	s_waitcnt lgkmcnt(0)
	v_fma_f64 v[1:2], -v[31:32], v[1:2], v[15:16]
	v_fma_f64 v[15:16], -v[33:34], v[11:12], v[9:10]
	v_fma_f64 v[23:24], -v[35:36], v[27:28], v[7:8]
	s_delay_alu instid0(VALU_DEP_4)
	v_mul_f64 v[27:28], v[5:6], v[25:26]
	ds_load_b128 v[5:8], v42
	ds_load_b128 v[9:12], v42 offset:16
	v_fma_f64 v[37:38], -v[33:34], v[3:4], v[1:2]
	v_fma_f64 v[19:20], -v[35:36], v[19:20], v[15:16]
	s_waitcnt lgkmcnt(1)
	v_fma_f64 v[5:6], -v[31:32], v[5:6], v[13:14]
	v_fma_f64 v[29:30], -v[27:28], v[29:30], v[23:24]
	ds_load_b128 v[1:4], v41 offset:16
	ds_load_2addr_b64 v[13:16], v39 offset0:52 offset1:78
	ds_load_b128 v[23:26], v41 offset:32
	s_waitcnt lgkmcnt(2)
	v_fma_f64 v[1:2], -v[35:36], v[1:2], v[37:38]
	v_fma_f64 v[19:20], -v[27:28], v[21:22], v[19:20]
	;; [unrolled: 1-line block ×3, first 2 shown]
	ds_load_b128 v[5:8], v40 offset:32
	s_waitcnt lgkmcnt(2)
	v_mul_f64 v[13:14], v[29:30], v[13:14]
	v_fma_f64 v[1:2], -v[27:28], v[3:4], v[1:2]
	s_waitcnt lgkmcnt(0)
	s_delay_alu instid0(VALU_DEP_2) | instskip(SKIP_1) | instid1(VALU_DEP_3)
	v_fma_f64 v[3:4], -v[13:14], v[5:6], v[19:20]
	v_fma_f64 v[5:6], -v[35:36], v[9:10], v[21:22]
	;; [unrolled: 1-line block ×3, first 2 shown]
	s_delay_alu instid0(VALU_DEP_3) | instskip(NEXT) | instid1(VALU_DEP_3)
	v_mul_f64 v[7:8], v[3:4], v[7:8]
	v_fma_f64 v[5:6], -v[27:28], v[11:12], v[5:6]
	ds_load_b128 v[1:4], v42 offset:32
	ds_load_b64 v[11:12], v42 offset:48
	v_fma_f64 v[9:10], -v[7:8], v[25:26], v[9:10]
	s_waitcnt lgkmcnt(1)
	v_fma_f64 v[1:2], -v[13:14], v[1:2], v[5:6]
	s_delay_alu instid0(VALU_DEP_2) | instskip(NEXT) | instid1(VALU_DEP_2)
	v_mul_f64 v[5:6], v[9:10], v[15:16]
	v_fma_f64 v[1:2], -v[7:8], v[3:4], v[1:2]
	ds_load_b64 v[3:4], v39 offset:728
	v_add_lshl_u32 v9, s18, v0, 3
	v_add_lshl_u32 v10, s19, v0, 3
	s_waitcnt lgkmcnt(1)
	v_fma_f64 v[1:2], -v[5:6], v[11:12], v[1:2]
	v_add_lshl_u32 v11, s21, v0, 3
	v_add_lshl_u32 v12, s12, v0, 3
	s_waitcnt lgkmcnt(0)
	s_delay_alu instid0(VALU_DEP_3)
	v_mul_f64 v[1:2], v[1:2], v[3:4]
	v_add_lshl_u32 v3, s8, v0, 3
	v_add_lshl_u32 v4, s13, v0, 3
	ds_store_b64 v18, v[31:32]
	ds_store_b64 v3, v[33:34] offset:1152
	ds_store_b64 v4, v[35:36] offset:1152
	;; [unrolled: 1-line block ×7, first 2 shown]
.LBB77_31:
	s_cmp_ge_i32 s4, s15
	s_cbranch_scc1 .LBB77_42
; %bb.32:
	v_lshl_or_b32 v1, v0, 3, 0x480
	s_add_i32 s8, s4, -1
	s_mul_i32 s9, s4, 0x60
	s_mov_b32 s12, 0
	s_mov_b32 s13, s4
	s_branch .LBB77_34
.LBB77_33:                              ;   in Loop: Header=BB77_34 Depth=1
	s_mul_i32 s18, s4, 0x68
	s_delay_alu instid0(SALU_CYCLE_1)
	v_dual_mov_b32 v5, s18 :: v_dual_add_nc_u32 v4, 0x480, v6
	s_add_i32 s4, s4, 1
	s_add_i32 s12, s12, 1
	s_addk_i32 s9, 0x60
	s_cmp_ge_i32 s4, s15
	ds_load_b64 v[5:6], v5
	s_waitcnt lgkmcnt(0)
	v_mul_f64 v[2:3], v[2:3], v[5:6]
	v_add_nc_u16 v5, s13, 1
	s_delay_alu instid0(VALU_DEP_1)
	v_readfirstlane_b32 s13, v5
	ds_store_b64 v4, v[2:3]
	s_cbranch_scc1 .LBB77_42
.LBB77_34:                              ; =>This Loop Header: Depth=1
                                        ;     Child Loop BB77_37 Depth 2
                                        ;     Child Loop BB77_41 Depth 2
	s_mul_i32 s18, s4, 12
	s_cmp_eq_u32 s4, 0
	v_add_lshl_u32 v6, s18, v0, 3
	ds_load_b64 v[2:3], v6 offset:1152
	s_cbranch_scc1 .LBB77_33
; %bb.35:                               ;   in Loop: Header=BB77_34 Depth=1
	s_add_i32 s18, s8, s12
	s_delay_alu instid0(SALU_CYCLE_1)
	s_cmp_lt_u32 s18, 7
	s_cbranch_scc1 .LBB77_39
; %bb.36:                               ;   in Loop: Header=BB77_34 Depth=1
	v_mov_b32_e32 v4, v1
	s_and_b32 s18, s4, -8
	s_mov_b32 s19, 0
	s_mov_b32 s21, s9
	s_set_inst_prefetch_distance 0x1
	.p2align	6
.LBB77_37:                              ;   Parent Loop BB77_34 Depth=1
                                        ; =>  This Inner Loop Header: Depth=2
	v_mov_b32_e32 v5, s21
	s_add_i32 s19, s19, 8
	s_add_i32 s21, s21, 64
	s_cmp_lg_u32 s18, s19
	ds_load_2addr_b64 v[7:10], v4 offset1:12
	ds_load_b128 v[11:14], v5
	ds_load_b128 v[15:18], v5 offset:16
	s_waitcnt lgkmcnt(1)
	v_fma_f64 v[2:3], -v[7:8], v[11:12], v[2:3]
	s_delay_alu instid0(VALU_DEP_1) | instskip(SKIP_3) | instid1(VALU_DEP_1)
	v_fma_f64 v[2:3], -v[9:10], v[13:14], v[2:3]
	ds_load_2addr_b64 v[7:10], v4 offset0:24 offset1:36
	s_waitcnt lgkmcnt(0)
	v_fma_f64 v[2:3], -v[7:8], v[15:16], v[2:3]
	v_fma_f64 v[2:3], -v[9:10], v[17:18], v[2:3]
	ds_load_2addr_b64 v[7:10], v4 offset0:48 offset1:60
	ds_load_b128 v[11:14], v5 offset:32
	ds_load_b128 v[15:18], v5 offset:48
	s_waitcnt lgkmcnt(1)
	v_fma_f64 v[2:3], -v[7:8], v[11:12], v[2:3]
	s_delay_alu instid0(VALU_DEP_1) | instskip(SKIP_4) | instid1(VALU_DEP_1)
	v_fma_f64 v[2:3], -v[9:10], v[13:14], v[2:3]
	ds_load_2addr_b64 v[7:10], v4 offset0:72 offset1:84
	v_add_nc_u32_e32 v4, 0x300, v4
	s_waitcnt lgkmcnt(0)
	v_fma_f64 v[2:3], -v[7:8], v[15:16], v[2:3]
	v_fma_f64 v[2:3], -v[9:10], v[17:18], v[2:3]
	s_cbranch_scc1 .LBB77_37
; %bb.38:                               ;   in Loop: Header=BB77_34 Depth=1
	s_set_inst_prefetch_distance 0x2
	s_and_b32 s19, s4, 7
	s_delay_alu instid0(SALU_CYCLE_1)
	s_cmp_eq_u32 s19, 0
	s_cbranch_scc0 .LBB77_40
	s_branch .LBB77_33
.LBB77_39:                              ;   in Loop: Header=BB77_34 Depth=1
	s_mov_b32 s18, 0
	s_and_b32 s19, s4, 7
	s_delay_alu instid0(SALU_CYCLE_1)
	s_cmp_eq_u32 s19, 0
	s_cbranch_scc1 .LBB77_33
.LBB77_40:                              ;   in Loop: Header=BB77_34 Depth=1
	s_waitcnt lgkmcnt(0)
	s_delay_alu instid0(VALU_DEP_1)
	v_mad_u64_u32 v[4:5], null, 0x60, s18, v[1:2]
	s_and_b32 s19, s13, 7
	s_lshl_b32 s18, s18, 3
.LBB77_41:                              ;   Parent Loop BB77_34 Depth=1
                                        ; =>  This Inner Loop Header: Depth=2
	s_delay_alu instid0(SALU_CYCLE_1)
	s_add_i32 s21, s9, s18
	s_add_i32 s19, s19, -1
	v_mov_b32_e32 v5, s21
	s_add_i32 s18, s18, 8
	s_cmp_lg_u32 s19, 0
	ds_load_b64 v[7:8], v4
	ds_load_b64 v[9:10], v5
	v_add_nc_u32_e32 v4, 0x60, v4
	s_waitcnt lgkmcnt(0)
	v_fma_f64 v[2:3], -v[7:8], v[9:10], v[2:3]
	s_cbranch_scc1 .LBB77_41
	s_branch .LBB77_33
.LBB77_42:
	s_mov_b32 s4, 0
.LBB77_43:
	s_delay_alu instid0(SALU_CYCLE_1)
	s_and_b32 vcc_lo, exec_lo, s4
	s_cbranch_vccz .LBB77_65
; %bb.44:
	s_cmp_gt_i32 s6, 11
	s_cbranch_scc0 .LBB77_46
; %bb.45:
	s_mul_i32 s28, s15, 12
	s_mul_i32 s9, s20, 12
	s_add_i32 s4, s28, -12
	v_add_lshl_u32 v2, s9, v0, 3
	s_add_i32 s8, s15, s4
	s_sub_i32 s22, s28, 24
	s_lshl_b32 s8, s8, 3
	s_sub_i32 s12, s28, 36
	s_add_i32 s8, s8, -16
	s_sub_i32 s9, s28, 48
	v_mov_b32_e32 v1, s8
	s_mul_i32 s8, s20, 0x68
	v_add_lshl_u32 v9, s22, v0, 3
	s_add_i32 s13, s8, 0xffffff98
	v_add_lshl_u32 v10, s12, v0, 3
	v_mov_b32_e32 v16, s13
	ds_load_2addr_b64 v[3:6], v1 offset1:1
	ds_load_b64 v[1:2], v2 offset:1152
	v_add_lshl_u32 v11, s9, v0, 3
	ds_load_b64 v[7:8], v9 offset:1152
	ds_load_b64 v[12:13], v10 offset:1152
	;; [unrolled: 1-line block ×3, first 2 shown]
	ds_load_b64 v[20:21], v16
	s_add_i32 s13, s15, -4
	s_add_i32 s29, s15, -6
	s_add_i32 s18, s13, s4
	s_sub_i32 s21, s28, 60
	s_lshl_b32 s18, s18, 3
	s_add_i32 s19, s28, 0xffffffb8
	s_add_i32 s24, s29, s22
	;; [unrolled: 1-line block ×3, first 2 shown]
	s_lshl_b32 s24, s24, 3
	s_delay_alu instid0(SALU_CYCLE_1)
	v_dual_mov_b32 v26, s23 :: v_dual_mov_b32 v27, s24
	s_add_i32 s23, s15, -8
	s_add_i32 s25, s29, s12
	s_add_i32 s24, s23, s4
	s_lshl_b32 s25, s25, 3
	s_waitcnt lgkmcnt(4)
	v_mul_f64 v[1:2], v[1:2], v[5:6]
	v_mov_b32_e32 v5, s18
	s_add_i32 s18, s13, s22
	s_add_i32 s13, s13, s12
	s_lshl_b32 s18, s18, 3
	s_lshl_b32 s13, s13, 3
	v_mov_b32_e32 v16, s18
	s_add_i32 s18, s29, s4
	s_lshl_b32 s24, s24, 3
	s_lshl_b32 s18, s18, 3
	s_add_i32 s27, s15, -10
	s_add_i32 s31, s23, s12
	s_add_i32 s30, s27, s4
	;; [unrolled: 1-line block ×3, first 2 shown]
	s_lshl_b32 s30, s30, 3
	v_add_lshl_u32 v62, s26, v0, 3
	ds_load_2addr_b64 v[16:19], v16 offset1:1
	s_waitcnt lgkmcnt(4)
	v_fma_f64 v[3:4], -v[1:2], v[3:4], v[7:8]
	ds_load_2addr_b64 v[5:8], v5 offset1:1
	s_waitcnt lgkmcnt(0)
	v_fma_f64 v[7:8], -v[1:2], v[7:8], v[12:13]
	v_fma_f64 v[5:6], -v[1:2], v[5:6], v[14:15]
	v_dual_mov_b32 v13, s18 :: v_dual_mov_b32 v14, s13
	v_add_lshl_u32 v12, s21, v0, 3
	s_add_i32 s18, s28, 0xffffffac
	s_add_i32 s13, s28, 0xffffffa0
	s_delay_alu instid0(SALU_CYCLE_1) | instskip(SKIP_1) | instid1(VALU_DEP_1)
	v_add_lshl_u32 v15, s13, v0, 3
	v_mul_f64 v[3:4], v[3:4], v[20:21]
	v_fma_f64 v[7:8], -v[3:4], v[18:19], v[7:8]
	ds_load_2addr_b64 v[18:21], v13 offset1:1
	ds_load_b64 v[30:31], v12 offset:1152
	ds_load_2addr_b64 v[22:25], v14 offset1:1
	v_fma_f64 v[16:17], -v[3:4], v[16:17], v[5:6]
	v_add_lshl_u32 v13, s19, v0, 3
	v_add_lshl_u32 v14, s18, v0, 3
	ds_load_b64 v[32:33], v13 offset:1152
	ds_load_b64 v[36:37], v14 offset:1152
	;; [unrolled: 1-line block ×3, first 2 shown]
	ds_load_b64 v[40:41], v26
	ds_load_2addr_b64 v[26:29], v27 offset1:1
	s_waitcnt lgkmcnt(6)
	v_fma_f64 v[20:21], -v[1:2], v[20:21], v[30:31]
	s_waitcnt lgkmcnt(5)
	v_mul_f64 v[5:6], v[7:8], v[24:25]
	s_waitcnt lgkmcnt(4)
	v_fma_f64 v[7:8], -v[1:2], v[18:19], v[32:33]
	s_waitcnt lgkmcnt(0)
	s_delay_alu instid0(VALU_DEP_3) | instskip(SKIP_2) | instid1(SALU_CYCLE_1)
	v_fma_f64 v[24:25], -v[3:4], v[28:29], v[20:21]
	v_mov_b32_e32 v20, s25
	s_add_i32 s25, s23, s22
	s_lshl_b32 s25, s25, 3
	s_delay_alu instid0(SALU_CYCLE_1) | instskip(SKIP_1) | instid1(SALU_CYCLE_1)
	v_mov_b32_e32 v32, s25
	s_add_i32 s25, s28, 0xffffff88
	v_add_lshl_u32 v63, s25, v0, 3
	v_fma_f64 v[42:43], -v[5:6], v[22:23], v[16:17]
	v_mov_b32_e32 v16, s24
	v_fma_f64 v[26:27], -v[3:4], v[26:27], v[7:8]
	s_add_i32 s24, s29, s9
	ds_load_2addr_b64 v[16:19], v16 offset1:1
	ds_load_2addr_b64 v[20:23], v20 offset1:1
	s_lshl_b32 s24, s24, 3
	s_add_i32 s29, s29, s21
	v_mov_b32_e32 v28, s24
	ds_load_2addr_b64 v[28:31], v28 offset1:1
	ds_load_2addr_b64 v[32:35], v32 offset1:1
	s_lshl_b32 s29, s29, 3
	s_add_i32 s24, s28, 0xffffff7c
	s_addk_i32 s28, 0xff70
	v_add_lshl_u32 v64, s24, v0, 3
	v_add_lshl_u32 v65, s28, v0, 3
	s_add_i32 s28, s23, s9
	s_delay_alu instid0(SALU_CYCLE_1)
	s_lshl_b32 s28, s28, 3
	s_waitcnt lgkmcnt(3)
	v_fma_f64 v[18:19], -v[1:2], v[18:19], v[36:37]
	s_waitcnt lgkmcnt(2)
	v_fma_f64 v[22:23], -v[5:6], v[22:23], v[24:25]
	v_mov_b32_e32 v24, s29
	s_add_i32 s29, s8, 0xfffffdf8
	v_mul_f64 v[7:8], v[42:43], v[40:41]
	v_fma_f64 v[42:43], -v[1:2], v[16:17], v[38:39]
	v_fma_f64 v[46:47], -v[5:6], v[20:21], v[26:27]
	v_mov_b32_e32 v16, s30
	s_lshl_b32 s30, s31, 3
	s_add_i32 s31, s27, s12
	v_mov_b32_e32 v20, s30
	s_lshl_b32 s31, s31, 3
	s_waitcnt lgkmcnt(0)
	v_fma_f64 v[44:45], -v[3:4], v[34:35], v[18:19]
	v_mov_b32_e32 v35, s28
	ds_load_2addr_b64 v[16:19], v16 offset1:1
	ds_load_b64 v[48:49], v62 offset:1152
	v_mov_b32_e32 v34, s29
	s_add_i32 s29, s27, s22
	s_add_i32 s28, s15, -12
	s_lshl_b32 s29, s29, 3
	s_add_i32 s30, s28, s4
	v_mov_b32_e32 v38, s29
	s_add_i32 s29, s23, s21
	s_lshl_b32 s30, s30, 3
	s_lshl_b32 s29, s29, 3
	ds_load_2addr_b64 v[24:27], v24 offset1:1
	v_fma_f64 v[30:31], -v[7:8], v[30:31], v[22:23]
	ds_load_2addr_b64 v[20:23], v20 offset1:1
	v_fma_f64 v[32:33], -v[3:4], v[32:33], v[42:43]
	v_fma_f64 v[28:29], -v[7:8], v[28:29], v[46:47]
	ds_load_b64 v[50:51], v63 offset:1152
	ds_load_b64 v[52:53], v64 offset:1152
	;; [unrolled: 1-line block ×3, first 2 shown]
	ds_load_b64 v[56:57], v34
	ds_load_2addr_b64 v[34:37], v35 offset1:1
	ds_load_2addr_b64 v[38:41], v38 offset1:1
	s_add_i32 s22, s28, s22
	s_add_i32 s12, s28, s12
	s_lshl_b32 s22, s22, 3
	s_lshl_b32 s12, s12, 3
	s_waitcnt lgkmcnt(8)
	v_fma_f64 v[18:19], -v[1:2], v[18:19], v[48:49]
	s_waitcnt lgkmcnt(5)
	v_fma_f64 v[50:51], -v[1:2], v[16:17], v[50:51]
	v_mov_b32_e32 v16, s30
	s_add_i32 s30, s27, s9
	s_add_i32 s9, s28, s9
	s_lshl_b32 s30, s30, 3
	s_lshl_b32 s9, s9, 3
	v_fma_f64 v[22:23], -v[5:6], v[22:23], v[44:45]
	v_mov_b32_e32 v44, s22
	s_add_i32 s22, s27, s21
	s_delay_alu instid0(SALU_CYCLE_1)
	s_lshl_b32 s22, s22, 3
	v_mul_f64 v[48:49], v[30:31], v[26:27]
	v_fma_f64 v[32:33], -v[5:6], v[20:21], v[32:33]
	v_mov_b32_e32 v20, s31
	s_waitcnt lgkmcnt(0)
	v_fma_f64 v[58:59], -v[3:4], v[40:41], v[18:19]
	v_mov_b32_e32 v40, s30
	v_fma_f64 v[38:39], -v[3:4], v[38:39], v[50:51]
	v_fma_f64 v[36:37], -v[7:8], v[36:37], v[22:23]
	;; [unrolled: 1-line block ×3, first 2 shown]
	v_mov_b32_e32 v24, s29
	ds_load_2addr_b64 v[16:19], v16 offset1:1
	ds_load_2addr_b64 v[20:23], v20 offset1:1
	;; [unrolled: 1-line block ×3, first 2 shown]
	v_fma_f64 v[32:33], -v[7:8], v[34:35], v[32:33]
	s_add_i32 s29, s23, s19
	s_add_i32 s23, s23, s18
	s_lshl_b32 s29, s29, 3
	s_delay_alu instid0(SALU_CYCLE_1)
	v_mov_b32_e32 v28, s29
	ds_load_2addr_b64 v[28:31], v28 offset1:1
	ds_load_2addr_b64 v[40:43], v40 offset1:1
	;; [unrolled: 1-line block ×3, first 2 shown]
	s_waitcnt lgkmcnt(5)
	v_fma_f64 v[18:19], -v[1:2], v[18:19], v[52:53]
	s_waitcnt lgkmcnt(4)
	v_fma_f64 v[22:23], -v[5:6], v[22:23], v[58:59]
	v_fma_f64 v[38:39], -v[5:6], v[20:21], v[38:39]
	s_waitcnt lgkmcnt(3)
	v_fma_f64 v[26:27], -v[48:49], v[26:27], v[36:37]
	v_fma_f64 v[52:53], -v[1:2], v[16:17], v[54:55]
	v_mov_b32_e32 v16, s12
	s_add_i32 s12, s8, 0xfffffd90
	v_mov_b32_e32 v20, s22
	v_mul_f64 v[36:37], v[60:61], v[56:57]
	s_waitcnt lgkmcnt(0)
	v_fma_f64 v[34:35], -v[3:4], v[46:47], v[18:19]
	v_fma_f64 v[42:43], -v[7:8], v[42:43], v[22:23]
	;; [unrolled: 1-line block ×3, first 2 shown]
	v_mov_b32_e32 v24, s12
	ds_load_2addr_b64 v[16:19], v16 offset1:1
	ds_load_2addr_b64 v[20:23], v20 offset1:1
	ds_load_b64 v[54:55], v24
	s_add_i32 s12, s27, s19
	s_delay_alu instid0(SALU_CYCLE_1) | instskip(NEXT) | instid1(SALU_CYCLE_1)
	s_lshl_b32 s12, s12, 3
	v_mov_b32_e32 v24, s12
	s_add_i32 s12, s27, s18
	s_delay_alu instid0(SALU_CYCLE_1)
	s_lshl_b32 s12, s12, 3
	v_fma_f64 v[50:51], -v[36:37], v[30:31], v[26:27]
	v_mov_b32_e32 v30, s9
	s_lshl_b32 s9, s23, 3
	ds_load_2addr_b64 v[24:27], v24 offset1:1
	ds_load_2addr_b64 v[30:33], v30 offset1:1
	s_waitcnt lgkmcnt(4)
	v_fma_f64 v[18:19], -v[5:6], v[18:19], v[34:35]
	v_fma_f64 v[34:35], -v[7:8], v[40:41], v[38:39]
	s_waitcnt lgkmcnt(3)
	v_fma_f64 v[22:23], -v[48:49], v[22:23], v[42:43]
	v_fma_f64 v[28:29], -v[36:37], v[28:29], v[46:47]
	;; [unrolled: 1-line block ×3, first 2 shown]
	v_mov_b32_e32 v42, s9
	s_add_i32 s9, s28, s21
	s_delay_alu instid0(SALU_CYCLE_1)
	s_lshl_b32 s9, s9, 3
	ds_load_b64 v[42:43], v42
	s_waitcnt lgkmcnt(3)
	v_mul_f64 v[38:39], v[50:51], v[54:55]
	s_waitcnt lgkmcnt(1)
	v_fma_f64 v[44:45], -v[7:8], v[32:33], v[18:19]
	v_fma_f64 v[46:47], -v[48:49], v[20:21], v[34:35]
	;; [unrolled: 1-line block ×3, first 2 shown]
	v_mov_b32_e32 v20, s12
	v_fma_f64 v[40:41], -v[5:6], v[16:17], v[40:41]
	v_mov_b32_e32 v16, s9
	s_add_i32 s9, s8, 0xfffffd28
	s_add_i32 s12, s28, s19
	v_mov_b32_e32 v26, s9
	ds_load_2addr_b64 v[16:19], v16 offset1:1
	ds_load_2addr_b64 v[20:23], v20 offset1:1
	ds_load_b64 v[52:53], v26
	s_add_i32 s9, s27, s13
	s_lshl_b32 s12, s12, 3
	s_lshl_b32 s9, s9, 3
	v_mov_b32_e32 v32, s12
	s_waitcnt lgkmcnt(3)
	v_fma_f64 v[42:43], -v[38:39], v[42:43], v[28:29]
	v_mov_b32_e32 v26, s9
	ds_load_2addr_b64 v[26:29], v26 offset1:1
	ds_load_2addr_b64 v[32:35], v32 offset1:1
	s_add_i32 s9, s28, s18
	s_add_i32 s12, s8, 0xfffffcc0
	s_lshl_b32 s9, s9, 3
	s_add_i32 s27, s27, s26
	s_addk_i32 s8, 0xfc58
	s_waitcnt lgkmcnt(4)
	v_fma_f64 v[18:19], -v[48:49], v[18:19], v[44:45]
	v_fma_f64 v[24:25], -v[36:37], v[24:25], v[46:47]
	s_waitcnt lgkmcnt(3)
	v_fma_f64 v[22:23], -v[38:39], v[22:23], v[50:51]
	v_fma_f64 v[30:31], -v[7:8], v[30:31], v[40:41]
	s_waitcnt lgkmcnt(2)
	v_mul_f64 v[42:43], v[42:43], v[52:53]
	s_waitcnt lgkmcnt(0)
	v_fma_f64 v[34:35], -v[36:37], v[34:35], v[18:19]
	v_fma_f64 v[24:25], -v[38:39], v[20:21], v[24:25]
	v_mov_b32_e32 v20, s12
	v_fma_f64 v[30:31], -v[48:49], v[16:17], v[30:31]
	v_mov_b32_e32 v16, s9
	ds_load_2addr_b64 v[16:19], v16 offset1:1
	ds_load_b64 v[40:41], v20
	s_add_i32 s9, s28, s13
	s_delay_alu instid0(SALU_CYCLE_1) | instskip(NEXT) | instid1(SALU_CYCLE_1)
	s_lshl_b32 s9, s9, 3
	v_mov_b32_e32 v20, s9
	v_fma_f64 v[28:29], -v[42:43], v[28:29], v[22:23]
	s_lshl_b32 s9, s27, 3
	ds_load_2addr_b64 v[20:23], v20 offset1:1
	s_waitcnt lgkmcnt(2)
	v_fma_f64 v[18:19], -v[38:39], v[18:19], v[34:35]
	v_fma_f64 v[24:25], -v[42:43], v[26:27], v[24:25]
	s_waitcnt lgkmcnt(1)
	v_mul_f64 v[26:27], v[28:29], v[40:41]
	v_fma_f64 v[28:29], -v[36:37], v[32:33], v[30:31]
	v_mov_b32_e32 v30, s9
	s_add_i32 s9, s28, s26
	s_delay_alu instid0(SALU_CYCLE_1)
	s_lshl_b32 s9, s9, 3
	ds_load_b64 v[30:31], v30
	s_waitcnt lgkmcnt(1)
	v_fma_f64 v[32:33], -v[42:43], v[22:23], v[18:19]
	v_mov_b32_e32 v22, s8
	s_add_i32 s8, s28, s25
	s_delay_alu instid0(SALU_CYCLE_1)
	s_lshl_b32 s8, s8, 3
	s_waitcnt lgkmcnt(0)
	v_fma_f64 v[30:31], -v[26:27], v[30:31], v[24:25]
	v_fma_f64 v[28:29], -v[38:39], v[16:17], v[28:29]
	v_mov_b32_e32 v16, s9
	ds_load_2addr_b64 v[16:19], v16 offset1:1
	ds_load_b64 v[34:35], v22
	v_mov_b32_e32 v22, s8
	s_add_i32 s8, s28, s24
	s_delay_alu instid0(SALU_CYCLE_1)
	s_lshl_b32 s8, s8, 3
	ds_load_2addr_b64 v[22:25], v22 offset1:1
	s_waitcnt lgkmcnt(2)
	v_fma_f64 v[18:19], -v[26:27], v[18:19], v[32:33]
	s_waitcnt lgkmcnt(1)
	v_mul_f64 v[30:31], v[30:31], v[34:35]
	v_fma_f64 v[20:21], -v[42:43], v[20:21], v[28:29]
	s_waitcnt lgkmcnt(0)
	s_delay_alu instid0(VALU_DEP_2) | instskip(NEXT) | instid1(VALU_DEP_2)
	v_fma_f64 v[24:25], -v[30:31], v[24:25], v[18:19]
	v_fma_f64 v[20:21], -v[26:27], v[16:17], v[20:21]
	v_mov_b32_e32 v16, s8
	s_mul_i32 s8, s28, 0x68
	s_delay_alu instid0(SALU_CYCLE_1)
	v_mov_b32_e32 v28, s8
	ds_load_2addr_b64 v[16:19], v16 offset1:1
	ds_load_b64 v[28:29], v28
	s_waitcnt lgkmcnt(1)
	v_mul_f64 v[18:19], v[24:25], v[18:19]
	v_fma_f64 v[20:21], -v[30:31], v[22:23], v[20:21]
	s_delay_alu instid0(VALU_DEP_1)
	v_fma_f64 v[16:17], -v[18:19], v[16:17], v[20:21]
	v_add_lshl_u32 v20, s4, v0, 3
	s_add_i32 s4, s15, -13
	ds_store_b64 v20, v[1:2] offset:1152
	ds_store_b64 v9, v[3:4] offset:1152
	;; [unrolled: 1-line block ×10, first 2 shown]
	s_waitcnt lgkmcnt(10)
	v_mul_f64 v[16:17], v[16:17], v[28:29]
	ds_store_b64 v64, v[18:19] offset:1152
	ds_store_b64 v65, v[16:17] offset:1152
	s_cmp_gt_i32 s4, -1
	s_cbranch_scc1 .LBB77_47
	s_branch .LBB77_65
.LBB77_46:
	s_mov_b32 s4, s20
	s_delay_alu instid0(SALU_CYCLE_1)
	s_cmp_gt_i32 s4, -1
	s_cbranch_scc0 .LBB77_65
.LBB77_47:
	s_cmp_lt_u32 s4, 7
	s_cbranch_scc1 .LBB77_52
; %bb.48:
	s_mul_i32 s9, s4, 12
	s_delay_alu instid0(SALU_CYCLE_1)
	s_add_i32 s8, s9, -12
	v_add_lshl_u32 v17, s9, v0, 3
	v_add_lshl_u32 v18, s8, v0, 3
	s_cmp_le_i32 s20, s4
	ds_load_2addr_b64 v[9:12], v17 offset0:108 offset1:120
	ds_load_2addr_b64 v[5:8], v17 offset0:84 offset1:96
	;; [unrolled: 1-line block ×3, first 2 shown]
	ds_load_b64 v[13:14], v17 offset:1152
	ds_load_b64 v[15:16], v18 offset:1152
	s_cbranch_scc1 .LBB77_51
; %bb.49:
	v_lshlrev_b32_e32 v19, 3, v0
	s_mul_i32 s12, s15, 0x60
	s_lshl_b32 s13, s4, 3
	s_delay_alu instid0(SALU_CYCLE_1) | instskip(NEXT) | instid1(VALU_DEP_1)
	s_add_i32 s13, s12, s13
	v_add3_u32 v19, s12, v19, 0x420
	s_add_i32 s12, s13, 0xffffff68
	s_mov_b32 s13, s20
	s_set_inst_prefetch_distance 0x1
	.p2align	6
.LBB77_50:                              ; =>This Inner Loop Header: Depth=1
	v_mov_b32_e32 v32, s12
	s_add_i32 s13, s13, -1
	s_addk_i32 s12, 0xffa0
	s_cmp_gt_i32 s13, s4
	ds_load_b64 v[36:37], v19
	ds_load_2addr_b64 v[20:23], v32 offset0:6 offset1:7
	ds_load_2addr_b64 v[24:27], v32 offset0:4 offset1:5
	;; [unrolled: 1-line block ×3, first 2 shown]
	ds_load_2addr_b64 v[32:35], v32 offset1:1
	v_add_nc_u32_e32 v19, 0xffffffa0, v19
	s_waitcnt lgkmcnt(3)
	v_fma_f64 v[13:14], -v[36:37], v[22:23], v[13:14]
	v_fma_f64 v[15:16], -v[36:37], v[20:21], v[15:16]
	s_waitcnt lgkmcnt(2)
	v_fma_f64 v[11:12], -v[36:37], v[26:27], v[11:12]
	v_fma_f64 v[9:10], -v[36:37], v[24:25], v[9:10]
	;; [unrolled: 3-line block ×4, first 2 shown]
	s_cbranch_scc1 .LBB77_50
.LBB77_51:
	s_set_inst_prefetch_distance 0x2
	s_mul_i32 s12, s4, 0x68
	s_add_i32 s18, s4, -3
	s_add_i32 s13, s12, -8
	s_delay_alu instid0(SALU_CYCLE_1)
	v_dual_mov_b32 v19, s13 :: v_dual_add_nc_u32 v18, 0x480, v18
	s_add_i32 s13, s12, 0xffffff98
	s_add_i32 s19, s4, -5
	v_mov_b32_e32 v23, s13
	s_add_i32 s13, s18, s9
	ds_load_2addr_b64 v[19:22], v19 offset1:1
	s_lshl_b32 s13, s13, 3
	s_add_i32 s21, s19, s9
	ds_load_b64 v[23:24], v23
	s_lshl_b32 s21, s21, 3
	s_waitcnt lgkmcnt(1)
	v_mul_f64 v[27:28], v[13:14], v[21:22]
	v_mov_b32_e32 v13, s13
	s_add_i32 s13, s18, s8
	s_delay_alu instid0(SALU_CYCLE_1) | instskip(NEXT) | instid1(VALU_DEP_2)
	s_lshl_b32 s13, s13, 3
	v_fma_f64 v[25:26], -v[27:28], v[19:20], v[15:16]
	ds_load_2addr_b64 v[13:16], v13 offset1:1
	v_mov_b32_e32 v19, s13
	s_add_i32 s13, s8, -12
	s_delay_alu instid0(SALU_CYCLE_1)
	s_add_i32 s18, s18, s13
	ds_load_2addr_b64 v[19:22], v19 offset1:1
	s_lshl_b32 s18, s18, 3
	s_waitcnt lgkmcnt(1)
	v_fma_f64 v[11:12], -v[27:28], v[15:16], v[11:12]
	v_mul_f64 v[29:30], v[25:26], v[23:24]
	v_fma_f64 v[25:26], -v[27:28], v[13:14], v[9:10]
	v_mov_b32_e32 v9, s21
	v_mov_b32_e32 v13, s18
	s_add_i32 s18, s19, s8
	s_add_i32 s21, s12, 0xfffffec8
	s_lshl_b32 s18, s18, 3
	v_add_nc_u32_e32 v17, 0x480, v17
	s_waitcnt lgkmcnt(0)
	v_fma_f64 v[31:32], -v[29:30], v[21:22], v[11:12]
	v_mov_b32_e32 v22, s18
	ds_load_2addr_b64 v[9:12], v9 offset1:1
	ds_load_2addr_b64 v[13:16], v13 offset1:1
	v_mov_b32_e32 v21, s21
	s_add_i32 s18, s4, -7
	ds_load_b64 v[33:34], v21
	ds_load_2addr_b64 v[21:24], v22 offset1:1
	s_add_i32 s9, s18, s9
	s_add_i32 s21, s19, s13
	s_lshl_b32 s9, s9, 3
	s_lshl_b32 s21, s21, 3
	s_add_i32 s22, s18, s8
	s_add_i32 s4, s4, -8
	s_lshl_b32 s22, s22, 3
	s_waitcnt lgkmcnt(3)
	v_fma_f64 v[7:8], -v[27:28], v[11:12], v[7:8]
	v_fma_f64 v[11:12], -v[29:30], v[19:20], v[25:26]
	s_waitcnt lgkmcnt(2)
	v_mul_f64 v[19:20], v[31:32], v[15:16]
	v_fma_f64 v[31:32], -v[27:28], v[9:10], v[5:6]
	v_mov_b32_e32 v5, s9
	v_mov_b32_e32 v9, s21
	s_sub_i32 s9, s8, 24
	s_delay_alu instid0(SALU_CYCLE_1) | instskip(NEXT) | instid1(SALU_CYCLE_1)
	s_add_i32 s21, s19, s9
	s_lshl_b32 s21, s21, 3
	s_waitcnt lgkmcnt(0)
	v_fma_f64 v[35:36], -v[29:30], v[23:24], v[7:8]
	v_mov_b32_e32 v23, s22
	s_add_i32 s22, s18, s13
	s_delay_alu instid0(SALU_CYCLE_1)
	s_lshl_b32 s22, s22, 3
	v_fma_f64 v[37:38], -v[19:20], v[13:14], v[11:12]
	ds_load_2addr_b64 v[5:8], v5 offset1:1
	ds_load_2addr_b64 v[9:12], v9 offset1:1
	v_mov_b32_e32 v13, s21
	s_sub_i32 s21, s8, 36
	ds_load_2addr_b64 v[13:16], v13 offset1:1
	ds_load_2addr_b64 v[23:26], v23 offset1:1
	s_add_i32 s19, s19, s21
	s_delay_alu instid0(SALU_CYCLE_1)
	s_lshl_b32 s19, s19, 3
	s_waitcnt lgkmcnt(3)
	v_fma_f64 v[3:4], -v[27:28], v[7:8], v[3:4]
	v_fma_f64 v[7:8], -v[29:30], v[21:22], v[31:32]
	s_waitcnt lgkmcnt(2)
	v_fma_f64 v[11:12], -v[19:20], v[11:12], v[35:36]
	v_mul_f64 v[21:22], v[37:38], v[33:34]
	v_fma_f64 v[33:34], -v[27:28], v[5:6], v[1:2]
	v_mov_b32_e32 v1, s22
	v_mov_b32_e32 v5, s19
	s_add_i32 s19, s18, s9
	s_add_i32 s22, s12, 0xfffffdf8
	s_lshl_b32 s19, s19, 3
	s_waitcnt lgkmcnt(0)
	v_fma_f64 v[25:26], -v[29:30], v[25:26], v[3:4]
	v_fma_f64 v[31:32], -v[19:20], v[9:10], v[7:8]
	ds_load_2addr_b64 v[1:4], v1 offset1:1
	ds_load_2addr_b64 v[5:8], v5 offset1:1
	v_dual_mov_b32 v9, s22 :: v_dual_mov_b32 v10, s19
	s_add_i32 s19, s18, s21
	s_delay_alu instid0(SALU_CYCLE_1)
	s_lshl_b32 s19, s19, 3
	v_fma_f64 v[15:16], -v[21:22], v[15:16], v[11:12]
	ds_load_b64 v[35:36], v9
	ds_load_2addr_b64 v[9:12], v10 offset1:1
	s_waitcnt lgkmcnt(3)
	v_fma_f64 v[3:4], -v[19:20], v[3:4], v[25:26]
	v_fma_f64 v[13:14], -v[21:22], v[13:14], v[31:32]
	s_waitcnt lgkmcnt(2)
	v_mul_f64 v[15:16], v[15:16], v[7:8]
	v_fma_f64 v[7:8], -v[29:30], v[23:24], v[33:34]
	s_waitcnt lgkmcnt(0)
	s_delay_alu instid0(VALU_DEP_4) | instskip(NEXT) | instid1(VALU_DEP_3)
	v_fma_f64 v[11:12], -v[21:22], v[11:12], v[3:4]
	v_fma_f64 v[13:14], -v[15:16], v[5:6], v[13:14]
	s_delay_alu instid0(VALU_DEP_3)
	v_fma_f64 v[23:24], -v[19:20], v[1:2], v[7:8]
	v_mov_b32_e32 v1, s19
	s_sub_i32 s19, s8, 48
	s_sub_i32 s8, s8, 60
	s_add_i32 s22, s18, s19
	s_add_i32 s18, s18, s8
	ds_load_2addr_b64 v[1:4], v1 offset1:1
	s_lshl_b32 s22, s22, 3
	s_lshl_b32 s18, s18, 3
	v_mov_b32_e32 v5, s22
	s_add_i32 s22, s12, 0xfffffd90
	s_addk_i32 s12, 0xfd28
	ds_load_2addr_b64 v[5:8], v5 offset1:1
	s_waitcnt lgkmcnt(1)
	v_fma_f64 v[3:4], -v[15:16], v[3:4], v[11:12]
	v_mul_f64 v[11:12], v[13:14], v[35:36]
	v_fma_f64 v[9:10], -v[21:22], v[9:10], v[23:24]
	s_waitcnt lgkmcnt(0)
	s_delay_alu instid0(VALU_DEP_2) | instskip(NEXT) | instid1(VALU_DEP_2)
	v_fma_f64 v[3:4], -v[11:12], v[7:8], v[3:4]
	v_fma_f64 v[1:2], -v[15:16], v[1:2], v[9:10]
	v_mov_b32_e32 v7, s22
	v_add_lshl_u32 v9, s8, v0, 3
	ds_load_b64 v[7:8], v7
	s_waitcnt lgkmcnt(0)
	v_mul_f64 v[3:4], v[3:4], v[7:8]
	v_fma_f64 v[1:2], -v[11:12], v[5:6], v[1:2]
	v_mov_b32_e32 v5, s18
	v_add_lshl_u32 v7, s21, v0, 3
	v_add_lshl_u32 v8, s19, v0, 3
	ds_load_b64 v[5:6], v5
	s_waitcnt lgkmcnt(0)
	v_fma_f64 v[1:2], -v[3:4], v[5:6], v[1:2]
	v_mov_b32_e32 v5, s12
	ds_load_b64 v[5:6], v5
	s_waitcnt lgkmcnt(0)
	v_mul_f64 v[1:2], v[1:2], v[5:6]
	v_add_lshl_u32 v5, s13, v0, 3
	v_add_lshl_u32 v6, s9, v0, 3
	ds_store_b64 v17, v[27:28]
	ds_store_b64 v18, v[29:30]
	ds_store_b64 v5, v[19:20] offset:1152
	ds_store_b64 v6, v[21:22] offset:1152
	ds_store_b64 v7, v[15:16] offset:1152
	ds_store_b64 v8, v[11:12] offset:1152
	ds_store_2addr_b64 v9, v[1:2], v[3:4] offset0:132 offset1:144
.LBB77_52:
	s_cmp_lt_i32 s4, 0
	s_cbranch_scc1 .LBB77_65
; %bb.53:
	s_bitcmp1_b32 s4, 0
	s_cselect_b32 s8, -1, 0
	s_delay_alu instid0(SALU_CYCLE_1)
	s_and_b32 vcc_lo, exec_lo, s8
	s_mov_b32 s8, s4
	s_cbranch_vccnz .LBB77_58
; %bb.54:
	s_mul_i32 s8, s4, 12
	s_cmp_le_i32 s20, s4
	v_add_lshl_u32 v3, s8, v0, 3
	ds_load_b64 v[1:2], v3 offset:1152
	s_cbranch_scc1 .LBB77_57
; %bb.55:
	v_lshlrev_b32_e32 v4, 3, v0
	s_mul_i32 s8, s15, 0x60
	s_lshl_b32 s9, s4, 3
	s_delay_alu instid0(SALU_CYCLE_1) | instskip(NEXT) | instid1(VALU_DEP_1)
	s_add_i32 s9, s8, s9
	v_add3_u32 v4, s8, v4, 0x420
	s_add_i32 s8, s9, 0xffffffa0
	s_mov_b32 s9, s20
.LBB77_56:                              ; =>This Inner Loop Header: Depth=1
	v_mov_b32_e32 v7, s8
	s_add_i32 s9, s9, -1
	s_addk_i32 s8, 0xffa0
	s_cmp_gt_i32 s9, s4
	ds_load_b64 v[5:6], v4
	ds_load_b64 v[7:8], v7
	v_add_nc_u32_e32 v4, 0xffffffa0, v4
	s_waitcnt lgkmcnt(0)
	v_fma_f64 v[1:2], -v[5:6], v[7:8], v[1:2]
	s_cbranch_scc1 .LBB77_56
.LBB77_57:
	s_mul_i32 s8, s4, 0x68
	s_delay_alu instid0(SALU_CYCLE_1)
	v_dual_mov_b32 v4, s8 :: v_dual_add_nc_u32 v3, 0x480, v3
	s_add_i32 s8, s4, -1
	ds_load_b64 v[4:5], v4
	s_waitcnt lgkmcnt(0)
	v_mul_f64 v[1:2], v[1:2], v[4:5]
	ds_store_b64 v3, v[1:2]
.LBB77_58:
	s_cmp_eq_u32 s4, 0
	s_cbranch_scc1 .LBB77_65
; %bb.59:
	v_lshlrev_b32_e32 v1, 3, v0
	s_mul_i32 s4, s15, 0x60
	s_lshl_b32 s9, s8, 3
	s_delay_alu instid0(SALU_CYCLE_1) | instskip(NEXT) | instid1(VALU_DEP_1)
	s_add_i32 s9, s4, s9
	v_add3_u32 v5, s4, v1, 0x420
	s_add_i32 s4, s9, 0xffffffa0
	s_addk_i32 s9, 0xff98
	s_branch .LBB77_61
.LBB77_60:                              ;   in Loop: Header=BB77_61 Depth=1
	s_addk_i32 s12, 0xff98
	s_add_i32 s4, s4, -16
	v_mov_b32_e32 v1, s12
	s_add_i32 s12, s8, -2
	s_add_i32 s9, s9, -16
	s_cmp_lt_i32 s8, 2
	s_mov_b32 s8, s12
	ds_load_b64 v[1:2], v1
	s_waitcnt lgkmcnt(0)
	v_mul_f64 v[1:2], v[3:4], v[1:2]
	ds_store_b64 v6, v[1:2]
	s_cbranch_scc1 .LBB77_65
.LBB77_61:                              ; =>This Loop Header: Depth=1
                                        ;     Child Loop BB77_62 Depth 2
                                        ;     Child Loop BB77_64 Depth 2
	s_mul_i32 s12, s8, 12
	v_mov_b32_e32 v4, v5
	v_add_lshl_u32 v3, s12, v0, 3
	s_cmp_le_i32 s20, s8
	s_mov_b32 s12, s4
	s_mov_b32 s13, s20
	ds_load_b64 v[1:2], v3 offset:1152
	s_cbranch_scc1 .LBB77_63
.LBB77_62:                              ;   Parent Loop BB77_61 Depth=1
                                        ; =>  This Inner Loop Header: Depth=2
	v_mov_b32_e32 v8, s12
	s_add_i32 s13, s13, -1
	s_addk_i32 s12, 0xffa0
	s_cmp_gt_i32 s13, s8
	ds_load_b64 v[6:7], v4
	ds_load_b64 v[8:9], v8
	v_add_nc_u32_e32 v4, 0xffffffa0, v4
	s_waitcnt lgkmcnt(0)
	v_fma_f64 v[1:2], -v[6:7], v[8:9], v[1:2]
	s_cbranch_scc1 .LBB77_62
.LBB77_63:                              ;   in Loop: Header=BB77_61 Depth=1
	s_mul_i32 s12, s8, 0x68
	v_add_nc_u32_e32 v7, 0x480, v3
	v_mov_b32_e32 v3, s12
	s_cmp_lt_i32 s20, s8
	s_mov_b32 s13, s9
	s_mov_b32 s18, s15
	v_add_nc_u32_e32 v6, 0xffffffa0, v7
	ds_load_b64 v[8:9], v3
	ds_load_b64 v[3:4], v6
	s_waitcnt lgkmcnt(1)
	v_mul_f64 v[8:9], v[1:2], v[8:9]
	v_mov_b32_e32 v1, v5
	ds_store_b64 v7, v[8:9]
	s_cbranch_scc1 .LBB77_60
.LBB77_64:                              ;   Parent Loop BB77_61 Depth=1
                                        ; =>  This Inner Loop Header: Depth=2
	v_mov_b32_e32 v2, s13
	s_add_i32 s18, s18, -1
	s_addk_i32 s13, 0xffa0
	s_cmp_gt_i32 s18, s8
	ds_load_b64 v[7:8], v1
	ds_load_b64 v[9:10], v2
	v_add_nc_u32_e32 v1, 0xffffffa0, v1
	s_waitcnt lgkmcnt(0)
	v_fma_f64 v[3:4], -v[7:8], v[9:10], v[3:4]
	s_cbranch_scc1 .LBB77_64
	s_branch .LBB77_60
.LBB77_65:
	s_waitcnt vmcnt(0) lgkmcnt(0)
	s_waitcnt_vscnt null, 0x0
	; wave barrier
	s_waitcnt lgkmcnt(0)
	buffer_gl0_inv
	s_and_saveexec_b32 s4, s14
	s_cbranch_execz .LBB77_73
; %bb.66:
	s_cmp_lt_i32 s6, 8
	s_mov_b32 s6, 0
	s_cbranch_scc1 .LBB77_70
; %bb.67:
	v_mad_i64_i32 v[1:2], null, s16, v0, 0
	s_lshl_b32 s4, s15, 3
	s_delay_alu instid0(SALU_CYCLE_1) | instskip(NEXT) | instid1(VALU_DEP_1)
	s_and_b32 s6, s4, 64
	v_lshlrev_b64 v[2:3], 3, v[1:2]
	v_lshl_or_b32 v1, v0, 3, 0x480
	s_delay_alu instid0(VALU_DEP_2) | instskip(NEXT) | instid1(VALU_DEP_3)
	v_add_co_u32 v2, vcc_lo, s5, v2
	v_add_co_ci_u32_e32 v3, vcc_lo, s7, v3, vcc_lo
	s_mov_b64 s[4:5], 0
	.p2align	6
.LBB77_68:                              ; =>This Inner Loop Header: Depth=1
	ds_load_2addr_b64 v[4:7], v1 offset1:12
	ds_load_2addr_b64 v[8:11], v1 offset0:24 offset1:36
	ds_load_2addr_b64 v[12:15], v1 offset0:48 offset1:60
	;; [unrolled: 1-line block ×3, first 2 shown]
	v_add_co_u32 v20, vcc_lo, v2, s4
	v_add_co_ci_u32_e32 v21, vcc_lo, s5, v3, vcc_lo
	v_add_nc_u32_e32 v1, 0x300, v1
	s_add_u32 s4, s4, 64
	s_addc_u32 s5, s5, 0
	s_cmp_lg_u32 s6, s4
	s_waitcnt lgkmcnt(3)
	global_store_b128 v[20:21], v[4:7], off
	s_waitcnt lgkmcnt(2)
	global_store_b128 v[20:21], v[8:11], off offset:16
	s_waitcnt lgkmcnt(1)
	global_store_b128 v[20:21], v[12:15], off offset:32
	;; [unrolled: 2-line block ×3, first 2 shown]
	s_cbranch_scc1 .LBB77_68
; %bb.69:
	s_mov_b32 s6, 8
.LBB77_70:
	s_and_b32 s4, s15, 7
	s_delay_alu instid0(SALU_CYCLE_1)
	s_cmp_eq_u32 s4, 0
	s_cbranch_scc1 .LBB77_73
; %bb.71:
	v_lshlrev_b32_e32 v2, 3, v0
	s_lshl_b64 s[8:9], s[10:11], 3
	s_lshl_b32 s5, s6, 3
	s_delay_alu instid0(SALU_CYCLE_1) | instskip(NEXT) | instid1(VALU_DEP_1)
	s_add_u32 s2, s2, s5
	v_add_co_u32 v3, s7, s8, v2
	s_delay_alu instid0(VALU_DEP_1) | instskip(SKIP_3) | instid1(VALU_DEP_1)
	v_add_co_ci_u32_e64 v4, null, s9, 0, s7
	s_addc_u32 s3, s3, 0
	s_add_u32 s0, s2, s0
	s_addc_u32 s1, s3, s1
	v_mul_lo_u32 v4, v4, s16
	v_mad_u64_u32 v[0:1], null, v3, s16, s[0:1]
	v_mul_lo_u32 v3, v3, s17
	s_mul_i32 s0, s6, 0x60
	s_delay_alu instid0(SALU_CYCLE_1) | instskip(NEXT) | instid1(VALU_DEP_2)
	v_add3_u32 v2, s0, v2, 0x480
	v_add3_u32 v1, v4, v1, v3
.LBB77_72:                              ; =>This Inner Loop Header: Depth=1
	ds_load_b64 v[3:4], v2
	v_add_nc_u32_e32 v2, 0x60, v2
	s_add_i32 s4, s4, -1
	s_delay_alu instid0(SALU_CYCLE_1)
	s_cmp_lg_u32 s4, 0
	s_waitcnt lgkmcnt(0)
	global_store_b64 v[0:1], v[3:4], off
	v_add_co_u32 v0, vcc_lo, v0, 8
	v_add_co_ci_u32_e32 v1, vcc_lo, 0, v1, vcc_lo
	s_cbranch_scc1 .LBB77_72
.LBB77_73:
	s_nop 0
	s_sendmsg sendmsg(MSG_DEALLOC_VGPRS)
	s_endpgm
	.section	.rodata,"a",@progbits
	.p2align	6, 0x0
	.amdhsa_kernel _ZL38rocblas_trsm_small_left_device_sharedBILi12ELi12ELb0EddPKPKdPKPdEv13rocblas_fill_18rocblas_operation_17rocblas_diagonal_iiT3_T4_lilT5_lili
		.amdhsa_group_segment_fixed_size 2304
		.amdhsa_private_segment_fixed_size 0
		.amdhsa_kernarg_size 360
		.amdhsa_user_sgpr_count 14
		.amdhsa_user_sgpr_dispatch_ptr 0
		.amdhsa_user_sgpr_queue_ptr 0
		.amdhsa_user_sgpr_kernarg_segment_ptr 1
		.amdhsa_user_sgpr_dispatch_id 0
		.amdhsa_user_sgpr_private_segment_size 0
		.amdhsa_wavefront_size32 1
		.amdhsa_uses_dynamic_stack 0
		.amdhsa_enable_private_segment 0
		.amdhsa_system_sgpr_workgroup_id_x 1
		.amdhsa_system_sgpr_workgroup_id_y 0
		.amdhsa_system_sgpr_workgroup_id_z 1
		.amdhsa_system_sgpr_workgroup_info 0
		.amdhsa_system_vgpr_workitem_id 0
		.amdhsa_next_free_vgpr 66
		.amdhsa_next_free_sgpr 32
		.amdhsa_reserve_vcc 1
		.amdhsa_float_round_mode_32 0
		.amdhsa_float_round_mode_16_64 0
		.amdhsa_float_denorm_mode_32 3
		.amdhsa_float_denorm_mode_16_64 3
		.amdhsa_dx10_clamp 1
		.amdhsa_ieee_mode 1
		.amdhsa_fp16_overflow 0
		.amdhsa_workgroup_processor_mode 1
		.amdhsa_memory_ordered 1
		.amdhsa_forward_progress 0
		.amdhsa_shared_vgpr_count 0
		.amdhsa_exception_fp_ieee_invalid_op 0
		.amdhsa_exception_fp_denorm_src 0
		.amdhsa_exception_fp_ieee_div_zero 0
		.amdhsa_exception_fp_ieee_overflow 0
		.amdhsa_exception_fp_ieee_underflow 0
		.amdhsa_exception_fp_ieee_inexact 0
		.amdhsa_exception_int_div_zero 0
	.end_amdhsa_kernel
	.section	.text._ZL38rocblas_trsm_small_left_device_sharedBILi12ELi12ELb0EddPKPKdPKPdEv13rocblas_fill_18rocblas_operation_17rocblas_diagonal_iiT3_T4_lilT5_lili,"axG",@progbits,_ZL38rocblas_trsm_small_left_device_sharedBILi12ELi12ELb0EddPKPKdPKPdEv13rocblas_fill_18rocblas_operation_17rocblas_diagonal_iiT3_T4_lilT5_lili,comdat
.Lfunc_end77:
	.size	_ZL38rocblas_trsm_small_left_device_sharedBILi12ELi12ELb0EddPKPKdPKPdEv13rocblas_fill_18rocblas_operation_17rocblas_diagonal_iiT3_T4_lilT5_lili, .Lfunc_end77-_ZL38rocblas_trsm_small_left_device_sharedBILi12ELi12ELb0EddPKPKdPKPdEv13rocblas_fill_18rocblas_operation_17rocblas_diagonal_iiT3_T4_lilT5_lili
                                        ; -- End function
	.section	.AMDGPU.csdata,"",@progbits
; Kernel info:
; codeLenInByte = 8776
; NumSgprs: 34
; NumVgprs: 66
; ScratchSize: 0
; MemoryBound: 0
; FloatMode: 240
; IeeeMode: 1
; LDSByteSize: 2304 bytes/workgroup (compile time only)
; SGPRBlocks: 4
; VGPRBlocks: 8
; NumSGPRsForWavesPerEU: 34
; NumVGPRsForWavesPerEU: 66
; Occupancy: 14
; WaveLimiterHint : 1
; COMPUTE_PGM_RSRC2:SCRATCH_EN: 0
; COMPUTE_PGM_RSRC2:USER_SGPR: 14
; COMPUTE_PGM_RSRC2:TRAP_HANDLER: 0
; COMPUTE_PGM_RSRC2:TGID_X_EN: 1
; COMPUTE_PGM_RSRC2:TGID_Y_EN: 0
; COMPUTE_PGM_RSRC2:TGID_Z_EN: 1
; COMPUTE_PGM_RSRC2:TIDIG_COMP_CNT: 0
	.section	.text._ZL30rocblas_trsm_small_left_deviceILi12ELi12ELb0EddPKPKdPKPdEv13rocblas_fill_18rocblas_operation_17rocblas_diagonal_iiT3_T4_lilT5_lili,"axG",@progbits,_ZL30rocblas_trsm_small_left_deviceILi12ELi12ELb0EddPKPKdPKPdEv13rocblas_fill_18rocblas_operation_17rocblas_diagonal_iiT3_T4_lilT5_lili,comdat
	.globl	_ZL30rocblas_trsm_small_left_deviceILi12ELi12ELb0EddPKPKdPKPdEv13rocblas_fill_18rocblas_operation_17rocblas_diagonal_iiT3_T4_lilT5_lili ; -- Begin function _ZL30rocblas_trsm_small_left_deviceILi12ELi12ELb0EddPKPKdPKPdEv13rocblas_fill_18rocblas_operation_17rocblas_diagonal_iiT3_T4_lilT5_lili
	.p2align	8
	.type	_ZL30rocblas_trsm_small_left_deviceILi12ELi12ELb0EddPKPKdPKPdEv13rocblas_fill_18rocblas_operation_17rocblas_diagonal_iiT3_T4_lilT5_lili,@function
_ZL30rocblas_trsm_small_left_deviceILi12ELi12ELb0EddPKPKdPKPdEv13rocblas_fill_18rocblas_operation_17rocblas_diagonal_iiT3_T4_lilT5_lili: ; @_ZL30rocblas_trsm_small_left_deviceILi12ELi12ELb0EddPKPKdPKPdEv13rocblas_fill_18rocblas_operation_17rocblas_diagonal_iiT3_T4_lilT5_lili
; %bb.0:
	s_load_b128 s[16:19], s[0:1], 0x40
	s_mov_b32 s2, s15
	s_mov_b32 s3, 0
	s_clause 0x1
	s_load_b128 s[8:11], s[0:1], 0x4
	s_load_b64 s[20:21], s[0:1], 0x28
	s_lshl_b64 s[24:25], s[2:3], 3
	s_waitcnt lgkmcnt(0)
	s_add_u32 s12, s16, s24
	s_addc_u32 s13, s17, s25
	s_load_b128 s[4:7], s[0:1], 0x18
	s_load_b64 s[16:17], s[12:13], 0x0
	s_min_i32 s2, s10, 12
	s_mov_b32 s13, exec_lo
	s_add_i32 s12, s2, -1
	v_cmpx_gt_i32_e64 s2, v0
	s_cbranch_execz .LBB78_10
; %bb.1:
	s_load_b32 s22, s[0:1], 0x30
	v_lshlrev_b32_e32 v3, 3, v0
	s_waitcnt lgkmcnt(0)
	s_ashr_i32 s23, s22, 31
	s_add_u32 s6, s6, s24
	s_addc_u32 s7, s7, s25
	s_cmp_lt_u32 s12, 3
	s_load_b64 s[6:7], s[6:7], 0x0
	s_cbranch_scc1 .LBB78_4
; %bb.2:
	s_lshl_b64 s[24:25], s[20:21], 3
	v_mov_b32_e32 v4, v3
	s_waitcnt lgkmcnt(0)
	s_add_u32 s3, s6, s24
	s_addc_u32 s15, s7, s25
	v_add_co_u32 v1, s3, s3, v3
	s_delay_alu instid0(VALU_DEP_1)
	v_add_co_ci_u32_e64 v2, null, s15, 0, s3
	s_and_b32 s3, s2, -4
	s_mul_hi_i32 s15, s22, 24
	s_mul_i32 s30, s22, 24
	s_lshl_b64 s[24:25], s[22:23], 5
	s_lshl_b64 s[26:27], s[22:23], 4
	;; [unrolled: 1-line block ×3, first 2 shown]
	s_mov_b32 s31, 0
	.p2align	6
.LBB78_3:                               ; =>This Inner Loop Header: Depth=1
	v_add_co_u32 v5, vcc_lo, v1, s28
	v_add_co_ci_u32_e32 v6, vcc_lo, s29, v2, vcc_lo
	v_add_co_u32 v7, vcc_lo, v1, s26
	v_add_co_ci_u32_e32 v8, vcc_lo, s27, v2, vcc_lo
	;; [unrolled: 2-line block ×3, first 2 shown]
	s_clause 0x3
	global_load_b64 v[11:12], v[1:2], off
	global_load_b64 v[5:6], v[5:6], off
	;; [unrolled: 1-line block ×4, first 2 shown]
	v_add_co_u32 v1, vcc_lo, v1, s24
	v_add_co_ci_u32_e32 v2, vcc_lo, s25, v2, vcc_lo
	s_add_i32 s31, s31, 4
	s_waitcnt vmcnt(2)
	ds_store_2addr_b64 v4, v[11:12], v[5:6] offset1:12
	s_waitcnt vmcnt(0)
	ds_store_2addr_b64 v4, v[7:8], v[9:10] offset0:24 offset1:36
	v_add_nc_u32_e32 v4, 0x180, v4
	s_cmp_eq_u32 s3, s31
	s_cbranch_scc0 .LBB78_3
.LBB78_4:
	s_and_b32 s15, s2, 3
	s_delay_alu instid0(SALU_CYCLE_1)
	s_cmp_eq_u32 s15, 0
	s_cbranch_scc1 .LBB78_7
; %bb.5:
	s_mul_i32 s24, s23, s3
	s_mul_hi_u32 s25, s22, s3
	s_lshl_b64 s[20:21], s[20:21], 3
	s_add_i32 s25, s25, s24
	s_mul_i32 s24, s22, s3
	s_mulk_i32 s3, 0x60
	s_lshl_b64 s[24:25], s[24:25], 3
	v_lshl_add_u32 v4, v0, 3, s3
	s_add_u32 s3, s24, s20
	s_addc_u32 s20, s25, s21
	s_waitcnt lgkmcnt(0)
	s_add_u32 s3, s6, s3
	s_addc_u32 s6, s7, s20
	v_add_co_u32 v1, s3, s3, v3
	s_delay_alu instid0(VALU_DEP_1)
	v_add_co_ci_u32_e64 v2, null, s6, 0, s3
	s_lshl_b64 s[6:7], s[22:23], 3
.LBB78_6:                               ; =>This Inner Loop Header: Depth=1
	global_load_b64 v[5:6], v[1:2], off
	v_add_co_u32 v1, vcc_lo, v1, s6
	v_add_co_ci_u32_e32 v2, vcc_lo, s7, v2, vcc_lo
	s_add_i32 s15, s15, -1
	s_delay_alu instid0(SALU_CYCLE_1)
	s_cmp_lg_u32 s15, 0
	s_waitcnt vmcnt(0)
	ds_store_b64 v4, v[5:6]
	v_add_nc_u32_e32 v4, 0x60, v4
	s_cbranch_scc1 .LBB78_6
.LBB78_7:
	v_mul_u32_u24_e32 v3, 13, v0
	v_mov_b32_e32 v1, 0
	v_mov_b32_e32 v2, 0x3ff00000
	s_cmpk_lg_i32 s9, 0x84
	s_delay_alu instid0(VALU_DEP_3)
	v_lshlrev_b32_e32 v3, 3, v3
	s_cbranch_scc0 .LBB78_9
; %bb.8:
	ds_load_b64 v[1:2], v3
	s_waitcnt lgkmcnt(0)
	v_div_scale_f64 v[4:5], null, v[1:2], v[1:2], 1.0
	s_delay_alu instid0(VALU_DEP_1) | instskip(SKIP_2) | instid1(VALU_DEP_1)
	v_rcp_f64_e32 v[6:7], v[4:5]
	s_waitcnt_depctr 0xfff
	v_fma_f64 v[8:9], -v[4:5], v[6:7], 1.0
	v_fma_f64 v[6:7], v[6:7], v[8:9], v[6:7]
	s_delay_alu instid0(VALU_DEP_1) | instskip(NEXT) | instid1(VALU_DEP_1)
	v_fma_f64 v[8:9], -v[4:5], v[6:7], 1.0
	v_fma_f64 v[6:7], v[6:7], v[8:9], v[6:7]
	v_div_scale_f64 v[8:9], vcc_lo, 1.0, v[1:2], 1.0
	s_delay_alu instid0(VALU_DEP_1) | instskip(NEXT) | instid1(VALU_DEP_1)
	v_mul_f64 v[10:11], v[8:9], v[6:7]
	v_fma_f64 v[4:5], -v[4:5], v[10:11], v[8:9]
	s_delay_alu instid0(VALU_DEP_1) | instskip(NEXT) | instid1(VALU_DEP_1)
	v_div_fmas_f64 v[4:5], v[4:5], v[6:7], v[10:11]
	v_div_fixup_f64 v[1:2], v[4:5], v[1:2], 1.0
.LBB78_9:
	ds_store_b64 v3, v[1:2]
.LBB78_10:
	s_or_b32 exec_lo, exec_lo, s13
	s_load_b32 s3, s[0:1], 0x68
	s_waitcnt lgkmcnt(0)
	s_mul_i32 s6, s14, -12
	s_delay_alu instid0(SALU_CYCLE_1) | instskip(SKIP_2) | instid1(SALU_CYCLE_1)
	s_add_i32 s6, s6, s11
	; wave barrier
	buffer_gl0_inv
	s_add_i32 s3, s3, -1
	s_cmp_ge_u32 s14, s3
	s_cselect_b32 s3, s6, 12
	s_delay_alu instid0(SALU_CYCLE_1)
	v_cmp_gt_i32_e32 vcc_lo, s3, v0
	s_mov_b32 s3, -1
	s_and_saveexec_b32 s6, vcc_lo
	s_cbranch_execz .LBB78_57
; %bb.11:
	s_load_b32 s0, s[0:1], 0x50
	v_mad_u64_u32 v[1:2], null, s14, 12, v[0:1]
	s_waitcnt lgkmcnt(0)
	s_delay_alu instid0(VALU_DEP_1) | instskip(SKIP_1) | instid1(SALU_CYCLE_1)
	v_mad_i64_i32 v[2:3], null, s0, v1, 0
	s_lshl_b64 s[0:1], s[18:19], 3
	s_add_u32 s6, s16, s0
	s_addc_u32 s7, s17, s1
	s_cmpk_eq_i32 s8, 0x6f
	s_delay_alu instid0(VALU_DEP_1) | instskip(NEXT) | instid1(VALU_DEP_1)
	v_lshlrev_b64 v[10:11], 3, v[2:3]
	v_add_co_u32 v8, vcc_lo, s6, v10
	s_delay_alu instid0(VALU_DEP_2)
	v_add_co_ci_u32_e32 v9, vcc_lo, s7, v11, vcc_lo
	s_cbranch_scc1 .LBB78_35
; %bb.12:
	s_cmp_gt_i32 s10, 11
	s_cselect_b32 s3, -1, 0
	s_delay_alu instid0(SALU_CYCLE_1)
	s_and_b32 vcc_lo, exec_lo, s3
	s_cbranch_vccz .LBB78_14
; %bb.13:
	s_clause 0x3
	global_load_b128 v[0:3], v[8:9], off
	global_load_b128 v[12:15], v[8:9], off offset:16
	global_load_b128 v[16:19], v[8:9], off offset:32
	;; [unrolled: 1-line block ×3, first 2 shown]
	v_mov_b32_e32 v4, 0
	global_load_b128 v[28:31], v[8:9], off offset:64
	s_mov_b32 s6, 12
	ds_load_2addr_b64 v[24:27], v4 offset1:26
	ds_load_b128 v[32:35], v4 offset:96
	ds_load_b128 v[36:39], v4 offset:192
	;; [unrolled: 1-line block ×4, first 2 shown]
	global_load_b128 v[44:47], v[8:9], off offset:80
	s_waitcnt vmcnt(5)
	v_mul_f64 v[0:1], v[0:1], s[4:5]
	s_waitcnt lgkmcnt(4)
	s_delay_alu instid0(VALU_DEP_1) | instskip(SKIP_1) | instid1(VALU_DEP_1)
	v_mul_f64 v[0:1], v[0:1], v[24:25]
	s_waitcnt lgkmcnt(3)
	v_mul_f64 v[5:6], v[0:1], v[32:33]
	s_waitcnt lgkmcnt(2)
	v_mul_f64 v[24:25], v[0:1], v[36:37]
	s_delay_alu instid0(VALU_DEP_2) | instskip(SKIP_3) | instid1(VALU_DEP_3)
	v_fma_f64 v[2:3], v[2:3], s[4:5], -v[5:6]
	s_waitcnt lgkmcnt(1)
	v_mul_f64 v[5:6], v[0:1], v[40:41]
	s_waitcnt vmcnt(4)
	v_fma_f64 v[12:13], v[12:13], s[4:5], -v[24:25]
	s_delay_alu instid0(VALU_DEP_3)
	v_mul_f64 v[2:3], v[2:3], v[34:35]
	ds_load_b128 v[32:35], v4 offset:384
	ds_load_b128 v[52:55], v4 offset:400
	v_fma_f64 v[5:6], v[14:15], s[4:5], -v[5:6]
	s_waitcnt lgkmcnt(1)
	v_mul_f64 v[24:25], v[0:1], v[32:33]
	v_fma_f64 v[32:33], -v[2:3], v[38:39], v[12:13]
	ds_load_b128 v[12:15], v4 offset:480
	ds_load_b128 v[36:39], v4 offset:496
	v_fma_f64 v[5:6], -v[2:3], v[42:43], v[5:6]
	s_waitcnt lgkmcnt(1)
	v_mul_f64 v[40:41], v[0:1], v[12:13]
	s_waitcnt vmcnt(3)
	v_fma_f64 v[16:17], v[16:17], s[4:5], -v[24:25]
	v_mul_f64 v[12:13], v[32:33], v[26:27]
	ds_load_b128 v[24:27], v4 offset:576
	v_fma_f64 v[40:41], v[18:19], s[4:5], -v[40:41]
	s_waitcnt lgkmcnt(0)
	v_mul_f64 v[24:25], v[0:1], v[24:25]
	v_fma_f64 v[42:43], -v[2:3], v[34:35], v[16:17]
	ds_load_b128 v[16:19], v4 offset:672
	ds_load_b128 v[32:35], v4 offset:688
	v_fma_f64 v[5:6], -v[12:13], v[48:49], v[5:6]
	s_waitcnt lgkmcnt(1)
	v_mul_f64 v[16:17], v[0:1], v[16:17]
	s_waitcnt vmcnt(2)
	v_fma_f64 v[20:21], v[20:21], s[4:5], -v[24:25]
	v_fma_f64 v[24:25], -v[2:3], v[14:15], v[40:41]
	v_fma_f64 v[52:53], -v[12:13], v[52:53], v[42:43]
	v_mul_f64 v[14:15], v[5:6], v[50:51]
	ds_load_b128 v[40:43], v4 offset:768
	ds_load_b128 v[48:51], v4 offset:784
	v_fma_f64 v[16:17], v[22:23], s[4:5], -v[16:17]
	s_waitcnt lgkmcnt(1)
	v_mul_f64 v[5:6], v[0:1], v[40:41]
	v_fma_f64 v[40:41], -v[2:3], v[26:27], v[20:21]
	v_fma_f64 v[36:37], -v[12:13], v[36:37], v[24:25]
	;; [unrolled: 1-line block ×3, first 2 shown]
	ds_load_b128 v[20:23], v4 offset:864
	ds_load_b128 v[24:27], v4 offset:592
	ds_load_2addr_b64 v[52:55], v4 offset0:52 offset1:78
	ds_load_b128 v[56:59], v4 offset:608
	ds_load_b128 v[60:63], v4 offset:880
	s_waitcnt lgkmcnt(4)
	v_mul_f64 v[66:67], v[0:1], v[20:21]
	s_waitcnt vmcnt(1)
	v_fma_f64 v[5:6], v[28:29], s[4:5], -v[5:6]
	v_fma_f64 v[28:29], -v[2:3], v[18:19], v[16:17]
	s_waitcnt lgkmcnt(3)
	v_fma_f64 v[24:25], -v[12:13], v[24:25], v[40:41]
	v_fma_f64 v[40:41], -v[14:15], v[38:39], v[36:37]
	ds_load_b128 v[18:21], v4 offset:960
	ds_load_b128 v[36:39], v4 offset:512
	s_waitcnt lgkmcnt(4)
	v_mul_f64 v[16:17], v[64:65], v[52:53]
	s_waitcnt lgkmcnt(1)
	v_mul_f64 v[18:19], v[0:1], v[18:19]
	v_fma_f64 v[52:53], v[30:31], s[4:5], -v[66:67]
	v_fma_f64 v[5:6], -v[2:3], v[42:43], v[5:6]
	v_fma_f64 v[32:33], -v[12:13], v[32:33], v[28:29]
	;; [unrolled: 1-line block ×3, first 2 shown]
	ds_load_b128 v[24:27], v4 offset:1056
	ds_load_b128 v[28:31], v4 offset:1072
	s_waitcnt lgkmcnt(2)
	v_fma_f64 v[36:37], -v[16:17], v[36:37], v[40:41]
	s_waitcnt vmcnt(0)
	v_fma_f64 v[40:41], v[44:45], s[4:5], -v[18:19]
	v_fma_f64 v[44:45], -v[2:3], v[22:23], v[52:53]
	v_fma_f64 v[5:6], -v[12:13], v[48:49], v[5:6]
	;; [unrolled: 1-line block ×4, first 2 shown]
	v_mul_f64 v[18:19], v[36:37], v[38:39]
	s_waitcnt lgkmcnt(1)
	v_mul_f64 v[36:37], v[0:1], v[24:25]
	ds_load_b128 v[22:25], v4 offset:704
	ds_load_b128 v[32:35], v4 offset:720
	v_fma_f64 v[52:53], -v[2:3], v[20:21], v[40:41]
	v_fma_f64 v[56:57], -v[12:13], v[60:61], v[44:45]
	;; [unrolled: 1-line block ×3, first 2 shown]
	s_waitcnt lgkmcnt(1)
	v_fma_f64 v[48:49], -v[16:17], v[22:23], v[48:49]
	v_fma_f64 v[50:51], -v[18:19], v[58:59], v[42:43]
	v_fma_f64 v[58:59], v[46:47], s[4:5], -v[36:37]
	ds_load_b128 v[20:23], v4 offset:976
	ds_load_b128 v[36:39], v4 offset:800
	;; [unrolled: 1-line block ×4, first 2 shown]
	v_fma_f64 v[56:57], -v[14:15], v[62:63], v[56:57]
	s_waitcnt lgkmcnt(3)
	v_fma_f64 v[52:53], -v[12:13], v[20:21], v[52:53]
	s_waitcnt lgkmcnt(2)
	v_fma_f64 v[5:6], -v[16:17], v[36:37], v[5:6]
	v_fma_f64 v[36:37], -v[18:19], v[24:25], v[48:49]
	v_mul_f64 v[20:21], v[50:51], v[54:55]
	v_fma_f64 v[54:55], -v[2:3], v[26:27], v[58:59]
	ds_load_b128 v[24:27], v4 offset:896
	ds_load_b128 v[48:51], v4 offset:912
	v_fma_f64 v[22:23], -v[14:15], v[22:23], v[52:53]
	v_fma_f64 v[5:6], -v[18:19], v[38:39], v[5:6]
	s_waitcnt lgkmcnt(1)
	v_fma_f64 v[24:25], -v[16:17], v[24:25], v[56:57]
	v_fma_f64 v[32:33], -v[20:21], v[32:33], v[36:37]
	v_fma_f64 v[28:29], -v[12:13], v[28:29], v[54:55]
	v_fma_f64 v[36:37], -v[16:17], v[44:45], v[22:23]
	v_fma_f64 v[5:6], -v[20:21], v[40:41], v[5:6]
	v_fma_f64 v[38:39], -v[18:19], v[26:27], v[24:25]
	v_mul_f64 v[22:23], v[32:33], v[34:35]
	v_fma_f64 v[32:33], -v[14:15], v[30:31], v[28:29]
	ds_load_b128 v[24:27], v4 offset:1088
	ds_load_b128 v[28:31], v4 offset:1104
	v_fma_f64 v[44:45], -v[18:19], v[46:47], v[36:37]
	s_waitcnt lgkmcnt(2)
	v_fma_f64 v[46:47], -v[20:21], v[48:49], v[38:39]
	v_fma_f64 v[5:6], -v[22:23], v[42:43], v[5:6]
	s_waitcnt lgkmcnt(1)
	v_fma_f64 v[48:49], -v[16:17], v[24:25], v[32:33]
	ds_load_b128 v[32:35], v4 offset:1008
	ds_load_2addr_b64 v[36:39], v4 offset0:104 offset1:130
	ds_load_b128 v[40:43], v4 offset:1024
	s_waitcnt lgkmcnt(2)
	v_fma_f64 v[32:33], -v[20:21], v[32:33], v[44:45]
	v_fma_f64 v[50:51], -v[22:23], v[50:51], v[46:47]
	ds_load_b128 v[44:47], v4 offset:928
	s_waitcnt lgkmcnt(2)
	v_mul_f64 v[24:25], v[5:6], v[36:37]
	v_fma_f64 v[5:6], -v[18:19], v[26:27], v[48:49]
	v_fma_f64 v[26:27], -v[22:23], v[34:35], v[32:33]
	s_waitcnt lgkmcnt(0)
	s_delay_alu instid0(VALU_DEP_3) | instskip(NEXT) | instid1(VALU_DEP_3)
	v_fma_f64 v[32:33], -v[24:25], v[44:45], v[50:51]
	v_fma_f64 v[5:6], -v[20:21], v[28:29], v[5:6]
	s_delay_alu instid0(VALU_DEP_3) | instskip(NEXT) | instid1(VALU_DEP_3)
	v_fma_f64 v[34:35], -v[24:25], v[40:41], v[26:27]
	v_mul_f64 v[26:27], v[32:33], v[46:47]
	s_delay_alu instid0(VALU_DEP_3)
	v_fma_f64 v[32:33], -v[22:23], v[30:31], v[5:6]
	ds_load_b128 v[28:31], v4 offset:1120
	ds_load_b128 v[4:7], v4 offset:1136
	s_clause 0x3
	global_store_b128 v[8:9], v[0:3], off
	global_store_b128 v[8:9], v[12:15], off offset:16
	global_store_b128 v[8:9], v[16:19], off offset:32
	;; [unrolled: 1-line block ×3, first 2 shown]
	v_fma_f64 v[34:35], -v[26:27], v[42:43], v[34:35]
	s_waitcnt lgkmcnt(1)
	v_fma_f64 v[32:33], -v[24:25], v[28:29], v[32:33]
	s_delay_alu instid0(VALU_DEP_2) | instskip(NEXT) | instid1(VALU_DEP_2)
	v_mul_f64 v[28:29], v[34:35], v[38:39]
	v_fma_f64 v[30:31], -v[26:27], v[30:31], v[32:33]
	s_waitcnt lgkmcnt(0)
	s_delay_alu instid0(VALU_DEP_1) | instskip(NEXT) | instid1(VALU_DEP_1)
	v_fma_f64 v[4:5], -v[28:29], v[4:5], v[30:31]
	v_mul_f64 v[30:31], v[4:5], v[6:7]
	s_clause 0x1
	global_store_b128 v[8:9], v[24:27], off offset:64
	global_store_b128 v[8:9], v[28:31], off offset:80
	s_cmp_lt_i32 s6, s2
	s_cbranch_scc1 .LBB78_15
	s_branch .LBB78_34
.LBB78_14:
	s_mov_b32 s6, 0
	s_delay_alu instid0(SALU_CYCLE_1)
	s_cmp_lt_i32 s6, s2
	s_cbranch_scc0 .LBB78_34
.LBB78_15:
	s_add_i32 s7, s6, 7
	s_delay_alu instid0(SALU_CYCLE_1)
	s_cmp_ge_u32 s7, s2
	s_cbranch_scc1 .LBB78_23
; %bb.16:
	s_lshl_b32 s7, s6, 3
	s_delay_alu instid0(SALU_CYCLE_1)
	v_add_co_u32 v0, vcc_lo, v8, s7
	v_add_co_ci_u32_e32 v1, vcc_lo, 0, v9, vcc_lo
	s_and_not1_b32 vcc_lo, exec_lo, s3
	s_mov_b32 s3, 0
	s_clause 0x3
	global_load_b128 v[2:5], v[0:1], off
	global_load_b128 v[12:15], v[0:1], off offset:16
	global_load_b128 v[22:25], v[0:1], off offset:32
	;; [unrolled: 1-line block ×3, first 2 shown]
	s_waitcnt vmcnt(3)
	v_mul_f64 v[20:21], v[2:3], s[4:5]
	v_mul_f64 v[18:19], v[4:5], s[4:5]
	s_waitcnt vmcnt(2)
	v_mul_f64 v[16:17], v[12:13], s[4:5]
	v_mul_f64 v[14:15], v[14:15], s[4:5]
	;; [unrolled: 3-line block ×4, first 2 shown]
	s_cbranch_vccnz .LBB78_22
; %bb.17:
	s_max_u32 s7, s6, 1
	s_delay_alu instid0(SALU_CYCLE_1)
	s_cmp_eq_u32 s7, 1
	s_cbranch_scc1 .LBB78_20
; %bb.18:
	s_and_b32 s3, s7, 12
	s_add_u32 s8, s16, s0
	s_addc_u32 s9, s17, s1
	v_add_co_u32 v22, vcc_lo, s8, v10
	v_add_co_ci_u32_e32 v23, vcc_lo, s9, v11, vcc_lo
	s_mul_i32 s8, s6, 0x60
	s_delay_alu instid0(VALU_DEP_2) | instskip(NEXT) | instid1(VALU_DEP_2)
	v_add_co_u32 v22, vcc_lo, v22, 8
	v_add_co_ci_u32_e32 v23, vcc_lo, 0, v23, vcc_lo
	s_mov_b32 s9, 0
.LBB78_19:                              ; =>This Inner Loop Header: Depth=1
	global_load_b128 v[24:27], v[22:23], off offset:-8
	v_mov_b32_e32 v56, s8
	v_add_co_u32 v22, vcc_lo, v22, 16
	v_add_co_ci_u32_e32 v23, vcc_lo, 0, v23, vcc_lo
	ds_load_b128 v[28:31], v56
	ds_load_b128 v[32:35], v56 offset:96
	ds_load_b128 v[36:39], v56 offset:192
	;; [unrolled: 1-line block ×7, first 2 shown]
	s_add_i32 s9, s9, 2
	s_add_i32 s8, s8, 16
	s_cmp_lg_u32 s3, s9
	s_waitcnt vmcnt(0) lgkmcnt(7)
	v_fma_f64 v[20:21], -v[24:25], v[28:29], v[20:21]
	s_waitcnt lgkmcnt(6)
	v_fma_f64 v[18:19], -v[24:25], v[32:33], v[18:19]
	s_waitcnt lgkmcnt(5)
	;; [unrolled: 2-line block ×7, first 2 shown]
	v_fma_f64 v[2:3], -v[24:25], v[56:57], v[2:3]
	v_fma_f64 v[20:21], -v[26:27], v[30:31], v[20:21]
	;; [unrolled: 1-line block ×9, first 2 shown]
	s_cbranch_scc1 .LBB78_19
.LBB78_20:
	s_bitcmp0_b32 s7, 0
	s_cbranch_scc1 .LBB78_22
; %bb.21:
	s_lshl_b32 s7, s3, 3
	s_delay_alu instid0(SALU_CYCLE_1) | instskip(SKIP_2) | instid1(SALU_CYCLE_1)
	v_add_co_u32 v22, vcc_lo, v8, s7
	v_add_co_ci_u32_e32 v23, vcc_lo, 0, v9, vcc_lo
	s_mul_i32 s7, s6, 12
	s_add_i32 s7, s7, s3
	global_load_b64 v[38:39], v[22:23], off
	s_lshl_b32 s3, s7, 3
	s_delay_alu instid0(SALU_CYCLE_1)
	v_mov_b32_e32 v34, s3
	ds_load_2addr_b64 v[22:25], v34 offset1:12
	ds_load_2addr_b64 v[26:29], v34 offset0:24 offset1:36
	ds_load_2addr_b64 v[30:33], v34 offset0:48 offset1:60
	;; [unrolled: 1-line block ×3, first 2 shown]
	s_waitcnt vmcnt(0) lgkmcnt(3)
	v_fma_f64 v[20:21], -v[38:39], v[22:23], v[20:21]
	v_fma_f64 v[18:19], -v[38:39], v[24:25], v[18:19]
	s_waitcnt lgkmcnt(2)
	v_fma_f64 v[16:17], -v[38:39], v[26:27], v[16:17]
	v_fma_f64 v[14:15], -v[38:39], v[28:29], v[14:15]
	s_waitcnt lgkmcnt(1)
	;; [unrolled: 3-line block ×3, first 2 shown]
	v_fma_f64 v[4:5], -v[38:39], v[34:35], v[4:5]
	v_fma_f64 v[2:3], -v[38:39], v[36:37], v[2:3]
.LBB78_22:
	s_mul_i32 s3, s6, 0x68
	s_delay_alu instid0(SALU_CYCLE_1) | instskip(SKIP_1) | instid1(SALU_CYCLE_1)
	v_mov_b32_e32 v44, s3
	s_or_b32 s3, s6, 1
	s_mul_i32 s3, s3, 12
	s_delay_alu instid0(SALU_CYCLE_1) | instskip(SKIP_2) | instid1(SALU_CYCLE_1)
	s_add_i32 s7, s3, s6
	s_add_i32 s3, s3, 36
	s_lshl_b32 s7, s7, 3
	v_mov_b32_e32 v34, s7
	s_or_b32 s7, s3, s6
	s_add_i32 s3, s3, s6
	s_lshl_b32 s7, s7, 3
	s_lshl_b32 s3, s3, 3
	s_add_i32 s6, s6, 8
	v_mov_b32_e32 v45, s3
	ds_load_2addr_b64 v[22:25], v44 offset1:26
	ds_load_b128 v[26:29], v34
	ds_load_b128 v[30:33], v34 offset:96
	s_waitcnt lgkmcnt(2)
	v_mul_f64 v[20:21], v[20:21], v[22:23]
	s_waitcnt lgkmcnt(1)
	s_delay_alu instid0(VALU_DEP_1) | instskip(SKIP_2) | instid1(VALU_DEP_2)
	v_fma_f64 v[18:19], -v[20:21], v[26:27], v[18:19]
	s_waitcnt lgkmcnt(0)
	v_fma_f64 v[30:31], -v[20:21], v[30:31], v[16:17]
	v_mul_f64 v[22:23], v[18:19], v[28:29]
	ds_load_b128 v[16:19], v34 offset:192
	ds_load_b128 v[26:29], v34 offset:208
	s_waitcnt lgkmcnt(1)
	v_fma_f64 v[34:35], -v[20:21], v[16:17], v[14:15]
	v_fma_f64 v[36:37], -v[22:23], v[32:33], v[30:31]
	v_mov_b32_e32 v30, s7
	ds_load_b128 v[14:17], v30
	ds_load_b128 v[30:33], v30 offset:16
	v_fma_f64 v[18:19], -v[22:23], v[18:19], v[34:35]
	s_waitcnt lgkmcnt(1)
	v_fma_f64 v[14:15], -v[20:21], v[14:15], v[12:13]
	v_mul_f64 v[12:13], v[36:37], v[24:25]
	ds_load_b128 v[34:37], v45 offset:96
	ds_load_b128 v[38:41], v45 offset:112
	s_waitcnt lgkmcnt(1)
	v_fma_f64 v[6:7], -v[20:21], v[34:35], v[6:7]
	v_fma_f64 v[24:25], -v[22:23], v[16:17], v[14:15]
	ds_load_b128 v[14:17], v45 offset:192
	v_fma_f64 v[18:19], -v[12:13], v[26:27], v[18:19]
	s_waitcnt lgkmcnt(0)
	v_fma_f64 v[34:35], -v[20:21], v[14:15], v[4:5]
	v_fma_f64 v[36:37], -v[22:23], v[36:37], v[6:7]
	;; [unrolled: 1-line block ×3, first 2 shown]
	ds_load_b128 v[4:7], v45 offset:288
	ds_load_b128 v[24:27], v45 offset:304
	v_mul_f64 v[14:15], v[18:19], v[28:29]
	v_fma_f64 v[34:35], -v[22:23], v[16:17], v[34:35]
	v_fma_f64 v[36:37], -v[12:13], v[38:39], v[36:37]
	s_waitcnt lgkmcnt(1)
	v_fma_f64 v[38:39], -v[20:21], v[4:5], v[2:3]
	s_delay_alu instid0(VALU_DEP_4)
	v_fma_f64 v[32:33], -v[14:15], v[32:33], v[30:31]
	ds_load_b128 v[2:5], v45 offset:208
	ds_load_2addr_b64 v[16:19], v44 offset0:52 offset1:78
	ds_load_b128 v[28:31], v45 offset:224
	s_waitcnt lgkmcnt(2)
	v_fma_f64 v[42:43], -v[12:13], v[2:3], v[34:35]
	v_fma_f64 v[36:37], -v[14:15], v[40:41], v[36:37]
	v_fma_f64 v[6:7], -v[22:23], v[6:7], v[38:39]
	s_waitcnt lgkmcnt(1)
	v_mul_f64 v[2:3], v[32:33], v[16:17]
	ds_load_b128 v[32:35], v45 offset:128
	v_fma_f64 v[4:5], -v[14:15], v[4:5], v[42:43]
	v_fma_f64 v[6:7], -v[12:13], v[24:25], v[6:7]
	s_waitcnt lgkmcnt(0)
	v_fma_f64 v[16:17], -v[2:3], v[32:33], v[36:37]
	s_delay_alu instid0(VALU_DEP_3) | instskip(NEXT) | instid1(VALU_DEP_3)
	v_fma_f64 v[28:29], -v[2:3], v[28:29], v[4:5]
	v_fma_f64 v[6:7], -v[14:15], v[26:27], v[6:7]
	ds_load_b128 v[24:27], v45 offset:320
	ds_load_b64 v[32:33], v45 offset:336
	v_mul_f64 v[4:5], v[16:17], v[34:35]
	s_waitcnt lgkmcnt(1)
	v_fma_f64 v[6:7], -v[2:3], v[24:25], v[6:7]
	s_delay_alu instid0(VALU_DEP_2) | instskip(NEXT) | instid1(VALU_DEP_2)
	v_fma_f64 v[16:17], -v[4:5], v[30:31], v[28:29]
	v_fma_f64 v[6:7], -v[4:5], v[26:27], v[6:7]
	s_delay_alu instid0(VALU_DEP_2)
	v_mul_f64 v[16:17], v[16:17], v[18:19]
	ds_load_b64 v[18:19], v44 offset:728
	s_clause 0x1
	global_store_b128 v[0:1], v[20:23], off
	global_store_b128 v[0:1], v[12:15], off offset:16
	s_waitcnt lgkmcnt(1)
	v_fma_f64 v[6:7], -v[16:17], v[32:33], v[6:7]
	s_waitcnt lgkmcnt(0)
	s_delay_alu instid0(VALU_DEP_1)
	v_mul_f64 v[18:19], v[6:7], v[18:19]
	s_clause 0x1
	global_store_b128 v[0:1], v[2:5], off offset:32
	global_store_b128 v[0:1], v[16:19], off offset:48
.LBB78_23:
	s_cmp_ge_i32 s6, s2
	s_cbranch_scc1 .LBB78_34
; %bb.24:
	s_add_i32 s3, s6, -1
	s_add_u32 s7, s16, s0
	s_addc_u32 s8, s17, s1
	v_add_co_u32 v12, vcc_lo, s7, v10
	v_add_co_ci_u32_e32 v13, vcc_lo, s8, v11, vcc_lo
	s_mul_i32 s11, s6, 0x60
	s_delay_alu instid0(VALU_DEP_2) | instskip(NEXT) | instid1(VALU_DEP_2)
	v_add_co_u32 v0, vcc_lo, v12, 56
	v_add_co_ci_u32_e32 v1, vcc_lo, 0, v13, vcc_lo
	s_mov_b32 s9, 0
	s_mov_b32 s14, s6
	;; [unrolled: 1-line block ×3, first 2 shown]
	s_branch .LBB78_26
.LBB78_25:                              ;   in Loop: Header=BB78_26 Depth=1
	s_mul_i32 s7, s6, 0x68
	s_add_i32 s6, s6, 1
	v_mov_b32_e32 v6, s7
	s_add_i32 s13, s13, 1
	s_addk_i32 s11, 0x60
	s_cmp_ge_i32 s6, s2
	ds_load_b64 v[6:7], v6
	s_waitcnt lgkmcnt(0)
	v_mul_f64 v[4:5], v[4:5], v[6:7]
	v_add_nc_u16 v6, s14, 1
	s_delay_alu instid0(VALU_DEP_1)
	v_readfirstlane_b32 s14, v6
	global_store_b64 v[2:3], v[4:5], off
	s_cbranch_scc1 .LBB78_34
.LBB78_26:                              ; =>This Loop Header: Depth=1
                                        ;     Child Loop BB78_29 Depth 2
                                        ;     Child Loop BB78_33 Depth 2
	s_ashr_i32 s7, s6, 31
	s_delay_alu instid0(SALU_CYCLE_1)
	s_lshl_b64 s[18:19], s[6:7], 3
	s_cmp_eq_u32 s6, 0
	v_add_co_u32 v2, vcc_lo, v8, s18
	v_add_co_ci_u32_e32 v3, vcc_lo, s19, v9, vcc_lo
	global_load_b64 v[4:5], v[2:3], off
	s_waitcnt vmcnt(0)
	v_mul_f64 v[4:5], v[4:5], s[4:5]
	s_cbranch_scc1 .LBB78_25
; %bb.27:                               ;   in Loop: Header=BB78_26 Depth=1
	s_add_i32 s7, s3, s13
	s_delay_alu instid0(SALU_CYCLE_1)
	s_cmp_lt_u32 s7, 7
	s_cbranch_scc1 .LBB78_31
; %bb.28:                               ;   in Loop: Header=BB78_26 Depth=1
	v_dual_mov_b32 v7, v1 :: v_dual_mov_b32 v6, v0
	s_and_b32 s8, s6, -8
	s_mov_b32 s7, 0
	s_mov_b32 s15, s11
	s_set_inst_prefetch_distance 0x1
	.p2align	6
.LBB78_29:                              ;   Parent Loop BB78_26 Depth=1
                                        ; =>  This Inner Loop Header: Depth=2
	s_clause 0x3
	global_load_b128 v[14:17], v[6:7], off offset:-56
	global_load_b128 v[18:21], v[6:7], off offset:-40
	;; [unrolled: 1-line block ×4, first 2 shown]
	v_mov_b32_e32 v38, s15
	v_add_co_u32 v6, vcc_lo, v6, 64
	v_add_co_ci_u32_e32 v7, vcc_lo, 0, v7, vcc_lo
	ds_load_b128 v[30:33], v38
	ds_load_b128 v[34:37], v38 offset:16
	s_add_i32 s7, s7, 8
	s_add_i32 s15, s15, 64
	s_cmp_lg_u32 s8, s7
	s_waitcnt vmcnt(3) lgkmcnt(1)
	v_fma_f64 v[4:5], -v[14:15], v[30:31], v[4:5]
	s_delay_alu instid0(VALU_DEP_1) | instskip(SKIP_1) | instid1(VALU_DEP_1)
	v_fma_f64 v[4:5], -v[16:17], v[32:33], v[4:5]
	s_waitcnt vmcnt(2) lgkmcnt(0)
	v_fma_f64 v[4:5], -v[18:19], v[34:35], v[4:5]
	s_delay_alu instid0(VALU_DEP_1) | instskip(SKIP_4) | instid1(VALU_DEP_1)
	v_fma_f64 v[4:5], -v[20:21], v[36:37], v[4:5]
	ds_load_b128 v[14:17], v38 offset:32
	ds_load_b128 v[18:21], v38 offset:48
	s_waitcnt vmcnt(1) lgkmcnt(1)
	v_fma_f64 v[4:5], -v[22:23], v[14:15], v[4:5]
	v_fma_f64 v[4:5], -v[24:25], v[16:17], v[4:5]
	s_waitcnt vmcnt(0) lgkmcnt(0)
	s_delay_alu instid0(VALU_DEP_1) | instskip(NEXT) | instid1(VALU_DEP_1)
	v_fma_f64 v[4:5], -v[26:27], v[18:19], v[4:5]
	v_fma_f64 v[4:5], -v[28:29], v[20:21], v[4:5]
	s_cbranch_scc1 .LBB78_29
; %bb.30:                               ;   in Loop: Header=BB78_26 Depth=1
	s_set_inst_prefetch_distance 0x2
	s_and_b32 s7, s6, 7
	s_delay_alu instid0(SALU_CYCLE_1)
	s_cmp_eq_u32 s7, 0
	s_cbranch_scc0 .LBB78_32
	s_branch .LBB78_25
.LBB78_31:                              ;   in Loop: Header=BB78_26 Depth=1
	s_mov_b32 s8, 0
	s_and_b32 s7, s6, 7
	s_delay_alu instid0(SALU_CYCLE_1)
	s_cmp_eq_u32 s7, 0
	s_cbranch_scc1 .LBB78_25
.LBB78_32:                              ;   in Loop: Header=BB78_26 Depth=1
	s_lshl_b64 s[18:19], s[8:9], 3
	s_and_b32 s7, s14, 7
	v_add_co_u32 v6, vcc_lo, v12, s18
	v_add_co_ci_u32_e32 v7, vcc_lo, s19, v13, vcc_lo
	s_lshl_b32 s8, s8, 3
.LBB78_33:                              ;   Parent Loop BB78_26 Depth=1
                                        ; =>  This Inner Loop Header: Depth=2
	global_load_b64 v[14:15], v[6:7], off
	s_add_i32 s15, s11, s8
	v_add_co_u32 v6, vcc_lo, v6, 8
	v_mov_b32_e32 v16, s15
	v_add_co_ci_u32_e32 v7, vcc_lo, 0, v7, vcc_lo
	s_add_i32 s7, s7, -1
	s_add_i32 s8, s8, 8
	ds_load_b64 v[16:17], v16
	s_cmp_lg_u32 s7, 0
	s_waitcnt vmcnt(0) lgkmcnt(0)
	v_fma_f64 v[4:5], -v[14:15], v[16:17], v[4:5]
	s_cbranch_scc1 .LBB78_33
	s_branch .LBB78_25
.LBB78_34:
	s_mov_b32 s3, 0
.LBB78_35:
	s_delay_alu instid0(SALU_CYCLE_1)
	s_and_b32 vcc_lo, exec_lo, s3
	s_cbranch_vccz .LBB78_57
; %bb.36:
	s_cmp_gt_i32 s10, 11
	s_cbranch_scc0 .LBB78_38
; %bb.37:
	s_ashr_i32 s13, s12, 31
	s_mov_b32 s3, 0
	s_lshl_b64 s[6:7], s[12:13], 3
	s_delay_alu instid0(SALU_CYCLE_1) | instskip(SKIP_2) | instid1(SALU_CYCLE_1)
	v_add_co_u32 v12, vcc_lo, v8, s6
	v_add_co_ci_u32_e32 v13, vcc_lo, s7, v9, vcc_lo
	s_lshl_b64 s[6:7], s[2:3], 3
	v_add_co_u32 v6, vcc_lo, v8, s6
	global_load_b64 v[4:5], v[12:13], off
	v_add_co_ci_u32_e32 v7, vcc_lo, s7, v9, vcc_lo
	s_clause 0x4
	global_load_b64 v[16:17], v[6:7], off offset:-16
	global_load_b128 v[18:21], v[6:7], off offset:-32
	global_load_b128 v[22:25], v[6:7], off offset:-48
	;; [unrolled: 1-line block ×4, first 2 shown]
	s_mul_i32 s6, s12, 12
	s_delay_alu instid0(SALU_CYCLE_1) | instskip(NEXT) | instid1(SALU_CYCLE_1)
	s_add_i32 s3, s2, s6
	s_lshl_b32 s3, s3, 3
	s_delay_alu instid0(SALU_CYCLE_1) | instskip(NEXT) | instid1(SALU_CYCLE_1)
	s_add_i32 s3, s3, -16
	v_mov_b32_e32 v14, s3
	s_mul_i32 s3, s12, 0x68
	s_delay_alu instid0(SALU_CYCLE_1) | instskip(SKIP_3) | instid1(SALU_CYCLE_1)
	s_add_i32 s7, s3, 0xffffff98
	ds_load_2addr_b64 v[30:33], v14 offset1:1
	v_mov_b32_e32 v14, s7
	s_add_i32 s7, s2, -4
	s_add_i32 s8, s7, s6
	ds_load_b64 v[38:39], v14
	s_lshl_b32 s8, s8, 3
	s_waitcnt vmcnt(5)
	v_mul_f64 v[4:5], v[4:5], s[4:5]
	s_waitcnt lgkmcnt(1)
	s_delay_alu instid0(VALU_DEP_1) | instskip(SKIP_4) | instid1(SALU_CYCLE_1)
	v_mul_f64 v[14:15], v[4:5], v[32:33]
	global_load_b128 v[4:7], v[6:7], off offset:-80
	v_mul_f64 v[40:41], v[14:15], v[30:31]
	v_mov_b32_e32 v30, s8
	s_add_i32 s8, s6, -12
	s_add_i32 s9, s7, s8
	ds_load_2addr_b64 v[30:33], v30 offset1:1
	s_lshl_b32 s9, s9, 3
	s_delay_alu instid0(SALU_CYCLE_1) | instskip(SKIP_1) | instid1(SALU_CYCLE_1)
	v_mov_b32_e32 v34, s9
	s_add_i32 s9, s2, -6
	s_add_i32 s10, s9, s6
	s_add_i32 s8, s9, s8
	ds_load_2addr_b64 v[34:37], v34 offset1:1
	s_lshl_b32 s10, s10, 3
	s_lshl_b32 s8, s8, 3
	s_waitcnt lgkmcnt(1)
	v_mul_f64 v[32:33], v[14:15], v[32:33]
	v_mul_f64 v[42:43], v[14:15], v[30:31]
	v_mov_b32_e32 v30, s10
	s_waitcnt vmcnt(5)
	v_fma_f64 v[16:17], v[16:17], s[4:5], -v[40:41]
	s_waitcnt vmcnt(4)
	s_delay_alu instid0(VALU_DEP_4)
	v_fma_f64 v[20:21], v[20:21], s[4:5], -v[32:33]
	ds_load_2addr_b64 v[30:33], v30 offset1:1
	v_fma_f64 v[42:43], v[18:19], s[4:5], -v[42:43]
	v_mul_f64 v[16:17], v[16:17], v[38:39]
	v_mov_b32_e32 v38, s8
	s_sub_i32 s8, s6, 24
	s_delay_alu instid0(SALU_CYCLE_1)
	s_add_i32 s7, s7, s8
	s_add_i32 s9, s9, s8
	ds_load_2addr_b64 v[38:41], v38 offset1:1
	s_lshl_b32 s7, s7, 3
	s_lshl_b32 s9, s9, 3
	s_waitcnt lgkmcnt(1)
	v_mul_f64 v[32:33], v[14:15], v[32:33]
	v_mul_f64 v[46:47], v[14:15], v[30:31]
	v_mov_b32_e32 v18, s7
	s_add_i32 s7, s3, 0xfffffec8
	s_add_i32 s8, s9, 0xffffffa0
	v_mov_b32_e32 v44, s7
	s_sub_i32 s7, s6, 60
	s_delay_alu instid0(SALU_CYCLE_1) | instskip(NEXT) | instid1(SALU_CYCLE_1)
	s_add_i32 s10, s2, s7
	s_lshl_b32 s10, s10, 3
	ds_load_b64 v[44:45], v44
	v_mov_b32_e32 v58, s10
	s_sub_i32 s10, s10, 64
	v_fma_f64 v[36:37], -v[16:17], v[36:37], v[20:21]
	ds_load_2addr_b64 v[18:21], v18 offset1:1
	v_fma_f64 v[42:43], -v[16:17], v[34:35], v[42:43]
	v_mov_b32_e32 v34, s10
	s_add_i32 s10, s2, -10
	s_waitcnt vmcnt(3)
	v_fma_f64 v[24:25], v[24:25], s[4:5], -v[32:33]
	v_fma_f64 v[46:47], v[22:23], s[4:5], -v[46:47]
	v_mov_b32_e32 v22, s9
	ds_load_2addr_b64 v[30:33], v58 offset0:52 offset1:53
	s_addk_i32 s9, 0xff40
	s_waitcnt lgkmcnt(0)
	v_mul_f64 v[32:33], v[14:15], v[32:33]
	v_mul_f64 v[56:57], v[14:15], v[30:31]
	v_fma_f64 v[48:49], -v[16:17], v[40:41], v[24:25]
	ds_load_2addr_b64 v[22:25], v22 offset1:1
	v_mul_f64 v[20:21], v[36:37], v[20:21]
	v_fma_f64 v[38:39], -v[16:17], v[38:39], v[46:47]
	v_mov_b32_e32 v40, s8
	s_add_i32 s8, s6, 0xffffffac
	ds_load_2addr_b64 v[34:37], v34 offset1:1
	s_add_i32 s11, s8, s10
	s_add_i32 s10, s10, s7
	s_lshl_b32 s11, s11, 3
	s_lshl_b32 s10, s10, 3
	v_mov_b32_e32 v68, s11
	v_mov_b32_e32 v52, s10
	s_addk_i32 s6, 0xff94
	s_mul_i32 s10, s2, 0x68
	s_delay_alu instid0(SALU_CYCLE_1) | instskip(NEXT) | instid1(SALU_CYCLE_1)
	s_add_i32 s11, s10, 0xfffffb88
	v_mov_b32_e32 v66, s11
	s_waitcnt vmcnt(2)
	v_fma_f64 v[32:33], v[28:29], s[4:5], -v[32:33]
	v_fma_f64 v[26:27], v[26:27], s[4:5], -v[56:57]
	v_fma_f64 v[18:19], -v[20:21], v[18:19], v[42:43]
	ds_load_2addr_b64 v[40:43], v40 offset1:1
	s_waitcnt lgkmcnt(2)
	v_fma_f64 v[24:25], -v[20:21], v[24:25], v[48:49]
	v_fma_f64 v[38:39], -v[20:21], v[22:23], v[38:39]
	v_mov_b32_e32 v22, s9
	s_add_i32 s9, s3, 0xfffffdf8
	s_addk_i32 s3, 0xfd90
	v_mul_f64 v[18:19], v[18:19], v[44:45]
	ds_load_2addr_b64 v[28:31], v68 offset0:84 offset1:85
	ds_load_2addr_b64 v[44:47], v58 offset0:40 offset1:41
	;; [unrolled: 1-line block ×3, first 2 shown]
	ds_load_2addr_b64 v[52:55], v52 offset1:1
	s_waitcnt lgkmcnt(3)
	v_mul_f64 v[30:31], v[14:15], v[30:31]
	s_waitcnt lgkmcnt(2)
	v_fma_f64 v[32:33], -v[16:17], v[46:47], v[32:33]
	v_mov_b32_e32 v46, s9
	v_mul_f64 v[60:61], v[14:15], v[28:29]
	v_fma_f64 v[64:65], -v[16:17], v[44:45], v[26:27]
	s_add_i32 s9, s2, -12
	s_delay_alu instid0(SALU_CYCLE_1) | instskip(SKIP_2) | instid1(SALU_CYCLE_1)
	s_add_i32 s9, s6, s9
	ds_load_b64 v[46:47], v46
	s_lshl_b32 s9, s9, 3
	v_mov_b32_e32 v69, s9
	v_fma_f64 v[42:43], -v[18:19], v[42:43], v[24:25]
	ds_load_2addr_b64 v[22:25], v22 offset1:1
	s_waitcnt vmcnt(0)
	v_fma_f64 v[62:63], v[6:7], s[4:5], -v[30:31]
	s_waitcnt lgkmcnt(3)
	v_fma_f64 v[32:33], -v[20:21], v[50:51], v[32:33]
	v_fma_f64 v[50:51], -v[18:19], v[40:41], v[38:39]
	v_fma_f64 v[4:5], v[4:5], s[4:5], -v[60:61]
	v_fma_f64 v[48:49], -v[20:21], v[48:49], v[64:65]
	s_waitcnt lgkmcnt(0)
	v_mul_f64 v[6:7], v[42:43], v[24:25]
	ds_load_2addr_b64 v[24:27], v69 offset0:108 offset1:109
	ds_load_2addr_b64 v[28:31], v68 offset0:72 offset1:73
	;; [unrolled: 1-line block ×5, first 2 shown]
	ds_load_b64 v[66:67], v66
	s_waitcnt lgkmcnt(5)
	v_mul_f64 v[26:27], v[14:15], v[26:27]
	s_waitcnt lgkmcnt(4)
	v_fma_f64 v[30:31], -v[16:17], v[30:31], v[62:63]
	s_waitcnt lgkmcnt(3)
	v_fma_f64 v[32:33], -v[18:19], v[40:41], v[32:33]
	v_fma_f64 v[48:49], -v[18:19], v[38:39], v[48:49]
	;; [unrolled: 1-line block ×4, first 2 shown]
	v_fma_f64 v[2:3], v[2:3], s[4:5], -v[26:27]
	s_waitcnt lgkmcnt(1)
	v_fma_f64 v[58:59], -v[20:21], v[58:59], v[30:31]
	v_fma_f64 v[44:45], -v[6:7], v[44:45], v[32:33]
	v_fma_f64 v[42:43], -v[6:7], v[42:43], v[48:49]
	v_mul_f64 v[4:5], v[22:23], v[46:47]
	v_mul_f64 v[46:47], v[14:15], v[24:25]
	ds_load_2addr_b64 v[22:25], v69 offset0:96 offset1:97
	ds_load_2addr_b64 v[26:29], v68 offset0:48 offset1:49
	;; [unrolled: 1-line block ×4, first 2 shown]
	s_waitcnt lgkmcnt(3)
	v_fma_f64 v[2:3], -v[16:17], v[24:25], v[2:3]
	v_fma_f64 v[24:25], -v[20:21], v[56:57], v[50:51]
	s_waitcnt lgkmcnt(2)
	v_fma_f64 v[28:29], -v[18:19], v[28:29], v[58:59]
	v_fma_f64 v[36:37], -v[4:5], v[36:37], v[44:45]
	v_fma_f64 v[0:1], v[0:1], s[4:5], -v[46:47]
	v_mov_b32_e32 v44, s3
	v_fma_f64 v[56:57], -v[4:5], v[34:35], v[42:43]
	s_add_i32 s3, s2, -9
	s_delay_alu instid0(SALU_CYCLE_1)
	s_add_i32 s11, s7, s3
	ds_load_b64 v[44:45], v44
	s_lshl_b32 s11, s11, 3
	s_add_i32 s3, s3, s8
	s_addk_i32 s11, 0xffa0
	s_lshl_b32 s3, s3, 3
	s_waitcnt lgkmcnt(1)
	v_fma_f64 v[46:47], -v[20:21], v[40:41], v[2:3]
	v_fma_f64 v[48:49], -v[18:19], v[26:27], v[24:25]
	;; [unrolled: 1-line block ×3, first 2 shown]
	v_mov_b32_e32 v26, s11
	s_add_i32 s11, s10, 0xfffffc58
	s_waitcnt lgkmcnt(0)
	v_mul_f64 v[2:3], v[36:37], v[44:45]
	v_fma_f64 v[0:1], -v[16:17], v[22:23], v[0:1]
	ds_load_2addr_b64 v[22:25], v69 offset0:72 offset1:73
	ds_load_2addr_b64 v[26:29], v26 offset1:1
	v_mov_b32_e32 v36, s3
	ds_load_2addr_b64 v[32:35], v69 offset0:60 offset1:61
	ds_load_2addr_b64 v[40:43], v36 offset1:1
	s_add_i32 s3, s2, -11
	s_delay_alu instid0(SALU_CYCLE_1)
	s_add_i32 s7, s7, s3
	s_add_i32 s3, s3, s6
	s_lshl_b32 s7, s7, 3
	s_lshl_b32 s3, s3, 3
	s_add_i32 s8, s7, 0xffffffa0
	v_fma_f64 v[30:31], -v[6:7], v[30:31], v[48:49]
	s_waitcnt lgkmcnt(3)
	v_fma_f64 v[24:25], -v[18:19], v[24:25], v[46:47]
	v_fma_f64 v[36:37], -v[4:5], v[54:55], v[50:51]
	s_waitcnt lgkmcnt(2)
	v_fma_f64 v[28:29], -v[2:3], v[28:29], v[56:57]
	v_fma_f64 v[38:39], -v[20:21], v[38:39], v[0:1]
	;; [unrolled: 1-line block ×3, first 2 shown]
	s_waitcnt lgkmcnt(1)
	v_fma_f64 v[34:35], -v[6:7], v[34:35], v[24:25]
	v_fma_f64 v[36:37], -v[2:3], v[26:27], v[36:37]
	v_mov_b32_e32 v26, s8
	s_add_i32 s8, s7, 0xffffff40
	s_addk_i32 s7, 0xfee0
	s_waitcnt lgkmcnt(0)
	v_mul_f64 v[0:1], v[28:29], v[42:43]
	v_fma_f64 v[38:39], -v[18:19], v[22:23], v[38:39]
	ds_load_2addr_b64 v[22:25], v69 offset0:48 offset1:49
	ds_load_2addr_b64 v[26:29], v26 offset1:1
	s_waitcnt lgkmcnt(1)
	v_fma_f64 v[24:25], -v[4:5], v[24:25], v[34:35]
	s_waitcnt lgkmcnt(0)
	v_fma_f64 v[42:43], -v[2:3], v[28:29], v[30:31]
	v_mov_b32_e32 v28, s8
	v_fma_f64 v[36:37], -v[0:1], v[40:41], v[36:37]
	v_fma_f64 v[38:39], -v[6:7], v[32:33], v[38:39]
	v_mov_b32_e32 v32, s11
	ds_load_2addr_b64 v[28:31], v28 offset1:1
	ds_load_b64 v[40:41], v32
	v_mov_b32_e32 v32, s7
	ds_load_2addr_b64 v[32:35], v32 offset1:1
	v_fma_f64 v[26:27], -v[2:3], v[26:27], v[24:25]
	s_waitcnt lgkmcnt(2)
	v_fma_f64 v[30:31], -v[0:1], v[30:31], v[42:43]
	s_waitcnt lgkmcnt(1)
	v_mul_f64 v[24:25], v[36:37], v[40:41]
	v_fma_f64 v[22:23], -v[4:5], v[22:23], v[38:39]
	ds_load_2addr_b64 v[36:39], v69 offset0:24 offset1:36
	v_fma_f64 v[40:41], -v[0:1], v[28:29], v[26:27]
	s_waitcnt lgkmcnt(1)
	v_fma_f64 v[30:31], -v[24:25], v[34:35], v[30:31]
	s_waitcnt lgkmcnt(0)
	v_fma_f64 v[34:35], -v[2:3], v[38:39], v[22:23]
	v_mov_b32_e32 v22, s3
	s_add_i32 s3, s9, 0xffffffa0
	ds_load_2addr_b64 v[26:29], v22 offset1:1
	v_fma_f64 v[32:33], -v[24:25], v[32:33], v[40:41]
	s_waitcnt lgkmcnt(0)
	v_mul_f64 v[22:23], v[30:31], v[28:29]
	v_fma_f64 v[34:35], -v[0:1], v[36:37], v[34:35]
	ds_load_2addr_b64 v[28:31], v69 offset1:12
	v_fma_f64 v[26:27], -v[22:23], v[26:27], v[32:33]
	s_waitcnt lgkmcnt(0)
	v_fma_f64 v[32:33], -v[24:25], v[30:31], v[34:35]
	s_delay_alu instid0(VALU_DEP_2) | instskip(NEXT) | instid1(VALU_DEP_2)
	v_mul_f64 v[30:31], v[26:27], v[66:67]
	v_fma_f64 v[26:27], -v[22:23], v[28:29], v[32:33]
	v_mov_b32_e32 v28, s3
	s_add_i32 s3, s10, 0xfffffb20
	ds_load_b64 v[28:29], v28
	s_waitcnt lgkmcnt(0)
	v_fma_f64 v[26:27], -v[30:31], v[28:29], v[26:27]
	v_mov_b32_e32 v28, s3
	s_ashr_i32 s3, s2, 31
	s_delay_alu instid0(SALU_CYCLE_1)
	s_lshl_b64 s[6:7], s[2:3], 3
	ds_load_b64 v[28:29], v28
	s_waitcnt lgkmcnt(0)
	v_mul_f64 v[28:29], v[26:27], v[28:29]
	v_add_co_u32 v26, vcc_lo, v8, s6
	v_add_co_ci_u32_e32 v27, vcc_lo, s7, v9, vcc_lo
	s_add_i32 s6, s2, -13
	s_clause 0x6
	global_store_b64 v[12:13], v[14:15], off
	global_store_b64 v[26:27], v[16:17], off offset:-16
	global_store_b128 v[26:27], v[18:21], off offset:-32
	global_store_b128 v[26:27], v[4:7], off offset:-48
	;; [unrolled: 1-line block ×5, first 2 shown]
	s_cmp_gt_i32 s6, -1
	s_cbranch_scc1 .LBB78_39
	s_branch .LBB78_57
.LBB78_38:
	s_mov_b32 s6, s12
	s_delay_alu instid0(SALU_CYCLE_1)
	s_cmp_gt_i32 s6, -1
	s_cbranch_scc0 .LBB78_57
.LBB78_39:
	s_cmp_lt_u32 s6, 7
	s_cbranch_scc1 .LBB78_44
; %bb.40:
	s_mov_b32 s7, 0
	s_delay_alu instid0(SALU_CYCLE_1)
	s_lshl_b64 s[8:9], s[6:7], 3
	s_cmp_le_i32 s12, s6
	v_add_co_u32 v0, vcc_lo, v8, s8
	v_add_co_ci_u32_e32 v1, vcc_lo, s9, v9, vcc_lo
	s_clause 0x3
	global_load_b128 v[2:5], v[0:1], off offset:-8
	global_load_b128 v[12:15], v[0:1], off offset:-24
	;; [unrolled: 1-line block ×4, first 2 shown]
	s_waitcnt vmcnt(3)
	v_mul_f64 v[18:19], v[4:5], s[4:5]
	v_mul_f64 v[20:21], v[2:3], s[4:5]
	s_waitcnt vmcnt(2)
	v_mul_f64 v[16:17], v[14:15], s[4:5]
	v_mul_f64 v[14:15], v[12:13], s[4:5]
	;; [unrolled: 3-line block ×4, first 2 shown]
	s_cbranch_scc1 .LBB78_43
; %bb.41:
	s_mul_i32 s3, s2, 0x60
	s_lshl_b32 s7, s6, 3
	s_ashr_i32 s13, s12, 31
	s_add_i32 s3, s3, s7
	s_lshl_b64 s[8:9], s[12:13], 3
	s_addk_i32 s3, 0xff68
	s_add_u32 s7, s16, s8
	s_addc_u32 s8, s17, s9
	s_add_u32 s7, s7, s0
	s_addc_u32 s8, s8, s1
	v_add_co_u32 v22, vcc_lo, s7, v10
	v_add_co_ci_u32_e32 v23, vcc_lo, s8, v11, vcc_lo
	s_mov_b32 s7, s12
	s_set_inst_prefetch_distance 0x1
	.p2align	6
.LBB78_42:                              ; =>This Inner Loop Header: Depth=1
	global_load_b64 v[40:41], v[22:23], off
	v_mov_b32_e32 v36, s3
	v_add_co_u32 v22, vcc_lo, v22, -8
	v_add_co_ci_u32_e32 v23, vcc_lo, -1, v23, vcc_lo
	ds_load_2addr_b64 v[24:27], v36 offset0:6 offset1:7
	ds_load_2addr_b64 v[28:31], v36 offset0:4 offset1:5
	;; [unrolled: 1-line block ×3, first 2 shown]
	ds_load_2addr_b64 v[36:39], v36 offset1:1
	s_add_i32 s7, s7, -1
	s_addk_i32 s3, 0xffa0
	s_cmp_gt_i32 s7, s6
	s_waitcnt vmcnt(0) lgkmcnt(3)
	v_fma_f64 v[18:19], -v[40:41], v[26:27], v[18:19]
	v_fma_f64 v[20:21], -v[40:41], v[24:25], v[20:21]
	s_waitcnt lgkmcnt(2)
	v_fma_f64 v[16:17], -v[40:41], v[30:31], v[16:17]
	v_fma_f64 v[14:15], -v[40:41], v[28:29], v[14:15]
	s_waitcnt lgkmcnt(1)
	;; [unrolled: 3-line block ×3, first 2 shown]
	v_fma_f64 v[4:5], -v[40:41], v[38:39], v[4:5]
	v_fma_f64 v[2:3], -v[40:41], v[36:37], v[2:3]
	s_cbranch_scc1 .LBB78_42
.LBB78_43:
	s_set_inst_prefetch_distance 0x2
	s_mul_i32 s3, s6, 0x68
	s_add_i32 s9, s6, -3
	s_add_i32 s7, s3, -8
	s_delay_alu instid0(SALU_CYCLE_1) | instskip(SKIP_1) | instid1(SALU_CYCLE_1)
	v_mov_b32_e32 v22, s7
	s_add_i32 s7, s3, 0xffffff98
	v_mov_b32_e32 v26, s7
	s_mul_i32 s7, s6, 12
	ds_load_2addr_b64 v[22:25], v22 offset1:1
	s_add_i32 s8, s9, s7
	s_add_i32 s10, s7, -12
	ds_load_b64 v[26:27], v26
	s_lshl_b32 s8, s8, 3
	s_sub_i32 s11, s7, 24
	s_waitcnt lgkmcnt(1)
	v_mul_f64 v[34:35], v[18:19], v[24:25]
	v_mov_b32_e32 v18, s8
	s_add_i32 s8, s9, s10
	s_add_i32 s9, s9, s11
	s_lshl_b32 s8, s8, 3
	s_lshl_b32 s9, s9, 3
	s_delay_alu instid0(VALU_DEP_2) | instskip(SKIP_3) | instid1(SALU_CYCLE_1)
	v_fma_f64 v[28:29], -v[34:35], v[22:23], v[20:21]
	ds_load_2addr_b64 v[18:21], v18 offset1:1
	v_mov_b32_e32 v22, s8
	s_add_i32 s8, s6, -5
	s_add_i32 s13, s8, s7
	s_add_i32 s14, s8, s11
	ds_load_2addr_b64 v[22:25], v22 offset1:1
	s_lshl_b32 s13, s13, 3
	s_lshl_b32 s14, s14, 3
	s_waitcnt lgkmcnt(1)
	v_fma_f64 v[16:17], -v[34:35], v[20:21], v[16:17]
	v_mul_f64 v[36:37], v[28:29], v[26:27]
	v_fma_f64 v[28:29], -v[34:35], v[18:19], v[14:15]
	v_mov_b32_e32 v14, s13
	v_mov_b32_e32 v18, s9
	s_add_i32 s9, s8, s10
	s_add_i32 s13, s3, 0xfffffec8
	s_lshl_b32 s9, s9, 3
	s_waitcnt lgkmcnt(0)
	s_delay_alu instid0(VALU_DEP_4)
	v_fma_f64 v[30:31], -v[36:37], v[24:25], v[16:17]
	ds_load_2addr_b64 v[14:17], v14 offset1:1
	ds_load_2addr_b64 v[18:21], v18 offset1:1
	v_fma_f64 v[22:23], -v[36:37], v[22:23], v[28:29]
	v_dual_mov_b32 v24, s13 :: v_dual_mov_b32 v25, s9
	ds_load_b64 v[38:39], v24
	ds_load_2addr_b64 v[24:27], v25 offset1:1
	s_add_i32 s9, s6, -7
	s_delay_alu instid0(SALU_CYCLE_1)
	s_add_i32 s13, s9, s7
	s_add_i32 s10, s9, s10
	s_lshl_b32 s13, s13, 3
	s_lshl_b32 s10, s10, 3
	s_waitcnt lgkmcnt(3)
	v_fma_f64 v[12:13], -v[34:35], v[16:17], v[12:13]
	v_fma_f64 v[6:7], -v[34:35], v[14:15], v[6:7]
	s_waitcnt lgkmcnt(2)
	v_mul_f64 v[16:17], v[30:31], v[20:21]
	v_mov_b32_e32 v30, s10
	s_add_i32 s10, s9, s11
	s_delay_alu instid0(SALU_CYCLE_1) | instskip(SKIP_1) | instid1(VALU_DEP_4)
	s_lshl_b32 s10, s10, 3
	s_waitcnt lgkmcnt(0)
	v_fma_f64 v[40:41], -v[36:37], v[26:27], v[12:13]
	v_mov_b32_e32 v12, s13
	v_fma_f64 v[6:7], -v[36:37], v[24:25], v[6:7]
	s_sub_i32 s13, s7, 36
	s_sub_i32 s7, s7, 48
	v_fma_f64 v[22:23], -v[16:17], v[18:19], v[22:23]
	v_mov_b32_e32 v18, s14
	s_add_i32 s14, s8, s13
	s_add_i32 s8, s8, s7
	ds_load_2addr_b64 v[12:15], v12 offset1:1
	ds_load_2addr_b64 v[18:21], v18 offset1:1
	s_lshl_b32 s14, s14, 3
	s_lshl_b32 s8, s8, 3
	v_mov_b32_e32 v26, s14
	ds_load_2addr_b64 v[26:29], v26 offset1:1
	ds_load_2addr_b64 v[30:33], v30 offset1:1
	s_waitcnt lgkmcnt(3)
	v_fma_f64 v[4:5], -v[34:35], v[14:15], v[4:5]
	s_waitcnt lgkmcnt(2)
	v_fma_f64 v[20:21], -v[16:17], v[20:21], v[40:41]
	v_fma_f64 v[6:7], -v[16:17], v[18:19], v[6:7]
	v_fma_f64 v[12:13], -v[34:35], v[12:13], v[2:3]
	v_mov_b32_e32 v2, s10
	v_mov_b32_e32 v18, s8
	s_add_i32 s8, s9, s13
	s_add_i32 s10, s3, 0xfffffdf8
	s_lshl_b32 s8, s8, 3
	s_add_i32 s9, s9, s7
	s_delay_alu instid0(SALU_CYCLE_1)
	s_lshl_b32 s7, s9, 3
	v_mul_f64 v[14:15], v[22:23], v[38:39]
	v_dual_mov_b32 v22, s10 :: v_dual_mov_b32 v23, s8
	s_add_i32 s8, s7, 0xffffffa0
	s_waitcnt lgkmcnt(0)
	v_fma_f64 v[32:33], -v[36:37], v[32:33], v[4:5]
	v_fma_f64 v[12:13], -v[36:37], v[30:31], v[12:13]
	s_delay_alu instid0(VALU_DEP_4)
	v_fma_f64 v[28:29], -v[14:15], v[28:29], v[20:21]
	ds_load_2addr_b64 v[2:5], v2 offset1:1
	ds_load_2addr_b64 v[18:21], v18 offset1:1
	v_fma_f64 v[6:7], -v[14:15], v[26:27], v[6:7]
	ds_load_b64 v[38:39], v22
	ds_load_2addr_b64 v[22:25], v23 offset1:1
	s_waitcnt lgkmcnt(3)
	v_fma_f64 v[32:33], -v[16:17], v[4:5], v[32:33]
	v_fma_f64 v[12:13], -v[16:17], v[2:3], v[12:13]
	v_mov_b32_e32 v2, s7
	s_addk_i32 s7, 0xff40
	s_waitcnt lgkmcnt(2)
	v_mul_f64 v[4:5], v[28:29], v[20:21]
	s_waitcnt lgkmcnt(0)
	s_delay_alu instid0(VALU_DEP_4) | instskip(NEXT) | instid1(VALU_DEP_2)
	v_fma_f64 v[28:29], -v[14:15], v[24:25], v[32:33]
	v_fma_f64 v[6:7], -v[4:5], v[18:19], v[6:7]
	ds_load_2addr_b64 v[18:21], v2 offset1:1
	v_mov_b32_e32 v2, s8
	s_add_i32 s8, s3, 0xfffffd90
	s_addk_i32 s3, 0xfd28
	ds_load_2addr_b64 v[24:27], v2 offset1:1
	s_waitcnt lgkmcnt(1)
	v_fma_f64 v[20:21], -v[4:5], v[20:21], v[28:29]
	v_mul_f64 v[2:3], v[6:7], v[38:39]
	v_fma_f64 v[6:7], -v[14:15], v[22:23], v[12:13]
	s_waitcnt lgkmcnt(0)
	s_delay_alu instid0(VALU_DEP_2) | instskip(NEXT) | instid1(VALU_DEP_2)
	v_fma_f64 v[12:13], -v[2:3], v[26:27], v[20:21]
	v_fma_f64 v[6:7], -v[4:5], v[18:19], v[6:7]
	v_mov_b32_e32 v18, s8
	ds_load_b64 v[18:19], v18
	s_waitcnt lgkmcnt(0)
	v_mul_f64 v[20:21], v[12:13], v[18:19]
	v_fma_f64 v[6:7], -v[2:3], v[24:25], v[6:7]
	v_mov_b32_e32 v12, s7
	v_mov_b32_e32 v18, s3
	s_ashr_i32 s7, s6, 31
	s_delay_alu instid0(SALU_CYCLE_1)
	s_lshl_b64 s[8:9], s[6:7], 3
	ds_load_b64 v[12:13], v12
	ds_load_b64 v[18:19], v18
	s_add_i32 s6, s6, -8
	s_waitcnt lgkmcnt(1)
	v_fma_f64 v[6:7], -v[20:21], v[12:13], v[6:7]
	s_waitcnt lgkmcnt(0)
	s_delay_alu instid0(VALU_DEP_1)
	v_mul_f64 v[18:19], v[6:7], v[18:19]
	v_add_co_u32 v6, vcc_lo, v8, s8
	v_add_co_ci_u32_e32 v7, vcc_lo, s9, v9, vcc_lo
	s_clause 0x4
	global_store_b64 v[6:7], v[36:37], off offset:-8
	global_store_b128 v[6:7], v[14:17], off offset:-24
	global_store_b128 v[6:7], v[2:5], off offset:-40
	global_store_b64 v[0:1], v[34:35], off
	global_store_b128 v[6:7], v[18:21], off offset:-56
.LBB78_44:
	s_cmp_lt_i32 s6, 0
	s_cbranch_scc1 .LBB78_57
; %bb.45:
	s_bitcmp1_b32 s6, 0
	s_mov_b32 s8, s6
	s_cselect_b32 s3, -1, 0
	s_delay_alu instid0(SALU_CYCLE_1)
	s_and_b32 vcc_lo, exec_lo, s3
	s_cbranch_vccnz .LBB78_50
; %bb.46:
	s_mov_b32 s7, 0
	s_delay_alu instid0(SALU_CYCLE_1)
	s_lshl_b64 s[8:9], s[6:7], 3
	s_cmp_le_i32 s12, s6
	v_add_co_u32 v0, vcc_lo, v8, s8
	v_add_co_ci_u32_e32 v1, vcc_lo, s9, v9, vcc_lo
	global_load_b64 v[2:3], v[0:1], off
	s_waitcnt vmcnt(0)
	v_mul_f64 v[2:3], v[2:3], s[4:5]
	s_cbranch_scc1 .LBB78_49
; %bb.47:
	s_mul_i32 s3, s2, 0x60
	s_lshl_b32 s7, s6, 3
	s_ashr_i32 s13, s12, 31
	s_add_i32 s3, s3, s7
	s_lshl_b64 s[8:9], s[12:13], 3
	s_addk_i32 s3, 0xffa0
	s_add_u32 s7, s16, s8
	s_addc_u32 s8, s17, s9
	s_add_u32 s7, s7, s0
	s_addc_u32 s8, s8, s1
	v_add_co_u32 v4, vcc_lo, s7, v10
	v_add_co_ci_u32_e32 v5, vcc_lo, s8, v11, vcc_lo
	s_mov_b32 s7, s12
.LBB78_48:                              ; =>This Inner Loop Header: Depth=1
	global_load_b64 v[6:7], v[4:5], off
	v_mov_b32_e32 v12, s3
	v_add_co_u32 v4, vcc_lo, v4, -8
	v_add_co_ci_u32_e32 v5, vcc_lo, -1, v5, vcc_lo
	ds_load_b64 v[12:13], v12
	s_add_i32 s7, s7, -1
	s_addk_i32 s3, 0xffa0
	s_cmp_gt_i32 s7, s6
	s_waitcnt vmcnt(0) lgkmcnt(0)
	v_fma_f64 v[2:3], -v[6:7], v[12:13], v[2:3]
	s_cbranch_scc1 .LBB78_48
.LBB78_49:
	s_mul_i32 s3, s6, 0x68
	s_add_i32 s8, s6, -1
	v_mov_b32_e32 v4, s3
	ds_load_b64 v[4:5], v4
	s_waitcnt lgkmcnt(0)
	v_mul_f64 v[2:3], v[2:3], v[4:5]
	global_store_b64 v[0:1], v[2:3], off
.LBB78_50:
	s_cmp_eq_u32 s6, 0
	s_mov_b32 s9, 0
	s_cbranch_scc1 .LBB78_57
; %bb.51:
	s_mul_i32 s3, s2, 0x60
	s_lshl_b32 s6, s8, 3
	s_ashr_i32 s13, s12, 31
	s_add_i32 s10, s3, s6
	s_lshl_b64 s[6:7], s[12:13], 3
	s_add_i32 s3, s10, 0xffffffa0
	s_add_u32 s6, s16, s6
	s_addc_u32 s7, s17, s7
	s_add_u32 s0, s6, s0
	s_addc_u32 s1, s7, s1
	v_add_co_u32 v0, vcc_lo, s0, v10
	v_add_co_ci_u32_e32 v1, vcc_lo, s1, v11, vcc_lo
	s_add_i32 s0, s10, 0xffffff98
	s_branch .LBB78_53
.LBB78_52:                              ;   in Loop: Header=BB78_53 Depth=1
	s_addk_i32 s1, 0xff98
	s_add_i32 s3, s3, -16
	v_mov_b32_e32 v6, s1
	s_add_i32 s1, s8, -2
	s_add_i32 s0, s0, -16
	s_cmp_lt_i32 s8, 2
	s_mov_b32 s8, s1
	ds_load_b64 v[6:7], v6
	s_waitcnt lgkmcnt(0)
	v_mul_f64 v[4:5], v[4:5], v[6:7]
	global_store_b64 v[2:3], v[4:5], off offset:-8
	s_cbranch_scc1 .LBB78_57
.LBB78_53:                              ; =>This Loop Header: Depth=1
                                        ;     Child Loop BB78_54 Depth 2
                                        ;     Child Loop BB78_56 Depth 2
	s_lshl_b64 s[6:7], s[8:9], 3
	s_delay_alu instid0(VALU_DEP_1)
	v_dual_mov_b32 v5, v1 :: v_dual_mov_b32 v4, v0
	v_add_co_u32 v2, vcc_lo, v8, s6
	v_add_co_ci_u32_e32 v3, vcc_lo, s7, v9, vcc_lo
	s_cmp_le_i32 s12, s8
	s_mov_b32 s1, s3
	s_mov_b32 s6, s12
	global_load_b64 v[2:3], v[2:3], off
	s_waitcnt vmcnt(0)
	v_mul_f64 v[2:3], v[2:3], s[4:5]
	s_cbranch_scc1 .LBB78_55
.LBB78_54:                              ;   Parent Loop BB78_53 Depth=1
                                        ; =>  This Inner Loop Header: Depth=2
	global_load_b64 v[6:7], v[4:5], off
	v_mov_b32_e32 v10, s1
	v_add_co_u32 v4, vcc_lo, v4, -8
	v_add_co_ci_u32_e32 v5, vcc_lo, -1, v5, vcc_lo
	ds_load_b64 v[10:11], v10
	s_add_i32 s6, s6, -1
	s_addk_i32 s1, 0xffa0
	s_cmp_gt_i32 s6, s8
	s_waitcnt vmcnt(0) lgkmcnt(0)
	v_fma_f64 v[2:3], -v[6:7], v[10:11], v[2:3]
	s_cbranch_scc1 .LBB78_54
.LBB78_55:                              ;   in Loop: Header=BB78_53 Depth=1
	s_add_i32 s6, s8, -1
	s_mov_b32 s7, s9
	s_mul_i32 s1, s8, 0x68
	s_lshl_b64 s[6:7], s[6:7], 3
	v_mov_b32_e32 v6, s1
	v_add_co_u32 v4, vcc_lo, v8, s6
	v_add_co_ci_u32_e32 v5, vcc_lo, s7, v9, vcc_lo
	ds_load_b64 v[6:7], v6
	s_ashr_i32 s7, s8, 31
	s_mov_b32 s6, s8
	global_load_b64 v[4:5], v[4:5], off
	s_lshl_b64 s[6:7], s[6:7], 3
	s_cmp_lt_i32 s12, s8
	s_waitcnt lgkmcnt(0)
	v_mul_f64 v[10:11], v[2:3], v[6:7]
	v_add_co_u32 v2, vcc_lo, v8, s6
	v_add_co_ci_u32_e32 v3, vcc_lo, s7, v9, vcc_lo
	v_dual_mov_b32 v7, v1 :: v_dual_mov_b32 v6, v0
	s_mov_b32 s6, s0
	s_mov_b32 s7, s2
	global_store_b64 v[2:3], v[10:11], off
	s_waitcnt vmcnt(0)
	v_mul_f64 v[4:5], v[4:5], s[4:5]
	s_cbranch_scc1 .LBB78_52
.LBB78_56:                              ;   Parent Loop BB78_53 Depth=1
                                        ; =>  This Inner Loop Header: Depth=2
	global_load_b64 v[10:11], v[6:7], off
	v_mov_b32_e32 v12, s6
	v_add_co_u32 v6, vcc_lo, v6, -8
	v_add_co_ci_u32_e32 v7, vcc_lo, -1, v7, vcc_lo
	ds_load_b64 v[12:13], v12
	s_add_i32 s7, s7, -1
	s_addk_i32 s6, 0xffa0
	s_cmp_gt_i32 s7, s8
	s_waitcnt vmcnt(0) lgkmcnt(0)
	v_fma_f64 v[4:5], -v[10:11], v[12:13], v[4:5]
	s_cbranch_scc1 .LBB78_56
	s_branch .LBB78_52
.LBB78_57:
	s_nop 0
	s_sendmsg sendmsg(MSG_DEALLOC_VGPRS)
	s_endpgm
	.section	.rodata,"a",@progbits
	.p2align	6, 0x0
	.amdhsa_kernel _ZL30rocblas_trsm_small_left_deviceILi12ELi12ELb0EddPKPKdPKPdEv13rocblas_fill_18rocblas_operation_17rocblas_diagonal_iiT3_T4_lilT5_lili
		.amdhsa_group_segment_fixed_size 1152
		.amdhsa_private_segment_fixed_size 0
		.amdhsa_kernarg_size 360
		.amdhsa_user_sgpr_count 14
		.amdhsa_user_sgpr_dispatch_ptr 0
		.amdhsa_user_sgpr_queue_ptr 0
		.amdhsa_user_sgpr_kernarg_segment_ptr 1
		.amdhsa_user_sgpr_dispatch_id 0
		.amdhsa_user_sgpr_private_segment_size 0
		.amdhsa_wavefront_size32 1
		.amdhsa_uses_dynamic_stack 0
		.amdhsa_enable_private_segment 0
		.amdhsa_system_sgpr_workgroup_id_x 1
		.amdhsa_system_sgpr_workgroup_id_y 0
		.amdhsa_system_sgpr_workgroup_id_z 1
		.amdhsa_system_sgpr_workgroup_info 0
		.amdhsa_system_vgpr_workitem_id 0
		.amdhsa_next_free_vgpr 70
		.amdhsa_next_free_sgpr 32
		.amdhsa_reserve_vcc 1
		.amdhsa_float_round_mode_32 0
		.amdhsa_float_round_mode_16_64 0
		.amdhsa_float_denorm_mode_32 3
		.amdhsa_float_denorm_mode_16_64 3
		.amdhsa_dx10_clamp 1
		.amdhsa_ieee_mode 1
		.amdhsa_fp16_overflow 0
		.amdhsa_workgroup_processor_mode 1
		.amdhsa_memory_ordered 1
		.amdhsa_forward_progress 0
		.amdhsa_shared_vgpr_count 0
		.amdhsa_exception_fp_ieee_invalid_op 0
		.amdhsa_exception_fp_denorm_src 0
		.amdhsa_exception_fp_ieee_div_zero 0
		.amdhsa_exception_fp_ieee_overflow 0
		.amdhsa_exception_fp_ieee_underflow 0
		.amdhsa_exception_fp_ieee_inexact 0
		.amdhsa_exception_int_div_zero 0
	.end_amdhsa_kernel
	.section	.text._ZL30rocblas_trsm_small_left_deviceILi12ELi12ELb0EddPKPKdPKPdEv13rocblas_fill_18rocblas_operation_17rocblas_diagonal_iiT3_T4_lilT5_lili,"axG",@progbits,_ZL30rocblas_trsm_small_left_deviceILi12ELi12ELb0EddPKPKdPKPdEv13rocblas_fill_18rocblas_operation_17rocblas_diagonal_iiT3_T4_lilT5_lili,comdat
.Lfunc_end78:
	.size	_ZL30rocblas_trsm_small_left_deviceILi12ELi12ELb0EddPKPKdPKPdEv13rocblas_fill_18rocblas_operation_17rocblas_diagonal_iiT3_T4_lilT5_lili, .Lfunc_end78-_ZL30rocblas_trsm_small_left_deviceILi12ELi12ELb0EddPKPKdPKPdEv13rocblas_fill_18rocblas_operation_17rocblas_diagonal_iiT3_T4_lilT5_lili
                                        ; -- End function
	.section	.AMDGPU.csdata,"",@progbits
; Kernel info:
; codeLenInByte = 7936
; NumSgprs: 34
; NumVgprs: 70
; ScratchSize: 0
; MemoryBound: 1
; FloatMode: 240
; IeeeMode: 1
; LDSByteSize: 1152 bytes/workgroup (compile time only)
; SGPRBlocks: 4
; VGPRBlocks: 8
; NumSGPRsForWavesPerEU: 34
; NumVGPRsForWavesPerEU: 70
; Occupancy: 16
; WaveLimiterHint : 1
; COMPUTE_PGM_RSRC2:SCRATCH_EN: 0
; COMPUTE_PGM_RSRC2:USER_SGPR: 14
; COMPUTE_PGM_RSRC2:TRAP_HANDLER: 0
; COMPUTE_PGM_RSRC2:TGID_X_EN: 1
; COMPUTE_PGM_RSRC2:TGID_Y_EN: 0
; COMPUTE_PGM_RSRC2:TGID_Z_EN: 1
; COMPUTE_PGM_RSRC2:TIDIG_COMP_CNT: 0
	.section	.text._ZL38rocblas_trsm_small_left_device_sharedBILi12ELi12ELb1EddPKPKdPKPdEv13rocblas_fill_18rocblas_operation_17rocblas_diagonal_iiT3_T4_lilT5_lili,"axG",@progbits,_ZL38rocblas_trsm_small_left_device_sharedBILi12ELi12ELb1EddPKPKdPKPdEv13rocblas_fill_18rocblas_operation_17rocblas_diagonal_iiT3_T4_lilT5_lili,comdat
	.globl	_ZL38rocblas_trsm_small_left_device_sharedBILi12ELi12ELb1EddPKPKdPKPdEv13rocblas_fill_18rocblas_operation_17rocblas_diagonal_iiT3_T4_lilT5_lili ; -- Begin function _ZL38rocblas_trsm_small_left_device_sharedBILi12ELi12ELb1EddPKPKdPKPdEv13rocblas_fill_18rocblas_operation_17rocblas_diagonal_iiT3_T4_lilT5_lili
	.p2align	8
	.type	_ZL38rocblas_trsm_small_left_device_sharedBILi12ELi12ELb1EddPKPKdPKPdEv13rocblas_fill_18rocblas_operation_17rocblas_diagonal_iiT3_T4_lilT5_lili,@function
_ZL38rocblas_trsm_small_left_device_sharedBILi12ELi12ELb1EddPKPKdPKPdEv13rocblas_fill_18rocblas_operation_17rocblas_diagonal_iiT3_T4_lilT5_lili: ; @_ZL38rocblas_trsm_small_left_device_sharedBILi12ELi12ELb1EddPKPKdPKPdEv13rocblas_fill_18rocblas_operation_17rocblas_diagonal_iiT3_T4_lilT5_lili
; %bb.0:
	s_load_b128 s[16:19], s[0:1], 0x40
	s_mov_b32 s20, s15
	s_mov_b32 s21, 0
	s_clause 0x1
	s_load_b128 s[4:7], s[0:1], 0x4
	s_load_b64 s[12:13], s[0:1], 0x28
	s_lshl_b64 s[22:23], s[20:21], 3
	s_mov_b32 s28, exec_lo
	s_waitcnt lgkmcnt(0)
	s_add_u32 s2, s16, s22
	s_addc_u32 s3, s17, s23
	s_load_b128 s[8:11], s[0:1], 0x18
	s_load_b64 s[2:3], s[2:3], 0x0
	s_min_i32 s15, s6, 12
	s_delay_alu instid0(SALU_CYCLE_1)
	s_add_i32 s20, s15, -1
	v_cmpx_gt_i32_e64 s15, v0
	s_cbranch_execz .LBB79_10
; %bb.1:
	s_load_b32 s16, s[0:1], 0x30
	s_waitcnt lgkmcnt(0)
	s_ashr_i32 s17, s16, 31
	s_add_u32 s10, s10, s22
	s_addc_u32 s11, s11, s23
	s_cmp_lt_u32 s20, 3
	s_load_b64 s[10:11], s[10:11], 0x0
	s_cbranch_scc1 .LBB79_4
; %bb.2:
	v_lshlrev_b32_e32 v3, 3, v0
	s_lshl_b64 s[22:23], s[12:13], 3
	s_mul_hi_i32 s29, s16, 24
	s_waitcnt lgkmcnt(0)
	s_add_u32 s21, s10, s22
	s_addc_u32 s22, s11, s23
	v_add_co_u32 v1, s21, s21, v3
	s_delay_alu instid0(VALU_DEP_1)
	v_add_co_ci_u32_e64 v2, null, s22, 0, s21
	s_and_b32 s21, s15, -4
	s_mul_i32 s30, s16, 24
	s_lshl_b64 s[22:23], s[16:17], 5
	s_lshl_b64 s[24:25], s[16:17], 4
	;; [unrolled: 1-line block ×3, first 2 shown]
	s_mov_b32 s31, 0
	.p2align	6
.LBB79_3:                               ; =>This Inner Loop Header: Depth=1
	v_add_co_u32 v4, vcc_lo, v1, s26
	v_add_co_ci_u32_e32 v5, vcc_lo, s27, v2, vcc_lo
	v_add_co_u32 v6, vcc_lo, v1, s24
	v_add_co_ci_u32_e32 v7, vcc_lo, s25, v2, vcc_lo
	v_add_co_u32 v8, vcc_lo, v1, s30
	v_add_co_ci_u32_e32 v9, vcc_lo, s29, v2, vcc_lo
	s_clause 0x3
	global_load_b64 v[10:11], v[1:2], off
	global_load_b64 v[4:5], v[4:5], off
	;; [unrolled: 1-line block ×4, first 2 shown]
	v_add_co_u32 v1, vcc_lo, v1, s22
	v_add_co_ci_u32_e32 v2, vcc_lo, s23, v2, vcc_lo
	s_add_i32 s31, s31, 4
	s_waitcnt vmcnt(2)
	ds_store_2addr_b64 v3, v[10:11], v[4:5] offset1:12
	s_waitcnt vmcnt(0)
	ds_store_2addr_b64 v3, v[6:7], v[8:9] offset0:24 offset1:36
	v_add_nc_u32_e32 v3, 0x180, v3
	s_cmp_eq_u32 s21, s31
	s_cbranch_scc0 .LBB79_3
.LBB79_4:
	s_and_b32 s22, s15, 3
	s_delay_alu instid0(SALU_CYCLE_1)
	s_cmp_eq_u32 s22, 0
	s_cbranch_scc1 .LBB79_7
; %bb.5:
	s_mul_i32 s23, s17, s21
	s_mul_hi_u32 s24, s16, s21
	s_lshl_b64 s[12:13], s[12:13], 3
	s_add_i32 s25, s24, s23
	s_mul_i32 s24, s16, s21
	v_lshlrev_b32_e32 v1, 3, v0
	s_lshl_b64 s[24:25], s[24:25], 3
	s_mulk_i32 s21, 0x60
	s_add_u32 s12, s24, s12
	s_addc_u32 s13, s25, s13
	s_waitcnt lgkmcnt(0)
	s_add_u32 s10, s10, s12
	s_addc_u32 s11, s11, s13
	v_add_co_u32 v1, s10, s10, v1
	v_lshl_add_u32 v3, v0, 3, s21
	v_add_co_ci_u32_e64 v2, null, s11, 0, s10
	s_lshl_b64 s[10:11], s[16:17], 3
.LBB79_6:                               ; =>This Inner Loop Header: Depth=1
	global_load_b64 v[4:5], v[1:2], off
	v_add_co_u32 v1, vcc_lo, v1, s10
	v_add_co_ci_u32_e32 v2, vcc_lo, s11, v2, vcc_lo
	s_add_i32 s22, s22, -1
	s_delay_alu instid0(SALU_CYCLE_1)
	s_cmp_lg_u32 s22, 0
	s_waitcnt vmcnt(0)
	ds_store_b64 v3, v[4:5]
	v_add_nc_u32_e32 v3, 0x60, v3
	s_cbranch_scc1 .LBB79_6
.LBB79_7:
	v_mul_u32_u24_e32 v3, 13, v0
	v_mov_b32_e32 v1, 0
	v_mov_b32_e32 v2, 0x3ff00000
	s_cmpk_lg_i32 s5, 0x84
	s_delay_alu instid0(VALU_DEP_3)
	v_lshlrev_b32_e32 v3, 3, v3
	s_cbranch_scc0 .LBB79_9
; %bb.8:
	ds_load_b64 v[1:2], v3
	s_waitcnt lgkmcnt(0)
	v_div_scale_f64 v[4:5], null, v[1:2], v[1:2], 1.0
	s_delay_alu instid0(VALU_DEP_1) | instskip(SKIP_2) | instid1(VALU_DEP_1)
	v_rcp_f64_e32 v[6:7], v[4:5]
	s_waitcnt_depctr 0xfff
	v_fma_f64 v[8:9], -v[4:5], v[6:7], 1.0
	v_fma_f64 v[6:7], v[6:7], v[8:9], v[6:7]
	s_delay_alu instid0(VALU_DEP_1) | instskip(NEXT) | instid1(VALU_DEP_1)
	v_fma_f64 v[8:9], -v[4:5], v[6:7], 1.0
	v_fma_f64 v[6:7], v[6:7], v[8:9], v[6:7]
	v_div_scale_f64 v[8:9], vcc_lo, 1.0, v[1:2], 1.0
	s_delay_alu instid0(VALU_DEP_1) | instskip(NEXT) | instid1(VALU_DEP_1)
	v_mul_f64 v[10:11], v[8:9], v[6:7]
	v_fma_f64 v[4:5], -v[4:5], v[10:11], v[8:9]
	s_delay_alu instid0(VALU_DEP_1) | instskip(NEXT) | instid1(VALU_DEP_1)
	v_div_fmas_f64 v[4:5], v[4:5], v[6:7], v[10:11]
	v_div_fixup_f64 v[1:2], v[4:5], v[1:2], 1.0
.LBB79_9:
	ds_store_b64 v3, v[1:2]
.LBB79_10:
	s_or_b32 exec_lo, exec_lo, s28
	s_clause 0x1
	s_load_b32 s5, s[0:1], 0x68
	s_load_b32 s16, s[0:1], 0x50
	s_lshl_b64 s[0:1], s[18:19], 3
	s_waitcnt lgkmcnt(0)
	s_mul_i32 s11, s14, -12
	s_mul_i32 s10, s14, 12
	s_ashr_i32 s17, s16, 31
	s_add_u32 s18, s2, s0
	s_addc_u32 s19, s3, s1
	s_add_i32 s5, s5, -1
	s_add_i32 s11, s11, s7
	s_mul_hi_i32 s13, s16, s10
	s_cmp_ge_u32 s14, s5
	s_mul_i32 s12, s16, s10
	s_cselect_b32 s14, s11, 12
	s_lshl_b64 s[12:13], s[12:13], 3
	s_ashr_i32 s11, s10, 31
	s_add_u32 s5, s18, s12
	s_addc_u32 s7, s19, s13
	v_cmp_gt_i32_e32 vcc_lo, s14, v0
	s_cmp_gt_i32 s6, 0
	s_mov_b32 s13, 0
	s_cselect_b32 s12, -1, 0
	s_delay_alu instid0(SALU_CYCLE_1) | instskip(NEXT) | instid1(SALU_CYCLE_1)
	s_and_b32 s14, vcc_lo, s12
	s_and_saveexec_b32 s18, s14
	s_cbranch_execz .LBB79_18
; %bb.11:
	s_cmp_lt_i32 s6, 8
	s_cbranch_scc1 .LBB79_15
; %bb.12:
	v_mad_i64_i32 v[1:2], null, s16, v0, 0
	s_lshl_b32 s12, s15, 3
	s_delay_alu instid0(SALU_CYCLE_1) | instskip(SKIP_1) | instid1(VALU_DEP_1)
	s_and_b32 s19, s12, 64
	s_mov_b64 s[12:13], 0
	v_lshlrev_b64 v[2:3], 3, v[1:2]
	v_lshl_or_b32 v1, v0, 3, 0x480
	s_delay_alu instid0(VALU_DEP_2) | instskip(NEXT) | instid1(VALU_DEP_3)
	v_add_co_u32 v2, vcc_lo, s5, v2
	v_add_co_ci_u32_e32 v3, vcc_lo, s7, v3, vcc_lo
	s_set_inst_prefetch_distance 0x1
	.p2align	6
.LBB79_13:                              ; =>This Inner Loop Header: Depth=1
	s_delay_alu instid0(VALU_DEP_2) | instskip(NEXT) | instid1(VALU_DEP_2)
	v_add_co_u32 v16, vcc_lo, v2, s12
	v_add_co_ci_u32_e32 v17, vcc_lo, s13, v3, vcc_lo
	s_add_u32 s12, s12, 64
	s_addc_u32 s13, s13, 0
	s_cmp_lg_u32 s19, s12
	s_clause 0x3
	global_load_b128 v[4:7], v[16:17], off
	global_load_b128 v[8:11], v[16:17], off offset:16
	global_load_b128 v[12:15], v[16:17], off offset:32
	;; [unrolled: 1-line block ×3, first 2 shown]
	s_waitcnt vmcnt(3)
	v_mul_f64 v[4:5], v[4:5], s[8:9]
	v_mul_f64 v[6:7], v[6:7], s[8:9]
	s_waitcnt vmcnt(2)
	v_mul_f64 v[8:9], v[8:9], s[8:9]
	v_mul_f64 v[10:11], v[10:11], s[8:9]
	;; [unrolled: 3-line block ×4, first 2 shown]
	ds_store_2addr_b64 v1, v[4:5], v[6:7] offset1:12
	ds_store_2addr_b64 v1, v[8:9], v[10:11] offset0:24 offset1:36
	ds_store_2addr_b64 v1, v[12:13], v[14:15] offset0:48 offset1:60
	;; [unrolled: 1-line block ×3, first 2 shown]
	v_add_nc_u32_e32 v1, 0x300, v1
	s_cbranch_scc1 .LBB79_13
; %bb.14:
	s_set_inst_prefetch_distance 0x2
	s_mov_b32 s13, 8
.LBB79_15:
	s_and_b32 s12, s15, 7
	s_delay_alu instid0(SALU_CYCLE_1)
	s_cmp_eq_u32 s12, 0
	s_cbranch_scc1 .LBB79_18
; %bb.16:
	v_lshlrev_b32_e32 v3, 3, v0
	s_lshl_b64 s[22:23], s[10:11], 3
	s_lshl_b32 s19, s13, 3
	s_mulk_i32 s13, 0x60
	s_add_u32 s19, s2, s19
	v_add_co_u32 v4, s21, s22, v3
	s_delay_alu instid0(VALU_DEP_1) | instskip(SKIP_3) | instid1(VALU_DEP_1)
	v_add_co_ci_u32_e64 v5, null, s23, 0, s21
	s_addc_u32 s21, s3, 0
	s_add_u32 s22, s19, s0
	s_addc_u32 s23, s21, s1
	v_mul_lo_u32 v5, v5, s16
	v_mad_u64_u32 v[1:2], null, v4, s16, s[22:23]
	v_mul_lo_u32 v4, v4, s17
	v_add3_u32 v3, s13, v3, 0x480
	s_delay_alu instid0(VALU_DEP_2)
	v_add3_u32 v2, v5, v2, v4
.LBB79_17:                              ; =>This Inner Loop Header: Depth=1
	global_load_b64 v[4:5], v[1:2], off
	v_add_co_u32 v1, vcc_lo, v1, 8
	v_add_co_ci_u32_e32 v2, vcc_lo, 0, v2, vcc_lo
	s_add_i32 s12, s12, -1
	s_delay_alu instid0(SALU_CYCLE_1)
	s_cmp_lg_u32 s12, 0
	s_waitcnt vmcnt(0)
	v_mul_f64 v[4:5], v[4:5], s[8:9]
	ds_store_b64 v3, v[4:5]
	v_add_nc_u32_e32 v3, 0x60, v3
	s_cbranch_scc1 .LBB79_17
.LBB79_18:
	s_or_b32 exec_lo, exec_lo, s18
	s_cmpk_eq_i32 s4, 0x6f
	s_mov_b32 s4, -1
	s_waitcnt vmcnt(0) lgkmcnt(0)
	s_waitcnt_vscnt null, 0x0
	; wave barrier
	s_waitcnt lgkmcnt(0)
	buffer_gl0_inv
	s_cbranch_scc1 .LBB79_41
; %bb.19:
	s_cmp_gt_i32 s6, 11
	s_cbranch_scc0 .LBB79_21
; %bb.20:
	s_mul_i32 s4, s20, 12
	s_mul_i32 s8, s20, 0x68
	v_add_lshl_u32 v3, s4, v0, 3
	s_mul_i32 s4, s15, 12
	s_add_i32 s18, s8, 0xffffff98
	s_sub_i32 s12, s4, 36
	s_sub_i32 s9, s4, 24
	v_add_lshl_u32 v8, s12, v0, 3
	s_add_i32 s12, s12, s20
	v_add_lshl_u32 v7, s9, v0, 3
	s_lshl_b32 s9, s12, 3
	v_mov_b32_e32 v1, s8
	s_sub_i32 s13, s4, 48
	ds_load_b64 v[1:2], v1
	ds_load_b64 v[10:11], v3 offset:1152
	v_add_lshl_u32 v9, s13, v0, 3
	s_add_i32 s13, s13, s20
	s_add_i32 s21, s4, 0xffffff7c
	s_delay_alu instid0(SALU_CYCLE_1) | instskip(SKIP_1) | instid1(SALU_CYCLE_1)
	v_add_lshl_u32 v64, s21, v0, 3
	s_add_i32 s21, s21, s20
	s_lshl_b32 s21, s21, 3
	s_waitcnt lgkmcnt(0)
	v_mul_f64 v[1:2], v[10:11], v[1:2]
	v_mov_b32_e32 v10, s9
	s_add_i32 s9, s8, 0xffffff30
	v_mov_b32_e32 v3, s18
	ds_load_b64 v[12:13], v7 offset:1152
	ds_load_b64 v[18:19], v8 offset:1152
	;; [unrolled: 1-line block ×3, first 2 shown]
	ds_load_2addr_b64 v[3:6], v3 offset1:1
	ds_load_b64 v[10:11], v10
	s_add_i32 s18, s4, 0xffffffa0
	s_waitcnt lgkmcnt(1)
	v_fma_f64 v[5:6], -v[1:2], v[5:6], v[12:13]
	v_mov_b32_e32 v12, s9
	s_waitcnt lgkmcnt(0)
	v_fma_f64 v[10:11], -v[1:2], v[10:11], v[18:19]
	s_lshl_b32 s9, s13, 3
	s_add_i32 s13, s4, 0xffffffac
	s_add_i32 s9, s9, -8
	ds_load_2addr_b64 v[14:17], v12 offset1:1
	v_add_lshl_u32 v13, s18, v0, 3
	s_add_i32 s18, s18, s20
	s_delay_alu instid0(SALU_CYCLE_1)
	s_lshl_b32 s19, s18, 3
	v_mul_f64 v[3:4], v[5:6], v[3:4]
	v_mov_b32_e32 v5, s9
	s_add_i32 s9, s8, 0xfffffec8
	ds_load_2addr_b64 v[18:21], v5 offset1:1
	v_mov_b32_e32 v5, s9
	s_sub_i32 s9, s4, 60
	v_add_lshl_u32 v12, s13, v0, 3
	s_add_i32 s12, s9, s20
	s_add_i32 s13, s13, s20
	ds_load_2addr_b64 v[22:25], v5 offset1:1
	s_lshl_b32 s12, s12, 3
	s_waitcnt lgkmcnt(1)
	v_fma_f64 v[5:6], -v[1:2], v[20:21], v[26:27]
	v_fma_f64 v[16:17], -v[3:4], v[16:17], v[10:11]
	v_mov_b32_e32 v11, s12
	v_add_lshl_u32 v10, s9, v0, 3
	ds_load_b64 v[20:21], v11
	ds_load_b64 v[30:31], v10 offset:1152
	s_add_i32 s9, s4, 0xffffffb8
	s_add_i32 s12, s12, -16
	v_add_lshl_u32 v11, s9, v0, 3
	s_add_i32 s9, s9, s20
	v_mov_b32_e32 v26, s12
	s_lshl_b32 s9, s9, 3
	ds_load_b64 v[32:33], v11 offset:1152
	ds_load_b64 v[34:35], v12 offset:1152
	;; [unrolled: 1-line block ×3, first 2 shown]
	ds_load_2addr_b64 v[26:29], v26 offset1:1
	s_add_i32 s12, s9, -8
	s_sub_i32 s9, s9, 24
	s_waitcnt lgkmcnt(4)
	v_fma_f64 v[20:21], -v[1:2], v[20:21], v[30:31]
	v_fma_f64 v[18:19], -v[3:4], v[18:19], v[5:6]
	v_mul_f64 v[5:6], v[16:17], v[14:15]
	v_mov_b32_e32 v14, s12
	s_lshl_b32 s12, s13, 3
	s_delay_alu instid0(SALU_CYCLE_1)
	s_add_i32 s13, s12, -8
	ds_load_2addr_b64 v[14:17], v14 offset1:1
	s_waitcnt lgkmcnt(0)
	v_fma_f64 v[32:33], -v[1:2], v[16:17], v[32:33]
	v_mov_b32_e32 v16, s13
	v_fma_f64 v[20:21], -v[3:4], v[28:29], v[20:21]
	s_sub_i32 s13, s12, 24
	s_sub_i32 s12, s12, 40
	v_mov_b32_e32 v28, s13
	s_add_i32 s13, s8, 0xfffffe60
	ds_load_2addr_b64 v[28:31], v28 offset1:1
	v_fma_f64 v[24:25], -v[5:6], v[24:25], v[18:19]
	ds_load_2addr_b64 v[16:19], v16 offset1:1
	s_waitcnt lgkmcnt(0)
	v_fma_f64 v[42:43], -v[1:2], v[18:19], v[34:35]
	v_dual_mov_b32 v18, s19 :: v_dual_mov_b32 v19, s9
	s_add_i32 s9, s8, 0xfffffdf8
	v_fma_f64 v[14:15], -v[3:4], v[14:15], v[32:33]
	v_mov_b32_e32 v32, s9
	v_fma_f64 v[26:27], -v[5:6], v[26:27], v[20:21]
	v_mul_f64 v[46:47], v[24:25], v[22:23]
	v_mov_b32_e32 v22, s13
	ds_load_b64 v[44:45], v18
	ds_load_2addr_b64 v[18:21], v19 offset1:1
	ds_load_2addr_b64 v[22:25], v22 offset1:1
	s_add_i32 s13, s19, -16
	s_delay_alu instid0(SALU_CYCLE_1)
	v_mov_b32_e32 v36, s13
	s_add_i32 s13, s4, 0xffffff94
	ds_load_2addr_b64 v[32:35], v32 offset1:1
	ds_load_2addr_b64 v[36:39], v36 offset1:1
	s_add_i32 s9, s13, s20
	v_add_lshl_u32 v62, s13, v0, 3
	s_lshl_b32 s9, s9, 3
	s_add_i32 s13, s4, 0xffffff88
	s_add_i32 s18, s9, -8
	v_add_lshl_u32 v63, s13, v0, 3
	s_add_i32 s13, s13, s20
	s_sub_i32 s22, s9, 24
	s_lshl_b32 s13, s13, 3
	v_fma_f64 v[42:43], -v[3:4], v[16:17], v[42:43]
	s_waitcnt lgkmcnt(4)
	v_fma_f64 v[40:41], -v[1:2], v[44:45], v[40:41]
	s_waitcnt lgkmcnt(3)
	v_fma_f64 v[20:21], -v[5:6], v[20:21], v[14:15]
	v_mov_b32_e32 v14, s18
	ds_load_2addr_b64 v[14:17], v14 offset1:1
	ds_load_b64 v[48:49], v62 offset:1152
	s_add_i32 s18, s4, 0xffffff70
	s_add_i32 s4, s4, -12
	v_add_lshl_u32 v65, s18, v0, 3
	s_add_i32 s18, s18, s20
	s_waitcnt lgkmcnt(4)
	v_fma_f64 v[44:45], -v[46:47], v[24:25], v[26:27]
	v_mov_b32_e32 v24, s22
	ds_load_b64 v[50:51], v63 offset:1152
	ds_load_b64 v[52:53], v64 offset:1152
	;; [unrolled: 1-line block ×3, first 2 shown]
	ds_load_2addr_b64 v[24:27], v24 offset1:1
	s_add_i32 s22, s13, -16
	s_waitcnt lgkmcnt(4)
	v_fma_f64 v[48:49], -v[1:2], v[16:17], v[48:49]
	v_mov_b32_e32 v16, s13
	v_fma_f64 v[30:31], -v[5:6], v[30:31], v[42:43]
	v_fma_f64 v[38:39], -v[3:4], v[38:39], v[40:41]
	;; [unrolled: 1-line block ×3, first 2 shown]
	v_mul_f64 v[56:57], v[44:45], v[22:23]
	ds_load_b64 v[22:23], v16
	v_mov_b32_e32 v16, s22
	s_sub_i32 s22, s19, 32
	ds_load_2addr_b64 v[16:19], v16 offset1:1
	v_fma_f64 v[14:15], -v[3:4], v[14:15], v[48:49]
	s_waitcnt lgkmcnt(1)
	v_fma_f64 v[42:43], -v[1:2], v[22:23], v[50:51]
	v_fma_f64 v[44:45], -v[5:6], v[36:37], v[38:39]
	;; [unrolled: 1-line block ×3, first 2 shown]
	v_mov_b32_e32 v28, s12
	s_sub_i32 s12, s19, 48
	s_add_i32 s19, s21, -16
	s_delay_alu instid0(SALU_CYCLE_1)
	v_mov_b32_e32 v38, s19
	s_sub_i32 s19, s13, 32
	v_fma_f64 v[50:51], -v[56:57], v[34:35], v[20:21]
	v_dual_mov_b32 v21, s22 :: v_dual_mov_b32 v20, s21
	ds_load_b64 v[58:59], v20
	ds_load_2addr_b64 v[20:23], v21 offset1:1
	ds_load_2addr_b64 v[28:31], v28 offset1:1
	v_mov_b32_e32 v34, s12
	s_lshl_b32 s12, s18, 3
	ds_load_2addr_b64 v[34:37], v34 offset1:1
	ds_load_2addr_b64 v[38:41], v38 offset1:1
	v_fma_f64 v[14:15], -v[5:6], v[26:27], v[14:15]
	s_add_i32 s18, s12, -8
	s_sub_i32 s22, s9, 40
	s_sub_i32 s9, s9, 56
	s_waitcnt lgkmcnt(5)
	v_fma_f64 v[18:19], -v[3:4], v[18:19], v[42:43]
	s_waitcnt lgkmcnt(4)
	v_fma_f64 v[52:53], -v[1:2], v[58:59], v[52:53]
	;; [unrolled: 2-line block ×4, first 2 shown]
	v_mov_b32_e32 v30, s18
	s_sub_i32 s18, s12, 24
	s_delay_alu instid0(SALU_CYCLE_1)
	v_mov_b32_e32 v42, s18
	s_add_i32 s18, s8, 0xfffffd90
	ds_load_2addr_b64 v[42:45], v42 offset1:1
	v_mul_f64 v[48:49], v[50:51], v[32:33]
	ds_load_2addr_b64 v[30:33], v30 offset1:1
	v_fma_f64 v[50:51], -v[5:6], v[16:17], v[18:19]
	s_waitcnt lgkmcnt(0)
	v_fma_f64 v[32:33], -v[1:2], v[32:33], v[54:55]
	v_mov_b32_e32 v18, s22
	v_fma_f64 v[40:41], -v[3:4], v[40:41], v[52:53]
	v_fma_f64 v[52:53], -v[46:47], v[24:25], v[14:15]
	;; [unrolled: 1-line block ×3, first 2 shown]
	v_mov_b32_e32 v14, s19
	v_mov_b32_e32 v22, s18
	ds_load_2addr_b64 v[14:17], v14 offset1:1
	ds_load_2addr_b64 v[18:21], v18 offset1:1
	ds_load_b64 v[54:55], v22
	v_mov_b32_e32 v22, s9
	s_sub_i32 s9, s21, 32
	s_sub_i32 s18, s13, 48
	v_fma_f64 v[60:61], -v[48:49], v[28:29], v[26:27]
	v_mov_b32_e32 v26, s18
	ds_load_2addr_b64 v[22:25], v22 offset1:1
	ds_load_2addr_b64 v[26:29], v26 offset1:1
	s_waitcnt lgkmcnt(4)
	v_fma_f64 v[16:17], -v[46:47], v[16:17], v[50:51]
	v_fma_f64 v[40:41], -v[5:6], v[38:39], v[40:41]
	s_waitcnt lgkmcnt(3)
	v_fma_f64 v[20:21], -v[56:57], v[20:21], v[52:53]
	v_fma_f64 v[50:51], -v[48:49], v[36:37], v[58:59]
	s_waitcnt lgkmcnt(2)
	v_mul_f64 v[52:53], v[60:61], v[54:55]
	v_fma_f64 v[54:55], -v[3:4], v[30:31], v[32:33]
	v_mov_b32_e32 v30, s9
	s_sub_i32 s9, s21, 48
	s_delay_alu instid0(SALU_CYCLE_1)
	v_mov_b32_e32 v36, s9
	s_add_i32 s9, s8, 0xfffffd28
	ds_load_2addr_b64 v[30:33], v30 offset1:1
	ds_load_2addr_b64 v[36:39], v36 offset1:1
	v_fma_f64 v[14:15], -v[56:57], v[14:15], v[16:17]
	v_fma_f64 v[16:17], -v[48:49], v[18:19], v[20:21]
	s_waitcnt lgkmcnt(1)
	v_fma_f64 v[32:33], -v[46:47], v[32:33], v[40:41]
	v_fma_f64 v[18:19], -v[52:53], v[34:35], v[50:51]
	;; [unrolled: 1-line block ×3, first 2 shown]
	v_mov_b32_e32 v34, s9
	s_sub_i32 s9, s12, 40
	ds_load_b64 v[34:35], v34
	v_fma_f64 v[28:29], -v[48:49], v[28:29], v[14:15]
	v_mov_b32_e32 v14, s9
	s_sub_i32 s9, s12, 56
	v_fma_f64 v[24:25], -v[52:53], v[24:25], v[16:17]
	v_fma_f64 v[30:31], -v[56:57], v[30:31], v[32:33]
	ds_load_2addr_b64 v[14:17], v14 offset1:1
	s_waitcnt lgkmcnt(1)
	v_mul_f64 v[32:33], v[18:19], v[34:35]
	v_fma_f64 v[34:35], -v[46:47], v[42:43], v[20:21]
	v_mov_b32_e32 v18, s9
	s_sub_i32 s9, s13, 64
	s_add_i32 s13, s8, 0xfffffcc0
	s_addk_i32 s8, 0xfc58
	ds_load_2addr_b64 v[18:21], v18 offset1:1
	v_fma_f64 v[26:27], -v[52:53], v[26:27], v[28:29]
	v_fma_f64 v[30:31], -v[48:49], v[38:39], v[30:31]
	;; [unrolled: 1-line block ×3, first 2 shown]
	s_waitcnt lgkmcnt(1)
	v_fma_f64 v[16:17], -v[56:57], v[16:17], v[34:35]
	v_mov_b32_e32 v22, s9
	v_mov_b32_e32 v34, s13
	ds_load_2addr_b64 v[22:25], v22 offset1:1
	ds_load_b64 v[34:35], v34
	s_sub_i32 s9, s21, 64
	v_fma_f64 v[30:31], -v[52:53], v[36:37], v[30:31]
	s_waitcnt lgkmcnt(1)
	v_fma_f64 v[36:37], -v[32:33], v[24:25], v[26:27]
	s_waitcnt lgkmcnt(0)
	v_mul_f64 v[28:29], v[28:29], v[34:35]
	v_fma_f64 v[34:35], -v[48:49], v[14:15], v[16:17]
	v_mov_b32_e32 v14, s9
	s_mul_i32 s9, s15, 0x68
	s_delay_alu instid0(SALU_CYCLE_1)
	s_add_i32 s13, s9, 0xfffffb88
	ds_load_2addr_b64 v[14:17], v14 offset1:1
	v_mov_b32_e32 v24, s13
	ds_load_2addr_b64 v[24:27], v24 offset1:1
	s_waitcnt lgkmcnt(1)
	v_fma_f64 v[16:17], -v[32:33], v[16:17], v[30:31]
	v_mov_b32_e32 v30, s8
	s_add_i32 s8, s12, 0xffffffb8
	ds_load_b64 v[30:31], v30
	v_fma_f64 v[22:23], -v[28:29], v[22:23], v[36:37]
	v_fma_f64 v[20:21], -v[52:53], v[20:21], v[34:35]
	;; [unrolled: 1-line block ×3, first 2 shown]
	v_mov_b32_e32 v14, s8
	s_add_i32 s8, s9, 0xfffffb20
	ds_load_2addr_b64 v[14:17], v14 offset1:1
	s_waitcnt lgkmcnt(1)
	v_mul_f64 v[22:23], v[22:23], v[30:31]
	v_fma_f64 v[30:31], -v[32:33], v[18:19], v[20:21]
	v_mov_b32_e32 v18, s8
	ds_load_2addr_b64 v[18:21], v18 offset1:1
	v_fma_f64 v[26:27], -v[22:23], v[26:27], v[34:35]
	s_waitcnt lgkmcnt(1)
	v_fma_f64 v[16:17], -v[28:29], v[16:17], v[30:31]
	s_delay_alu instid0(VALU_DEP_2) | instskip(NEXT) | instid1(VALU_DEP_2)
	v_mul_f64 v[24:25], v[26:27], v[24:25]
	v_fma_f64 v[14:15], -v[22:23], v[14:15], v[16:17]
	v_add_lshl_u32 v16, s4, v0, 3
	s_add_i32 s4, s15, -13
	ds_store_b64 v16, v[1:2] offset:1152
	ds_store_b64 v7, v[3:4] offset:1152
	;; [unrolled: 1-line block ×11, first 2 shown]
	s_waitcnt lgkmcnt(11)
	v_fma_f64 v[14:15], -v[24:25], v[20:21], v[14:15]
	s_delay_alu instid0(VALU_DEP_1)
	v_mul_f64 v[14:15], v[14:15], v[18:19]
	ds_store_b64 v65, v[14:15] offset:1152
	s_cmp_gt_i32 s4, -1
	s_cbranch_scc1 .LBB79_22
	s_branch .LBB79_40
.LBB79_21:
	s_mov_b32 s4, s20
	s_delay_alu instid0(SALU_CYCLE_1)
	s_cmp_gt_i32 s4, -1
	s_cbranch_scc0 .LBB79_40
.LBB79_22:
	s_cmp_lt_u32 s4, 7
	s_cbranch_scc1 .LBB79_27
; %bb.23:
	s_mul_i32 s9, s4, 12
	s_delay_alu instid0(SALU_CYCLE_1)
	s_add_i32 s8, s9, -12
	s_sub_i32 s12, s9, 24
	v_add_lshl_u32 v17, s9, v0, 3
	s_sub_i32 s13, s9, 36
	v_add_lshl_u32 v18, s8, v0, 3
	v_add_lshl_u32 v1, s12, v0, 3
	s_sub_i32 s12, s9, 48
	v_add_lshl_u32 v2, s13, v0, 3
	s_sub_i32 s13, s9, 60
	v_add_lshl_u32 v3, s12, v0, 3
	s_add_i32 s12, s9, 0xffffffb8
	s_addk_i32 s9, 0xffac
	v_add_lshl_u32 v4, s13, v0, 3
	v_add_lshl_u32 v19, s12, v0, 3
	;; [unrolled: 1-line block ×3, first 2 shown]
	ds_load_b64 v[15:16], v17 offset:1152
	ds_load_b64 v[13:14], v18 offset:1152
	;; [unrolled: 1-line block ×8, first 2 shown]
	s_cmp_le_i32 s20, s4
	s_cbranch_scc1 .LBB79_26
; %bb.24:
	v_lshlrev_b32_e32 v19, 3, v0
	s_mul_i32 s13, s15, 0x60
	s_mul_i32 s9, s4, 0x60
	s_lshl_b32 s12, s15, 3
	s_delay_alu instid0(SALU_CYCLE_1)
	s_add_i32 s9, s9, s12
	v_add3_u32 v19, s13, v19, 0x420
	s_addk_i32 s9, 0xfd58
	s_mov_b32 s12, s20
	s_set_inst_prefetch_distance 0x1
	.p2align	6
.LBB79_25:                              ; =>This Inner Loop Header: Depth=1
	v_mov_b32_e32 v32, s9
	s_add_i32 s12, s12, -1
	s_add_i32 s9, s9, -8
	s_cmp_gt_i32 s12, s4
	ds_load_b64 v[36:37], v19
	ds_load_2addr_b64 v[20:23], v32 offset0:72 offset1:84
	ds_load_2addr_b64 v[24:27], v32 offset0:48 offset1:60
	;; [unrolled: 1-line block ×3, first 2 shown]
	ds_load_2addr_b64 v[32:35], v32 offset1:12
	v_add_nc_u32_e32 v19, 0xffffffa0, v19
	s_waitcnt lgkmcnt(3)
	v_fma_f64 v[15:16], -v[36:37], v[22:23], v[15:16]
	v_fma_f64 v[13:14], -v[36:37], v[20:21], v[13:14]
	s_waitcnt lgkmcnt(2)
	v_fma_f64 v[11:12], -v[36:37], v[26:27], v[11:12]
	v_fma_f64 v[9:10], -v[36:37], v[24:25], v[9:10]
	s_waitcnt lgkmcnt(1)
	v_fma_f64 v[7:8], -v[36:37], v[30:31], v[7:8]
	v_fma_f64 v[5:6], -v[36:37], v[28:29], v[5:6]
	s_waitcnt lgkmcnt(0)
	v_fma_f64 v[3:4], -v[36:37], v[34:35], v[3:4]
	v_fma_f64 v[1:2], -v[36:37], v[32:33], v[1:2]
	s_cbranch_scc1 .LBB79_25
.LBB79_26:
	s_set_inst_prefetch_distance 0x2
	s_mul_i32 s9, s4, 0x68
	s_delay_alu instid0(SALU_CYCLE_1)
	v_dual_mov_b32 v19, s9 :: v_dual_add_nc_u32 v18, 0x480, v18
	s_add_i32 s12, s9, 0xffffff98
	v_add_nc_u32_e32 v17, 0x480, v17
	ds_load_b64 v[23:24], v19
	v_mov_b32_e32 v19, s12
	s_add_i32 s12, s8, -12
	s_delay_alu instid0(SALU_CYCLE_1)
	s_add_i32 s13, s12, s4
	ds_load_2addr_b64 v[19:22], v19 offset1:1
	s_lshl_b32 s13, s13, 3
	s_waitcnt lgkmcnt(1)
	v_mul_f64 v[31:32], v[15:16], v[23:24]
	s_waitcnt lgkmcnt(0)
	s_delay_alu instid0(VALU_DEP_1)
	v_fma_f64 v[21:22], -v[31:32], v[21:22], v[13:14]
	v_mov_b32_e32 v13, s13
	s_add_i32 s13, s9, 0xffffff30
	ds_load_b64 v[23:24], v13
	v_mov_b32_e32 v13, s13
	s_sub_i32 s13, s8, 24
	s_delay_alu instid0(SALU_CYCLE_1) | instskip(NEXT) | instid1(SALU_CYCLE_1)
	s_add_i32 s18, s13, s4
	s_lshl_b32 s18, s18, 3
	ds_load_2addr_b64 v[13:16], v13 offset1:1
	s_add_i32 s18, s18, -8
	s_waitcnt lgkmcnt(1)
	v_fma_f64 v[11:12], -v[31:32], v[23:24], v[11:12]
	v_mul_f64 v[33:34], v[21:22], v[19:20]
	v_mov_b32_e32 v19, s18
	s_add_i32 s18, s9, 0xfffffec8
	s_delay_alu instid0(SALU_CYCLE_1)
	v_mov_b32_e32 v23, s18
	s_sub_i32 s18, s8, 36
	ds_load_2addr_b64 v[19:22], v19 offset1:1
	s_add_i32 s19, s18, s4
	ds_load_2addr_b64 v[23:26], v23 offset1:1
	s_lshl_b32 s19, s19, 3
	s_waitcnt lgkmcnt(1)
	v_fma_f64 v[21:22], -v[31:32], v[21:22], v[9:10]
	v_mov_b32_e32 v9, s19
	s_add_i32 s19, s19, -16
	ds_load_b64 v[27:28], v9
	v_mov_b32_e32 v9, s19
	s_sub_i32 s19, s8, 48
	s_delay_alu instid0(SALU_CYCLE_1) | instskip(NEXT) | instid1(SALU_CYCLE_1)
	s_add_i32 s21, s19, s4
	s_lshl_b32 s21, s21, 3
	v_fma_f64 v[15:16], -v[33:34], v[15:16], v[11:12]
	s_add_i32 s22, s21, -8
	ds_load_2addr_b64 v[9:12], v9 offset1:1
	s_sub_i32 s21, s21, 24
	s_waitcnt lgkmcnt(1)
	v_fma_f64 v[7:8], -v[31:32], v[27:28], v[7:8]
	v_fma_f64 v[19:20], -v[33:34], v[19:20], v[21:22]
	v_mul_f64 v[35:36], v[15:16], v[13:14]
	v_mov_b32_e32 v13, s22
	s_sub_i32 s22, s8, 60
	s_addk_i32 s8, 0xffb8
	s_add_i32 s23, s22, s4
	s_add_i32 s25, s8, s4
	ds_load_2addr_b64 v[13:16], v13 offset1:1
	s_lshl_b32 s23, s23, 3
	s_lshl_b32 s25, s25, 3
	s_add_i32 s24, s23, -8
	s_add_i32 s4, s4, -8
	s_waitcnt lgkmcnt(1)
	v_fma_f64 v[11:12], -v[33:34], v[11:12], v[7:8]
	s_waitcnt lgkmcnt(0)
	v_fma_f64 v[15:16], -v[31:32], v[15:16], v[5:6]
	v_mov_b32_e32 v5, s24
	s_sub_i32 s24, s23, 24
	ds_load_2addr_b64 v[5:8], v5 offset1:1
	v_fma_f64 v[25:26], -v[35:36], v[25:26], v[19:20]
	v_mov_b32_e32 v19, s24
	s_add_i32 s24, s9, 0xfffffe60
	ds_load_2addr_b64 v[19:22], v19 offset1:1
	v_fma_f64 v[37:38], -v[35:36], v[9:10], v[11:12]
	s_waitcnt lgkmcnt(1)
	v_fma_f64 v[3:4], -v[31:32], v[7:8], v[3:4]
	v_mov_b32_e32 v7, s21
	v_mov_b32_e32 v11, s24
	s_add_i32 s21, s9, 0xfffffdf8
	s_add_i32 s24, s25, -16
	s_delay_alu instid0(SALU_CYCLE_1)
	v_mov_b32_e32 v27, s24
	v_fma_f64 v[15:16], -v[33:34], v[13:14], v[15:16]
	v_mul_f64 v[39:40], v[25:26], v[23:24]
	v_mov_b32_e32 v23, s25
	ds_load_2addr_b64 v[7:10], v7 offset1:1
	ds_load_2addr_b64 v[11:14], v11 offset1:1
	ds_load_b64 v[41:42], v23
	v_mov_b32_e32 v23, s21
	s_sub_i32 s21, s23, 40
	ds_load_2addr_b64 v[23:26], v23 offset1:1
	ds_load_2addr_b64 v[27:30], v27 offset1:1
	s_sub_i32 s23, s25, 32
	v_fma_f64 v[3:4], -v[33:34], v[5:6], v[3:4]
	s_waitcnt lgkmcnt(2)
	v_fma_f64 v[1:2], -v[31:32], v[41:42], v[1:2]
	v_fma_f64 v[5:6], -v[35:36], v[9:10], v[15:16]
	v_fma_f64 v[9:10], -v[39:40], v[13:14], v[37:38]
	s_delay_alu instid0(VALU_DEP_4) | instskip(SKIP_1) | instid1(VALU_DEP_4)
	v_fma_f64 v[3:4], -v[35:36], v[21:22], v[3:4]
	s_waitcnt lgkmcnt(0)
	v_fma_f64 v[1:2], -v[33:34], v[29:30], v[1:2]
	s_delay_alu instid0(VALU_DEP_4) | instskip(NEXT) | instid1(VALU_DEP_4)
	v_fma_f64 v[5:6], -v[39:40], v[7:8], v[5:6]
	v_mul_f64 v[13:14], v[9:10], v[11:12]
	s_delay_alu instid0(VALU_DEP_4) | instskip(NEXT) | instid1(VALU_DEP_4)
	v_fma_f64 v[15:16], -v[39:40], v[19:20], v[3:4]
	v_fma_f64 v[21:22], -v[35:36], v[27:28], v[1:2]
	v_mov_b32_e32 v1, s21
	s_sub_i32 s21, s25, 48
	s_delay_alu instid0(SALU_CYCLE_1)
	v_mov_b32_e32 v9, s21
	s_add_i32 s21, s9, 0xfffffd90
	s_addk_i32 s9, 0xfd28
	v_fma_f64 v[19:20], -v[13:14], v[25:26], v[5:6]
	v_mov_b32_e32 v5, s23
	ds_load_2addr_b64 v[1:4], v1 offset1:1
	ds_load_2addr_b64 v[5:8], v5 offset1:1
	;; [unrolled: 1-line block ×3, first 2 shown]
	s_waitcnt lgkmcnt(2)
	v_fma_f64 v[3:4], -v[13:14], v[3:4], v[15:16]
	s_waitcnt lgkmcnt(1)
	v_fma_f64 v[7:8], -v[39:40], v[7:8], v[21:22]
	v_mul_f64 v[15:16], v[19:20], v[23:24]
	s_delay_alu instid0(VALU_DEP_1) | instskip(NEXT) | instid1(VALU_DEP_3)
	v_fma_f64 v[1:2], -v[15:16], v[1:2], v[3:4]
	v_fma_f64 v[3:4], -v[13:14], v[5:6], v[7:8]
	v_mov_b32_e32 v5, s21
	v_add_lshl_u32 v7, s18, v0, 3
	v_add_lshl_u32 v8, s19, v0, 3
	ds_load_b64 v[5:6], v5
	s_waitcnt lgkmcnt(0)
	v_mul_f64 v[1:2], v[1:2], v[5:6]
	v_fma_f64 v[3:4], -v[15:16], v[11:12], v[3:4]
	v_mov_b32_e32 v5, s9
	ds_load_b64 v[5:6], v5
	v_fma_f64 v[3:4], -v[1:2], v[9:10], v[3:4]
	v_add_lshl_u32 v9, s22, v0, 3
	s_waitcnt lgkmcnt(0)
	s_delay_alu instid0(VALU_DEP_2)
	v_mul_f64 v[3:4], v[3:4], v[5:6]
	v_add_lshl_u32 v5, s12, v0, 3
	v_add_lshl_u32 v6, s13, v0, 3
	ds_store_b64 v17, v[31:32]
	ds_store_b64 v18, v[33:34]
	ds_store_b64 v5, v[35:36] offset:1152
	ds_store_b64 v6, v[39:40] offset:1152
	v_add_lshl_u32 v5, s8, v0, 3
	ds_store_b64 v7, v[13:14] offset:1152
	ds_store_b64 v8, v[15:16] offset:1152
	;; [unrolled: 1-line block ×4, first 2 shown]
.LBB79_27:
	s_cmp_lt_i32 s4, 0
	s_cbranch_scc1 .LBB79_40
; %bb.28:
	s_bitcmp1_b32 s4, 0
	s_cselect_b32 s8, -1, 0
	s_delay_alu instid0(SALU_CYCLE_1)
	s_and_b32 vcc_lo, exec_lo, s8
	s_mov_b32 s8, s4
	s_cbranch_vccnz .LBB79_33
; %bb.29:
	s_mul_i32 s8, s4, 12
	s_cmp_le_i32 s20, s4
	v_add_lshl_u32 v3, s8, v0, 3
	ds_load_b64 v[1:2], v3 offset:1152
	s_cbranch_scc1 .LBB79_32
; %bb.30:
	v_lshlrev_b32_e32 v4, 3, v0
	s_mul_i32 s12, s15, 0x60
	s_mul_i32 s8, s4, 0x60
	s_lshl_b32 s9, s15, 3
	s_delay_alu instid0(SALU_CYCLE_1)
	s_add_i32 s8, s8, s9
	v_add3_u32 v4, s12, v4, 0x420
	s_add_i32 s8, s8, -8
	s_mov_b32 s9, s20
.LBB79_31:                              ; =>This Inner Loop Header: Depth=1
	v_mov_b32_e32 v7, s8
	s_add_i32 s9, s9, -1
	s_add_i32 s8, s8, -8
	s_cmp_gt_i32 s9, s4
	ds_load_b64 v[5:6], v4
	ds_load_b64 v[7:8], v7
	v_add_nc_u32_e32 v4, 0xffffffa0, v4
	s_waitcnt lgkmcnt(0)
	v_fma_f64 v[1:2], -v[5:6], v[7:8], v[1:2]
	s_cbranch_scc1 .LBB79_31
.LBB79_32:
	s_mul_i32 s8, s4, 0x68
	s_delay_alu instid0(SALU_CYCLE_1)
	v_dual_mov_b32 v4, s8 :: v_dual_add_nc_u32 v3, 0x480, v3
	s_add_i32 s8, s4, -1
	ds_load_b64 v[4:5], v4
	s_waitcnt lgkmcnt(0)
	v_mul_f64 v[1:2], v[1:2], v[4:5]
	ds_store_b64 v3, v[1:2]
.LBB79_33:
	s_cmp_eq_u32 s4, 0
	s_cbranch_scc1 .LBB79_40
; %bb.34:
	v_lshlrev_b32_e32 v1, 3, v0
	s_mul_i32 s12, s15, 0x60
	s_mul_i32 s4, s8, 0x60
	s_lshl_b32 s9, s15, 3
	s_delay_alu instid0(SALU_CYCLE_1)
	s_add_i32 s9, s4, s9
	v_add3_u32 v5, s12, v1, 0x420
	s_add_i32 s4, s9, -8
	s_addk_i32 s9, 0xff98
	s_branch .LBB79_36
.LBB79_35:                              ;   in Loop: Header=BB79_36 Depth=1
	s_addk_i32 s12, 0xff98
	s_delay_alu instid0(SALU_CYCLE_1)
	v_dual_mov_b32 v2, s12 :: v_dual_add_nc_u32 v1, 0x480, v6
	s_add_i32 s12, s8, -2
	s_addk_i32 s4, 0xff40
	s_addk_i32 s9, 0xff40
	s_cmp_lt_i32 s8, 2
	ds_load_b64 v[6:7], v2
	s_mov_b32 s8, s12
	s_waitcnt lgkmcnt(0)
	v_mul_f64 v[2:3], v[3:4], v[6:7]
	ds_store_b64 v1, v[2:3]
	s_cbranch_scc1 .LBB79_40
.LBB79_36:                              ; =>This Loop Header: Depth=1
                                        ;     Child Loop BB79_37 Depth 2
                                        ;     Child Loop BB79_39 Depth 2
	s_mul_i32 s13, s8, 12
	v_mov_b32_e32 v4, v5
	v_add_lshl_u32 v3, s13, v0, 3
	s_cmp_le_i32 s20, s8
	s_mov_b32 s12, s4
	s_mov_b32 s18, s20
	ds_load_b64 v[1:2], v3 offset:1152
	s_cbranch_scc1 .LBB79_38
.LBB79_37:                              ;   Parent Loop BB79_36 Depth=1
                                        ; =>  This Inner Loop Header: Depth=2
	v_mov_b32_e32 v8, s12
	s_add_i32 s18, s18, -1
	s_add_i32 s12, s12, -8
	s_cmp_gt_i32 s18, s8
	ds_load_b64 v[6:7], v4
	ds_load_b64 v[8:9], v8
	v_add_nc_u32_e32 v4, 0xffffffa0, v4
	s_waitcnt lgkmcnt(0)
	v_fma_f64 v[1:2], -v[6:7], v[8:9], v[1:2]
	s_cbranch_scc1 .LBB79_37
.LBB79_38:                              ;   in Loop: Header=BB79_36 Depth=1
	s_mul_i32 s12, s8, 0x68
	v_add_nc_u32_e32 v7, 0x480, v3
	v_mov_b32_e32 v3, s12
	s_add_i32 s13, s13, -12
	s_cmp_lt_i32 s20, s8
	v_add_lshl_u32 v6, s13, v0, 3
	s_mov_b32 s13, s9
	ds_load_b64 v[8:9], v3
	s_mov_b32 s18, s15
	ds_load_b64 v[3:4], v6 offset:1152
	s_waitcnt lgkmcnt(1)
	v_mul_f64 v[8:9], v[1:2], v[8:9]
	v_mov_b32_e32 v1, v5
	ds_store_b64 v7, v[8:9]
	s_cbranch_scc1 .LBB79_35
.LBB79_39:                              ;   Parent Loop BB79_36 Depth=1
                                        ; =>  This Inner Loop Header: Depth=2
	v_mov_b32_e32 v2, s13
	s_add_i32 s18, s18, -1
	s_add_i32 s13, s13, -8
	s_cmp_gt_i32 s18, s8
	ds_load_b64 v[7:8], v1
	ds_load_b64 v[9:10], v2
	v_add_nc_u32_e32 v1, 0xffffffa0, v1
	s_waitcnt lgkmcnt(0)
	v_fma_f64 v[3:4], -v[7:8], v[9:10], v[3:4]
	s_cbranch_scc1 .LBB79_39
	s_branch .LBB79_35
.LBB79_40:
	s_mov_b32 s4, 0
.LBB79_41:
	s_delay_alu instid0(SALU_CYCLE_1)
	s_and_b32 vcc_lo, exec_lo, s4
	s_cbranch_vccz .LBB79_66
; %bb.42:
	s_cmp_gt_i32 s6, 11
	s_cselect_b32 s9, -1, 0
	s_delay_alu instid0(SALU_CYCLE_1)
	s_and_b32 vcc_lo, exec_lo, s9
	s_cbranch_vccz .LBB79_44
; %bb.43:
	v_dual_mov_b32 v62, 0 :: v_dual_lshlrev_b32 v1, 3, v0
	s_mov_b32 s4, 12
	ds_load_2addr_b64 v[2:5], v1 offset0:144 offset1:156
	ds_load_b128 v[6:9], v62
	ds_load_b128 v[10:13], v62 offset:16
	v_add_nc_u32_e32 v63, 0x800, v1
	s_waitcnt lgkmcnt(1)
	v_mul_f64 v[42:43], v[2:3], v[6:7]
	s_delay_alu instid0(VALU_DEP_1)
	v_fma_f64 v[18:19], -v[42:43], v[8:9], v[4:5]
	ds_load_2addr_b64 v[2:5], v1 offset0:168 offset1:180
	ds_load_2addr_b64 v[6:9], v62 offset0:13 offset1:14
	;; [unrolled: 1-line block ×3, first 2 shown]
	s_waitcnt lgkmcnt(2)
	v_fma_f64 v[2:3], -v[42:43], v[10:11], v[2:3]
	v_fma_f64 v[26:27], -v[42:43], v[12:13], v[4:5]
	s_waitcnt lgkmcnt(1)
	v_mul_f64 v[44:45], v[18:19], v[6:7]
	s_delay_alu instid0(VALU_DEP_1)
	v_fma_f64 v[28:29], -v[44:45], v[8:9], v[2:3]
	ds_load_2addr_b64 v[2:5], v1 offset0:192 offset1:204
	ds_load_b128 v[6:9], v62 offset:32
	ds_load_b128 v[10:13], v62 offset:208
	;; [unrolled: 1-line block ×3, first 2 shown]
	ds_load_2addr_b64 v[22:25], v62 offset0:21 offset1:22
	s_waitcnt lgkmcnt(3)
	v_fma_f64 v[2:3], -v[42:43], v[6:7], v[2:3]
	v_fma_f64 v[6:7], -v[44:45], v[14:15], v[26:27]
	;; [unrolled: 1-line block ×3, first 2 shown]
	s_waitcnt lgkmcnt(2)
	v_mul_f64 v[46:47], v[28:29], v[10:11]
	s_delay_alu instid0(VALU_DEP_4) | instskip(NEXT) | instid1(VALU_DEP_2)
	v_fma_f64 v[40:41], -v[44:45], v[16:17], v[2:3]
	v_fma_f64 v[48:49], -v[46:47], v[12:13], v[6:7]
	ds_load_2addr_b64 v[2:5], v1 offset0:216 offset1:228
	ds_load_2addr_b64 v[6:9], v62 offset0:17 offset1:18
	ds_load_b128 v[10:13], v62 offset:224
	ds_load_2addr_b64 v[14:17], v62 offset0:39 offset1:40
	ds_load_2addr_b64 v[26:29], v62 offset0:41 offset1:42
	ds_load_b128 v[30:33], v62 offset:240
	ds_load_2addr_b64 v[34:37], v62 offset0:19 offset1:20
	s_waitcnt lgkmcnt(6)
	v_fma_f64 v[2:3], -v[42:43], v[18:19], v[2:3]
	s_waitcnt lgkmcnt(5)
	v_fma_f64 v[6:7], -v[44:45], v[6:7], v[38:39]
	v_fma_f64 v[38:39], -v[42:43], v[20:21], v[4:5]
	s_waitcnt lgkmcnt(4)
	v_fma_f64 v[10:11], -v[46:47], v[10:11], v[40:41]
	s_waitcnt lgkmcnt(3)
	v_mul_f64 v[48:49], v[48:49], v[14:15]
	v_fma_f64 v[40:41], -v[44:45], v[8:9], v[2:3]
	v_fma_f64 v[50:51], -v[46:47], v[12:13], v[6:7]
	s_delay_alu instid0(VALU_DEP_3)
	v_fma_f64 v[52:53], -v[48:49], v[16:17], v[10:11]
	ds_load_2addr_b64 v[2:5], v1 offset0:240 offset1:252
	ds_load_b128 v[6:9], v62 offset:64
	ds_load_b128 v[10:13], v62 offset:416
	;; [unrolled: 1-line block ×4, first 2 shown]
	s_waitcnt lgkmcnt(6)
	v_fma_f64 v[30:31], -v[46:47], v[30:31], v[40:41]
	v_fma_f64 v[26:27], -v[48:49], v[26:27], v[50:51]
	s_waitcnt lgkmcnt(3)
	v_fma_f64 v[2:3], -v[42:43], v[6:7], v[2:3]
	v_fma_f64 v[6:7], -v[44:45], v[34:35], v[38:39]
	s_waitcnt lgkmcnt(2)
	v_mul_f64 v[50:51], v[52:53], v[10:11]
	v_fma_f64 v[52:53], -v[42:43], v[8:9], v[4:5]
	v_fma_f64 v[58:59], -v[48:49], v[28:29], v[30:31]
	;; [unrolled: 1-line block ×5, first 2 shown]
	ds_load_2addr_b64 v[2:5], v63 offset0:8 offset1:20
	ds_load_b128 v[6:9], v62 offset:256
	ds_load_2addr_b64 v[10:13], v62 offset0:43 offset1:44
	ds_load_2addr_b64 v[26:29], v62 offset0:65 offset1:66
	;; [unrolled: 1-line block ×4, first 2 shown]
	ds_load_b128 v[38:41], v62 offset:272
	s_waitcnt lgkmcnt(6)
	v_fma_f64 v[2:3], -v[42:43], v[18:19], v[2:3]
	v_fma_f64 v[18:19], -v[44:45], v[22:23], v[52:53]
	;; [unrolled: 1-line block ×3, first 2 shown]
	s_waitcnt lgkmcnt(5)
	v_fma_f64 v[6:7], -v[46:47], v[6:7], v[54:55]
	s_waitcnt lgkmcnt(4)
	v_fma_f64 v[10:11], -v[48:49], v[10:11], v[56:57]
	v_fma_f64 v[56:57], -v[42:43], v[20:21], v[4:5]
	s_waitcnt lgkmcnt(3)
	v_mul_f64 v[52:53], v[60:61], v[26:27]
	v_fma_f64 v[22:23], -v[44:45], v[24:25], v[2:3]
	v_fma_f64 v[24:25], -v[46:47], v[8:9], v[18:19]
	;; [unrolled: 1-line block ×5, first 2 shown]
	ds_load_b128 v[2:5], v62 offset:448
	ds_load_b128 v[6:9], v62 offset:624
	ds_load_2addr_b64 v[10:13], v62 offset0:23 offset1:47
	ds_load_2addr_b64 v[14:17], v62 offset0:69 offset1:70
	ds_load_b128 v[18:21], v62 offset:464
	s_waitcnt lgkmcnt(5)
	v_fma_f64 v[22:23], -v[46:47], v[38:39], v[22:23]
	v_fma_f64 v[24:25], -v[48:49], v[34:35], v[24:25]
	s_waitcnt lgkmcnt(4)
	v_fma_f64 v[2:3], -v[50:51], v[2:3], v[26:27]
	v_fma_f64 v[26:27], -v[52:53], v[30:31], v[54:55]
	s_waitcnt lgkmcnt(3)
	v_mul_f64 v[30:31], v[28:29], v[6:7]
	s_waitcnt lgkmcnt(2)
	v_fma_f64 v[6:7], -v[44:45], v[10:11], v[56:57]
	v_fma_f64 v[10:11], -v[48:49], v[36:37], v[22:23]
	;; [unrolled: 1-line block ×6, first 2 shown]
	ds_load_b128 v[2:5], v62 offset:640
	ds_load_2addr_b64 v[6:9], v62 offset0:91 offset1:92
	ds_load_2addr_b64 v[22:25], v62 offset0:93 offset1:94
	ds_load_b128 v[26:29], v62 offset:656
	s_waitcnt lgkmcnt(4)
	v_fma_f64 v[10:11], -v[50:51], v[18:19], v[10:11]
	v_fma_f64 v[14:15], -v[52:53], v[14:15], v[34:35]
	s_waitcnt lgkmcnt(3)
	v_fma_f64 v[2:3], -v[30:31], v[2:3], v[32:33]
	s_waitcnt lgkmcnt(2)
	v_mul_f64 v[18:19], v[36:37], v[6:7]
	v_fma_f64 v[6:7], -v[48:49], v[12:13], v[38:39]
	v_fma_f64 v[16:17], -v[52:53], v[16:17], v[10:11]
	;; [unrolled: 1-line block ×3, first 2 shown]
	s_delay_alu instid0(VALU_DEP_4) | instskip(NEXT) | instid1(VALU_DEP_4)
	v_fma_f64 v[32:33], -v[18:19], v[8:9], v[2:3]
	v_fma_f64 v[20:21], -v[50:51], v[20:21], v[6:7]
	ds_load_b128 v[2:5], v62 offset:832
	ds_load_2addr_b64 v[6:9], v62 offset0:71 offset1:95
	ds_load_b128 v[10:13], v62 offset:848
	s_waitcnt lgkmcnt(3)
	v_fma_f64 v[16:17], -v[30:31], v[26:27], v[16:17]
	v_fma_f64 v[14:15], -v[18:19], v[22:23], v[14:15]
	s_waitcnt lgkmcnt(2)
	v_mul_f64 v[22:23], v[32:33], v[2:3]
	s_waitcnt lgkmcnt(1)
	v_fma_f64 v[2:3], -v[52:53], v[6:7], v[20:21]
	s_delay_alu instid0(VALU_DEP_4) | instskip(NEXT) | instid1(VALU_DEP_3)
	v_fma_f64 v[6:7], -v[18:19], v[24:25], v[16:17]
	v_fma_f64 v[20:21], -v[22:23], v[4:5], v[14:15]
	s_delay_alu instid0(VALU_DEP_3)
	v_fma_f64 v[24:25], -v[30:31], v[28:29], v[2:3]
	ds_load_2addr_b64 v[2:5], v62 offset0:117 offset1:118
	ds_load_b128 v[14:17], v62 offset:1040
	s_waitcnt lgkmcnt(2)
	v_fma_f64 v[6:7], -v[22:23], v[10:11], v[6:7]
	s_waitcnt lgkmcnt(1)
	v_mul_f64 v[10:11], v[20:21], v[2:3]
	v_fma_f64 v[2:3], -v[18:19], v[8:9], v[24:25]
	s_delay_alu instid0(VALU_DEP_2) | instskip(NEXT) | instid1(VALU_DEP_2)
	v_fma_f64 v[6:7], -v[10:11], v[4:5], v[6:7]
	v_fma_f64 v[8:9], -v[22:23], v[12:13], v[2:3]
	ds_load_2addr_b64 v[2:5], v62 offset0:119 offset1:143
	ds_store_2addr_b64 v1, v[42:43], v[44:45] offset0:144 offset1:156
	ds_store_2addr_b64 v1, v[46:47], v[48:49] offset0:168 offset1:180
	;; [unrolled: 1-line block ×5, first 2 shown]
	s_waitcnt lgkmcnt(6)
	v_mul_f64 v[6:7], v[6:7], v[14:15]
	s_waitcnt lgkmcnt(5)
	v_fma_f64 v[2:3], -v[10:11], v[2:3], v[8:9]
	s_delay_alu instid0(VALU_DEP_1) | instskip(NEXT) | instid1(VALU_DEP_1)
	v_fma_f64 v[2:3], -v[6:7], v[16:17], v[2:3]
	v_mul_f64 v[2:3], v[2:3], v[4:5]
	ds_store_2addr_b64 v63, v[6:7], v[2:3] offset0:8 offset1:20
	s_cmp_lt_i32 s4, s15
	s_cbranch_scc1 .LBB79_45
	s_branch .LBB79_66
.LBB79_44:
	s_mov_b32 s4, 0
	s_delay_alu instid0(SALU_CYCLE_1)
	s_cmp_lt_i32 s4, s15
	s_cbranch_scc0 .LBB79_66
.LBB79_45:
	s_add_i32 s8, s4, 7
	s_delay_alu instid0(SALU_CYCLE_1)
	s_cmp_ge_u32 s8, s15
	s_cbranch_scc1 .LBB79_55
; %bb.46:
	s_mul_i32 s8, s4, 12
	s_and_not1_b32 vcc_lo, exec_lo, s9
	v_add_lshl_u32 v17, s8, v0, 3
	ds_load_2addr_b64 v[13:16], v17 offset0:144 offset1:156
	ds_load_2addr_b64 v[9:12], v17 offset0:168 offset1:180
	ds_load_2addr_b64 v[5:8], v17 offset0:192 offset1:204
	ds_load_2addr_b64 v[1:4], v17 offset0:216 offset1:228
	s_cbranch_vccnz .LBB79_54
; %bb.47:
	s_max_u32 s9, s4, 1
	s_delay_alu instid0(SALU_CYCLE_1)
	s_cmp_eq_u32 s9, 1
	s_cbranch_scc1 .LBB79_51
; %bb.48:
	v_lshl_or_b32 v18, v0, 3, 0x480
	s_and_b32 s12, s9, 12
	s_lshl_b32 s13, s4, 3
	s_mov_b32 s18, 0
.LBB79_49:                              ; =>This Inner Loop Header: Depth=1
	v_mov_b32_e32 v39, s13
	s_add_i32 s18, s18, 2
	s_addk_i32 s13, 0xc0
	s_cmp_lg_u32 s12, s18
	ds_load_2addr_b64 v[19:22], v18 offset1:12
	ds_load_b128 v[23:26], v39
	ds_load_b128 v[27:30], v39 offset:16
	ds_load_b128 v[31:34], v39 offset:32
	ds_load_b128 v[35:38], v39 offset:48
	v_add_nc_u32_e32 v18, 0xc0, v18
	s_waitcnt lgkmcnt(3)
	v_fma_f64 v[13:14], -v[19:20], v[23:24], v[13:14]
	v_fma_f64 v[15:16], -v[19:20], v[25:26], v[15:16]
	s_waitcnt lgkmcnt(2)
	v_fma_f64 v[9:10], -v[19:20], v[27:28], v[9:10]
	v_fma_f64 v[11:12], -v[19:20], v[29:30], v[11:12]
	;; [unrolled: 3-line block ×4, first 2 shown]
	ds_load_b128 v[1:4], v39 offset:96
	ds_load_b128 v[5:8], v39 offset:112
	;; [unrolled: 1-line block ×4, first 2 shown]
	s_waitcnt lgkmcnt(3)
	v_fma_f64 v[13:14], -v[21:22], v[1:2], v[13:14]
	v_fma_f64 v[15:16], -v[21:22], v[3:4], v[15:16]
	s_waitcnt lgkmcnt(2)
	v_fma_f64 v[9:10], -v[21:22], v[5:6], v[9:10]
	v_fma_f64 v[11:12], -v[21:22], v[7:8], v[11:12]
	;; [unrolled: 3-line block ×4, first 2 shown]
	s_cbranch_scc1 .LBB79_49
; %bb.50:
	s_mul_i32 s12, s12, 12
	s_branch .LBB79_52
.LBB79_51:
	s_mov_b32 s12, 0
.LBB79_52:
	s_bitcmp0_b32 s9, 0
	s_cbranch_scc1 .LBB79_54
; %bb.53:
	s_add_i32 s9, s12, s4
	v_add_lshl_u32 v18, s12, v0, 3
	s_lshl_b32 s9, s9, 3
	s_delay_alu instid0(SALU_CYCLE_1)
	v_mov_b32_e32 v30, s9
	ds_load_b64 v[34:35], v18 offset:1152
	ds_load_b128 v[18:21], v30
	ds_load_b128 v[22:25], v30 offset:16
	ds_load_b128 v[26:29], v30 offset:32
	;; [unrolled: 1-line block ×3, first 2 shown]
	s_waitcnt lgkmcnt(3)
	v_fma_f64 v[13:14], -v[34:35], v[18:19], v[13:14]
	v_fma_f64 v[15:16], -v[34:35], v[20:21], v[15:16]
	s_waitcnt lgkmcnt(2)
	v_fma_f64 v[9:10], -v[34:35], v[22:23], v[9:10]
	v_fma_f64 v[11:12], -v[34:35], v[24:25], v[11:12]
	;; [unrolled: 3-line block ×4, first 2 shown]
.LBB79_54:
	s_mul_i32 s9, s4, 0x68
	s_delay_alu instid0(SALU_CYCLE_1) | instskip(SKIP_4) | instid1(SALU_CYCLE_1)
	v_dual_mov_b32 v48, s9 :: v_dual_add_nc_u32 v17, 0x480, v17
	s_add_i32 s9, s8, 12
	ds_load_b128 v[18:21], v48
	ds_load_b128 v[22:25], v48 offset:16
	s_add_i32 s12, s4, s9
	s_lshl_b32 s12, s12, 3
	s_delay_alu instid0(SALU_CYCLE_1) | instskip(SKIP_1) | instid1(SALU_CYCLE_1)
	v_mov_b32_e32 v46, s12
	s_add_i32 s12, s8, 24
	s_add_i32 s13, s4, s12
	s_delay_alu instid0(SALU_CYCLE_1) | instskip(SKIP_2) | instid1(VALU_DEP_1)
	s_lshl_b32 s13, s13, 3
	s_waitcnt lgkmcnt(1)
	v_mul_f64 v[34:35], v[13:14], v[18:19]
	v_fma_f64 v[26:27], -v[34:35], v[20:21], v[15:16]
	ds_load_2addr_b64 v[13:16], v48 offset0:13 offset1:14
	ds_load_b128 v[18:21], v48 offset:208
	s_waitcnt lgkmcnt(2)
	v_fma_f64 v[9:10], -v[34:35], v[22:23], v[9:10]
	v_fma_f64 v[30:31], -v[34:35], v[24:25], v[11:12]
	s_waitcnt lgkmcnt(1)
	v_mul_f64 v[36:37], v[26:27], v[13:14]
	s_delay_alu instid0(VALU_DEP_1)
	v_fma_f64 v[32:33], -v[36:37], v[15:16], v[9:10]
	ds_load_b128 v[9:12], v48 offset:32
	ds_load_2addr_b64 v[13:16], v46 offset0:3 offset1:4
	ds_load_b128 v[22:25], v48 offset:48
	ds_load_2addr_b64 v[26:29], v48 offset0:65 offset1:66
	s_waitcnt lgkmcnt(3)
	v_fma_f64 v[5:6], -v[34:35], v[9:10], v[5:6]
	s_waitcnt lgkmcnt(2)
	v_fma_f64 v[9:10], -v[36:37], v[13:14], v[30:31]
	v_fma_f64 v[40:41], -v[34:35], v[11:12], v[7:8]
	v_mov_b32_e32 v30, s13
	s_waitcnt lgkmcnt(1)
	v_fma_f64 v[1:2], -v[34:35], v[22:23], v[1:2]
	s_add_i32 s13, s8, 36
	s_delay_alu instid0(SALU_CYCLE_1) | instskip(NEXT) | instid1(SALU_CYCLE_1)
	s_add_i32 s18, s4, s13
	s_lshl_b32 s18, s18, 3
	v_mul_f64 v[38:39], v[32:33], v[18:19]
	v_fma_f64 v[42:43], -v[36:37], v[15:16], v[5:6]
	s_delay_alu instid0(VALU_DEP_2)
	v_fma_f64 v[44:45], -v[38:39], v[20:21], v[9:10]
	ds_load_2addr_b64 v[5:8], v46 offset0:5 offset1:6
	ds_load_b128 v[9:12], v30 offset:32
	ds_load_2addr_b64 v[13:16], v48 offset0:39 offset1:40
	ds_load_b128 v[18:21], v48 offset:416
	ds_load_b128 v[30:33], v30 offset:48
	ds_load_b64 v[46:47], v46 offset:56
	s_waitcnt lgkmcnt(5)
	v_fma_f64 v[5:6], -v[36:37], v[5:6], v[40:41]
	v_fma_f64 v[7:8], -v[36:37], v[7:8], v[1:2]
	s_waitcnt lgkmcnt(4)
	v_fma_f64 v[9:10], -v[38:39], v[9:10], v[42:43]
	s_waitcnt lgkmcnt(3)
	v_mul_f64 v[13:14], v[44:45], v[13:14]
	s_delay_alu instid0(VALU_DEP_4) | instskip(SKIP_3) | instid1(VALU_DEP_4)
	v_fma_f64 v[5:6], -v[38:39], v[11:12], v[5:6]
	v_fma_f64 v[11:12], -v[34:35], v[24:25], v[3:4]
	s_waitcnt lgkmcnt(1)
	v_fma_f64 v[7:8], -v[38:39], v[30:31], v[7:8]
	v_fma_f64 v[9:10], -v[13:14], v[15:16], v[9:10]
	v_mov_b32_e32 v15, s18
	s_add_i32 s18, s8, 48
	ds_load_2addr_b64 v[1:4], v15 offset0:5 offset1:6
	ds_load_b64 v[15:16], v15 offset:56
	s_add_i32 s19, s4, s18
	s_delay_alu instid0(SALU_CYCLE_1)
	s_lshl_b32 s19, s19, 3
	s_waitcnt lgkmcnt(1)
	v_fma_f64 v[1:2], -v[13:14], v[1:2], v[5:6]
	v_fma_f64 v[7:8], -v[13:14], v[3:4], v[7:8]
	v_mul_f64 v[5:6], v[9:10], v[18:19]
	v_fma_f64 v[9:10], -v[36:37], v[46:47], v[11:12]
	s_delay_alu instid0(VALU_DEP_2) | instskip(SKIP_1) | instid1(VALU_DEP_3)
	v_fma_f64 v[11:12], -v[5:6], v[20:21], v[1:2]
	v_mov_b32_e32 v1, s19
	v_fma_f64 v[9:10], -v[38:39], v[32:33], v[9:10]
	s_add_i32 s19, s8, 60
	s_addk_i32 s8, 0x48
	s_add_i32 s20, s4, s19
	ds_load_b128 v[1:4], v1 offset:48
	s_lshl_b32 s20, s20, 3
	s_delay_alu instid0(SALU_CYCLE_1)
	v_mov_b32_e32 v18, s20
	s_add_i32 s20, s4, s8
	s_add_i32 s4, s4, 8
	s_lshl_b32 s20, s20, 3
	ds_load_b64 v[18:19], v18 offset:56
	s_waitcnt lgkmcnt(1)
	v_fma_f64 v[1:2], -v[5:6], v[1:2], v[7:8]
	v_mul_f64 v[7:8], v[11:12], v[26:27]
	v_fma_f64 v[9:10], -v[13:14], v[15:16], v[9:10]
	v_add_lshl_u32 v16, s8, v0, 3
	v_add_lshl_u32 v15, s19, v0, 3
	s_delay_alu instid0(VALU_DEP_4) | instskip(NEXT) | instid1(VALU_DEP_4)
	v_fma_f64 v[11:12], -v[7:8], v[28:29], v[1:2]
	v_fma_f64 v[9:10], -v[5:6], v[3:4], v[9:10]
	ds_load_2addr_b64 v[1:4], v48 offset0:78 offset1:91
	s_waitcnt lgkmcnt(0)
	v_mul_f64 v[1:2], v[11:12], v[1:2]
	v_mov_b32_e32 v11, s20
	v_fma_f64 v[9:10], -v[7:8], v[18:19], v[9:10]
	ds_load_b64 v[11:12], v11 offset:56
	s_waitcnt lgkmcnt(0)
	v_fma_f64 v[9:10], -v[1:2], v[11:12], v[9:10]
	v_add_lshl_u32 v11, s13, v0, 3
	v_add_lshl_u32 v12, s18, v0, 3
	s_delay_alu instid0(VALU_DEP_3)
	v_mul_f64 v[3:4], v[9:10], v[3:4]
	v_add_lshl_u32 v9, s9, v0, 3
	v_add_lshl_u32 v10, s12, v0, 3
	ds_store_b64 v17, v[34:35]
	ds_store_b64 v9, v[36:37] offset:1152
	ds_store_b64 v10, v[38:39] offset:1152
	;; [unrolled: 1-line block ×5, first 2 shown]
	ds_store_2addr_b64 v16, v[1:2], v[3:4] offset0:144 offset1:156
.LBB79_55:
	s_cmp_ge_i32 s4, s15
	s_cbranch_scc1 .LBB79_66
; %bb.56:
	v_lshl_or_b32 v3, v0, 3, 0x480
	s_add_i32 s8, s4, -1
	s_lshl_b32 s9, s4, 3
	s_mov_b32 s12, 0
	s_mov_b32 s13, s4
	s_branch .LBB79_58
.LBB79_57:                              ;   in Loop: Header=BB79_58 Depth=1
	s_mul_i32 s18, s4, 0x68
	s_delay_alu instid0(SALU_CYCLE_1)
	v_dual_mov_b32 v5, s18 :: v_dual_add_nc_u32 v4, 0x480, v4
	s_add_i32 s4, s4, 1
	s_add_i32 s12, s12, 1
	s_add_i32 s9, s9, 8
	s_cmp_ge_i32 s4, s15
	ds_load_b64 v[5:6], v5
	s_waitcnt lgkmcnt(0)
	v_mul_f64 v[1:2], v[1:2], v[5:6]
	v_add_nc_u16 v5, s13, 1
	s_delay_alu instid0(VALU_DEP_1)
	v_readfirstlane_b32 s13, v5
	ds_store_b64 v4, v[1:2]
	s_cbranch_scc1 .LBB79_66
.LBB79_58:                              ; =>This Loop Header: Depth=1
                                        ;     Child Loop BB79_61 Depth 2
                                        ;     Child Loop BB79_65 Depth 2
	s_mul_i32 s18, s4, 12
	s_cmp_eq_u32 s4, 0
	v_add_lshl_u32 v4, s18, v0, 3
	ds_load_b64 v[1:2], v4 offset:1152
	s_cbranch_scc1 .LBB79_57
; %bb.59:                               ;   in Loop: Header=BB79_58 Depth=1
	s_add_i32 s18, s8, s12
	s_delay_alu instid0(SALU_CYCLE_1)
	s_cmp_lt_u32 s18, 7
	s_cbranch_scc1 .LBB79_63
; %bb.60:                               ;   in Loop: Header=BB79_58 Depth=1
	v_mov_b32_e32 v5, v3
	s_and_b32 s18, s4, -8
	s_mov_b32 s19, 0
	s_mov_b32 s20, s9
	s_set_inst_prefetch_distance 0x1
	.p2align	6
.LBB79_61:                              ;   Parent Loop BB79_58 Depth=1
                                        ; =>  This Inner Loop Header: Depth=2
	v_mov_b32_e32 v14, s20
	s_add_i32 s19, s19, 8
	s_addk_i32 s20, 0x300
	s_cmp_lg_u32 s18, s19
	ds_load_2addr_b64 v[6:9], v5 offset1:12
	ds_load_2addr_b64 v[10:13], v14 offset1:12
	s_waitcnt lgkmcnt(0)
	v_fma_f64 v[1:2], -v[6:7], v[10:11], v[1:2]
	s_delay_alu instid0(VALU_DEP_1) | instskip(SKIP_4) | instid1(VALU_DEP_1)
	v_fma_f64 v[1:2], -v[8:9], v[12:13], v[1:2]
	ds_load_2addr_b64 v[6:9], v5 offset0:24 offset1:36
	ds_load_2addr_b64 v[10:13], v14 offset0:24 offset1:36
	s_waitcnt lgkmcnt(0)
	v_fma_f64 v[1:2], -v[6:7], v[10:11], v[1:2]
	v_fma_f64 v[1:2], -v[8:9], v[12:13], v[1:2]
	ds_load_2addr_b64 v[6:9], v5 offset0:48 offset1:60
	ds_load_2addr_b64 v[10:13], v14 offset0:48 offset1:60
	s_waitcnt lgkmcnt(0)
	v_fma_f64 v[1:2], -v[6:7], v[10:11], v[1:2]
	s_delay_alu instid0(VALU_DEP_1)
	v_fma_f64 v[1:2], -v[8:9], v[12:13], v[1:2]
	ds_load_2addr_b64 v[6:9], v5 offset0:72 offset1:84
	ds_load_2addr_b64 v[10:13], v14 offset0:72 offset1:84
	v_add_nc_u32_e32 v5, 0x300, v5
	s_waitcnt lgkmcnt(0)
	v_fma_f64 v[1:2], -v[6:7], v[10:11], v[1:2]
	s_delay_alu instid0(VALU_DEP_1)
	v_fma_f64 v[1:2], -v[8:9], v[12:13], v[1:2]
	s_cbranch_scc1 .LBB79_61
; %bb.62:                               ;   in Loop: Header=BB79_58 Depth=1
	s_set_inst_prefetch_distance 0x2
	s_and_b32 s19, s4, 7
	s_delay_alu instid0(SALU_CYCLE_1)
	s_cmp_eq_u32 s19, 0
	s_cbranch_scc0 .LBB79_64
	s_branch .LBB79_57
.LBB79_63:                              ;   in Loop: Header=BB79_58 Depth=1
	s_mov_b32 s18, 0
	s_and_b32 s19, s4, 7
	s_delay_alu instid0(SALU_CYCLE_1)
	s_cmp_eq_u32 s19, 0
	s_cbranch_scc1 .LBB79_57
.LBB79_64:                              ;   in Loop: Header=BB79_58 Depth=1
	s_and_b32 s19, s13, 7
	s_mulk_i32 s18, 0x60
.LBB79_65:                              ;   Parent Loop BB79_58 Depth=1
                                        ; =>  This Inner Loop Header: Depth=2
	s_delay_alu instid0(SALU_CYCLE_1)
	s_add_i32 s20, s9, s18
	v_add_nc_u32_e32 v5, s18, v3
	v_mov_b32_e32 v7, s20
	s_add_i32 s19, s19, -1
	s_addk_i32 s18, 0x60
	s_cmp_lg_u32 s19, 0
	ds_load_b64 v[5:6], v5
	ds_load_b64 v[7:8], v7
	s_waitcnt lgkmcnt(0)
	v_fma_f64 v[1:2], -v[5:6], v[7:8], v[1:2]
	s_cbranch_scc1 .LBB79_65
	s_branch .LBB79_57
.LBB79_66:
	s_waitcnt vmcnt(0) lgkmcnt(0)
	s_waitcnt_vscnt null, 0x0
	; wave barrier
	s_waitcnt lgkmcnt(0)
	buffer_gl0_inv
	s_and_saveexec_b32 s4, s14
	s_cbranch_execz .LBB79_74
; %bb.67:
	s_cmp_lt_i32 s6, 8
	s_mov_b32 s6, 0
	s_cbranch_scc1 .LBB79_71
; %bb.68:
	v_mad_i64_i32 v[1:2], null, s16, v0, 0
	s_lshl_b32 s4, s15, 3
	s_delay_alu instid0(SALU_CYCLE_1) | instskip(NEXT) | instid1(VALU_DEP_1)
	s_and_b32 s6, s4, 64
	v_lshlrev_b64 v[2:3], 3, v[1:2]
	v_lshl_or_b32 v1, v0, 3, 0x480
	s_delay_alu instid0(VALU_DEP_2) | instskip(NEXT) | instid1(VALU_DEP_3)
	v_add_co_u32 v2, vcc_lo, s5, v2
	v_add_co_ci_u32_e32 v3, vcc_lo, s7, v3, vcc_lo
	s_mov_b64 s[4:5], 0
	.p2align	6
.LBB79_69:                              ; =>This Inner Loop Header: Depth=1
	ds_load_2addr_b64 v[4:7], v1 offset1:12
	ds_load_2addr_b64 v[8:11], v1 offset0:24 offset1:36
	ds_load_2addr_b64 v[12:15], v1 offset0:48 offset1:60
	ds_load_2addr_b64 v[16:19], v1 offset0:72 offset1:84
	v_add_co_u32 v20, vcc_lo, v2, s4
	v_add_co_ci_u32_e32 v21, vcc_lo, s5, v3, vcc_lo
	v_add_nc_u32_e32 v1, 0x300, v1
	s_add_u32 s4, s4, 64
	s_addc_u32 s5, s5, 0
	s_cmp_lg_u32 s6, s4
	s_waitcnt lgkmcnt(3)
	global_store_b128 v[20:21], v[4:7], off
	s_waitcnt lgkmcnt(2)
	global_store_b128 v[20:21], v[8:11], off offset:16
	s_waitcnt lgkmcnt(1)
	global_store_b128 v[20:21], v[12:15], off offset:32
	;; [unrolled: 2-line block ×3, first 2 shown]
	s_cbranch_scc1 .LBB79_69
; %bb.70:
	s_mov_b32 s6, 8
.LBB79_71:
	s_and_b32 s4, s15, 7
	s_delay_alu instid0(SALU_CYCLE_1)
	s_cmp_eq_u32 s4, 0
	s_cbranch_scc1 .LBB79_74
; %bb.72:
	v_lshlrev_b32_e32 v2, 3, v0
	s_lshl_b64 s[8:9], s[10:11], 3
	s_lshl_b32 s5, s6, 3
	s_delay_alu instid0(SALU_CYCLE_1) | instskip(NEXT) | instid1(VALU_DEP_1)
	s_add_u32 s2, s2, s5
	v_add_co_u32 v3, s7, s8, v2
	s_delay_alu instid0(VALU_DEP_1) | instskip(SKIP_3) | instid1(VALU_DEP_1)
	v_add_co_ci_u32_e64 v4, null, s9, 0, s7
	s_addc_u32 s3, s3, 0
	s_add_u32 s0, s2, s0
	s_addc_u32 s1, s3, s1
	v_mul_lo_u32 v4, v4, s16
	v_mad_u64_u32 v[0:1], null, v3, s16, s[0:1]
	v_mul_lo_u32 v3, v3, s17
	s_mul_i32 s0, s6, 0x60
	s_delay_alu instid0(SALU_CYCLE_1) | instskip(NEXT) | instid1(VALU_DEP_2)
	v_add3_u32 v2, s0, v2, 0x480
	v_add3_u32 v1, v4, v1, v3
.LBB79_73:                              ; =>This Inner Loop Header: Depth=1
	ds_load_b64 v[3:4], v2
	v_add_nc_u32_e32 v2, 0x60, v2
	s_add_i32 s4, s4, -1
	s_delay_alu instid0(SALU_CYCLE_1)
	s_cmp_lg_u32 s4, 0
	s_waitcnt lgkmcnt(0)
	global_store_b64 v[0:1], v[3:4], off
	v_add_co_u32 v0, vcc_lo, v0, 8
	v_add_co_ci_u32_e32 v1, vcc_lo, 0, v1, vcc_lo
	s_cbranch_scc1 .LBB79_73
.LBB79_74:
	s_nop 0
	s_sendmsg sendmsg(MSG_DEALLOC_VGPRS)
	s_endpgm
	.section	.rodata,"a",@progbits
	.p2align	6, 0x0
	.amdhsa_kernel _ZL38rocblas_trsm_small_left_device_sharedBILi12ELi12ELb1EddPKPKdPKPdEv13rocblas_fill_18rocblas_operation_17rocblas_diagonal_iiT3_T4_lilT5_lili
		.amdhsa_group_segment_fixed_size 2304
		.amdhsa_private_segment_fixed_size 0
		.amdhsa_kernarg_size 360
		.amdhsa_user_sgpr_count 14
		.amdhsa_user_sgpr_dispatch_ptr 0
		.amdhsa_user_sgpr_queue_ptr 0
		.amdhsa_user_sgpr_kernarg_segment_ptr 1
		.amdhsa_user_sgpr_dispatch_id 0
		.amdhsa_user_sgpr_private_segment_size 0
		.amdhsa_wavefront_size32 1
		.amdhsa_uses_dynamic_stack 0
		.amdhsa_enable_private_segment 0
		.amdhsa_system_sgpr_workgroup_id_x 1
		.amdhsa_system_sgpr_workgroup_id_y 0
		.amdhsa_system_sgpr_workgroup_id_z 1
		.amdhsa_system_sgpr_workgroup_info 0
		.amdhsa_system_vgpr_workitem_id 0
		.amdhsa_next_free_vgpr 66
		.amdhsa_next_free_sgpr 32
		.amdhsa_reserve_vcc 1
		.amdhsa_float_round_mode_32 0
		.amdhsa_float_round_mode_16_64 0
		.amdhsa_float_denorm_mode_32 3
		.amdhsa_float_denorm_mode_16_64 3
		.amdhsa_dx10_clamp 1
		.amdhsa_ieee_mode 1
		.amdhsa_fp16_overflow 0
		.amdhsa_workgroup_processor_mode 1
		.amdhsa_memory_ordered 1
		.amdhsa_forward_progress 0
		.amdhsa_shared_vgpr_count 0
		.amdhsa_exception_fp_ieee_invalid_op 0
		.amdhsa_exception_fp_denorm_src 0
		.amdhsa_exception_fp_ieee_div_zero 0
		.amdhsa_exception_fp_ieee_overflow 0
		.amdhsa_exception_fp_ieee_underflow 0
		.amdhsa_exception_fp_ieee_inexact 0
		.amdhsa_exception_int_div_zero 0
	.end_amdhsa_kernel
	.section	.text._ZL38rocblas_trsm_small_left_device_sharedBILi12ELi12ELb1EddPKPKdPKPdEv13rocblas_fill_18rocblas_operation_17rocblas_diagonal_iiT3_T4_lilT5_lili,"axG",@progbits,_ZL38rocblas_trsm_small_left_device_sharedBILi12ELi12ELb1EddPKPKdPKPdEv13rocblas_fill_18rocblas_operation_17rocblas_diagonal_iiT3_T4_lilT5_lili,comdat
.Lfunc_end79:
	.size	_ZL38rocblas_trsm_small_left_device_sharedBILi12ELi12ELb1EddPKPKdPKPdEv13rocblas_fill_18rocblas_operation_17rocblas_diagonal_iiT3_T4_lilT5_lili, .Lfunc_end79-_ZL38rocblas_trsm_small_left_device_sharedBILi12ELi12ELb1EddPKPKdPKPdEv13rocblas_fill_18rocblas_operation_17rocblas_diagonal_iiT3_T4_lilT5_lili
                                        ; -- End function
	.section	.AMDGPU.csdata,"",@progbits
; Kernel info:
; codeLenInByte = 8700
; NumSgprs: 34
; NumVgprs: 66
; ScratchSize: 0
; MemoryBound: 0
; FloatMode: 240
; IeeeMode: 1
; LDSByteSize: 2304 bytes/workgroup (compile time only)
; SGPRBlocks: 4
; VGPRBlocks: 8
; NumSGPRsForWavesPerEU: 34
; NumVGPRsForWavesPerEU: 66
; Occupancy: 14
; WaveLimiterHint : 1
; COMPUTE_PGM_RSRC2:SCRATCH_EN: 0
; COMPUTE_PGM_RSRC2:USER_SGPR: 14
; COMPUTE_PGM_RSRC2:TRAP_HANDLER: 0
; COMPUTE_PGM_RSRC2:TGID_X_EN: 1
; COMPUTE_PGM_RSRC2:TGID_Y_EN: 0
; COMPUTE_PGM_RSRC2:TGID_Z_EN: 1
; COMPUTE_PGM_RSRC2:TIDIG_COMP_CNT: 0
	.section	.text._ZL30rocblas_trsm_small_left_deviceILi12ELi12ELb1EddPKPKdPKPdEv13rocblas_fill_18rocblas_operation_17rocblas_diagonal_iiT3_T4_lilT5_lili,"axG",@progbits,_ZL30rocblas_trsm_small_left_deviceILi12ELi12ELb1EddPKPKdPKPdEv13rocblas_fill_18rocblas_operation_17rocblas_diagonal_iiT3_T4_lilT5_lili,comdat
	.globl	_ZL30rocblas_trsm_small_left_deviceILi12ELi12ELb1EddPKPKdPKPdEv13rocblas_fill_18rocblas_operation_17rocblas_diagonal_iiT3_T4_lilT5_lili ; -- Begin function _ZL30rocblas_trsm_small_left_deviceILi12ELi12ELb1EddPKPKdPKPdEv13rocblas_fill_18rocblas_operation_17rocblas_diagonal_iiT3_T4_lilT5_lili
	.p2align	8
	.type	_ZL30rocblas_trsm_small_left_deviceILi12ELi12ELb1EddPKPKdPKPdEv13rocblas_fill_18rocblas_operation_17rocblas_diagonal_iiT3_T4_lilT5_lili,@function
_ZL30rocblas_trsm_small_left_deviceILi12ELi12ELb1EddPKPKdPKPdEv13rocblas_fill_18rocblas_operation_17rocblas_diagonal_iiT3_T4_lilT5_lili: ; @_ZL30rocblas_trsm_small_left_deviceILi12ELi12ELb1EddPKPKdPKPdEv13rocblas_fill_18rocblas_operation_17rocblas_diagonal_iiT3_T4_lilT5_lili
; %bb.0:
	s_load_b128 s[16:19], s[0:1], 0x40
	s_mov_b32 s2, s15
	s_mov_b32 s3, 0
	s_clause 0x1
	s_load_b128 s[8:11], s[0:1], 0x4
	s_load_b64 s[20:21], s[0:1], 0x28
	s_lshl_b64 s[24:25], s[2:3], 3
	s_mov_b32 s15, exec_lo
	s_waitcnt lgkmcnt(0)
	s_add_u32 s12, s16, s24
	s_addc_u32 s13, s17, s25
	s_load_b128 s[4:7], s[0:1], 0x18
	s_load_b64 s[12:13], s[12:13], 0x0
	s_min_i32 s2, s10, 12
	s_delay_alu instid0(SALU_CYCLE_1)
	s_add_i32 s16, s2, -1
	v_cmpx_gt_i32_e64 s2, v0
	s_cbranch_execz .LBB80_10
; %bb.1:
	s_load_b32 s22, s[0:1], 0x30
	v_lshlrev_b32_e32 v3, 3, v0
	s_waitcnt lgkmcnt(0)
	s_ashr_i32 s23, s22, 31
	s_add_u32 s6, s6, s24
	s_addc_u32 s7, s7, s25
	s_cmp_lt_u32 s16, 3
	s_load_b64 s[6:7], s[6:7], 0x0
	s_cbranch_scc1 .LBB80_4
; %bb.2:
	s_lshl_b64 s[24:25], s[20:21], 3
	v_mov_b32_e32 v4, v3
	s_waitcnt lgkmcnt(0)
	s_add_u32 s3, s6, s24
	s_addc_u32 s17, s7, s25
	v_add_co_u32 v1, s3, s3, v3
	s_delay_alu instid0(VALU_DEP_1)
	v_add_co_ci_u32_e64 v2, null, s17, 0, s3
	s_and_b32 s3, s2, -4
	s_mul_hi_i32 s17, s22, 24
	s_mul_i32 s30, s22, 24
	s_lshl_b64 s[24:25], s[22:23], 5
	s_lshl_b64 s[26:27], s[22:23], 4
	;; [unrolled: 1-line block ×3, first 2 shown]
	s_mov_b32 s31, 0
	.p2align	6
.LBB80_3:                               ; =>This Inner Loop Header: Depth=1
	v_add_co_u32 v5, vcc_lo, v1, s28
	v_add_co_ci_u32_e32 v6, vcc_lo, s29, v2, vcc_lo
	v_add_co_u32 v7, vcc_lo, v1, s26
	v_add_co_ci_u32_e32 v8, vcc_lo, s27, v2, vcc_lo
	;; [unrolled: 2-line block ×3, first 2 shown]
	s_clause 0x3
	global_load_b64 v[11:12], v[1:2], off
	global_load_b64 v[5:6], v[5:6], off
	;; [unrolled: 1-line block ×4, first 2 shown]
	v_add_co_u32 v1, vcc_lo, v1, s24
	v_add_co_ci_u32_e32 v2, vcc_lo, s25, v2, vcc_lo
	s_add_i32 s31, s31, 4
	s_waitcnt vmcnt(2)
	ds_store_2addr_b64 v4, v[11:12], v[5:6] offset1:12
	s_waitcnt vmcnt(0)
	ds_store_2addr_b64 v4, v[7:8], v[9:10] offset0:24 offset1:36
	v_add_nc_u32_e32 v4, 0x180, v4
	s_cmp_eq_u32 s3, s31
	s_cbranch_scc0 .LBB80_3
.LBB80_4:
	s_and_b32 s17, s2, 3
	s_delay_alu instid0(SALU_CYCLE_1)
	s_cmp_eq_u32 s17, 0
	s_cbranch_scc1 .LBB80_7
; %bb.5:
	s_mul_i32 s24, s23, s3
	s_mul_hi_u32 s25, s22, s3
	s_lshl_b64 s[20:21], s[20:21], 3
	s_add_i32 s25, s25, s24
	s_mul_i32 s24, s22, s3
	s_mulk_i32 s3, 0x60
	s_lshl_b64 s[24:25], s[24:25], 3
	v_lshl_add_u32 v4, v0, 3, s3
	s_add_u32 s3, s24, s20
	s_addc_u32 s20, s25, s21
	s_waitcnt lgkmcnt(0)
	s_add_u32 s3, s6, s3
	s_addc_u32 s6, s7, s20
	v_add_co_u32 v1, s3, s3, v3
	s_delay_alu instid0(VALU_DEP_1)
	v_add_co_ci_u32_e64 v2, null, s6, 0, s3
	s_lshl_b64 s[6:7], s[22:23], 3
.LBB80_6:                               ; =>This Inner Loop Header: Depth=1
	global_load_b64 v[5:6], v[1:2], off
	v_add_co_u32 v1, vcc_lo, v1, s6
	v_add_co_ci_u32_e32 v2, vcc_lo, s7, v2, vcc_lo
	s_add_i32 s17, s17, -1
	s_delay_alu instid0(SALU_CYCLE_1)
	s_cmp_lg_u32 s17, 0
	s_waitcnt vmcnt(0)
	ds_store_b64 v4, v[5:6]
	v_add_nc_u32_e32 v4, 0x60, v4
	s_cbranch_scc1 .LBB80_6
.LBB80_7:
	v_mul_u32_u24_e32 v3, 13, v0
	v_mov_b32_e32 v1, 0
	v_mov_b32_e32 v2, 0x3ff00000
	s_cmpk_lg_i32 s9, 0x84
	s_delay_alu instid0(VALU_DEP_3)
	v_lshlrev_b32_e32 v3, 3, v3
	s_cbranch_scc0 .LBB80_9
; %bb.8:
	ds_load_b64 v[1:2], v3
	s_waitcnt lgkmcnt(0)
	v_div_scale_f64 v[4:5], null, v[1:2], v[1:2], 1.0
	s_delay_alu instid0(VALU_DEP_1) | instskip(SKIP_2) | instid1(VALU_DEP_1)
	v_rcp_f64_e32 v[6:7], v[4:5]
	s_waitcnt_depctr 0xfff
	v_fma_f64 v[8:9], -v[4:5], v[6:7], 1.0
	v_fma_f64 v[6:7], v[6:7], v[8:9], v[6:7]
	s_delay_alu instid0(VALU_DEP_1) | instskip(NEXT) | instid1(VALU_DEP_1)
	v_fma_f64 v[8:9], -v[4:5], v[6:7], 1.0
	v_fma_f64 v[6:7], v[6:7], v[8:9], v[6:7]
	v_div_scale_f64 v[8:9], vcc_lo, 1.0, v[1:2], 1.0
	s_delay_alu instid0(VALU_DEP_1) | instskip(NEXT) | instid1(VALU_DEP_1)
	v_mul_f64 v[10:11], v[8:9], v[6:7]
	v_fma_f64 v[4:5], -v[4:5], v[10:11], v[8:9]
	s_delay_alu instid0(VALU_DEP_1) | instskip(NEXT) | instid1(VALU_DEP_1)
	v_div_fmas_f64 v[4:5], v[4:5], v[6:7], v[10:11]
	v_div_fixup_f64 v[1:2], v[4:5], v[1:2], 1.0
.LBB80_9:
	ds_store_b64 v3, v[1:2]
.LBB80_10:
	s_or_b32 exec_lo, exec_lo, s15
	s_load_b32 s3, s[0:1], 0x68
	s_waitcnt lgkmcnt(0)
	s_mul_i32 s6, s14, -12
	s_delay_alu instid0(SALU_CYCLE_1) | instskip(SKIP_2) | instid1(SALU_CYCLE_1)
	s_add_i32 s6, s6, s11
	; wave barrier
	buffer_gl0_inv
	s_add_i32 s3, s3, -1
	s_cmp_ge_u32 s14, s3
	s_cselect_b32 s3, s6, 12
	s_delay_alu instid0(SALU_CYCLE_1)
	v_cmp_gt_i32_e32 vcc_lo, s3, v0
	s_mov_b32 s3, -1
	s_and_saveexec_b32 s6, vcc_lo
	s_cbranch_execz .LBB80_57
; %bb.11:
	s_load_b32 s0, s[0:1], 0x50
	v_mad_u64_u32 v[1:2], null, s14, 12, v[0:1]
	s_waitcnt lgkmcnt(0)
	s_delay_alu instid0(VALU_DEP_1) | instskip(SKIP_1) | instid1(SALU_CYCLE_1)
	v_mad_i64_i32 v[2:3], null, s0, v1, 0
	s_lshl_b64 s[0:1], s[18:19], 3
	s_add_u32 s6, s12, s0
	s_addc_u32 s7, s13, s1
	s_cmpk_eq_i32 s8, 0x6f
	s_delay_alu instid0(VALU_DEP_1) | instskip(NEXT) | instid1(VALU_DEP_1)
	v_lshlrev_b64 v[10:11], 3, v[2:3]
	v_add_co_u32 v8, vcc_lo, s6, v10
	s_delay_alu instid0(VALU_DEP_2)
	v_add_co_ci_u32_e32 v9, vcc_lo, s7, v11, vcc_lo
	s_cbranch_scc1 .LBB80_34
; %bb.12:
	s_cmp_gt_i32 s10, 11
	s_cbranch_scc0 .LBB80_14
; %bb.13:
	s_ashr_i32 s17, s16, 31
	s_mov_b32 s3, 0
	s_lshl_b64 s[6:7], s[16:17], 3
	s_delay_alu instid0(SALU_CYCLE_1)
	v_add_co_u32 v12, vcc_lo, v8, s6
	v_add_co_ci_u32_e32 v13, vcc_lo, s7, v9, vcc_lo
	s_lshl_b64 s[6:7], s[2:3], 3
	s_mul_i32 s3, s16, 0x68
	v_add_co_u32 v16, vcc_lo, v8, s6
	global_load_b64 v[14:15], v[12:13], off
	v_add_co_ci_u32_e32 v17, vcc_lo, s7, v9, vcc_lo
	s_clause 0x4
	global_load_b64 v[38:39], v[16:17], off offset:-16
	global_load_b128 v[4:7], v[16:17], off offset:-32
	global_load_b128 v[18:21], v[16:17], off offset:-48
	global_load_b128 v[22:25], v[16:17], off offset:-64
	global_load_b128 v[0:3], v[16:17], off offset:-96
	v_mov_b32_e32 v26, s3
	s_add_i32 s6, s3, 0xffffff98
	ds_load_b64 v[30:31], v26
	v_mov_b32_e32 v26, s6
	s_mul_i32 s6, s2, 12
	s_delay_alu instid0(SALU_CYCLE_1) | instskip(SKIP_2) | instid1(SALU_CYCLE_1)
	s_add_i32 s6, s6, s16
	ds_load_2addr_b64 v[26:29], v26 offset1:1
	s_lshl_b32 s6, s6, 3
	s_add_i32 s7, s6, 0xfffffee0
	s_add_i32 s8, s6, 0xfffffca0
	;; [unrolled: 1-line block ×3, first 2 shown]
	s_waitcnt vmcnt(5)
	v_mul_f64 v[14:15], v[14:15], s[4:5]
	s_waitcnt lgkmcnt(1)
	s_delay_alu instid0(VALU_DEP_1)
	v_mul_f64 v[14:15], v[14:15], v[30:31]
	global_load_b128 v[30:33], v[16:17], off offset:-80
	s_waitcnt lgkmcnt(0)
	v_mul_f64 v[16:17], v[14:15], v[28:29]
	v_mov_b32_e32 v28, s7
	s_add_i32 s7, s3, 0xffffff30
	s_delay_alu instid0(SALU_CYCLE_1)
	v_mov_b32_e32 v34, s7
	s_add_i32 s7, s6, 0xfffffe78
	ds_load_b64 v[28:29], v28
	ds_load_2addr_b64 v[34:37], v34 offset1:1
	s_waitcnt vmcnt(5)
	v_fma_f64 v[16:17], v[38:39], s[4:5], -v[16:17]
	v_mov_b32_e32 v38, s7
	s_add_i32 s7, s3, 0xfffffec8
	s_delay_alu instid0(SALU_CYCLE_1)
	v_mov_b32_e32 v42, s7
	s_add_i32 s7, s6, 0xfffffe20
	ds_load_2addr_b64 v[38:41], v38 offset1:1
	ds_load_2addr_b64 v[42:45], v42 offset1:1
	s_waitcnt lgkmcnt(1)
	v_mul_f64 v[40:41], v[14:15], v[40:41]
	v_mul_f64 v[16:17], v[16:17], v[26:27]
	v_mov_b32_e32 v26, s7
	s_add_i32 s7, s6, 0xfffffe10
	ds_load_b64 v[46:47], v26
	v_mul_f64 v[28:29], v[14:15], v[28:29]
	v_mov_b32_e32 v26, s7
	s_add_i32 s7, s6, 0xfffffdb8
	s_waitcnt lgkmcnt(0)
	v_mul_f64 v[46:47], v[14:15], v[46:47]
	s_waitcnt vmcnt(4)
	v_fma_f64 v[40:41], v[4:5], s[4:5], -v[40:41]
	v_mov_b32_e32 v4, s7
	s_add_i32 s7, s6, 0xfffffd60
	v_fma_f64 v[6:7], v[6:7], s[4:5], -v[28:29]
	ds_load_2addr_b64 v[26:29], v26 offset1:1
	s_waitcnt vmcnt(3)
	v_fma_f64 v[20:21], v[20:21], s[4:5], -v[46:47]
	v_fma_f64 v[38:39], -v[16:17], v[38:39], v[40:41]
	v_fma_f64 v[36:37], -v[16:17], v[36:37], v[6:7]
	ds_load_2addr_b64 v[4:7], v4 offset1:1
	s_waitcnt lgkmcnt(1)
	v_fma_f64 v[20:21], -v[16:17], v[28:29], v[20:21]
	s_waitcnt lgkmcnt(0)
	v_mul_f64 v[48:49], v[14:15], v[6:7]
	v_mul_f64 v[6:7], v[36:37], v[34:35]
	v_mov_b32_e32 v34, s7
	s_add_i32 s7, s6, 0xfffffd00
	s_delay_alu instid0(SALU_CYCLE_1)
	v_mov_b32_e32 v36, s7
	s_add_i32 s7, s3, 0xfffffe60
	ds_load_b64 v[34:35], v34
	ds_load_b64 v[36:37], v36
	v_fma_f64 v[18:19], v[18:19], s[4:5], -v[48:49]
	s_waitcnt lgkmcnt(1)
	v_mul_f64 v[34:35], v[14:15], v[34:35]
	v_fma_f64 v[28:29], -v[6:7], v[44:45], v[38:39]
	s_waitcnt lgkmcnt(0)
	v_mul_f64 v[44:45], v[14:15], v[36:37]
	v_fma_f64 v[50:51], -v[6:7], v[26:27], v[20:21]
	v_fma_f64 v[48:49], -v[16:17], v[4:5], v[18:19]
	v_mov_b32_e32 v18, s8
	s_add_i32 s8, s6, 0xfffffda8
	s_delay_alu instid0(SALU_CYCLE_1)
	v_dual_mov_b32 v19, s9 :: v_dual_mov_b32 v20, s8
	s_waitcnt vmcnt(2)
	v_fma_f64 v[46:47], v[24:25], s[4:5], -v[34:35]
	v_mov_b32_e32 v24, s7
	s_add_i32 s7, s3, 0xfffffdf8
	s_add_i32 s8, s6, 0xfffffd48
	v_mov_b32_e32 v34, s7
	s_add_i32 s7, s6, 0xfffffc40
	v_mov_b32_e32 v38, s8
	s_add_i32 s8, s6, 0xfffffcf0
	s_add_i32 s9, s6, 0xfffffcd0
	v_mul_f64 v[4:5], v[28:29], v[42:43]
	ds_load_b64 v[28:29], v18
	ds_load_b64 v[42:43], v19
	ds_load_2addr_b64 v[18:21], v20 offset1:1
	ds_load_2addr_b64 v[24:27], v24 offset1:1
	v_fma_f64 v[44:45], v[22:23], s[4:5], -v[44:45]
	ds_load_2addr_b64 v[34:37], v34 offset1:1
	ds_load_2addr_b64 v[38:41], v38 offset1:1
	s_waitcnt lgkmcnt(5)
	v_mul_f64 v[52:53], v[14:15], v[28:29]
	s_waitcnt lgkmcnt(4)
	v_fma_f64 v[42:43], -v[16:17], v[42:43], v[46:47]
	s_waitcnt lgkmcnt(3)
	v_fma_f64 v[46:47], -v[6:7], v[20:21], v[48:49]
	v_dual_mov_b32 v20, s7 :: v_dual_mov_b32 v21, s8
	s_add_i32 s7, s6, 0xfffffce0
	s_add_i32 s8, s6, 0xfffffc98
	s_waitcnt lgkmcnt(2)
	v_fma_f64 v[48:49], -v[4:5], v[26:27], v[50:51]
	ds_load_b64 v[50:51], v20
	ds_load_2addr_b64 v[20:23], v21 offset1:1
	v_mov_b32_e32 v26, s7
	s_add_i32 s7, s6, 0xfffffbe0
	ds_load_2addr_b64 v[26:29], v26 offset1:1
	s_waitcnt vmcnt(0)
	v_fma_f64 v[32:33], v[32:33], s[4:5], -v[52:53]
	s_waitcnt lgkmcnt(2)
	v_mul_f64 v[50:51], v[14:15], v[50:51]
	s_waitcnt lgkmcnt(1)
	v_fma_f64 v[44:45], -v[16:17], v[22:23], v[44:45]
	v_fma_f64 v[52:53], -v[6:7], v[40:41], v[42:43]
	;; [unrolled: 1-line block ×3, first 2 shown]
	v_mov_b32_e32 v40, s8
	s_add_i32 s8, s6, 0xfffffb78
	v_mul_f64 v[22:23], v[48:49], v[24:25]
	v_mov_b32_e32 v24, s7
	ds_load_b64 v[24:25], v24
	ds_load_b64 v[46:47], v40
	s_add_i32 s7, s6, 0xfffffc88
	s_delay_alu instid0(SALU_CYCLE_1)
	v_mov_b32_e32 v40, s7
	s_add_i32 s7, s6, 0xfffffc30
	ds_load_2addr_b64 v[40:43], v40 offset1:1
	v_fma_f64 v[48:49], v[30:31], s[4:5], -v[50:51]
	v_fma_f64 v[54:55], -v[6:7], v[20:21], v[44:45]
	s_waitcnt lgkmcnt(2)
	v_mul_f64 v[24:25], v[14:15], v[24:25]
	s_waitcnt lgkmcnt(1)
	v_fma_f64 v[50:51], -v[16:17], v[46:47], v[32:33]
	v_fma_f64 v[52:53], -v[4:5], v[38:39], v[52:53]
	;; [unrolled: 1-line block ×3, first 2 shown]
	v_mov_b32_e32 v18, s7
	s_add_i32 s7, s6, 0xfffffd38
	v_mov_b32_e32 v36, s8
	v_mov_b32_e32 v30, s7
	ds_load_2addr_b64 v[18:21], v18 offset1:1
	ds_load_2addr_b64 v[30:33], v30 offset1:1
	;; [unrolled: 1-line block ×3, first 2 shown]
	s_add_i32 s7, s6, 0xfffffc20
	s_add_i32 s8, s6, 0xfffffc78
	v_mov_b32_e32 v44, s7
	s_add_i32 s7, s6, 0xfffffbd8
	ds_load_2addr_b64 v[44:47], v44 offset1:1
	v_fma_f64 v[28:29], -v[4:5], v[28:29], v[54:55]
	v_fma_f64 v[2:3], v[2:3], s[4:5], -v[24:25]
	s_waitcnt lgkmcnt(3)
	v_fma_f64 v[24:25], -v[16:17], v[20:21], v[48:49]
	v_fma_f64 v[42:43], -v[6:7], v[42:43], v[50:51]
	s_waitcnt lgkmcnt(2)
	v_fma_f64 v[48:49], -v[22:23], v[32:33], v[52:53]
	s_waitcnt lgkmcnt(1)
	v_mul_f64 v[38:39], v[14:15], v[38:39]
	v_mov_b32_e32 v32, s7
	s_add_i32 s7, s6, 0xfffffbc8
	ds_load_b64 v[50:51], v32
	v_mov_b32_e32 v32, s7
	s_add_i32 s7, s3, 0xfffffd90
	v_mul_f64 v[20:21], v[56:57], v[34:35]
	ds_load_2addr_b64 v[32:35], v32 offset1:1
	s_waitcnt lgkmcnt(1)
	v_fma_f64 v[50:51], -v[16:17], v[50:51], v[2:3]
	v_fma_f64 v[18:19], -v[6:7], v[18:19], v[24:25]
	;; [unrolled: 1-line block ×4, first 2 shown]
	v_fma_f64 v[38:39], v[0:1], s[4:5], -v[38:39]
	v_mov_b32_e32 v0, s8
	v_mov_b32_e32 v24, s9
	;; [unrolled: 1-line block ×3, first 2 shown]
	ds_load_2addr_b64 v[0:3], v0 offset1:1
	ds_load_2addr_b64 v[24:27], v24 offset1:1
	ds_load_b64 v[52:53], v28
	s_add_i32 s7, s6, 0xfffffc68
	s_add_i32 s8, s6, 0xfffffbb8
	v_fma_f64 v[48:49], -v[20:21], v[30:31], v[48:49]
	v_mov_b32_e32 v28, s7
	s_add_i32 s7, s6, 0xfffffb68
	s_add_i32 s9, s6, 0xfffffc10
	ds_load_2addr_b64 v[28:31], v28 offset1:1
	s_waitcnt lgkmcnt(4)
	v_fma_f64 v[50:51], -v[6:7], v[34:35], v[50:51]
	v_fma_f64 v[18:19], -v[4:5], v[46:47], v[18:19]
	s_waitcnt lgkmcnt(3)
	v_fma_f64 v[46:47], -v[22:23], v[2:3], v[40:41]
	s_waitcnt lgkmcnt(2)
	v_fma_f64 v[26:27], -v[20:21], v[26:27], v[42:43]
	v_fma_f64 v[42:43], -v[16:17], v[36:37], v[38:39]
	v_mov_b32_e32 v34, s7
	s_add_i32 s7, s6, 0xfffffb58
	s_delay_alu instid0(SALU_CYCLE_1)
	v_mov_b32_e32 v38, s7
	s_add_i32 s7, s3, 0xfffffd28
	ds_load_2addr_b64 v[34:37], v34 offset1:1
	ds_load_2addr_b64 v[38:41], v38 offset1:1
	s_waitcnt lgkmcnt(3)
	v_mul_f64 v[2:3], v[48:49], v[52:53]
	v_fma_f64 v[32:33], -v[4:5], v[32:33], v[50:51]
	v_fma_f64 v[18:19], -v[22:23], v[44:45], v[18:19]
	;; [unrolled: 1-line block ×3, first 2 shown]
	v_mov_b32_e32 v46, s7
	s_waitcnt lgkmcnt(1)
	v_fma_f64 v[36:37], -v[6:7], v[36:37], v[42:43]
	v_mov_b32_e32 v42, s9
	s_add_i32 s7, s6, 0xfffffc00
	v_fma_f64 v[54:55], -v[2:3], v[24:25], v[26:27]
	v_mov_b32_e32 v24, s8
	ds_load_2addr_b64 v[24:27], v24 offset1:1
	ds_load_2addr_b64 v[42:45], v42 offset1:1
	ds_load_b64 v[56:57], v46
	v_mov_b32_e32 v46, s7
	s_add_i32 s7, s3, 0xfffffcc0
	s_add_i32 s8, s6, 0xfffffba8
	s_addk_i32 s3, 0xfc58
	v_mov_b32_e32 v50, s8
	ds_load_2addr_b64 v[46:49], v46 offset1:1
	ds_load_2addr_b64 v[50:53], v50 offset1:1
	s_waitcnt lgkmcnt(4)
	v_fma_f64 v[26:27], -v[22:23], v[26:27], v[32:33]
	s_waitcnt lgkmcnt(3)
	v_fma_f64 v[18:19], -v[20:21], v[44:45], v[18:19]
	v_fma_f64 v[30:31], -v[2:3], v[30:31], v[0:1]
	v_fma_f64 v[32:33], -v[4:5], v[34:35], v[36:37]
	s_waitcnt lgkmcnt(2)
	v_mul_f64 v[0:1], v[54:55], v[56:57]
	v_fma_f64 v[24:25], -v[20:21], v[24:25], v[26:27]
	v_fma_f64 v[18:19], -v[2:3], v[42:43], v[18:19]
	s_delay_alu instid0(VALU_DEP_3)
	v_fma_f64 v[26:27], -v[0:1], v[28:29], v[30:31]
	v_fma_f64 v[28:29], -v[22:23], v[40:41], v[32:33]
	v_mov_b32_e32 v30, s7
	s_add_i32 s7, s6, 0xfffffb48
	v_mov_b32_e32 v40, s3
	s_mul_i32 s3, s2, 0x68
	ds_load_b64 v[30:31], v30
	s_waitcnt lgkmcnt(1)
	v_fma_f64 v[24:25], -v[2:3], v[52:53], v[24:25]
	v_fma_f64 v[18:19], -v[0:1], v[48:49], v[18:19]
	s_waitcnt lgkmcnt(0)
	v_mul_f64 v[26:27], v[26:27], v[30:31]
	v_fma_f64 v[36:37], -v[20:21], v[38:39], v[28:29]
	v_mov_b32_e32 v28, s7
	s_add_i32 s7, s6, 0xfffffb38
	s_addk_i32 s6, 0xfb98
	v_mov_b32_e32 v32, s7
	ds_load_2addr_b64 v[28:31], v28 offset1:1
	ds_load_2addr_b64 v[32:35], v32 offset1:1
	v_fma_f64 v[24:25], -v[0:1], v[50:51], v[24:25]
	v_fma_f64 v[18:19], -v[26:27], v[46:47], v[18:19]
	s_waitcnt lgkmcnt(1)
	v_fma_f64 v[30:31], -v[2:3], v[30:31], v[36:37]
	v_mov_b32_e32 v36, s6
	ds_load_2addr_b64 v[36:39], v36 offset1:1
	ds_load_b64 v[40:41], v40
	s_add_i32 s6, s3, 0xfffffb88
	s_addk_i32 s3, 0xfb20
	s_waitcnt lgkmcnt(1)
	v_fma_f64 v[38:39], -v[26:27], v[38:39], v[24:25]
	s_waitcnt lgkmcnt(0)
	v_mul_f64 v[24:25], v[18:19], v[40:41]
	v_fma_f64 v[18:19], -v[0:1], v[28:29], v[30:31]
	v_mov_b32_e32 v30, s6
	ds_load_b64 v[30:31], v30
	v_fma_f64 v[28:29], -v[24:25], v[36:37], v[38:39]
	v_fma_f64 v[18:19], -v[26:27], v[34:35], v[18:19]
	s_waitcnt lgkmcnt(0)
	s_delay_alu instid0(VALU_DEP_2) | instskip(NEXT) | instid1(VALU_DEP_2)
	v_mul_f64 v[30:31], v[28:29], v[30:31]
	v_fma_f64 v[18:19], -v[24:25], v[32:33], v[18:19]
	v_mov_b32_e32 v28, s3
	s_ashr_i32 s3, s2, 31
	s_delay_alu instid0(SALU_CYCLE_1) | instskip(SKIP_3) | instid1(VALU_DEP_1)
	s_lshl_b64 s[6:7], s[2:3], 3
	ds_load_2addr_b64 v[32:35], v28 offset1:1
	s_waitcnt lgkmcnt(0)
	v_fma_f64 v[18:19], -v[30:31], v[34:35], v[18:19]
	v_mul_f64 v[28:29], v[18:19], v[32:33]
	v_add_co_u32 v18, vcc_lo, v8, s6
	v_add_co_ci_u32_e32 v19, vcc_lo, s7, v9, vcc_lo
	s_add_i32 s6, s2, -13
	s_clause 0x6
	global_store_b64 v[12:13], v[14:15], off
	global_store_b64 v[18:19], v[16:17], off offset:-16
	global_store_b128 v[18:19], v[4:7], off offset:-32
	global_store_b128 v[18:19], v[20:23], off offset:-48
	;; [unrolled: 1-line block ×5, first 2 shown]
	s_cmp_gt_i32 s6, -1
	s_cbranch_scc1 .LBB80_15
	s_branch .LBB80_33
.LBB80_14:
	s_mov_b32 s6, s16
	s_delay_alu instid0(SALU_CYCLE_1)
	s_cmp_gt_i32 s6, -1
	s_cbranch_scc0 .LBB80_33
.LBB80_15:
	s_cmp_lt_u32 s6, 7
	s_cbranch_scc1 .LBB80_20
; %bb.16:
	s_mov_b32 s7, 0
	s_delay_alu instid0(SALU_CYCLE_1)
	s_lshl_b64 s[8:9], s[6:7], 3
	s_cmp_le_i32 s16, s6
	v_add_co_u32 v0, vcc_lo, v8, s8
	v_add_co_ci_u32_e32 v1, vcc_lo, s9, v9, vcc_lo
	s_clause 0x3
	global_load_b128 v[2:5], v[0:1], off offset:-8
	global_load_b128 v[12:15], v[0:1], off offset:-24
	;; [unrolled: 1-line block ×4, first 2 shown]
	s_waitcnt vmcnt(3)
	v_mul_f64 v[20:21], v[4:5], s[4:5]
	v_mul_f64 v[18:19], v[2:3], s[4:5]
	s_waitcnt vmcnt(2)
	v_mul_f64 v[16:17], v[14:15], s[4:5]
	v_mul_f64 v[14:15], v[12:13], s[4:5]
	;; [unrolled: 3-line block ×4, first 2 shown]
	s_cbranch_scc1 .LBB80_19
; %bb.17:
	s_mul_i32 s3, s6, 0x60
	s_lshl_b32 s7, s2, 3
	s_ashr_i32 s17, s16, 31
	s_add_i32 s3, s3, s7
	s_lshl_b64 s[8:9], s[16:17], 3
	s_addk_i32 s3, 0xfd58
	s_add_u32 s7, s12, s8
	s_addc_u32 s8, s13, s9
	s_add_u32 s7, s7, s0
	s_addc_u32 s8, s8, s1
	v_add_co_u32 v22, vcc_lo, s7, v10
	v_add_co_ci_u32_e32 v23, vcc_lo, s8, v11, vcc_lo
	s_mov_b32 s7, s16
	s_set_inst_prefetch_distance 0x1
	.p2align	6
.LBB80_18:                              ; =>This Inner Loop Header: Depth=1
	global_load_b64 v[40:41], v[22:23], off
	v_mov_b32_e32 v36, s3
	v_add_co_u32 v22, vcc_lo, v22, -8
	v_add_co_ci_u32_e32 v23, vcc_lo, -1, v23, vcc_lo
	ds_load_2addr_b64 v[24:27], v36 offset0:72 offset1:84
	ds_load_2addr_b64 v[28:31], v36 offset0:48 offset1:60
	;; [unrolled: 1-line block ×3, first 2 shown]
	ds_load_2addr_b64 v[36:39], v36 offset1:12
	s_add_i32 s7, s7, -1
	s_add_i32 s3, s3, -8
	s_cmp_gt_i32 s7, s6
	s_waitcnt vmcnt(0) lgkmcnt(3)
	v_fma_f64 v[20:21], -v[40:41], v[26:27], v[20:21]
	v_fma_f64 v[18:19], -v[40:41], v[24:25], v[18:19]
	s_waitcnt lgkmcnt(2)
	v_fma_f64 v[16:17], -v[40:41], v[30:31], v[16:17]
	v_fma_f64 v[14:15], -v[40:41], v[28:29], v[14:15]
	s_waitcnt lgkmcnt(1)
	;; [unrolled: 3-line block ×3, first 2 shown]
	v_fma_f64 v[4:5], -v[40:41], v[38:39], v[4:5]
	v_fma_f64 v[2:3], -v[40:41], v[36:37], v[2:3]
	s_cbranch_scc1 .LBB80_18
.LBB80_19:
	s_set_inst_prefetch_distance 0x2
	s_mul_i32 s3, s6, 0x68
	s_delay_alu instid0(SALU_CYCLE_1)
	s_add_i32 s8, s3, 0xfffffe08
	v_mov_b32_e32 v22, s3
	s_add_i32 s7, s3, 0xffffff98
	s_add_i32 s9, s3, 0xfffffdb8
	;; [unrolled: 1-line block ×3, first 2 shown]
	ds_load_b64 v[26:27], v22
	v_mov_b32_e32 v22, s7
	s_add_i32 s7, s3, 0xffffff40
	ds_load_2addr_b64 v[22:25], v22 offset1:1
	s_waitcnt lgkmcnt(1)
	v_mul_f64 v[36:37], v[20:21], v[26:27]
	s_waitcnt lgkmcnt(0)
	s_delay_alu instid0(VALU_DEP_1)
	v_fma_f64 v[24:25], -v[36:37], v[24:25], v[18:19]
	v_mov_b32_e32 v18, s7
	s_add_i32 s7, s3, 0xffffff30
	ds_load_b64 v[26:27], v18
	v_mov_b32_e32 v18, s7
	s_add_i32 s7, s3, 0xfffffed8
	ds_load_2addr_b64 v[18:21], v18 offset1:1
	s_waitcnt lgkmcnt(1)
	v_fma_f64 v[16:17], -v[36:37], v[26:27], v[16:17]
	v_mul_f64 v[38:39], v[24:25], v[22:23]
	v_mov_b32_e32 v22, s7
	s_add_i32 s7, s3, 0xfffffec8
	s_delay_alu instid0(SALU_CYCLE_1)
	v_mov_b32_e32 v26, s7
	s_add_i32 s7, s3, 0xfffffe80
	ds_load_2addr_b64 v[22:25], v22 offset1:1
	ds_load_2addr_b64 v[26:29], v26 offset1:1
	s_waitcnt lgkmcnt(1)
	v_fma_f64 v[24:25], -v[36:37], v[24:25], v[14:15]
	v_mov_b32_e32 v14, s7
	s_add_i32 s7, s3, 0xfffffe70
	ds_load_b64 v[30:31], v14
	v_mov_b32_e32 v14, s7
	s_add_i32 s7, s3, 0xfffffe18
	v_fma_f64 v[20:21], -v[38:39], v[20:21], v[16:17]
	ds_load_2addr_b64 v[14:17], v14 offset1:1
	s_waitcnt lgkmcnt(1)
	v_fma_f64 v[12:13], -v[36:37], v[30:31], v[12:13]
	v_fma_f64 v[24:25], -v[38:39], v[22:23], v[24:25]
	v_mul_f64 v[18:19], v[20:21], v[18:19]
	v_mov_b32_e32 v20, s7
	s_add_i32 s7, s3, 0xfffffdc0
	ds_load_2addr_b64 v[20:23], v20 offset1:1
	s_waitcnt lgkmcnt(1)
	v_fma_f64 v[12:13], -v[38:39], v[16:17], v[12:13]
	s_waitcnt lgkmcnt(0)
	v_fma_f64 v[6:7], -v[36:37], v[22:23], v[6:7]
	v_mov_b32_e32 v22, s7
	s_add_i32 s7, s3, 0xfffffe60
	ds_load_b64 v[22:23], v22
	v_fma_f64 v[16:17], -v[18:19], v[28:29], v[24:25]
	s_waitcnt lgkmcnt(0)
	v_fma_f64 v[28:29], -v[36:37], v[22:23], v[4:5]
	v_fma_f64 v[32:33], -v[18:19], v[14:15], v[12:13]
	v_dual_mov_b32 v4, s9 :: v_dual_mov_b32 v5, s8
	v_mov_b32_e32 v12, s7
	s_add_i32 s7, s3, 0xfffffdf8
	s_add_i32 s8, s3, 0xfffffda8
	s_delay_alu instid0(SALU_CYCLE_1)
	v_mov_b32_e32 v24, s8
	s_add_i32 s8, s3, 0xfffffd30
	v_fma_f64 v[30:31], -v[38:39], v[20:21], v[6:7]
	v_mov_b32_e32 v20, s11
	ds_load_b64 v[34:35], v4
	ds_load_2addr_b64 v[4:7], v5 offset1:1
	ds_load_2addr_b64 v[12:15], v12 offset1:1
	ds_load_b64 v[40:41], v20
	v_mov_b32_e32 v20, s7
	s_add_i32 s7, s3, 0xfffffd50
	v_mul_f64 v[16:17], v[16:17], v[26:27]
	ds_load_2addr_b64 v[20:23], v20 offset1:1
	ds_load_2addr_b64 v[24:27], v24 offset1:1
	s_waitcnt lgkmcnt(2)
	v_fma_f64 v[2:3], -v[36:37], v[40:41], v[2:3]
	v_fma_f64 v[42:43], -v[38:39], v[34:35], v[28:29]
	v_mov_b32_e32 v28, s7
	s_add_i32 s7, s3, 0xfffffd40
	v_fma_f64 v[6:7], -v[18:19], v[6:7], v[30:31]
	ds_load_2addr_b64 v[28:31], v28 offset1:1
	v_fma_f64 v[14:15], -v[16:17], v[14:15], v[32:33]
	v_mov_b32_e32 v32, s7
	s_add_i32 s7, s3, 0xfffffd98
	ds_load_2addr_b64 v[32:35], v32 offset1:1
	s_waitcnt lgkmcnt(1)
	v_fma_f64 v[2:3], -v[38:39], v[30:31], v[2:3]
	v_fma_f64 v[26:27], -v[18:19], v[26:27], v[42:43]
	v_fma_f64 v[6:7], -v[16:17], v[4:5], v[6:7]
	v_mul_f64 v[4:5], v[14:15], v[12:13]
	s_delay_alu instid0(VALU_DEP_3) | instskip(NEXT) | instid1(VALU_DEP_2)
	v_fma_f64 v[24:25], -v[16:17], v[24:25], v[26:27]
	v_fma_f64 v[6:7], -v[4:5], v[22:23], v[6:7]
	;; [unrolled: 1-line block ×3, first 2 shown]
	v_mov_b32_e32 v2, s7
	s_add_i32 s7, s3, 0xfffffd90
	s_addk_i32 s3, 0xfd28
	ds_load_2addr_b64 v[12:15], v2 offset1:1
	s_waitcnt lgkmcnt(0)
	v_fma_f64 v[14:15], -v[4:5], v[14:15], v[24:25]
	v_mul_f64 v[2:3], v[6:7], v[20:21]
	v_fma_f64 v[6:7], -v[16:17], v[34:35], v[22:23]
	s_delay_alu instid0(VALU_DEP_2) | instskip(NEXT) | instid1(VALU_DEP_2)
	v_fma_f64 v[20:21], -v[2:3], v[12:13], v[14:15]
	v_fma_f64 v[6:7], -v[4:5], v[32:33], v[6:7]
	v_dual_mov_b32 v12, s7 :: v_dual_mov_b32 v13, s8
	ds_load_b64 v[22:23], v12
	ds_load_2addr_b64 v[12:15], v13 offset1:1
	s_ashr_i32 s7, s6, 31
	s_delay_alu instid0(SALU_CYCLE_1)
	s_lshl_b64 s[8:9], s[6:7], 3
	s_add_i32 s6, s6, -8
	s_waitcnt lgkmcnt(1)
	v_mul_f64 v[22:23], v[20:21], v[22:23]
	s_waitcnt lgkmcnt(0)
	v_fma_f64 v[6:7], -v[2:3], v[14:15], v[6:7]
	s_delay_alu instid0(VALU_DEP_1)
	v_fma_f64 v[6:7], -v[22:23], v[12:13], v[6:7]
	v_mov_b32_e32 v12, s3
	ds_load_b64 v[12:13], v12
	s_waitcnt lgkmcnt(0)
	v_mul_f64 v[20:21], v[6:7], v[12:13]
	v_add_co_u32 v6, vcc_lo, v8, s8
	v_add_co_ci_u32_e32 v7, vcc_lo, s9, v9, vcc_lo
	s_clause 0x4
	global_store_b64 v[6:7], v[38:39], off offset:-8
	global_store_b128 v[6:7], v[16:19], off offset:-24
	global_store_b128 v[6:7], v[2:5], off offset:-40
	global_store_b64 v[0:1], v[36:37], off
	global_store_b128 v[6:7], v[20:23], off offset:-56
.LBB80_20:
	s_cmp_lt_i32 s6, 0
	s_cbranch_scc1 .LBB80_33
; %bb.21:
	s_bitcmp1_b32 s6, 0
	s_mov_b32 s8, s6
	s_cselect_b32 s3, -1, 0
	s_delay_alu instid0(SALU_CYCLE_1)
	s_and_b32 vcc_lo, exec_lo, s3
	s_cbranch_vccnz .LBB80_26
; %bb.22:
	s_mov_b32 s7, 0
	s_delay_alu instid0(SALU_CYCLE_1)
	s_lshl_b64 s[8:9], s[6:7], 3
	s_cmp_le_i32 s16, s6
	v_add_co_u32 v0, vcc_lo, v8, s8
	v_add_co_ci_u32_e32 v1, vcc_lo, s9, v9, vcc_lo
	global_load_b64 v[2:3], v[0:1], off
	s_waitcnt vmcnt(0)
	v_mul_f64 v[2:3], v[2:3], s[4:5]
	s_cbranch_scc1 .LBB80_25
; %bb.23:
	s_mul_i32 s3, s6, 0x60
	s_lshl_b32 s7, s2, 3
	s_ashr_i32 s17, s16, 31
	s_add_i32 s3, s3, s7
	s_lshl_b64 s[8:9], s[16:17], 3
	s_add_i32 s3, s3, -8
	s_add_u32 s7, s12, s8
	s_addc_u32 s8, s13, s9
	s_add_u32 s7, s7, s0
	s_addc_u32 s8, s8, s1
	v_add_co_u32 v4, vcc_lo, s7, v10
	v_add_co_ci_u32_e32 v5, vcc_lo, s8, v11, vcc_lo
	s_mov_b32 s7, s16
.LBB80_24:                              ; =>This Inner Loop Header: Depth=1
	global_load_b64 v[6:7], v[4:5], off
	v_mov_b32_e32 v12, s3
	v_add_co_u32 v4, vcc_lo, v4, -8
	v_add_co_ci_u32_e32 v5, vcc_lo, -1, v5, vcc_lo
	ds_load_b64 v[12:13], v12
	s_add_i32 s7, s7, -1
	s_add_i32 s3, s3, -8
	s_cmp_gt_i32 s7, s6
	s_waitcnt vmcnt(0) lgkmcnt(0)
	v_fma_f64 v[2:3], -v[6:7], v[12:13], v[2:3]
	s_cbranch_scc1 .LBB80_24
.LBB80_25:
	s_mul_i32 s3, s6, 0x68
	s_add_i32 s8, s6, -1
	v_mov_b32_e32 v4, s3
	ds_load_b64 v[4:5], v4
	s_waitcnt lgkmcnt(0)
	v_mul_f64 v[2:3], v[2:3], v[4:5]
	global_store_b64 v[0:1], v[2:3], off
.LBB80_26:
	s_cmp_eq_u32 s6, 0
	s_mov_b32 s9, 0
	s_cbranch_scc1 .LBB80_33
; %bb.27:
	s_mul_i32 s3, s8, 0x60
	s_lshl_b32 s6, s2, 3
	s_ashr_i32 s17, s16, 31
	s_add_i32 s11, s3, s6
	s_lshl_b64 s[6:7], s[16:17], 3
	s_add_i32 s3, s11, -8
	s_add_u32 s6, s12, s6
	s_addc_u32 s7, s13, s7
	s_add_u32 s6, s6, s0
	s_addc_u32 s7, s7, s1
	v_add_co_u32 v0, vcc_lo, s6, v10
	v_add_co_ci_u32_e32 v1, vcc_lo, s7, v11, vcc_lo
	s_add_i32 s6, s11, 0xffffff98
	s_branch .LBB80_29
.LBB80_28:                              ;   in Loop: Header=BB80_29 Depth=1
	s_addk_i32 s7, 0xff98
	s_addk_i32 s3, 0xff40
	v_mov_b32_e32 v6, s7
	s_add_i32 s7, s8, -2
	s_addk_i32 s6, 0xff40
	s_cmp_lt_i32 s8, 2
	s_mov_b32 s8, s7
	ds_load_b64 v[6:7], v6
	s_waitcnt lgkmcnt(0)
	v_mul_f64 v[4:5], v[4:5], v[6:7]
	global_store_b64 v[2:3], v[4:5], off offset:-8
	s_cbranch_scc1 .LBB80_33
.LBB80_29:                              ; =>This Loop Header: Depth=1
                                        ;     Child Loop BB80_30 Depth 2
                                        ;     Child Loop BB80_32 Depth 2
	s_lshl_b64 s[14:15], s[8:9], 3
	s_delay_alu instid0(VALU_DEP_1)
	v_dual_mov_b32 v5, v1 :: v_dual_mov_b32 v4, v0
	v_add_co_u32 v2, vcc_lo, v8, s14
	v_add_co_ci_u32_e32 v3, vcc_lo, s15, v9, vcc_lo
	s_cmp_le_i32 s16, s8
	s_mov_b32 s7, s3
	s_mov_b32 s11, s16
	global_load_b64 v[2:3], v[2:3], off
	s_waitcnt vmcnt(0)
	v_mul_f64 v[2:3], v[2:3], s[4:5]
	s_cbranch_scc1 .LBB80_31
.LBB80_30:                              ;   Parent Loop BB80_29 Depth=1
                                        ; =>  This Inner Loop Header: Depth=2
	global_load_b64 v[6:7], v[4:5], off
	v_mov_b32_e32 v12, s7
	v_add_co_u32 v4, vcc_lo, v4, -8
	v_add_co_ci_u32_e32 v5, vcc_lo, -1, v5, vcc_lo
	ds_load_b64 v[12:13], v12
	s_add_i32 s11, s11, -1
	s_add_i32 s7, s7, -8
	s_cmp_gt_i32 s11, s8
	s_waitcnt vmcnt(0) lgkmcnt(0)
	v_fma_f64 v[2:3], -v[6:7], v[12:13], v[2:3]
	s_cbranch_scc1 .LBB80_30
.LBB80_31:                              ;   in Loop: Header=BB80_29 Depth=1
	s_add_i32 s14, s8, -1
	s_mov_b32 s15, s9
	s_mul_i32 s7, s8, 0x68
	s_lshl_b64 s[14:15], s[14:15], 3
	v_mov_b32_e32 v6, s7
	v_add_co_u32 v4, vcc_lo, v8, s14
	v_add_co_ci_u32_e32 v5, vcc_lo, s15, v9, vcc_lo
	ds_load_b64 v[6:7], v6
	s_ashr_i32 s15, s8, 31
	s_mov_b32 s14, s8
	global_load_b64 v[4:5], v[4:5], off
	s_lshl_b64 s[14:15], s[14:15], 3
	s_cmp_lt_i32 s16, s8
	s_mov_b32 s11, s6
	s_waitcnt lgkmcnt(0)
	v_mul_f64 v[12:13], v[2:3], v[6:7]
	v_add_co_u32 v2, vcc_lo, v8, s14
	v_add_co_ci_u32_e32 v3, vcc_lo, s15, v9, vcc_lo
	v_dual_mov_b32 v7, v1 :: v_dual_mov_b32 v6, v0
	s_mov_b32 s14, s2
	global_store_b64 v[2:3], v[12:13], off
	s_waitcnt vmcnt(0)
	v_mul_f64 v[4:5], v[4:5], s[4:5]
	s_cbranch_scc1 .LBB80_28
.LBB80_32:                              ;   Parent Loop BB80_29 Depth=1
                                        ; =>  This Inner Loop Header: Depth=2
	global_load_b64 v[12:13], v[6:7], off
	v_mov_b32_e32 v14, s11
	v_add_co_u32 v6, vcc_lo, v6, -8
	v_add_co_ci_u32_e32 v7, vcc_lo, -1, v7, vcc_lo
	ds_load_b64 v[14:15], v14
	s_add_i32 s14, s14, -1
	s_add_i32 s11, s11, -8
	s_cmp_gt_i32 s14, s8
	s_waitcnt vmcnt(0) lgkmcnt(0)
	v_fma_f64 v[4:5], -v[12:13], v[14:15], v[4:5]
	s_cbranch_scc1 .LBB80_32
	s_branch .LBB80_28
.LBB80_33:
	s_mov_b32 s3, 0
.LBB80_34:
	s_delay_alu instid0(SALU_CYCLE_1)
	s_and_b32 vcc_lo, exec_lo, s3
	s_cbranch_vccz .LBB80_57
; %bb.35:
	s_cmp_gt_i32 s10, 11
	s_cselect_b32 s3, -1, 0
	s_delay_alu instid0(SALU_CYCLE_1)
	s_and_b32 vcc_lo, exec_lo, s3
	s_cbranch_vccz .LBB80_37
; %bb.36:
	s_clause 0x3
	global_load_b128 v[0:3], v[8:9], off
	global_load_b128 v[12:15], v[8:9], off offset:16
	global_load_b128 v[16:19], v[8:9], off offset:32
	;; [unrolled: 1-line block ×3, first 2 shown]
	v_mov_b32_e32 v4, 0
	s_mov_b32 s6, 12
	ds_load_b128 v[24:27], v4
	ds_load_b128 v[28:31], v4 offset:16
	global_load_b128 v[32:35], v[8:9], off offset:64
	s_waitcnt vmcnt(4)
	v_mul_f64 v[0:1], v[0:1], s[4:5]
	s_waitcnt lgkmcnt(1)
	s_delay_alu instid0(VALU_DEP_1) | instskip(NEXT) | instid1(VALU_DEP_1)
	v_mul_f64 v[0:1], v[0:1], v[24:25]
	v_mul_f64 v[5:6], v[0:1], v[26:27]
	global_load_b128 v[24:27], v[8:9], off offset:80
	s_waitcnt lgkmcnt(0)
	v_mul_f64 v[28:29], v[0:1], v[28:29]
	ds_load_2addr_b64 v[36:39], v4 offset0:13 offset1:14
	ds_load_2addr_b64 v[40:43], v4 offset0:15 offset1:16
	v_fma_f64 v[2:3], v[2:3], s[4:5], -v[5:6]
	v_mul_f64 v[5:6], v[0:1], v[30:31]
	s_waitcnt vmcnt(4)
	v_fma_f64 v[12:13], v[12:13], s[4:5], -v[28:29]
	ds_load_b128 v[28:31], v4 offset:32
	ds_load_b128 v[44:47], v4 offset:48
	s_waitcnt lgkmcnt(1)
	v_mul_f64 v[28:29], v[0:1], v[28:29]
	v_mul_f64 v[30:31], v[0:1], v[30:31]
	s_waitcnt lgkmcnt(0)
	v_mul_f64 v[44:45], v[0:1], v[44:45]
	v_mul_f64 v[62:63], v[0:1], v[46:47]
	;; [unrolled: 1-line block ×3, first 2 shown]
	v_fma_f64 v[5:6], v[14:15], s[4:5], -v[5:6]
	s_waitcnt vmcnt(3)
	v_fma_f64 v[16:17], v[16:17], s[4:5], -v[28:29]
	v_fma_f64 v[18:19], v[18:19], s[4:5], -v[30:31]
	s_waitcnt vmcnt(2)
	v_fma_f64 v[64:65], v[20:21], s[4:5], -v[44:45]
	v_fma_f64 v[22:23], v[22:23], s[4:5], -v[62:63]
	v_fma_f64 v[48:49], -v[2:3], v[38:39], v[12:13]
	ds_load_b128 v[12:15], v4 offset:208
	ds_load_2addr_b64 v[36:39], v4 offset0:21 offset1:22
	v_fma_f64 v[5:6], -v[2:3], v[40:41], v[5:6]
	v_fma_f64 v[60:61], -v[2:3], v[42:43], v[16:17]
	s_waitcnt lgkmcnt(1)
	v_mul_f64 v[12:13], v[48:49], v[12:13]
	s_delay_alu instid0(VALU_DEP_1)
	v_fma_f64 v[5:6], -v[12:13], v[14:15], v[5:6]
	ds_load_2addr_b64 v[14:17], v4 offset0:17 offset1:18
	ds_load_b128 v[28:31], v4 offset:224
	ds_load_2addr_b64 v[40:43], v4 offset0:39 offset1:40
	ds_load_2addr_b64 v[48:51], v4 offset0:41 offset1:42
	ds_load_b128 v[52:55], v4 offset:240
	ds_load_2addr_b64 v[56:59], v4 offset0:19 offset1:20
	s_waitcnt lgkmcnt(5)
	v_fma_f64 v[66:67], -v[2:3], v[14:15], v[18:19]
	s_waitcnt lgkmcnt(4)
	v_fma_f64 v[28:29], -v[12:13], v[28:29], v[60:61]
	ds_load_b128 v[18:21], v4 offset:64
	ds_load_b128 v[44:47], v4 offset:80
	s_waitcnt lgkmcnt(2)
	v_fma_f64 v[22:23], -v[2:3], v[56:57], v[22:23]
	s_waitcnt lgkmcnt(1)
	v_mul_f64 v[20:21], v[0:1], v[20:21]
	v_mul_f64 v[14:15], v[5:6], v[40:41]
	v_mul_f64 v[5:6], v[0:1], v[18:19]
	v_fma_f64 v[40:41], -v[2:3], v[16:17], v[64:65]
	s_waitcnt lgkmcnt(0)
	v_mul_f64 v[44:45], v[0:1], v[44:45]
	v_fma_f64 v[60:61], -v[12:13], v[30:31], v[66:67]
	v_fma_f64 v[22:23], -v[12:13], v[54:55], v[22:23]
	v_fma_f64 v[42:43], -v[14:15], v[42:43], v[28:29]
	ds_load_b128 v[16:19], v4 offset:416
	ds_load_b128 v[28:31], v4 offset:432
	s_waitcnt vmcnt(1)
	v_fma_f64 v[5:6], v[32:33], s[4:5], -v[5:6]
	v_fma_f64 v[32:33], -v[12:13], v[52:53], v[40:41]
	v_fma_f64 v[40:41], -v[14:15], v[48:49], v[60:61]
	v_fma_f64 v[60:61], v[34:35], s[4:5], -v[20:21]
	s_waitcnt lgkmcnt(1)
	v_mul_f64 v[16:17], v[42:43], v[16:17]
	v_fma_f64 v[5:6], -v[2:3], v[58:59], v[5:6]
	v_fma_f64 v[62:63], -v[14:15], v[50:51], v[32:33]
	s_delay_alu instid0(VALU_DEP_4)
	v_fma_f64 v[36:37], -v[2:3], v[36:37], v[60:61]
	s_waitcnt vmcnt(0)
	v_fma_f64 v[24:25], v[24:25], s[4:5], -v[44:45]
	v_fma_f64 v[64:65], -v[16:17], v[18:19], v[40:41]
	ds_load_b128 v[18:21], v4 offset:256
	ds_load_2addr_b64 v[32:35], v4 offset0:43 offset1:44
	ds_load_2addr_b64 v[40:43], v4 offset0:65 offset1:66
	;; [unrolled: 1-line block ×4, first 2 shown]
	ds_load_b128 v[56:59], v4 offset:272
	s_waitcnt lgkmcnt(6)
	v_fma_f64 v[28:29], -v[16:17], v[28:29], v[62:63]
	s_waitcnt lgkmcnt(5)
	v_fma_f64 v[5:6], -v[12:13], v[18:19], v[5:6]
	;; [unrolled: 2-line block ×3, first 2 shown]
	v_mul_f64 v[32:33], v[0:1], v[46:47]
	v_fma_f64 v[44:45], -v[12:13], v[20:21], v[36:37]
	s_waitcnt lgkmcnt(3)
	v_mul_f64 v[18:19], v[64:65], v[40:41]
	v_fma_f64 v[40:41], -v[2:3], v[38:39], v[24:25]
	v_fma_f64 v[5:6], -v[14:15], v[34:35], v[5:6]
	;; [unrolled: 1-line block ×3, first 2 shown]
	v_fma_f64 v[60:61], v[26:27], s[4:5], -v[32:33]
	s_waitcnt lgkmcnt(1)
	v_fma_f64 v[44:45], -v[14:15], v[52:53], v[44:45]
	v_fma_f64 v[42:43], -v[18:19], v[42:43], v[28:29]
	ds_load_b128 v[20:23], v4 offset:448
	ds_load_b128 v[24:27], v4 offset:624
	ds_load_2addr_b64 v[28:31], v4 offset0:23 offset1:47
	ds_load_2addr_b64 v[32:35], v4 offset0:69 offset1:70
	ds_load_b128 v[36:39], v4 offset:464
	s_waitcnt lgkmcnt(5)
	v_fma_f64 v[40:41], -v[12:13], v[56:57], v[40:41]
	s_waitcnt lgkmcnt(4)
	v_fma_f64 v[5:6], -v[16:17], v[20:21], v[5:6]
	v_fma_f64 v[46:47], -v[18:19], v[48:49], v[46:47]
	;; [unrolled: 1-line block ×3, first 2 shown]
	s_waitcnt lgkmcnt(3)
	v_mul_f64 v[20:21], v[42:43], v[24:25]
	s_waitcnt lgkmcnt(2)
	v_fma_f64 v[24:25], -v[2:3], v[28:29], v[60:61]
	v_fma_f64 v[48:49], -v[14:15], v[54:55], v[40:41]
	;; [unrolled: 1-line block ×3, first 2 shown]
	s_waitcnt lgkmcnt(1)
	v_fma_f64 v[32:33], -v[18:19], v[32:33], v[52:53]
	v_fma_f64 v[50:51], -v[20:21], v[26:27], v[46:47]
	;; [unrolled: 1-line block ×3, first 2 shown]
	ds_load_b128 v[22:25], v4 offset:640
	ds_load_2addr_b64 v[26:29], v4 offset0:91 offset1:92
	ds_load_2addr_b64 v[40:43], v4 offset0:93 offset1:94
	ds_load_b128 v[44:47], v4 offset:656
	s_waitcnt lgkmcnt(4)
	v_fma_f64 v[36:37], -v[16:17], v[36:37], v[48:49]
	s_waitcnt lgkmcnt(3)
	v_fma_f64 v[5:6], -v[20:21], v[22:23], v[5:6]
	v_fma_f64 v[48:49], -v[20:21], v[24:25], v[32:33]
	s_waitcnt lgkmcnt(2)
	v_mul_f64 v[22:23], v[50:51], v[26:27]
	v_fma_f64 v[26:27], -v[14:15], v[30:31], v[54:55]
	v_fma_f64 v[36:37], -v[18:19], v[34:35], v[36:37]
	s_delay_alu instid0(VALU_DEP_3) | instskip(NEXT) | instid1(VALU_DEP_3)
	v_fma_f64 v[5:6], -v[22:23], v[28:29], v[5:6]
	v_fma_f64 v[38:39], -v[16:17], v[38:39], v[26:27]
	ds_load_b128 v[24:27], v4 offset:832
	ds_load_2addr_b64 v[28:31], v4 offset0:71 offset1:95
	ds_load_b128 v[32:35], v4 offset:848
	s_waitcnt lgkmcnt(3)
	v_fma_f64 v[36:37], -v[20:21], v[44:45], v[36:37]
	v_fma_f64 v[40:41], -v[22:23], v[40:41], v[48:49]
	s_waitcnt lgkmcnt(2)
	v_mul_f64 v[24:25], v[5:6], v[24:25]
	s_waitcnt lgkmcnt(1)
	v_fma_f64 v[5:6], -v[18:19], v[28:29], v[38:39]
	s_delay_alu instid0(VALU_DEP_4) | instskip(NEXT) | instid1(VALU_DEP_3)
	v_fma_f64 v[42:43], -v[22:23], v[42:43], v[36:37]
	v_fma_f64 v[40:41], -v[24:25], v[26:27], v[40:41]
	s_delay_alu instid0(VALU_DEP_3)
	v_fma_f64 v[5:6], -v[20:21], v[46:47], v[5:6]
	ds_load_2addr_b64 v[26:29], v4 offset0:117 offset1:118
	ds_load_b128 v[36:39], v4 offset:1040
	s_waitcnt lgkmcnt(2)
	v_fma_f64 v[32:33], -v[24:25], v[32:33], v[42:43]
	s_waitcnt lgkmcnt(1)
	v_mul_f64 v[26:27], v[40:41], v[26:27]
	v_fma_f64 v[5:6], -v[22:23], v[30:31], v[5:6]
	s_delay_alu instid0(VALU_DEP_2) | instskip(NEXT) | instid1(VALU_DEP_2)
	v_fma_f64 v[28:29], -v[26:27], v[28:29], v[32:33]
	v_fma_f64 v[30:31], -v[24:25], v[34:35], v[5:6]
	ds_load_2addr_b64 v[4:7], v4 offset0:119 offset1:143
	s_clause 0x3
	global_store_b128 v[8:9], v[0:3], off
	global_store_b128 v[8:9], v[12:15], off offset:16
	global_store_b128 v[8:9], v[16:19], off offset:32
	;; [unrolled: 1-line block ×3, first 2 shown]
	s_waitcnt lgkmcnt(1)
	v_mul_f64 v[28:29], v[28:29], v[36:37]
	s_waitcnt lgkmcnt(0)
	v_fma_f64 v[4:5], -v[26:27], v[4:5], v[30:31]
	s_delay_alu instid0(VALU_DEP_1) | instskip(NEXT) | instid1(VALU_DEP_1)
	v_fma_f64 v[4:5], -v[28:29], v[38:39], v[4:5]
	v_mul_f64 v[30:31], v[4:5], v[6:7]
	s_clause 0x1
	global_store_b128 v[8:9], v[24:27], off offset:64
	global_store_b128 v[8:9], v[28:31], off offset:80
	s_cmp_lt_i32 s6, s2
	s_cbranch_scc1 .LBB80_38
	s_branch .LBB80_57
.LBB80_37:
	s_mov_b32 s6, 0
	s_delay_alu instid0(SALU_CYCLE_1)
	s_cmp_lt_i32 s6, s2
	s_cbranch_scc0 .LBB80_57
.LBB80_38:
	s_add_i32 s7, s6, 7
	s_delay_alu instid0(SALU_CYCLE_1)
	s_cmp_ge_u32 s7, s2
	s_cbranch_scc1 .LBB80_46
; %bb.39:
	s_lshl_b32 s8, s6, 3
	s_delay_alu instid0(SALU_CYCLE_1)
	v_add_co_u32 v0, vcc_lo, v8, s8
	v_add_co_ci_u32_e32 v1, vcc_lo, 0, v9, vcc_lo
	s_and_not1_b32 vcc_lo, exec_lo, s3
	s_mov_b32 s3, 0
	s_clause 0x3
	global_load_b128 v[2:5], v[0:1], off
	global_load_b128 v[12:15], v[0:1], off offset:16
	global_load_b128 v[22:25], v[0:1], off offset:32
	;; [unrolled: 1-line block ×3, first 2 shown]
	s_waitcnt vmcnt(3)
	v_mul_f64 v[20:21], v[2:3], s[4:5]
	v_mul_f64 v[18:19], v[4:5], s[4:5]
	s_waitcnt vmcnt(2)
	v_mul_f64 v[16:17], v[12:13], s[4:5]
	v_mul_f64 v[14:15], v[14:15], s[4:5]
	;; [unrolled: 3-line block ×4, first 2 shown]
	s_cbranch_vccnz .LBB80_45
; %bb.40:
	s_max_u32 s9, s6, 1
	s_delay_alu instid0(SALU_CYCLE_1)
	s_cmp_eq_u32 s9, 1
	s_cbranch_scc1 .LBB80_43
; %bb.41:
	s_and_b32 s3, s9, 12
	s_add_u32 s10, s12, s0
	s_addc_u32 s11, s13, s1
	v_add_co_u32 v22, vcc_lo, s10, v10
	v_add_co_ci_u32_e32 v23, vcc_lo, s11, v11, vcc_lo
	s_mov_b32 s10, 0
	s_delay_alu instid0(VALU_DEP_2) | instskip(NEXT) | instid1(VALU_DEP_2)
	v_add_co_u32 v22, vcc_lo, v22, 8
	v_add_co_ci_u32_e32 v23, vcc_lo, 0, v23, vcc_lo
.LBB80_42:                              ; =>This Inner Loop Header: Depth=1
	global_load_b128 v[24:27], v[22:23], off offset:-8
	v_mov_b32_e32 v46, s8
	v_add_co_u32 v22, vcc_lo, v22, 16
	v_add_co_ci_u32_e32 v23, vcc_lo, 0, v23, vcc_lo
	ds_load_b128 v[28:31], v46
	ds_load_b128 v[32:35], v46 offset:16
	ds_load_b128 v[36:39], v46 offset:32
	;; [unrolled: 1-line block ×3, first 2 shown]
	s_add_i32 s10, s10, 2
	s_addk_i32 s8, 0xc0
	s_cmp_lg_u32 s3, s10
	s_waitcnt vmcnt(0) lgkmcnt(3)
	v_fma_f64 v[20:21], -v[24:25], v[28:29], v[20:21]
	v_fma_f64 v[18:19], -v[24:25], v[30:31], v[18:19]
	s_waitcnt lgkmcnt(2)
	v_fma_f64 v[16:17], -v[24:25], v[32:33], v[16:17]
	v_fma_f64 v[44:45], -v[24:25], v[34:35], v[14:15]
	s_waitcnt lgkmcnt(1)
	v_fma_f64 v[36:37], -v[24:25], v[36:37], v[12:13]
	v_fma_f64 v[6:7], -v[24:25], v[38:39], v[6:7]
	s_waitcnt lgkmcnt(0)
	v_fma_f64 v[38:39], -v[24:25], v[40:41], v[4:5]
	v_fma_f64 v[24:25], -v[24:25], v[42:43], v[2:3]
	ds_load_b128 v[2:5], v46 offset:96
	ds_load_b128 v[12:15], v46 offset:112
	;; [unrolled: 1-line block ×4, first 2 shown]
	s_waitcnt lgkmcnt(3)
	v_fma_f64 v[20:21], -v[26:27], v[2:3], v[20:21]
	v_fma_f64 v[18:19], -v[26:27], v[4:5], v[18:19]
	s_waitcnt lgkmcnt(2)
	v_fma_f64 v[16:17], -v[26:27], v[12:13], v[16:17]
	v_fma_f64 v[14:15], -v[26:27], v[14:15], v[44:45]
	;; [unrolled: 3-line block ×4, first 2 shown]
	s_cbranch_scc1 .LBB80_42
.LBB80_43:
	s_bitcmp0_b32 s9, 0
	s_cbranch_scc1 .LBB80_45
; %bb.44:
	s_lshl_b32 s8, s3, 3
	s_mul_i32 s3, s3, 12
	v_add_co_u32 v22, vcc_lo, v8, s8
	v_add_co_ci_u32_e32 v23, vcc_lo, 0, v9, vcc_lo
	s_add_i32 s3, s3, s6
	s_delay_alu instid0(SALU_CYCLE_1)
	s_lshl_b32 s3, s3, 3
	global_load_b64 v[38:39], v[22:23], off
	v_mov_b32_e32 v34, s3
	ds_load_b128 v[22:25], v34
	ds_load_b128 v[26:29], v34 offset:16
	ds_load_b128 v[30:33], v34 offset:32
	;; [unrolled: 1-line block ×3, first 2 shown]
	s_waitcnt vmcnt(0) lgkmcnt(3)
	v_fma_f64 v[20:21], -v[38:39], v[22:23], v[20:21]
	v_fma_f64 v[18:19], -v[38:39], v[24:25], v[18:19]
	s_waitcnt lgkmcnt(2)
	v_fma_f64 v[16:17], -v[38:39], v[26:27], v[16:17]
	v_fma_f64 v[14:15], -v[38:39], v[28:29], v[14:15]
	s_waitcnt lgkmcnt(1)
	;; [unrolled: 3-line block ×3, first 2 shown]
	v_fma_f64 v[4:5], -v[38:39], v[34:35], v[4:5]
	v_fma_f64 v[2:3], -v[38:39], v[36:37], v[2:3]
.LBB80_45:
	s_mul_i32 s3, s6, 0x68
	s_add_i32 s6, s6, 8
	v_mov_b32_e32 v46, s3
	s_mul_i32 s3, s7, 0x68
	ds_load_b128 v[22:25], v46
	ds_load_b128 v[26:29], v46 offset:16
	s_waitcnt lgkmcnt(1)
	v_mul_f64 v[20:21], v[20:21], v[22:23]
	s_delay_alu instid0(VALU_DEP_1)
	v_fma_f64 v[18:19], -v[20:21], v[24:25], v[18:19]
	ds_load_2addr_b64 v[22:25], v46 offset0:13 offset1:14
	ds_load_2addr_b64 v[30:33], v46 offset0:15 offset1:16
	s_waitcnt lgkmcnt(2)
	v_fma_f64 v[16:17], -v[20:21], v[26:27], v[16:17]
	s_waitcnt lgkmcnt(1)
	v_mul_f64 v[22:23], v[18:19], v[22:23]
	v_fma_f64 v[18:19], -v[20:21], v[28:29], v[14:15]
	s_delay_alu instid0(VALU_DEP_2)
	v_fma_f64 v[28:29], -v[22:23], v[24:25], v[16:17]
	ds_load_b128 v[14:17], v46 offset:32
	ds_load_b128 v[24:27], v46 offset:208
	;; [unrolled: 1-line block ×3, first 2 shown]
	ds_load_2addr_b64 v[38:41], v46 offset0:17 offset1:18
	s_waitcnt lgkmcnt(4)
	v_fma_f64 v[18:19], -v[22:23], v[30:31], v[18:19]
	s_waitcnt lgkmcnt(3)
	v_fma_f64 v[14:15], -v[20:21], v[14:15], v[12:13]
	v_fma_f64 v[6:7], -v[20:21], v[16:17], v[6:7]
	s_waitcnt lgkmcnt(1)
	v_fma_f64 v[4:5], -v[20:21], v[34:35], v[4:5]
	v_fma_f64 v[36:37], -v[20:21], v[36:37], v[2:3]
	v_mul_f64 v[12:13], v[28:29], v[24:25]
	v_fma_f64 v[32:33], -v[22:23], v[32:33], v[14:15]
	s_waitcnt lgkmcnt(0)
	v_fma_f64 v[6:7], -v[22:23], v[38:39], v[6:7]
	v_fma_f64 v[34:35], -v[22:23], v[40:41], v[4:5]
	s_delay_alu instid0(VALU_DEP_4)
	v_fma_f64 v[18:19], -v[12:13], v[26:27], v[18:19]
	ds_load_b128 v[14:17], v46 offset:224
	ds_load_2addr_b64 v[24:27], v46 offset0:39 offset1:40
	ds_load_2addr_b64 v[28:31], v46 offset0:41 offset1:42
	ds_load_b128 v[42:45], v46 offset:240
	s_waitcnt lgkmcnt(3)
	v_fma_f64 v[32:33], -v[12:13], v[14:15], v[32:33]
	v_fma_f64 v[6:7], -v[12:13], v[16:17], v[6:7]
	s_waitcnt lgkmcnt(0)
	v_fma_f64 v[34:35], -v[12:13], v[42:43], v[34:35]
	v_mul_f64 v[14:15], v[18:19], v[24:25]
	s_delay_alu instid0(VALU_DEP_1)
	v_fma_f64 v[32:33], -v[14:15], v[26:27], v[32:33]
	ds_load_b128 v[2:5], v46 offset:416
	ds_load_2addr_b64 v[16:19], v46 offset0:19 offset1:43
	ds_load_b128 v[24:27], v46 offset:432
	v_fma_f64 v[6:7], -v[14:15], v[28:29], v[6:7]
	v_fma_f64 v[28:29], -v[14:15], v[30:31], v[34:35]
	s_waitcnt lgkmcnt(1)
	v_fma_f64 v[16:17], -v[22:23], v[16:17], v[36:37]
	v_mul_f64 v[2:3], v[32:33], v[2:3]
	s_delay_alu instid0(VALU_DEP_2) | instskip(NEXT) | instid1(VALU_DEP_2)
	v_fma_f64 v[16:17], -v[12:13], v[44:45], v[16:17]
	v_fma_f64 v[30:31], -v[2:3], v[4:5], v[6:7]
	ds_load_2addr_b64 v[4:7], v46 offset0:65 offset1:78
	s_waitcnt lgkmcnt(1)
	v_fma_f64 v[24:25], -v[2:3], v[24:25], v[28:29]
	v_fma_f64 v[28:29], -v[14:15], v[18:19], v[16:17]
	s_waitcnt lgkmcnt(0)
	v_mul_f64 v[4:5], v[30:31], v[4:5]
	ds_load_b128 v[16:19], v46 offset:528
	ds_load_b64 v[30:31], v46 offset:632
	s_waitcnt lgkmcnt(1)
	v_fma_f64 v[16:17], -v[4:5], v[16:17], v[24:25]
	v_fma_f64 v[24:25], -v[2:3], v[26:27], v[28:29]
	s_delay_alu instid0(VALU_DEP_2) | instskip(NEXT) | instid1(VALU_DEP_2)
	v_mul_f64 v[16:17], v[16:17], v[6:7]
	v_fma_f64 v[6:7], -v[4:5], v[18:19], v[24:25]
	v_mov_b32_e32 v18, s3
	ds_load_b64 v[18:19], v18
	s_clause 0x1
	global_store_b128 v[0:1], v[20:23], off
	global_store_b128 v[0:1], v[12:15], off offset:16
	s_waitcnt lgkmcnt(1)
	v_fma_f64 v[6:7], -v[16:17], v[30:31], v[6:7]
	s_waitcnt lgkmcnt(0)
	s_delay_alu instid0(VALU_DEP_1)
	v_mul_f64 v[18:19], v[6:7], v[18:19]
	s_clause 0x1
	global_store_b128 v[0:1], v[2:5], off offset:32
	global_store_b128 v[0:1], v[16:19], off offset:48
.LBB80_46:
	s_cmp_ge_i32 s6, s2
	s_cbranch_scc1 .LBB80_57
; %bb.47:
	s_add_i32 s3, s6, -1
	s_lshl_b32 s8, s6, 3
	s_add_u32 s0, s12, s0
	s_addc_u32 s1, s13, s1
	v_add_co_u32 v10, vcc_lo, s0, v10
	v_add_co_ci_u32_e32 v11, vcc_lo, s1, v11, vcc_lo
	s_mov_b32 s1, 0
	s_delay_alu instid0(VALU_DEP_2) | instskip(NEXT) | instid1(VALU_DEP_2)
	v_add_co_u32 v0, vcc_lo, v10, 56
	v_add_co_ci_u32_e32 v1, vcc_lo, 0, v11, vcc_lo
	s_mov_b32 s10, s6
	s_mov_b32 s9, 0
	s_branch .LBB80_49
.LBB80_48:                              ;   in Loop: Header=BB80_49 Depth=1
	s_mul_i32 s0, s6, 0x68
	s_add_i32 s6, s6, 1
	v_mov_b32_e32 v6, s0
	s_add_i32 s9, s9, 1
	s_add_i32 s8, s8, 8
	s_cmp_ge_i32 s6, s2
	ds_load_b64 v[6:7], v6
	s_waitcnt lgkmcnt(0)
	v_mul_f64 v[4:5], v[4:5], v[6:7]
	v_add_nc_u16 v6, s10, 1
	s_delay_alu instid0(VALU_DEP_1)
	v_readfirstlane_b32 s10, v6
	global_store_b64 v[2:3], v[4:5], off
	s_cbranch_scc1 .LBB80_57
.LBB80_49:                              ; =>This Loop Header: Depth=1
                                        ;     Child Loop BB80_52 Depth 2
                                        ;     Child Loop BB80_56 Depth 2
	s_ashr_i32 s7, s6, 31
	s_delay_alu instid0(SALU_CYCLE_1)
	s_lshl_b64 s[12:13], s[6:7], 3
	s_cmp_eq_u32 s6, 0
	v_add_co_u32 v2, vcc_lo, v8, s12
	v_add_co_ci_u32_e32 v3, vcc_lo, s13, v9, vcc_lo
	global_load_b64 v[4:5], v[2:3], off
	s_waitcnt vmcnt(0)
	v_mul_f64 v[4:5], v[4:5], s[4:5]
	s_cbranch_scc1 .LBB80_48
; %bb.50:                               ;   in Loop: Header=BB80_49 Depth=1
	s_add_i32 s0, s3, s9
	s_delay_alu instid0(SALU_CYCLE_1)
	s_cmp_lt_u32 s0, 7
	s_cbranch_scc1 .LBB80_54
; %bb.51:                               ;   in Loop: Header=BB80_49 Depth=1
	v_dual_mov_b32 v7, v1 :: v_dual_mov_b32 v6, v0
	s_and_b32 s0, s6, -8
	s_mov_b32 s7, 0
	s_mov_b32 s11, s8
	s_set_inst_prefetch_distance 0x1
	.p2align	6
.LBB80_52:                              ;   Parent Loop BB80_49 Depth=1
                                        ; =>  This Inner Loop Header: Depth=2
	s_clause 0x3
	global_load_b128 v[12:15], v[6:7], off offset:-56
	global_load_b128 v[16:19], v[6:7], off offset:-40
	;; [unrolled: 1-line block ×4, first 2 shown]
	v_mov_b32_e32 v32, s11
	v_add_co_u32 v6, vcc_lo, v6, 64
	v_add_co_ci_u32_e32 v7, vcc_lo, 0, v7, vcc_lo
	ds_load_2addr_b64 v[28:31], v32 offset1:12
	s_add_i32 s7, s7, 8
	s_addk_i32 s11, 0x300
	s_cmp_lg_u32 s0, s7
	s_waitcnt vmcnt(3) lgkmcnt(0)
	v_fma_f64 v[4:5], -v[12:13], v[28:29], v[4:5]
	s_delay_alu instid0(VALU_DEP_1) | instskip(SKIP_3) | instid1(VALU_DEP_1)
	v_fma_f64 v[4:5], -v[14:15], v[30:31], v[4:5]
	ds_load_2addr_b64 v[12:15], v32 offset0:24 offset1:36
	s_waitcnt vmcnt(2) lgkmcnt(0)
	v_fma_f64 v[4:5], -v[16:17], v[12:13], v[4:5]
	v_fma_f64 v[4:5], -v[18:19], v[14:15], v[4:5]
	ds_load_2addr_b64 v[12:15], v32 offset0:48 offset1:60
	s_waitcnt vmcnt(1) lgkmcnt(0)
	v_fma_f64 v[4:5], -v[20:21], v[12:13], v[4:5]
	s_delay_alu instid0(VALU_DEP_1) | instskip(SKIP_3) | instid1(VALU_DEP_1)
	v_fma_f64 v[4:5], -v[22:23], v[14:15], v[4:5]
	ds_load_2addr_b64 v[12:15], v32 offset0:72 offset1:84
	s_waitcnt vmcnt(0) lgkmcnt(0)
	v_fma_f64 v[4:5], -v[24:25], v[12:13], v[4:5]
	v_fma_f64 v[4:5], -v[26:27], v[14:15], v[4:5]
	s_cbranch_scc1 .LBB80_52
; %bb.53:                               ;   in Loop: Header=BB80_49 Depth=1
	s_set_inst_prefetch_distance 0x2
	s_and_b32 s7, s6, 7
	s_delay_alu instid0(SALU_CYCLE_1)
	s_cmp_eq_u32 s7, 0
	s_cbranch_scc0 .LBB80_55
	s_branch .LBB80_48
.LBB80_54:                              ;   in Loop: Header=BB80_49 Depth=1
	s_mov_b32 s0, 0
	s_and_b32 s7, s6, 7
	s_delay_alu instid0(SALU_CYCLE_1)
	s_cmp_eq_u32 s7, 0
	s_cbranch_scc1 .LBB80_48
.LBB80_55:                              ;   in Loop: Header=BB80_49 Depth=1
	s_lshl_b64 s[12:13], s[0:1], 3
	s_and_b32 s7, s10, 7
	v_add_co_u32 v6, vcc_lo, v10, s12
	v_add_co_ci_u32_e32 v7, vcc_lo, s13, v11, vcc_lo
	s_mulk_i32 s0, 0x60
.LBB80_56:                              ;   Parent Loop BB80_49 Depth=1
                                        ; =>  This Inner Loop Header: Depth=2
	global_load_b64 v[12:13], v[6:7], off
	s_add_i32 s11, s8, s0
	v_add_co_u32 v6, vcc_lo, v6, 8
	v_mov_b32_e32 v14, s11
	v_add_co_ci_u32_e32 v7, vcc_lo, 0, v7, vcc_lo
	s_add_i32 s7, s7, -1
	s_addk_i32 s0, 0x60
	ds_load_b64 v[14:15], v14
	s_cmp_lg_u32 s7, 0
	s_waitcnt vmcnt(0) lgkmcnt(0)
	v_fma_f64 v[4:5], -v[12:13], v[14:15], v[4:5]
	s_cbranch_scc1 .LBB80_56
	s_branch .LBB80_48
.LBB80_57:
	s_nop 0
	s_sendmsg sendmsg(MSG_DEALLOC_VGPRS)
	s_endpgm
	.section	.rodata,"a",@progbits
	.p2align	6, 0x0
	.amdhsa_kernel _ZL30rocblas_trsm_small_left_deviceILi12ELi12ELb1EddPKPKdPKPdEv13rocblas_fill_18rocblas_operation_17rocblas_diagonal_iiT3_T4_lilT5_lili
		.amdhsa_group_segment_fixed_size 1152
		.amdhsa_private_segment_fixed_size 0
		.amdhsa_kernarg_size 360
		.amdhsa_user_sgpr_count 14
		.amdhsa_user_sgpr_dispatch_ptr 0
		.amdhsa_user_sgpr_queue_ptr 0
		.amdhsa_user_sgpr_kernarg_segment_ptr 1
		.amdhsa_user_sgpr_dispatch_id 0
		.amdhsa_user_sgpr_private_segment_size 0
		.amdhsa_wavefront_size32 1
		.amdhsa_uses_dynamic_stack 0
		.amdhsa_enable_private_segment 0
		.amdhsa_system_sgpr_workgroup_id_x 1
		.amdhsa_system_sgpr_workgroup_id_y 0
		.amdhsa_system_sgpr_workgroup_id_z 1
		.amdhsa_system_sgpr_workgroup_info 0
		.amdhsa_system_vgpr_workitem_id 0
		.amdhsa_next_free_vgpr 68
		.amdhsa_next_free_sgpr 32
		.amdhsa_reserve_vcc 1
		.amdhsa_float_round_mode_32 0
		.amdhsa_float_round_mode_16_64 0
		.amdhsa_float_denorm_mode_32 3
		.amdhsa_float_denorm_mode_16_64 3
		.amdhsa_dx10_clamp 1
		.amdhsa_ieee_mode 1
		.amdhsa_fp16_overflow 0
		.amdhsa_workgroup_processor_mode 1
		.amdhsa_memory_ordered 1
		.amdhsa_forward_progress 0
		.amdhsa_shared_vgpr_count 0
		.amdhsa_exception_fp_ieee_invalid_op 0
		.amdhsa_exception_fp_denorm_src 0
		.amdhsa_exception_fp_ieee_div_zero 0
		.amdhsa_exception_fp_ieee_overflow 0
		.amdhsa_exception_fp_ieee_underflow 0
		.amdhsa_exception_fp_ieee_inexact 0
		.amdhsa_exception_int_div_zero 0
	.end_amdhsa_kernel
	.section	.text._ZL30rocblas_trsm_small_left_deviceILi12ELi12ELb1EddPKPKdPKPdEv13rocblas_fill_18rocblas_operation_17rocblas_diagonal_iiT3_T4_lilT5_lili,"axG",@progbits,_ZL30rocblas_trsm_small_left_deviceILi12ELi12ELb1EddPKPKdPKPdEv13rocblas_fill_18rocblas_operation_17rocblas_diagonal_iiT3_T4_lilT5_lili,comdat
.Lfunc_end80:
	.size	_ZL30rocblas_trsm_small_left_deviceILi12ELi12ELb1EddPKPKdPKPdEv13rocblas_fill_18rocblas_operation_17rocblas_diagonal_iiT3_T4_lilT5_lili, .Lfunc_end80-_ZL30rocblas_trsm_small_left_deviceILi12ELi12ELb1EddPKPKdPKPdEv13rocblas_fill_18rocblas_operation_17rocblas_diagonal_iiT3_T4_lilT5_lili
                                        ; -- End function
	.section	.AMDGPU.csdata,"",@progbits
; Kernel info:
; codeLenInByte = 8068
; NumSgprs: 34
; NumVgprs: 68
; ScratchSize: 0
; MemoryBound: 1
; FloatMode: 240
; IeeeMode: 1
; LDSByteSize: 1152 bytes/workgroup (compile time only)
; SGPRBlocks: 4
; VGPRBlocks: 8
; NumSGPRsForWavesPerEU: 34
; NumVGPRsForWavesPerEU: 68
; Occupancy: 16
; WaveLimiterHint : 1
; COMPUTE_PGM_RSRC2:SCRATCH_EN: 0
; COMPUTE_PGM_RSRC2:USER_SGPR: 14
; COMPUTE_PGM_RSRC2:TRAP_HANDLER: 0
; COMPUTE_PGM_RSRC2:TGID_X_EN: 1
; COMPUTE_PGM_RSRC2:TGID_Y_EN: 0
; COMPUTE_PGM_RSRC2:TGID_Z_EN: 1
; COMPUTE_PGM_RSRC2:TIDIG_COMP_CNT: 0
	.section	.text._ZL31rocblas_trsm_small_right_deviceIddPKPKdPKPdLi12EEv13rocblas_fill_18rocblas_operation_17rocblas_diagonal_iiT0_T1_lilT2_lili,"axG",@progbits,_ZL31rocblas_trsm_small_right_deviceIddPKPKdPKPdLi12EEv13rocblas_fill_18rocblas_operation_17rocblas_diagonal_iiT0_T1_lilT2_lili,comdat
	.globl	_ZL31rocblas_trsm_small_right_deviceIddPKPKdPKPdLi12EEv13rocblas_fill_18rocblas_operation_17rocblas_diagonal_iiT0_T1_lilT2_lili ; -- Begin function _ZL31rocblas_trsm_small_right_deviceIddPKPKdPKPdLi12EEv13rocblas_fill_18rocblas_operation_17rocblas_diagonal_iiT0_T1_lilT2_lili
	.p2align	8
	.type	_ZL31rocblas_trsm_small_right_deviceIddPKPKdPKPdLi12EEv13rocblas_fill_18rocblas_operation_17rocblas_diagonal_iiT0_T1_lilT2_lili,@function
_ZL31rocblas_trsm_small_right_deviceIddPKPKdPKPdLi12EEv13rocblas_fill_18rocblas_operation_17rocblas_diagonal_iiT0_T1_lilT2_lili: ; @_ZL31rocblas_trsm_small_right_deviceIddPKPKdPKPdLi12EEv13rocblas_fill_18rocblas_operation_17rocblas_diagonal_iiT0_T1_lilT2_lili
; %bb.0:
	s_load_b128 s[16:19], s[0:1], 0x40
	s_mov_b32 s12, s15
	s_mov_b32 s13, 0
	s_clause 0x1
	s_load_b32 s28, s[0:1], 0x10
	s_load_b128 s[4:7], s[0:1], 0x0
	s_lshl_b64 s[22:23], s[12:13], 3
	s_mov_b32 s12, exec_lo
	s_waitcnt lgkmcnt(0)
	s_add_u32 s2, s16, s22
	s_addc_u32 s3, s17, s23
	s_clause 0x1
	s_load_b128 s[8:11], s[0:1], 0x18
	s_load_b64 s[16:17], s[0:1], 0x28
	s_load_b64 s[2:3], s[2:3], 0x0
	s_min_i32 s29, s28, 12
	s_delay_alu instid0(SALU_CYCLE_1)
	s_add_i32 s30, s29, -1
	v_cmpx_gt_i32_e64 s29, v0
	s_cbranch_execz .LBB81_9
; %bb.1:
	s_load_b32 s20, s[0:1], 0x30
	s_waitcnt lgkmcnt(0)
	s_ashr_i32 s21, s20, 31
	s_add_u32 s10, s10, s22
	s_addc_u32 s11, s11, s23
	s_cmp_lt_u32 s30, 3
	s_load_b64 s[10:11], s[10:11], 0x0
	s_cbranch_scc1 .LBB81_4
; %bb.2:
	v_lshlrev_b32_e32 v3, 3, v0
	s_lshl_b64 s[22:23], s[16:17], 3
	s_mul_i32 s31, s20, 24
	s_waitcnt lgkmcnt(0)
	s_add_u32 s13, s10, s22
	s_addc_u32 s15, s11, s23
	v_add_co_u32 v1, s13, s13, v3
	s_delay_alu instid0(VALU_DEP_1)
	v_add_co_ci_u32_e64 v2, null, s15, 0, s13
	s_and_b32 s13, s29, -4
	s_mul_hi_i32 s15, s20, 24
	s_lshl_b64 s[22:23], s[20:21], 5
	s_lshl_b64 s[24:25], s[20:21], 4
	;; [unrolled: 1-line block ×3, first 2 shown]
	s_mov_b32 s33, 0
	.p2align	6
.LBB81_3:                               ; =>This Inner Loop Header: Depth=1
	v_add_co_u32 v4, vcc_lo, v1, s26
	v_add_co_ci_u32_e32 v5, vcc_lo, s27, v2, vcc_lo
	v_add_co_u32 v6, vcc_lo, v1, s24
	v_add_co_ci_u32_e32 v7, vcc_lo, s25, v2, vcc_lo
	;; [unrolled: 2-line block ×3, first 2 shown]
	s_clause 0x3
	global_load_b64 v[10:11], v[1:2], off
	global_load_b64 v[4:5], v[4:5], off
	;; [unrolled: 1-line block ×4, first 2 shown]
	v_add_co_u32 v1, vcc_lo, v1, s22
	v_add_co_ci_u32_e32 v2, vcc_lo, s23, v2, vcc_lo
	s_add_i32 s33, s33, 4
	s_waitcnt vmcnt(2)
	ds_store_2addr_b64 v3, v[10:11], v[4:5] offset1:12
	s_waitcnt vmcnt(0)
	ds_store_2addr_b64 v3, v[6:7], v[8:9] offset0:24 offset1:36
	v_add_nc_u32_e32 v3, 0x180, v3
	s_cmp_eq_u32 s13, s33
	s_cbranch_scc0 .LBB81_3
.LBB81_4:
	s_and_b32 s15, s29, 3
	s_delay_alu instid0(SALU_CYCLE_1)
	s_cmp_eq_u32 s15, 0
	s_cbranch_scc1 .LBB81_7
; %bb.5:
	s_mul_i32 s22, s21, s13
	s_mul_hi_u32 s23, s20, s13
	s_lshl_b64 s[16:17], s[16:17], 3
	s_add_i32 s23, s23, s22
	s_mul_i32 s22, s20, s13
	s_mulk_i32 s13, 0x60
	s_lshl_b64 s[22:23], s[22:23], 3
	v_lshlrev_b32_e32 v1, 3, v0
	v_lshl_add_u32 v3, v0, 3, s13
	s_add_u32 s13, s22, s16
	s_addc_u32 s16, s23, s17
	s_waitcnt lgkmcnt(0)
	s_add_u32 s10, s10, s13
	s_addc_u32 s11, s11, s16
	v_add_co_u32 v1, s10, s10, v1
	s_delay_alu instid0(VALU_DEP_1)
	v_add_co_ci_u32_e64 v2, null, s11, 0, s10
	s_lshl_b64 s[10:11], s[20:21], 3
.LBB81_6:                               ; =>This Inner Loop Header: Depth=1
	global_load_b64 v[4:5], v[1:2], off
	v_add_co_u32 v1, vcc_lo, v1, s10
	v_add_co_ci_u32_e32 v2, vcc_lo, s11, v2, vcc_lo
	s_add_i32 s15, s15, -1
	s_delay_alu instid0(SALU_CYCLE_1)
	s_cmp_lg_u32 s15, 0
	s_waitcnt vmcnt(0)
	ds_store_b64 v3, v[4:5]
	v_add_nc_u32_e32 v3, 0x60, v3
	s_cbranch_scc1 .LBB81_6
.LBB81_7:
	s_cmpk_eq_i32 s6, 0x84
	s_cbranch_scc0 .LBB81_9
; %bb.8:
	v_mul_u32_u24_e32 v2, 13, v0
	v_mov_b32_e32 v1, 0
	s_delay_alu instid0(VALU_DEP_2)
	v_dual_mov_b32 v2, 0x3ff00000 :: v_dual_lshlrev_b32 v3, 3, v2
	ds_store_b64 v3, v[1:2]
.LBB81_9:
	s_or_b32 exec_lo, exec_lo, s12
	s_clause 0x1
	s_load_b32 s6, s[0:1], 0x68
	s_load_b32 s0, s[0:1], 0x50
	s_waitcnt lgkmcnt(0)
	s_lshl_b64 s[10:11], s[18:19], 3
	s_mul_i32 s13, s14, -12
	s_add_u32 s1, s2, s10
	s_addc_u32 s12, s3, s11
	s_add_i32 s13, s13, s7
	s_mul_i32 s16, s14, 0x60
	s_mul_hi_i32 s17, s14, 0x60
	s_mov_b32 s22, 0
	s_add_i32 s6, s6, -1
	s_delay_alu instid0(SALU_CYCLE_1)
	s_cmp_ge_u32 s14, s6
	s_cselect_b32 s6, s13, 12
	s_add_u32 s18, s1, s16
	s_addc_u32 s19, s12, s17
	v_cmp_gt_i32_e32 vcc_lo, s6, v0
	s_cmp_gt_i32 s28, 0
	s_cselect_b32 s1, -1, 0
	s_delay_alu instid0(SALU_CYCLE_1) | instskip(NEXT) | instid1(SALU_CYCLE_1)
	s_and_b32 s20, vcc_lo, s1
	s_and_saveexec_b32 s21, s20
	s_cbranch_execz .LBB81_16
; %bb.10:
	s_ashr_i32 s1, s0, 31
	s_cmp_lt_u32 s28, 4
	s_cbranch_scc1 .LBB81_13
; %bb.11:
	v_lshlrev_b32_e32 v1, 3, v0
	v_lshl_or_b32 v3, v0, 3, 0x480
	s_and_b32 s22, s28, 0x7ffffffc
	s_mul_hi_i32 s23, s0, 24
	s_mul_i32 s24, s0, 24
	v_add_co_u32 v1, s6, s18, v1
	s_delay_alu instid0(VALU_DEP_1)
	v_add_co_ci_u32_e64 v2, null, s19, 0, s6
	s_lshl_b64 s[6:7], s[0:1], 5
	s_lshl_b64 s[12:13], s[0:1], 4
	;; [unrolled: 1-line block ×3, first 2 shown]
	s_mov_b32 s25, 0
	s_set_inst_prefetch_distance 0x1
	.p2align	6
.LBB81_12:                              ; =>This Inner Loop Header: Depth=1
	v_add_co_u32 v4, vcc_lo, v1, s14
	v_add_co_ci_u32_e32 v5, vcc_lo, s15, v2, vcc_lo
	v_add_co_u32 v6, vcc_lo, v1, s12
	v_add_co_ci_u32_e32 v7, vcc_lo, s13, v2, vcc_lo
	;; [unrolled: 2-line block ×3, first 2 shown]
	s_clause 0x3
	global_load_b64 v[10:11], v[1:2], off
	global_load_b64 v[4:5], v[4:5], off
	;; [unrolled: 1-line block ×4, first 2 shown]
	v_add_co_u32 v1, vcc_lo, v1, s6
	v_add_co_ci_u32_e32 v2, vcc_lo, s7, v2, vcc_lo
	s_add_i32 s25, s25, 4
	s_delay_alu instid0(SALU_CYCLE_1)
	s_cmp_lg_u32 s22, s25
	s_waitcnt vmcnt(3)
	v_mul_f64 v[10:11], v[10:11], s[8:9]
	s_waitcnt vmcnt(2)
	v_mul_f64 v[4:5], v[4:5], s[8:9]
	;; [unrolled: 2-line block ×4, first 2 shown]
	ds_store_2addr_b64 v3, v[10:11], v[4:5] offset1:12
	ds_store_2addr_b64 v3, v[6:7], v[8:9] offset0:24 offset1:36
	v_add_nc_u32_e32 v3, 0x180, v3
	s_cbranch_scc1 .LBB81_12
.LBB81_13:
	s_set_inst_prefetch_distance 0x2
	s_and_b32 s12, s28, 3
	s_delay_alu instid0(SALU_CYCLE_1)
	s_cmp_eq_u32 s12, 0
	s_cbranch_scc1 .LBB81_16
; %bb.14:
	s_mul_hi_i32 s7, s0, s22
	s_mul_i32 s6, s0, s22
	v_lshlrev_b32_e32 v1, 3, v0
	s_lshl_b64 s[6:7], s[6:7], 3
	s_mul_i32 s13, s22, 0x60
	s_add_u32 s6, s6, s16
	s_addc_u32 s7, s7, s17
	s_add_u32 s6, s6, s10
	s_addc_u32 s7, s7, s11
	s_add_u32 s6, s2, s6
	v_add3_u32 v3, s13, v1, 0x480
	s_addc_u32 s7, s3, s7
	v_add_co_u32 v1, s6, s6, v1
	s_delay_alu instid0(VALU_DEP_1)
	v_add_co_ci_u32_e64 v2, null, s7, 0, s6
	s_lshl_b64 s[6:7], s[0:1], 3
.LBB81_15:                              ; =>This Inner Loop Header: Depth=1
	global_load_b64 v[4:5], v[1:2], off
	v_add_co_u32 v1, vcc_lo, v1, s6
	v_add_co_ci_u32_e32 v2, vcc_lo, s7, v2, vcc_lo
	s_add_i32 s12, s12, -1
	s_delay_alu instid0(SALU_CYCLE_1)
	s_cmp_lg_u32 s12, 0
	s_waitcnt vmcnt(0)
	v_mul_f64 v[4:5], v[4:5], s[8:9]
	ds_store_b64 v3, v[4:5]
	v_add_nc_u32_e32 v3, 0x60, v3
	s_cbranch_scc1 .LBB81_15
.LBB81_16:
	s_or_b32 exec_lo, exec_lo, s21
	s_cmpk_eq_i32 s5, 0x6f
	s_waitcnt lgkmcnt(0)
	s_cselect_b32 s1, -1, 0
	s_cmpk_eq_i32 s4, 0x79
	; wave barrier
	buffer_gl0_inv
	s_cselect_b32 s6, -1, 0
	s_cmpk_lg_i32 s4, 0x79
	s_cselect_b32 s5, -1, 0
	s_and_b32 s6, s6, s1
	s_delay_alu instid0(SALU_CYCLE_1)
	s_and_not1_b32 vcc_lo, exec_lo, s6
	s_mov_b32 s6, -1
	s_cbranch_vccz .LBB81_80
; %bb.17:
	s_cmpk_lg_i32 s4, 0x7a
	s_cselect_b32 s4, -1, 0
	s_xor_b32 s1, s1, -1
	s_delay_alu instid0(SALU_CYCLE_1)
	s_or_b32 s4, s4, s1
	s_cmp_gt_i32 s28, 3
	s_cselect_b32 s1, -1, 0
	s_and_b32 vcc_lo, exec_lo, s4
	s_mov_b32 s4, -1
	s_cbranch_vccz .LBB81_59
; %bb.18:
	s_and_not1_b32 vcc_lo, exec_lo, s5
	s_cbranch_vccnz .LBB81_38
; %bb.19:
	s_and_not1_b32 vcc_lo, exec_lo, s1
	s_mov_b32 s6, 0
	s_cbranch_vccnz .LBB81_26
; %bb.20:
	v_lshl_or_b32 v9, v0, 3, 0x480
	s_mov_b32 s4, 0
	s_mov_b32 s5, 0
.LBB81_21:                              ; =>This Loop Header: Depth=1
                                        ;     Child Loop BB81_23 Depth 2
	s_delay_alu instid0(SALU_CYCLE_1) | instskip(NEXT) | instid1(SALU_CYCLE_1)
	s_mul_i32 s7, s5, 12
	s_add_i32 s6, s7, 12
	v_add_lshl_u32 v10, s7, v0, 3
	s_add_i32 s7, s7, 24
	v_add_lshl_u32 v11, s6, v0, 3
	v_add_lshl_u32 v12, s7, v0, 3
	s_cmp_eq_u32 s5, 0
	ds_load_b64 v[7:8], v10 offset:1152
	ds_load_b64 v[5:6], v11 offset:1152
	ds_load_2addr_b64 v[1:4], v12 offset0:144 offset1:156
	s_cbranch_scc1 .LBB81_24
; %bb.22:                               ;   in Loop: Header=BB81_21 Depth=1
	v_mov_b32_e32 v13, v9
	s_mov_b32 s7, 0
	s_mov_b32 s8, s4
.LBB81_23:                              ;   Parent Loop BB81_21 Depth=1
                                        ; =>  This Inner Loop Header: Depth=2
	s_delay_alu instid0(SALU_CYCLE_1)
	v_mov_b32_e32 v28, s8
	s_add_i32 s7, s7, 4
	s_addk_i32 s8, 0x180
	s_cmp_ge_u32 s7, s5
	ds_load_2addr_b64 v[14:17], v13 offset1:12
	ds_load_b128 v[18:21], v28
	ds_load_b128 v[22:25], v28 offset:16
	s_waitcnt lgkmcnt(1)
	v_fma_f64 v[18:19], -v[14:15], v[18:19], v[7:8]
	v_fma_f64 v[20:21], -v[14:15], v[20:21], v[5:6]
	s_waitcnt lgkmcnt(0)
	v_fma_f64 v[22:23], -v[14:15], v[22:23], v[1:2]
	v_fma_f64 v[14:15], -v[14:15], v[24:25], v[3:4]
	ds_load_b128 v[1:4], v28 offset:96
	ds_load_b128 v[5:8], v28 offset:112
	s_waitcnt lgkmcnt(1)
	v_fma_f64 v[18:19], -v[16:17], v[1:2], v[18:19]
	v_fma_f64 v[20:21], -v[16:17], v[3:4], v[20:21]
	s_waitcnt lgkmcnt(0)
	v_fma_f64 v[22:23], -v[16:17], v[5:6], v[22:23]
	v_fma_f64 v[24:25], -v[16:17], v[7:8], v[14:15]
	ds_load_2addr_b64 v[1:4], v13 offset0:24 offset1:36
	ds_load_b128 v[5:8], v28 offset:192
	ds_load_b128 v[14:17], v28 offset:208
	v_add_nc_u32_e32 v13, 0x180, v13
	s_waitcnt lgkmcnt(1)
	v_fma_f64 v[5:6], -v[1:2], v[5:6], v[18:19]
	v_fma_f64 v[26:27], -v[1:2], v[7:8], v[20:21]
	s_waitcnt lgkmcnt(0)
	v_fma_f64 v[22:23], -v[1:2], v[14:15], v[22:23]
	v_fma_f64 v[24:25], -v[1:2], v[16:17], v[24:25]
	ds_load_b128 v[14:17], v28 offset:288
	ds_load_b128 v[18:21], v28 offset:304
	s_waitcnt lgkmcnt(1)
	v_fma_f64 v[7:8], -v[3:4], v[14:15], v[5:6]
	v_fma_f64 v[5:6], -v[3:4], v[16:17], v[26:27]
	s_waitcnt lgkmcnt(0)
	v_fma_f64 v[1:2], -v[3:4], v[18:19], v[22:23]
	v_fma_f64 v[3:4], -v[3:4], v[20:21], v[24:25]
	s_cbranch_scc0 .LBB81_23
.LBB81_24:                              ;   in Loop: Header=BB81_21 Depth=1
	s_mul_i32 s7, s5, 0x68
	s_delay_alu instid0(SALU_CYCLE_1)
	v_dual_mov_b32 v33, s7 :: v_dual_add_nc_u32 v10, 0x480, v10
	s_add_i32 s6, s6, s5
	v_add_nc_u32_e32 v11, 0x480, v11
	s_lshl_b32 s6, s6, 3
	v_add_nc_u32_e32 v12, 0x480, v12
	ds_load_b128 v[13:16], v33
	ds_load_b128 v[17:20], v33 offset:16
	s_add_i32 s4, s4, 32
	s_waitcnt lgkmcnt(1)
	v_div_scale_f64 v[21:22], null, v[13:14], v[13:14], v[7:8]
	v_div_scale_f64 v[27:28], vcc_lo, v[7:8], v[13:14], v[7:8]
	s_delay_alu instid0(VALU_DEP_2) | instskip(SKIP_2) | instid1(VALU_DEP_1)
	v_rcp_f64_e32 v[23:24], v[21:22]
	s_waitcnt_depctr 0xfff
	v_fma_f64 v[25:26], -v[21:22], v[23:24], 1.0
	v_fma_f64 v[23:24], v[23:24], v[25:26], v[23:24]
	s_delay_alu instid0(VALU_DEP_1) | instskip(NEXT) | instid1(VALU_DEP_1)
	v_fma_f64 v[25:26], -v[21:22], v[23:24], 1.0
	v_fma_f64 v[23:24], v[23:24], v[25:26], v[23:24]
	s_delay_alu instid0(VALU_DEP_1) | instskip(NEXT) | instid1(VALU_DEP_1)
	v_mul_f64 v[25:26], v[27:28], v[23:24]
	v_fma_f64 v[21:22], -v[21:22], v[25:26], v[27:28]
	s_delay_alu instid0(VALU_DEP_1) | instskip(NEXT) | instid1(VALU_DEP_1)
	v_div_fmas_f64 v[21:22], v[21:22], v[23:24], v[25:26]
	v_div_fixup_f64 v[21:22], v[21:22], v[13:14], v[7:8]
	s_delay_alu instid0(VALU_DEP_1)
	v_fma_f64 v[23:24], -v[21:22], v[15:16], v[5:6]
	ds_load_2addr_b64 v[5:8], v33 offset0:13 offset1:14
	ds_load_b128 v[13:16], v33 offset:208
	s_waitcnt lgkmcnt(2)
	v_fma_f64 v[1:2], -v[21:22], v[17:18], v[1:2]
	v_fma_f64 v[3:4], -v[21:22], v[19:20], v[3:4]
	s_waitcnt lgkmcnt(1)
	v_div_scale_f64 v[25:26], null, v[5:6], v[5:6], v[23:24]
	v_div_scale_f64 v[31:32], vcc_lo, v[23:24], v[5:6], v[23:24]
	s_delay_alu instid0(VALU_DEP_2) | instskip(SKIP_2) | instid1(VALU_DEP_1)
	v_rcp_f64_e32 v[27:28], v[25:26]
	s_waitcnt_depctr 0xfff
	v_fma_f64 v[29:30], -v[25:26], v[27:28], 1.0
	v_fma_f64 v[27:28], v[27:28], v[29:30], v[27:28]
	s_delay_alu instid0(VALU_DEP_1) | instskip(NEXT) | instid1(VALU_DEP_1)
	v_fma_f64 v[29:30], -v[25:26], v[27:28], 1.0
	v_fma_f64 v[27:28], v[27:28], v[29:30], v[27:28]
	s_delay_alu instid0(VALU_DEP_1) | instskip(NEXT) | instid1(VALU_DEP_1)
	v_mul_f64 v[29:30], v[31:32], v[27:28]
	v_fma_f64 v[25:26], -v[25:26], v[29:30], v[31:32]
	s_delay_alu instid0(VALU_DEP_1) | instskip(NEXT) | instid1(VALU_DEP_1)
	v_div_fmas_f64 v[25:26], v[25:26], v[27:28], v[29:30]
	v_div_fixup_f64 v[5:6], v[25:26], v[5:6], v[23:24]
	s_delay_alu instid0(VALU_DEP_1) | instskip(SKIP_1) | instid1(VALU_DEP_1)
	v_fma_f64 v[1:2], -v[5:6], v[7:8], v[1:2]
	s_waitcnt lgkmcnt(0)
	v_div_scale_f64 v[7:8], null, v[13:14], v[13:14], v[1:2]
	v_div_scale_f64 v[25:26], vcc_lo, v[1:2], v[13:14], v[1:2]
	s_delay_alu instid0(VALU_DEP_2) | instskip(SKIP_2) | instid1(VALU_DEP_1)
	v_rcp_f64_e32 v[17:18], v[7:8]
	s_waitcnt_depctr 0xfff
	v_fma_f64 v[23:24], -v[7:8], v[17:18], 1.0
	v_fma_f64 v[17:18], v[17:18], v[23:24], v[17:18]
	s_delay_alu instid0(VALU_DEP_1) | instskip(NEXT) | instid1(VALU_DEP_1)
	v_fma_f64 v[23:24], -v[7:8], v[17:18], 1.0
	v_fma_f64 v[17:18], v[17:18], v[23:24], v[17:18]
	s_delay_alu instid0(VALU_DEP_1) | instskip(NEXT) | instid1(VALU_DEP_1)
	v_mul_f64 v[23:24], v[25:26], v[17:18]
	v_fma_f64 v[7:8], -v[7:8], v[23:24], v[25:26]
	s_delay_alu instid0(VALU_DEP_1)
	v_div_fmas_f64 v[7:8], v[7:8], v[17:18], v[23:24]
	v_mov_b32_e32 v17, s6
	s_add_i32 s6, s5, 4
	s_add_i32 s5, s5, 7
	ds_load_b64 v[17:18], v17 offset:24
	ds_load_b64 v[19:20], v33 offset:312
	s_cmp_ge_i32 s5, s29
	s_waitcnt lgkmcnt(1)
	v_fma_f64 v[3:4], -v[5:6], v[17:18], v[3:4]
	v_div_fixup_f64 v[1:2], v[7:8], v[13:14], v[1:2]
	s_delay_alu instid0(VALU_DEP_1) | instskip(SKIP_1) | instid1(VALU_DEP_1)
	v_fma_f64 v[3:4], -v[1:2], v[15:16], v[3:4]
	s_waitcnt lgkmcnt(0)
	v_div_scale_f64 v[7:8], null, v[19:20], v[19:20], v[3:4]
	s_delay_alu instid0(VALU_DEP_1) | instskip(SKIP_2) | instid1(VALU_DEP_1)
	v_rcp_f64_e32 v[13:14], v[7:8]
	s_waitcnt_depctr 0xfff
	v_fma_f64 v[15:16], -v[7:8], v[13:14], 1.0
	v_fma_f64 v[13:14], v[13:14], v[15:16], v[13:14]
	s_delay_alu instid0(VALU_DEP_1) | instskip(NEXT) | instid1(VALU_DEP_1)
	v_fma_f64 v[15:16], -v[7:8], v[13:14], 1.0
	v_fma_f64 v[13:14], v[13:14], v[15:16], v[13:14]
	v_div_scale_f64 v[15:16], vcc_lo, v[3:4], v[19:20], v[3:4]
	s_delay_alu instid0(VALU_DEP_1) | instskip(NEXT) | instid1(VALU_DEP_1)
	v_mul_f64 v[17:18], v[15:16], v[13:14]
	v_fma_f64 v[7:8], -v[7:8], v[17:18], v[15:16]
	s_delay_alu instid0(VALU_DEP_1) | instskip(NEXT) | instid1(VALU_DEP_1)
	v_div_fmas_f64 v[7:8], v[7:8], v[13:14], v[17:18]
	v_div_fixup_f64 v[3:4], v[7:8], v[19:20], v[3:4]
	ds_store_b64 v10, v[21:22]
	ds_store_b64 v11, v[5:6]
	ds_store_2addr_b64 v12, v[1:2], v[3:4] offset1:12
	s_cbranch_scc1 .LBB81_26
; %bb.25:                               ;   in Loop: Header=BB81_21 Depth=1
	s_mov_b32 s5, s6
	s_branch .LBB81_21
.LBB81_26:
	s_cmp_ge_i32 s6, s29
	s_cbranch_scc1 .LBB81_37
; %bb.27:
	v_lshl_or_b32 v3, v0, 3, 0x480
	s_add_i32 s4, s6, -1
	s_lshl_b32 s5, s6, 3
	s_mov_b32 s7, 0
	s_mov_b32 s8, s6
	s_branch .LBB81_29
.LBB81_28:                              ;   in Loop: Header=BB81_29 Depth=1
	s_mul_i32 s9, s6, 0x68
	s_delay_alu instid0(SALU_CYCLE_1)
	v_dual_mov_b32 v5, s9 :: v_dual_add_nc_u32 v4, 0x480, v4
	s_add_i32 s6, s6, 1
	s_add_i32 s7, s7, 1
	;; [unrolled: 1-line block ×3, first 2 shown]
	s_cmp_ge_i32 s6, s29
	ds_load_b64 v[5:6], v5
	s_waitcnt lgkmcnt(0)
	v_div_scale_f64 v[7:8], null, v[5:6], v[5:6], v[1:2]
	s_delay_alu instid0(VALU_DEP_1) | instskip(SKIP_2) | instid1(VALU_DEP_1)
	v_rcp_f64_e32 v[9:10], v[7:8]
	s_waitcnt_depctr 0xfff
	v_fma_f64 v[11:12], -v[7:8], v[9:10], 1.0
	v_fma_f64 v[9:10], v[9:10], v[11:12], v[9:10]
	s_delay_alu instid0(VALU_DEP_1) | instskip(NEXT) | instid1(VALU_DEP_1)
	v_fma_f64 v[11:12], -v[7:8], v[9:10], 1.0
	v_fma_f64 v[9:10], v[9:10], v[11:12], v[9:10]
	v_div_scale_f64 v[11:12], vcc_lo, v[1:2], v[5:6], v[1:2]
	s_delay_alu instid0(VALU_DEP_1) | instskip(NEXT) | instid1(VALU_DEP_1)
	v_mul_f64 v[13:14], v[11:12], v[9:10]
	v_fma_f64 v[7:8], -v[7:8], v[13:14], v[11:12]
	s_delay_alu instid0(VALU_DEP_1) | instskip(NEXT) | instid1(VALU_DEP_1)
	v_div_fmas_f64 v[7:8], v[7:8], v[9:10], v[13:14]
	v_div_fixup_f64 v[1:2], v[7:8], v[5:6], v[1:2]
	v_add_nc_u16 v5, s8, 1
	s_delay_alu instid0(VALU_DEP_1)
	v_readfirstlane_b32 s8, v5
	ds_store_b64 v4, v[1:2]
	s_cbranch_scc1 .LBB81_37
.LBB81_29:                              ; =>This Loop Header: Depth=1
                                        ;     Child Loop BB81_32 Depth 2
                                        ;     Child Loop BB81_36 Depth 2
	s_mul_i32 s9, s6, 12
	s_cmp_eq_u32 s6, 0
	v_add_lshl_u32 v4, s9, v0, 3
	ds_load_b64 v[1:2], v4 offset:1152
	s_cbranch_scc1 .LBB81_28
; %bb.30:                               ;   in Loop: Header=BB81_29 Depth=1
	s_add_i32 s9, s4, s7
	s_delay_alu instid0(SALU_CYCLE_1)
	s_cmp_lt_u32 s9, 7
	s_cbranch_scc1 .LBB81_34
; %bb.31:                               ;   in Loop: Header=BB81_29 Depth=1
	v_mov_b32_e32 v5, v3
	s_and_b32 s9, s6, -8
	s_mov_b32 s12, 0
	s_mov_b32 s13, s5
	s_set_inst_prefetch_distance 0x1
	.p2align	6
.LBB81_32:                              ;   Parent Loop BB81_29 Depth=1
                                        ; =>  This Inner Loop Header: Depth=2
	v_mov_b32_e32 v14, s13
	s_add_i32 s12, s12, 8
	s_addk_i32 s13, 0x300
	s_cmp_eq_u32 s9, s12
	ds_load_2addr_b64 v[6:9], v5 offset1:12
	ds_load_2addr_b64 v[10:13], v14 offset1:12
	s_waitcnt lgkmcnt(0)
	v_fma_f64 v[1:2], -v[6:7], v[10:11], v[1:2]
	s_delay_alu instid0(VALU_DEP_1) | instskip(SKIP_4) | instid1(VALU_DEP_1)
	v_fma_f64 v[1:2], -v[8:9], v[12:13], v[1:2]
	ds_load_2addr_b64 v[6:9], v5 offset0:24 offset1:36
	ds_load_2addr_b64 v[10:13], v14 offset0:24 offset1:36
	s_waitcnt lgkmcnt(0)
	v_fma_f64 v[1:2], -v[6:7], v[10:11], v[1:2]
	v_fma_f64 v[1:2], -v[8:9], v[12:13], v[1:2]
	ds_load_2addr_b64 v[6:9], v5 offset0:48 offset1:60
	ds_load_2addr_b64 v[10:13], v14 offset0:48 offset1:60
	s_waitcnt lgkmcnt(0)
	v_fma_f64 v[1:2], -v[6:7], v[10:11], v[1:2]
	s_delay_alu instid0(VALU_DEP_1)
	v_fma_f64 v[1:2], -v[8:9], v[12:13], v[1:2]
	ds_load_2addr_b64 v[6:9], v5 offset0:72 offset1:84
	ds_load_2addr_b64 v[10:13], v14 offset0:72 offset1:84
	v_add_nc_u32_e32 v5, 0x300, v5
	s_waitcnt lgkmcnt(0)
	v_fma_f64 v[1:2], -v[6:7], v[10:11], v[1:2]
	s_delay_alu instid0(VALU_DEP_1)
	v_fma_f64 v[1:2], -v[8:9], v[12:13], v[1:2]
	s_cbranch_scc0 .LBB81_32
; %bb.33:                               ;   in Loop: Header=BB81_29 Depth=1
	s_set_inst_prefetch_distance 0x2
	s_and_b32 s12, s6, 7
	s_delay_alu instid0(SALU_CYCLE_1)
	s_cmp_eq_u32 s12, 0
	s_cbranch_scc0 .LBB81_35
	s_branch .LBB81_28
.LBB81_34:                              ;   in Loop: Header=BB81_29 Depth=1
	s_mov_b32 s9, 0
	s_and_b32 s12, s6, 7
	s_delay_alu instid0(SALU_CYCLE_1)
	s_cmp_eq_u32 s12, 0
	s_cbranch_scc1 .LBB81_28
.LBB81_35:                              ;   in Loop: Header=BB81_29 Depth=1
	s_and_b32 s12, s8, 7
	s_mulk_i32 s9, 0x60
.LBB81_36:                              ;   Parent Loop BB81_29 Depth=1
                                        ; =>  This Inner Loop Header: Depth=2
	s_delay_alu instid0(SALU_CYCLE_1)
	s_add_i32 s13, s5, s9
	v_add_nc_u32_e32 v5, s9, v3
	v_mov_b32_e32 v7, s13
	s_add_i32 s12, s12, -1
	s_addk_i32 s9, 0x60
	s_cmp_lg_u32 s12, 0
	ds_load_b64 v[5:6], v5
	ds_load_b64 v[7:8], v7
	s_waitcnt lgkmcnt(0)
	v_fma_f64 v[1:2], -v[5:6], v[7:8], v[1:2]
	s_cbranch_scc1 .LBB81_36
	s_branch .LBB81_28
.LBB81_37:
	s_mov_b32 s4, 0
.LBB81_38:
	s_delay_alu instid0(SALU_CYCLE_1)
	s_and_b32 vcc_lo, exec_lo, s4
	s_cbranch_vccz .LBB81_58
; %bb.39:
	s_and_not1_b32 vcc_lo, exec_lo, s1
	s_mov_b32 s6, s30
	s_cbranch_vccnz .LBB81_45
; %bb.40:
	v_lshlrev_b32_e32 v1, 3, v0
	s_mul_i32 s4, s29, 0x60
	s_mov_b32 s5, s30
	s_delay_alu instid0(VALU_DEP_1) | instskip(SKIP_1) | instid1(SALU_CYCLE_1)
	v_add3_u32 v9, s4, v1, 0x300
	s_mul_i32 s4, s29, 0x68
	s_addk_i32 s4, 0xfe60
.LBB81_41:                              ; =>This Loop Header: Depth=1
                                        ;     Child Loop BB81_42 Depth 2
	s_mul_i32 s8, s5, 12
	s_delay_alu instid0(VALU_DEP_1)
	v_mov_b32_e32 v12, v9
	s_add_i32 s7, s8, -12
	v_add_lshl_u32 v10, s8, v0, 3
	s_sub_i32 s6, s8, 24
	v_add_lshl_u32 v11, s7, v0, 3
	v_add_lshl_u32 v13, s6, v0, 3
	s_cmp_le_i32 s30, s5
	ds_load_b64 v[7:8], v10 offset:1152
	ds_load_b64 v[5:6], v11 offset:1152
	ds_load_2addr_b64 v[1:4], v13 offset0:132 offset1:144
	s_mov_b32 s9, s4
	s_mov_b32 s12, s30
	s_cbranch_scc1 .LBB81_43
.LBB81_42:                              ;   Parent Loop BB81_41 Depth=1
                                        ; =>  This Inner Loop Header: Depth=2
	v_mov_b32_e32 v26, s9
	s_add_i32 s12, s12, -4
	s_addk_i32 s9, 0xfe80
	s_cmp_le_i32 s12, s5
	ds_load_2addr_b64 v[14:17], v12 offset0:24 offset1:36
	ds_load_2addr_b64 v[18:21], v26 offset0:38 offset1:39
	;; [unrolled: 1-line block ×3, first 2 shown]
	s_waitcnt lgkmcnt(1)
	v_fma_f64 v[20:21], -v[16:17], v[20:21], v[7:8]
	v_fma_f64 v[18:19], -v[16:17], v[18:19], v[5:6]
	s_waitcnt lgkmcnt(0)
	v_fma_f64 v[24:25], -v[16:17], v[24:25], v[3:4]
	v_fma_f64 v[16:17], -v[16:17], v[22:23], v[1:2]
	ds_load_2addr_b64 v[1:4], v26 offset0:26 offset1:27
	ds_load_2addr_b64 v[5:8], v26 offset0:24 offset1:25
	s_waitcnt lgkmcnt(1)
	v_fma_f64 v[20:21], -v[14:15], v[3:4], v[20:21]
	v_fma_f64 v[18:19], -v[14:15], v[1:2], v[18:19]
	s_waitcnt lgkmcnt(0)
	v_fma_f64 v[22:23], -v[14:15], v[7:8], v[24:25]
	v_fma_f64 v[24:25], -v[14:15], v[5:6], v[16:17]
	ds_load_2addr_b64 v[1:4], v12 offset1:12
	ds_load_2addr_b64 v[5:8], v26 offset0:14 offset1:15
	ds_load_2addr_b64 v[14:17], v26 offset0:12 offset1:13
	v_add_nc_u32_e32 v12, 0xfffffe80, v12
	s_waitcnt lgkmcnt(1)
	v_fma_f64 v[7:8], -v[3:4], v[7:8], v[20:21]
	v_fma_f64 v[18:19], -v[3:4], v[5:6], v[18:19]
	s_waitcnt lgkmcnt(0)
	v_fma_f64 v[20:21], -v[3:4], v[16:17], v[22:23]
	v_fma_f64 v[22:23], -v[3:4], v[14:15], v[24:25]
	ds_load_2addr_b64 v[3:6], v26 offset0:2 offset1:3
	ds_load_2addr_b64 v[14:17], v26 offset1:1
	s_waitcnt lgkmcnt(1)
	v_fma_f64 v[7:8], -v[1:2], v[5:6], v[7:8]
	v_fma_f64 v[5:6], -v[1:2], v[3:4], v[18:19]
	s_waitcnt lgkmcnt(0)
	v_fma_f64 v[3:4], -v[1:2], v[16:17], v[20:21]
	v_fma_f64 v[1:2], -v[1:2], v[14:15], v[22:23]
	s_cbranch_scc0 .LBB81_42
.LBB81_43:                              ;   in Loop: Header=BB81_41 Depth=1
	s_add_i32 s9, s5, s8
	v_add_nc_u32_e32 v12, 0x480, v13
	s_lshl_b32 s9, s9, 3
	s_sub_i32 s4, s4, 32
	s_add_i32 s9, s9, -8
	s_delay_alu instid0(SALU_CYCLE_1) | instskip(SKIP_1) | instid1(SALU_CYCLE_1)
	v_dual_mov_b32 v14, s9 :: v_dual_add_nc_u32 v11, 0x480, v11
	s_mul_i32 s9, s5, 0x68
	s_add_i32 s12, s9, 0xffffff98
	s_delay_alu instid0(SALU_CYCLE_1) | instskip(SKIP_2) | instid1(SALU_CYCLE_1)
	v_dual_mov_b32 v18, s12 :: v_dual_add_nc_u32 v13, 0x420, v13
	ds_load_2addr_b64 v[14:17], v14 offset1:1
	s_add_i32 s12, s5, -3
	s_add_i32 s8, s8, s12
	ds_load_b64 v[18:19], v18
	s_lshl_b32 s8, s8, 3
	v_add_nc_u32_e32 v10, 0x480, v10
	s_add_i32 s7, s7, s12
	s_add_i32 s6, s6, s12
	s_lshl_b32 s7, s7, 3
	s_lshl_b32 s6, s6, 3
	s_waitcnt lgkmcnt(1)
	v_div_scale_f64 v[20:21], null, v[16:17], v[16:17], v[7:8]
	v_div_scale_f64 v[26:27], vcc_lo, v[7:8], v[16:17], v[7:8]
	s_delay_alu instid0(VALU_DEP_2) | instskip(SKIP_2) | instid1(VALU_DEP_1)
	v_rcp_f64_e32 v[22:23], v[20:21]
	s_waitcnt_depctr 0xfff
	v_fma_f64 v[24:25], -v[20:21], v[22:23], 1.0
	v_fma_f64 v[22:23], v[22:23], v[24:25], v[22:23]
	s_delay_alu instid0(VALU_DEP_1) | instskip(NEXT) | instid1(VALU_DEP_1)
	v_fma_f64 v[24:25], -v[20:21], v[22:23], 1.0
	v_fma_f64 v[22:23], v[22:23], v[24:25], v[22:23]
	s_delay_alu instid0(VALU_DEP_1) | instskip(NEXT) | instid1(VALU_DEP_1)
	v_mul_f64 v[24:25], v[26:27], v[22:23]
	v_fma_f64 v[20:21], -v[20:21], v[24:25], v[26:27]
	s_delay_alu instid0(VALU_DEP_1) | instskip(NEXT) | instid1(VALU_DEP_1)
	v_div_fmas_f64 v[20:21], v[20:21], v[22:23], v[24:25]
	v_div_fixup_f64 v[20:21], v[20:21], v[16:17], v[7:8]
	s_delay_alu instid0(VALU_DEP_1) | instskip(SKIP_1) | instid1(VALU_DEP_1)
	v_fma_f64 v[22:23], -v[20:21], v[14:15], v[5:6]
	s_waitcnt lgkmcnt(0)
	v_div_scale_f64 v[5:6], null, v[18:19], v[18:19], v[22:23]
	v_div_scale_f64 v[16:17], vcc_lo, v[22:23], v[18:19], v[22:23]
	s_delay_alu instid0(VALU_DEP_2) | instskip(SKIP_2) | instid1(VALU_DEP_1)
	v_rcp_f64_e32 v[7:8], v[5:6]
	s_waitcnt_depctr 0xfff
	v_fma_f64 v[14:15], -v[5:6], v[7:8], 1.0
	v_fma_f64 v[7:8], v[7:8], v[14:15], v[7:8]
	s_delay_alu instid0(VALU_DEP_1) | instskip(NEXT) | instid1(VALU_DEP_1)
	v_fma_f64 v[14:15], -v[5:6], v[7:8], 1.0
	v_fma_f64 v[7:8], v[7:8], v[14:15], v[7:8]
	s_delay_alu instid0(VALU_DEP_1) | instskip(NEXT) | instid1(VALU_DEP_1)
	v_mul_f64 v[14:15], v[16:17], v[7:8]
	v_fma_f64 v[5:6], -v[5:6], v[14:15], v[16:17]
	s_delay_alu instid0(VALU_DEP_1)
	v_div_fmas_f64 v[24:25], v[5:6], v[7:8], v[14:15]
	v_dual_mov_b32 v5, s8 :: v_dual_mov_b32 v14, s7
	ds_load_2addr_b64 v[5:8], v5 offset1:1
	ds_load_2addr_b64 v[14:17], v14 offset1:1
	s_waitcnt lgkmcnt(1)
	v_fma_f64 v[3:4], -v[20:21], v[7:8], v[3:4]
	v_fma_f64 v[1:2], -v[20:21], v[5:6], v[1:2]
	v_div_fixup_f64 v[7:8], v[24:25], v[18:19], v[22:23]
	s_waitcnt lgkmcnt(0)
	s_delay_alu instid0(VALU_DEP_1) | instskip(SKIP_2) | instid1(VALU_DEP_4)
	v_fma_f64 v[3:4], -v[7:8], v[16:17], v[3:4]
	v_mov_b32_e32 v16, s6
	s_add_i32 s6, s9, 0xfffffec8
	v_fma_f64 v[1:2], -v[7:8], v[14:15], v[1:2]
	v_mov_b32_e32 v22, s6
	s_add_i32 s6, s5, -4
	ds_load_2addr_b64 v[16:19], v16 offset1:1
	s_cmp_lt_i32 s5, 7
	ds_load_b64 v[22:23], v22
	s_waitcnt lgkmcnt(1)
	v_div_scale_f64 v[24:25], null, v[18:19], v[18:19], v[3:4]
	v_div_scale_f64 v[30:31], vcc_lo, v[3:4], v[18:19], v[3:4]
	s_delay_alu instid0(VALU_DEP_2) | instskip(SKIP_2) | instid1(VALU_DEP_1)
	v_rcp_f64_e32 v[26:27], v[24:25]
	s_waitcnt_depctr 0xfff
	v_fma_f64 v[28:29], -v[24:25], v[26:27], 1.0
	v_fma_f64 v[26:27], v[26:27], v[28:29], v[26:27]
	s_delay_alu instid0(VALU_DEP_1) | instskip(NEXT) | instid1(VALU_DEP_1)
	v_fma_f64 v[28:29], -v[24:25], v[26:27], 1.0
	v_fma_f64 v[26:27], v[26:27], v[28:29], v[26:27]
	s_delay_alu instid0(VALU_DEP_1) | instskip(NEXT) | instid1(VALU_DEP_1)
	v_mul_f64 v[28:29], v[30:31], v[26:27]
	v_fma_f64 v[24:25], -v[24:25], v[28:29], v[30:31]
	s_delay_alu instid0(VALU_DEP_1) | instskip(NEXT) | instid1(VALU_DEP_1)
	v_div_fmas_f64 v[5:6], v[24:25], v[26:27], v[28:29]
	v_div_fixup_f64 v[3:4], v[5:6], v[18:19], v[3:4]
	s_delay_alu instid0(VALU_DEP_1) | instskip(SKIP_1) | instid1(VALU_DEP_1)
	v_fma_f64 v[1:2], -v[3:4], v[16:17], v[1:2]
	s_waitcnt lgkmcnt(0)
	v_div_scale_f64 v[5:6], null, v[22:23], v[22:23], v[1:2]
	s_delay_alu instid0(VALU_DEP_1) | instskip(SKIP_2) | instid1(VALU_DEP_1)
	v_rcp_f64_e32 v[14:15], v[5:6]
	s_waitcnt_depctr 0xfff
	v_fma_f64 v[16:17], -v[5:6], v[14:15], 1.0
	v_fma_f64 v[14:15], v[14:15], v[16:17], v[14:15]
	s_delay_alu instid0(VALU_DEP_1) | instskip(NEXT) | instid1(VALU_DEP_1)
	v_fma_f64 v[16:17], -v[5:6], v[14:15], 1.0
	v_fma_f64 v[14:15], v[14:15], v[16:17], v[14:15]
	v_div_scale_f64 v[16:17], vcc_lo, v[1:2], v[22:23], v[1:2]
	s_delay_alu instid0(VALU_DEP_1) | instskip(NEXT) | instid1(VALU_DEP_1)
	v_mul_f64 v[18:19], v[16:17], v[14:15]
	v_fma_f64 v[5:6], -v[5:6], v[18:19], v[16:17]
	s_delay_alu instid0(VALU_DEP_1) | instskip(NEXT) | instid1(VALU_DEP_1)
	v_div_fmas_f64 v[5:6], v[5:6], v[14:15], v[18:19]
	v_div_fixup_f64 v[1:2], v[5:6], v[22:23], v[1:2]
	ds_store_b64 v10, v[20:21]
	ds_store_b64 v11, v[7:8]
	;; [unrolled: 1-line block ×4, first 2 shown]
	s_cbranch_scc1 .LBB81_45
; %bb.44:                               ;   in Loop: Header=BB81_41 Depth=1
	s_mov_b32 s5, s6
	s_branch .LBB81_41
.LBB81_45:
	s_cmp_lt_i32 s6, 0
	s_cbranch_scc1 .LBB81_58
; %bb.46:
	s_bitcmp1_b32 s6, 0
	s_cselect_b32 s4, -1, 0
	s_delay_alu instid0(SALU_CYCLE_1)
	s_and_b32 vcc_lo, exec_lo, s4
	s_mov_b32 s4, s6
	s_cbranch_vccnz .LBB81_51
; %bb.47:
	s_mul_i32 s4, s6, 12
	s_cmp_le_i32 s30, s6
	v_add_lshl_u32 v3, s4, v0, 3
	ds_load_b64 v[1:2], v3 offset:1152
	s_cbranch_scc1 .LBB81_50
; %bb.48:
	v_lshlrev_b32_e32 v4, 3, v0
	s_mul_i32 s4, s29, 0x60
	s_lshl_b32 s5, s6, 3
	s_delay_alu instid0(SALU_CYCLE_1) | instskip(NEXT) | instid1(VALU_DEP_1)
	s_add_i32 s5, s4, s5
	v_add3_u32 v4, s4, v4, 0x420
	s_add_i32 s4, s5, 0xffffffa0
	s_mov_b32 s5, s30
.LBB81_49:                              ; =>This Inner Loop Header: Depth=1
	v_mov_b32_e32 v7, s4
	s_add_i32 s5, s5, -1
	s_addk_i32 s4, 0xffa0
	s_cmp_gt_i32 s5, s6
	ds_load_b64 v[5:6], v4
	ds_load_b64 v[7:8], v7
	v_add_nc_u32_e32 v4, 0xffffffa0, v4
	s_waitcnt lgkmcnt(0)
	v_fma_f64 v[1:2], -v[5:6], v[7:8], v[1:2]
	s_cbranch_scc1 .LBB81_49
.LBB81_50:
	s_mul_i32 s4, s6, 0x68
	s_delay_alu instid0(SALU_CYCLE_1) | instskip(SKIP_4) | instid1(VALU_DEP_1)
	v_dual_mov_b32 v4, s4 :: v_dual_add_nc_u32 v3, 0x480, v3
	s_add_i32 s4, s6, -1
	ds_load_b64 v[4:5], v4
	s_waitcnt lgkmcnt(0)
	v_div_scale_f64 v[6:7], null, v[4:5], v[4:5], v[1:2]
	v_rcp_f64_e32 v[8:9], v[6:7]
	s_waitcnt_depctr 0xfff
	v_fma_f64 v[10:11], -v[6:7], v[8:9], 1.0
	s_delay_alu instid0(VALU_DEP_1) | instskip(NEXT) | instid1(VALU_DEP_1)
	v_fma_f64 v[8:9], v[8:9], v[10:11], v[8:9]
	v_fma_f64 v[10:11], -v[6:7], v[8:9], 1.0
	s_delay_alu instid0(VALU_DEP_1) | instskip(SKIP_1) | instid1(VALU_DEP_1)
	v_fma_f64 v[8:9], v[8:9], v[10:11], v[8:9]
	v_div_scale_f64 v[10:11], vcc_lo, v[1:2], v[4:5], v[1:2]
	v_mul_f64 v[12:13], v[10:11], v[8:9]
	s_delay_alu instid0(VALU_DEP_1) | instskip(NEXT) | instid1(VALU_DEP_1)
	v_fma_f64 v[6:7], -v[6:7], v[12:13], v[10:11]
	v_div_fmas_f64 v[6:7], v[6:7], v[8:9], v[12:13]
	s_delay_alu instid0(VALU_DEP_1)
	v_div_fixup_f64 v[1:2], v[6:7], v[4:5], v[1:2]
	ds_store_b64 v3, v[1:2]
.LBB81_51:
	s_cmp_eq_u32 s6, 0
	s_cbranch_scc1 .LBB81_58
; %bb.52:
	v_lshlrev_b32_e32 v1, 3, v0
	s_mul_i32 s5, s29, 0x60
	s_lshl_b32 s6, s4, 3
	s_delay_alu instid0(SALU_CYCLE_1) | instskip(NEXT) | instid1(VALU_DEP_1)
	s_add_i32 s6, s5, s6
	v_add3_u32 v5, s5, v1, 0x420
	s_add_i32 s5, s6, 0xffffffa0
	s_addk_i32 s6, 0xff98
	s_branch .LBB81_54
.LBB81_53:                              ;   in Loop: Header=BB81_54 Depth=1
	s_addk_i32 s7, 0xff98
	s_add_i32 s5, s5, -16
	v_mov_b32_e32 v1, s7
	s_add_i32 s7, s4, -2
	s_add_i32 s6, s6, -16
	s_cmp_lt_i32 s4, 2
	s_mov_b32 s4, s7
	ds_load_b64 v[1:2], v1
	s_waitcnt lgkmcnt(0)
	v_div_scale_f64 v[7:8], null, v[1:2], v[1:2], v[3:4]
	s_delay_alu instid0(VALU_DEP_1) | instskip(SKIP_2) | instid1(VALU_DEP_1)
	v_rcp_f64_e32 v[9:10], v[7:8]
	s_waitcnt_depctr 0xfff
	v_fma_f64 v[11:12], -v[7:8], v[9:10], 1.0
	v_fma_f64 v[9:10], v[9:10], v[11:12], v[9:10]
	s_delay_alu instid0(VALU_DEP_1) | instskip(NEXT) | instid1(VALU_DEP_1)
	v_fma_f64 v[11:12], -v[7:8], v[9:10], 1.0
	v_fma_f64 v[9:10], v[9:10], v[11:12], v[9:10]
	v_div_scale_f64 v[11:12], vcc_lo, v[3:4], v[1:2], v[3:4]
	s_delay_alu instid0(VALU_DEP_1) | instskip(NEXT) | instid1(VALU_DEP_1)
	v_mul_f64 v[13:14], v[11:12], v[9:10]
	v_fma_f64 v[7:8], -v[7:8], v[13:14], v[11:12]
	s_delay_alu instid0(VALU_DEP_1) | instskip(NEXT) | instid1(VALU_DEP_1)
	v_div_fmas_f64 v[7:8], v[7:8], v[9:10], v[13:14]
	v_div_fixup_f64 v[1:2], v[7:8], v[1:2], v[3:4]
	ds_store_b64 v6, v[1:2]
	s_cbranch_scc1 .LBB81_58
.LBB81_54:                              ; =>This Loop Header: Depth=1
                                        ;     Child Loop BB81_55 Depth 2
                                        ;     Child Loop BB81_57 Depth 2
	s_mul_i32 s7, s4, 12
	v_mov_b32_e32 v4, v5
	v_add_lshl_u32 v3, s7, v0, 3
	s_cmp_le_i32 s30, s4
	s_mov_b32 s7, s5
	s_mov_b32 s8, s30
	ds_load_b64 v[1:2], v3 offset:1152
	s_cbranch_scc1 .LBB81_56
.LBB81_55:                              ;   Parent Loop BB81_54 Depth=1
                                        ; =>  This Inner Loop Header: Depth=2
	v_mov_b32_e32 v8, s7
	s_add_i32 s8, s8, -1
	s_addk_i32 s7, 0xffa0
	s_cmp_le_i32 s8, s4
	ds_load_b64 v[6:7], v4
	ds_load_b64 v[8:9], v8
	v_add_nc_u32_e32 v4, 0xffffffa0, v4
	s_waitcnt lgkmcnt(0)
	v_fma_f64 v[1:2], -v[6:7], v[8:9], v[1:2]
	s_cbranch_scc0 .LBB81_55
.LBB81_56:                              ;   in Loop: Header=BB81_54 Depth=1
	s_mul_i32 s7, s4, 0x68
	v_add_nc_u32_e32 v7, 0x480, v3
	v_mov_b32_e32 v3, s7
	s_cmp_lt_i32 s30, s4
	s_mov_b32 s8, s6
	s_mov_b32 s9, s29
	v_add_nc_u32_e32 v6, 0xffffffa0, v7
	ds_load_b64 v[8:9], v3
	ds_load_b64 v[3:4], v6
	s_waitcnt lgkmcnt(1)
	v_div_scale_f64 v[10:11], null, v[8:9], v[8:9], v[1:2]
	s_delay_alu instid0(VALU_DEP_1) | instskip(SKIP_2) | instid1(VALU_DEP_1)
	v_rcp_f64_e32 v[12:13], v[10:11]
	s_waitcnt_depctr 0xfff
	v_fma_f64 v[14:15], -v[10:11], v[12:13], 1.0
	v_fma_f64 v[12:13], v[12:13], v[14:15], v[12:13]
	s_delay_alu instid0(VALU_DEP_1) | instskip(NEXT) | instid1(VALU_DEP_1)
	v_fma_f64 v[14:15], -v[10:11], v[12:13], 1.0
	v_fma_f64 v[12:13], v[12:13], v[14:15], v[12:13]
	v_div_scale_f64 v[14:15], vcc_lo, v[1:2], v[8:9], v[1:2]
	s_delay_alu instid0(VALU_DEP_1) | instskip(NEXT) | instid1(VALU_DEP_1)
	v_mul_f64 v[16:17], v[14:15], v[12:13]
	v_fma_f64 v[10:11], -v[10:11], v[16:17], v[14:15]
	s_delay_alu instid0(VALU_DEP_1) | instskip(NEXT) | instid1(VALU_DEP_1)
	v_div_fmas_f64 v[10:11], v[10:11], v[12:13], v[16:17]
	v_div_fixup_f64 v[8:9], v[10:11], v[8:9], v[1:2]
	v_mov_b32_e32 v1, v5
	ds_store_b64 v7, v[8:9]
	s_cbranch_scc1 .LBB81_53
.LBB81_57:                              ;   Parent Loop BB81_54 Depth=1
                                        ; =>  This Inner Loop Header: Depth=2
	v_mov_b32_e32 v2, s8
	s_add_i32 s9, s9, -1
	s_addk_i32 s8, 0xffa0
	s_cmp_gt_i32 s9, s4
	ds_load_b64 v[7:8], v1
	ds_load_b64 v[9:10], v2
	v_add_nc_u32_e32 v1, 0xffffffa0, v1
	s_waitcnt lgkmcnt(0)
	v_fma_f64 v[3:4], -v[7:8], v[9:10], v[3:4]
	s_cbranch_scc1 .LBB81_57
	s_branch .LBB81_53
.LBB81_58:
	s_mov_b32 s4, 0
.LBB81_59:
	s_delay_alu instid0(SALU_CYCLE_1)
	s_and_not1_b32 vcc_lo, exec_lo, s4
	s_cbranch_vccnz .LBB81_79
; %bb.60:
	s_and_not1_b32 vcc_lo, exec_lo, s1
	s_mov_b32 s5, s30
	s_cbranch_vccnz .LBB81_66
; %bb.61:
	v_lshlrev_b32_e32 v1, 3, v0
	s_mul_i32 s1, s29, 0x60
	s_mul_i32 s4, s29, 0x68
	s_delay_alu instid0(VALU_DEP_1)
	v_add3_u32 v9, s1, v1, 0x300
	s_add_i32 s1, s4, 0xfffffe60
	s_mov_b32 s4, s30
.LBB81_62:                              ; =>This Loop Header: Depth=1
                                        ;     Child Loop BB81_63 Depth 2
	s_delay_alu instid0(SALU_CYCLE_1) | instskip(NEXT) | instid1(VALU_DEP_1)
	s_mul_i32 s5, s4, 12
	v_mov_b32_e32 v14, v9
	s_add_i32 s7, s5, -12
	v_add_lshl_u32 v10, s5, v0, 3
	s_sub_i32 s6, s5, 24
	v_add_lshl_u32 v11, s7, v0, 3
	s_sub_i32 s5, s5, 36
	v_add_lshl_u32 v12, s6, v0, 3
	v_add_lshl_u32 v13, s5, v0, 3
	ds_load_b64 v[7:8], v10 offset:1152
	ds_load_b64 v[5:6], v11 offset:1152
	;; [unrolled: 1-line block ×4, first 2 shown]
	s_cmp_le_i32 s30, s4
	s_mov_b32 s7, s1
	s_mov_b32 s8, s30
	s_cbranch_scc1 .LBB81_64
.LBB81_63:                              ;   Parent Loop BB81_62 Depth=1
                                        ; =>  This Inner Loop Header: Depth=2
	v_mov_b32_e32 v47, s7
	s_add_i32 s8, s8, -4
	s_sub_i32 s7, s7, 32
	s_cmp_le_i32 s8, s4
	ds_load_2addr_b64 v[15:18], v14 offset0:24 offset1:36
	ds_load_2addr_b64 v[19:22], v47 offset0:38 offset1:39
	;; [unrolled: 1-line block ×8, first 2 shown]
	ds_load_2addr_b64 v[47:50], v47 offset1:1
	s_waitcnt lgkmcnt(7)
	v_fma_f64 v[7:8], -v[17:18], v[21:22], v[7:8]
	s_waitcnt lgkmcnt(6)
	v_fma_f64 v[5:6], -v[17:18], v[25:26], v[5:6]
	;; [unrolled: 2-line block ×4, first 2 shown]
	s_delay_alu instid0(VALU_DEP_4) | instskip(NEXT) | instid1(VALU_DEP_4)
	v_fma_f64 v[7:8], -v[15:16], v[19:20], v[7:8]
	v_fma_f64 v[5:6], -v[15:16], v[23:24], v[5:6]
	s_delay_alu instid0(VALU_DEP_4) | instskip(NEXT) | instid1(VALU_DEP_4)
	v_fma_f64 v[17:18], -v[15:16], v[27:28], v[3:4]
	v_fma_f64 v[15:16], -v[15:16], v[31:32], v[1:2]
	ds_load_2addr_b64 v[1:4], v14 offset1:12
	v_add_nc_u32_e32 v14, 0xfffffe80, v14
	s_waitcnt lgkmcnt(0)
	v_fma_f64 v[7:8], -v[3:4], v[37:38], v[7:8]
	v_fma_f64 v[5:6], -v[3:4], v[41:42], v[5:6]
	;; [unrolled: 1-line block ×4, first 2 shown]
	s_delay_alu instid0(VALU_DEP_4) | instskip(NEXT) | instid1(VALU_DEP_4)
	v_fma_f64 v[7:8], -v[1:2], v[35:36], v[7:8]
	v_fma_f64 v[5:6], -v[1:2], v[39:40], v[5:6]
	s_delay_alu instid0(VALU_DEP_4) | instskip(NEXT) | instid1(VALU_DEP_4)
	v_fma_f64 v[3:4], -v[1:2], v[43:44], v[17:18]
	v_fma_f64 v[1:2], -v[1:2], v[47:48], v[15:16]
	s_cbranch_scc0 .LBB81_63
.LBB81_64:                              ;   in Loop: Header=BB81_62 Depth=1
	s_mul_i32 s7, s4, 0x68
	s_delay_alu instid0(SALU_CYCLE_1)
	v_dual_mov_b32 v14, s7 :: v_dual_add_nc_u32 v11, 0x480, v11
	s_add_i32 s8, s7, 0xffffff98
	v_add_nc_u32_e32 v13, 0x480, v13
	s_add_i32 s6, s6, s4
	s_add_i32 s5, s4, s5
	ds_load_b64 v[18:19], v14
	v_mov_b32_e32 v14, s8
	s_lshl_b32 s6, s6, 3
	v_add_nc_u32_e32 v10, 0x480, v10
	s_lshl_b32 s5, s5, 3
	s_addk_i32 s1, 0xfe80
	ds_load_2addr_b64 v[14:17], v14 offset1:1
	s_add_i32 s5, s5, -8
	s_waitcnt lgkmcnt(1)
	v_div_scale_f64 v[20:21], null, v[18:19], v[18:19], v[7:8]
	v_div_scale_f64 v[26:27], vcc_lo, v[7:8], v[18:19], v[7:8]
	s_delay_alu instid0(VALU_DEP_2) | instskip(SKIP_2) | instid1(VALU_DEP_1)
	v_rcp_f64_e32 v[22:23], v[20:21]
	s_waitcnt_depctr 0xfff
	v_fma_f64 v[24:25], -v[20:21], v[22:23], 1.0
	v_fma_f64 v[22:23], v[22:23], v[24:25], v[22:23]
	s_delay_alu instid0(VALU_DEP_1) | instskip(NEXT) | instid1(VALU_DEP_1)
	v_fma_f64 v[24:25], -v[20:21], v[22:23], 1.0
	v_fma_f64 v[22:23], v[22:23], v[24:25], v[22:23]
	s_delay_alu instid0(VALU_DEP_1) | instskip(NEXT) | instid1(VALU_DEP_1)
	v_mul_f64 v[24:25], v[26:27], v[22:23]
	v_fma_f64 v[20:21], -v[20:21], v[24:25], v[26:27]
	s_delay_alu instid0(VALU_DEP_1) | instskip(NEXT) | instid1(VALU_DEP_1)
	v_div_fmas_f64 v[20:21], v[20:21], v[22:23], v[24:25]
	v_div_fixup_f64 v[22:23], v[20:21], v[18:19], v[7:8]
	s_waitcnt lgkmcnt(0)
	s_delay_alu instid0(VALU_DEP_1) | instskip(NEXT) | instid1(VALU_DEP_1)
	v_fma_f64 v[16:17], -v[22:23], v[16:17], v[5:6]
	v_div_scale_f64 v[5:6], null, v[14:15], v[14:15], v[16:17]
	v_div_scale_f64 v[20:21], vcc_lo, v[16:17], v[14:15], v[16:17]
	s_delay_alu instid0(VALU_DEP_2) | instskip(SKIP_2) | instid1(VALU_DEP_1)
	v_rcp_f64_e32 v[7:8], v[5:6]
	s_waitcnt_depctr 0xfff
	v_fma_f64 v[18:19], -v[5:6], v[7:8], 1.0
	v_fma_f64 v[7:8], v[7:8], v[18:19], v[7:8]
	s_delay_alu instid0(VALU_DEP_1) | instskip(NEXT) | instid1(VALU_DEP_1)
	v_fma_f64 v[18:19], -v[5:6], v[7:8], 1.0
	v_fma_f64 v[7:8], v[7:8], v[18:19], v[7:8]
	s_delay_alu instid0(VALU_DEP_1) | instskip(NEXT) | instid1(VALU_DEP_1)
	v_mul_f64 v[18:19], v[20:21], v[7:8]
	v_fma_f64 v[5:6], -v[5:6], v[18:19], v[20:21]
	s_delay_alu instid0(VALU_DEP_1)
	v_div_fmas_f64 v[18:19], v[5:6], v[7:8], v[18:19]
	v_mov_b32_e32 v5, s6
	s_add_i32 s6, s7, 0xffffff30
	v_add_nc_u32_e32 v12, 0x480, v12
	ds_load_b64 v[20:21], v5
	v_mov_b32_e32 v5, s6
	ds_load_2addr_b64 v[5:8], v5 offset1:1
	s_waitcnt lgkmcnt(1)
	v_fma_f64 v[3:4], -v[22:23], v[20:21], v[3:4]
	v_div_fixup_f64 v[24:25], v[18:19], v[14:15], v[16:17]
	s_waitcnt lgkmcnt(0)
	s_delay_alu instid0(VALU_DEP_1) | instskip(NEXT) | instid1(VALU_DEP_1)
	v_fma_f64 v[3:4], -v[24:25], v[7:8], v[3:4]
	v_div_scale_f64 v[7:8], null, v[5:6], v[5:6], v[3:4]
	v_div_scale_f64 v[18:19], vcc_lo, v[3:4], v[5:6], v[3:4]
	s_delay_alu instid0(VALU_DEP_2) | instskip(SKIP_2) | instid1(VALU_DEP_1)
	v_rcp_f64_e32 v[14:15], v[7:8]
	s_waitcnt_depctr 0xfff
	v_fma_f64 v[16:17], -v[7:8], v[14:15], 1.0
	v_fma_f64 v[14:15], v[14:15], v[16:17], v[14:15]
	s_delay_alu instid0(VALU_DEP_1) | instskip(NEXT) | instid1(VALU_DEP_1)
	v_fma_f64 v[16:17], -v[7:8], v[14:15], 1.0
	v_fma_f64 v[26:27], v[14:15], v[16:17], v[14:15]
	v_mov_b32_e32 v14, s5
	s_add_i32 s5, s7, 0xfffffec8
	ds_load_2addr_b64 v[14:17], v14 offset1:1
	v_mul_f64 v[28:29], v[18:19], v[26:27]
	s_delay_alu instid0(VALU_DEP_1)
	v_fma_f64 v[7:8], -v[7:8], v[28:29], v[18:19]
	v_mov_b32_e32 v18, s5
	s_add_i32 s5, s4, -4
	s_cmp_lt_i32 s4, 7
	ds_load_2addr_b64 v[18:21], v18 offset1:1
	s_waitcnt lgkmcnt(1)
	v_fma_f64 v[1:2], -v[22:23], v[16:17], v[1:2]
	v_div_fmas_f64 v[7:8], v[7:8], v[26:27], v[28:29]
	s_delay_alu instid0(VALU_DEP_2) | instskip(NEXT) | instid1(VALU_DEP_2)
	v_fma_f64 v[1:2], -v[24:25], v[14:15], v[1:2]
	v_div_fixup_f64 v[3:4], v[7:8], v[5:6], v[3:4]
	s_waitcnt lgkmcnt(0)
	s_delay_alu instid0(VALU_DEP_1) | instskip(NEXT) | instid1(VALU_DEP_1)
	v_fma_f64 v[1:2], -v[3:4], v[20:21], v[1:2]
	v_div_scale_f64 v[5:6], null, v[18:19], v[18:19], v[1:2]
	s_delay_alu instid0(VALU_DEP_1) | instskip(SKIP_2) | instid1(VALU_DEP_1)
	v_rcp_f64_e32 v[7:8], v[5:6]
	s_waitcnt_depctr 0xfff
	v_fma_f64 v[14:15], -v[5:6], v[7:8], 1.0
	v_fma_f64 v[7:8], v[7:8], v[14:15], v[7:8]
	s_delay_alu instid0(VALU_DEP_1) | instskip(NEXT) | instid1(VALU_DEP_1)
	v_fma_f64 v[14:15], -v[5:6], v[7:8], 1.0
	v_fma_f64 v[7:8], v[7:8], v[14:15], v[7:8]
	v_div_scale_f64 v[14:15], vcc_lo, v[1:2], v[18:19], v[1:2]
	s_delay_alu instid0(VALU_DEP_1) | instskip(NEXT) | instid1(VALU_DEP_1)
	v_mul_f64 v[16:17], v[14:15], v[7:8]
	v_fma_f64 v[5:6], -v[5:6], v[16:17], v[14:15]
	s_delay_alu instid0(VALU_DEP_1) | instskip(NEXT) | instid1(VALU_DEP_1)
	v_div_fmas_f64 v[5:6], v[5:6], v[7:8], v[16:17]
	v_div_fixup_f64 v[1:2], v[5:6], v[18:19], v[1:2]
	ds_store_b64 v10, v[22:23]
	ds_store_b64 v11, v[24:25]
	;; [unrolled: 1-line block ×4, first 2 shown]
	s_cbranch_scc1 .LBB81_66
; %bb.65:                               ;   in Loop: Header=BB81_62 Depth=1
	s_mov_b32 s4, s5
	s_branch .LBB81_62
.LBB81_66:
	s_cmp_lt_i32 s5, 0
	s_cbranch_scc1 .LBB81_79
; %bb.67:
	s_bitcmp1_b32 s5, 0
	s_cselect_b32 s1, -1, 0
	s_delay_alu instid0(SALU_CYCLE_1)
	s_and_b32 vcc_lo, exec_lo, s1
	s_mov_b32 s1, s5
	s_cbranch_vccnz .LBB81_72
; %bb.68:
	s_mul_i32 s1, s5, 12
	s_cmp_le_i32 s30, s5
	v_add_lshl_u32 v3, s1, v0, 3
	ds_load_b64 v[1:2], v3 offset:1152
	s_cbranch_scc1 .LBB81_71
; %bb.69:
	v_lshlrev_b32_e32 v4, 3, v0
	s_mul_i32 s6, s29, 0x60
	s_mul_i32 s1, s5, 0x60
	s_lshl_b32 s4, s29, 3
	s_delay_alu instid0(SALU_CYCLE_1)
	s_add_i32 s1, s1, s4
	v_add3_u32 v4, s6, v4, 0x420
	s_add_i32 s1, s1, -8
	s_mov_b32 s4, s30
.LBB81_70:                              ; =>This Inner Loop Header: Depth=1
	v_mov_b32_e32 v7, s1
	s_add_i32 s4, s4, -1
	s_add_i32 s1, s1, -8
	s_cmp_gt_i32 s4, s5
	ds_load_b64 v[5:6], v4
	ds_load_b64 v[7:8], v7
	v_add_nc_u32_e32 v4, 0xffffffa0, v4
	s_waitcnt lgkmcnt(0)
	v_fma_f64 v[1:2], -v[5:6], v[7:8], v[1:2]
	s_cbranch_scc1 .LBB81_70
.LBB81_71:
	s_mul_i32 s1, s5, 0x68
	s_delay_alu instid0(SALU_CYCLE_1) | instskip(SKIP_4) | instid1(VALU_DEP_1)
	v_dual_mov_b32 v4, s1 :: v_dual_add_nc_u32 v3, 0x480, v3
	s_add_i32 s1, s5, -1
	ds_load_b64 v[4:5], v4
	s_waitcnt lgkmcnt(0)
	v_div_scale_f64 v[6:7], null, v[4:5], v[4:5], v[1:2]
	v_rcp_f64_e32 v[8:9], v[6:7]
	s_waitcnt_depctr 0xfff
	v_fma_f64 v[10:11], -v[6:7], v[8:9], 1.0
	s_delay_alu instid0(VALU_DEP_1) | instskip(NEXT) | instid1(VALU_DEP_1)
	v_fma_f64 v[8:9], v[8:9], v[10:11], v[8:9]
	v_fma_f64 v[10:11], -v[6:7], v[8:9], 1.0
	s_delay_alu instid0(VALU_DEP_1) | instskip(SKIP_1) | instid1(VALU_DEP_1)
	v_fma_f64 v[8:9], v[8:9], v[10:11], v[8:9]
	v_div_scale_f64 v[10:11], vcc_lo, v[1:2], v[4:5], v[1:2]
	v_mul_f64 v[12:13], v[10:11], v[8:9]
	s_delay_alu instid0(VALU_DEP_1) | instskip(NEXT) | instid1(VALU_DEP_1)
	v_fma_f64 v[6:7], -v[6:7], v[12:13], v[10:11]
	v_div_fmas_f64 v[6:7], v[6:7], v[8:9], v[12:13]
	s_delay_alu instid0(VALU_DEP_1)
	v_div_fixup_f64 v[1:2], v[6:7], v[4:5], v[1:2]
	ds_store_b64 v3, v[1:2]
.LBB81_72:
	s_cmp_eq_u32 s5, 0
	s_cbranch_scc1 .LBB81_79
; %bb.73:
	v_lshlrev_b32_e32 v1, 3, v0
	s_mul_i32 s6, s29, 0x60
	s_mul_i32 s4, s1, 0x60
	s_lshl_b32 s5, s29, 3
	s_delay_alu instid0(SALU_CYCLE_1)
	s_add_i32 s5, s4, s5
	v_add3_u32 v5, s6, v1, 0x420
	s_add_i32 s4, s5, -8
	s_addk_i32 s5, 0xff98
	s_branch .LBB81_75
.LBB81_74:                              ;   in Loop: Header=BB81_75 Depth=1
	s_addk_i32 s6, 0xff98
	s_delay_alu instid0(SALU_CYCLE_1)
	v_dual_mov_b32 v2, s6 :: v_dual_add_nc_u32 v1, 0x480, v6
	s_add_i32 s6, s1, -2
	s_addk_i32 s4, 0xff40
	s_addk_i32 s5, 0xff40
	s_cmp_lt_i32 s1, 2
	ds_load_b64 v[6:7], v2
	s_mov_b32 s1, s6
	s_waitcnt lgkmcnt(0)
	v_div_scale_f64 v[8:9], null, v[6:7], v[6:7], v[3:4]
	s_delay_alu instid0(VALU_DEP_1) | instskip(SKIP_2) | instid1(VALU_DEP_1)
	v_rcp_f64_e32 v[10:11], v[8:9]
	s_waitcnt_depctr 0xfff
	v_fma_f64 v[12:13], -v[8:9], v[10:11], 1.0
	v_fma_f64 v[10:11], v[10:11], v[12:13], v[10:11]
	s_delay_alu instid0(VALU_DEP_1) | instskip(NEXT) | instid1(VALU_DEP_1)
	v_fma_f64 v[12:13], -v[8:9], v[10:11], 1.0
	v_fma_f64 v[10:11], v[10:11], v[12:13], v[10:11]
	v_div_scale_f64 v[12:13], vcc_lo, v[3:4], v[6:7], v[3:4]
	s_delay_alu instid0(VALU_DEP_1) | instskip(NEXT) | instid1(VALU_DEP_1)
	v_mul_f64 v[14:15], v[12:13], v[10:11]
	v_fma_f64 v[8:9], -v[8:9], v[14:15], v[12:13]
	s_delay_alu instid0(VALU_DEP_1) | instskip(NEXT) | instid1(VALU_DEP_1)
	v_div_fmas_f64 v[8:9], v[8:9], v[10:11], v[14:15]
	v_div_fixup_f64 v[2:3], v[8:9], v[6:7], v[3:4]
	ds_store_b64 v1, v[2:3]
	s_cbranch_scc1 .LBB81_79
.LBB81_75:                              ; =>This Loop Header: Depth=1
                                        ;     Child Loop BB81_76 Depth 2
                                        ;     Child Loop BB81_78 Depth 2
	s_mul_i32 s7, s1, 12
	v_mov_b32_e32 v4, v5
	v_add_lshl_u32 v3, s7, v0, 3
	s_cmp_le_i32 s30, s1
	s_mov_b32 s6, s4
	s_mov_b32 s8, s30
	ds_load_b64 v[1:2], v3 offset:1152
	s_cbranch_scc1 .LBB81_77
.LBB81_76:                              ;   Parent Loop BB81_75 Depth=1
                                        ; =>  This Inner Loop Header: Depth=2
	v_mov_b32_e32 v8, s6
	s_add_i32 s8, s8, -1
	s_add_i32 s6, s6, -8
	s_cmp_le_i32 s8, s1
	ds_load_b64 v[6:7], v4
	ds_load_b64 v[8:9], v8
	v_add_nc_u32_e32 v4, 0xffffffa0, v4
	s_waitcnt lgkmcnt(0)
	v_fma_f64 v[1:2], -v[6:7], v[8:9], v[1:2]
	s_cbranch_scc0 .LBB81_76
.LBB81_77:                              ;   in Loop: Header=BB81_75 Depth=1
	s_mul_i32 s6, s1, 0x68
	v_add_nc_u32_e32 v7, 0x480, v3
	v_mov_b32_e32 v3, s6
	s_add_i32 s7, s7, -12
	s_cmp_lt_i32 s30, s1
	v_add_lshl_u32 v6, s7, v0, 3
	s_mov_b32 s7, s5
	ds_load_b64 v[8:9], v3
	s_mov_b32 s8, s29
	ds_load_b64 v[3:4], v6 offset:1152
	s_waitcnt lgkmcnt(1)
	v_div_scale_f64 v[10:11], null, v[8:9], v[8:9], v[1:2]
	s_delay_alu instid0(VALU_DEP_1) | instskip(SKIP_2) | instid1(VALU_DEP_1)
	v_rcp_f64_e32 v[12:13], v[10:11]
	s_waitcnt_depctr 0xfff
	v_fma_f64 v[14:15], -v[10:11], v[12:13], 1.0
	v_fma_f64 v[12:13], v[12:13], v[14:15], v[12:13]
	s_delay_alu instid0(VALU_DEP_1) | instskip(NEXT) | instid1(VALU_DEP_1)
	v_fma_f64 v[14:15], -v[10:11], v[12:13], 1.0
	v_fma_f64 v[12:13], v[12:13], v[14:15], v[12:13]
	v_div_scale_f64 v[14:15], vcc_lo, v[1:2], v[8:9], v[1:2]
	s_delay_alu instid0(VALU_DEP_1) | instskip(NEXT) | instid1(VALU_DEP_1)
	v_mul_f64 v[16:17], v[14:15], v[12:13]
	v_fma_f64 v[10:11], -v[10:11], v[16:17], v[14:15]
	s_delay_alu instid0(VALU_DEP_1) | instskip(NEXT) | instid1(VALU_DEP_1)
	v_div_fmas_f64 v[10:11], v[10:11], v[12:13], v[16:17]
	v_div_fixup_f64 v[8:9], v[10:11], v[8:9], v[1:2]
	v_mov_b32_e32 v1, v5
	ds_store_b64 v7, v[8:9]
	s_cbranch_scc1 .LBB81_74
.LBB81_78:                              ;   Parent Loop BB81_75 Depth=1
                                        ; =>  This Inner Loop Header: Depth=2
	v_mov_b32_e32 v2, s7
	s_add_i32 s8, s8, -1
	s_add_i32 s7, s7, -8
	s_cmp_gt_i32 s8, s1
	ds_load_b64 v[7:8], v1
	ds_load_b64 v[9:10], v2
	v_add_nc_u32_e32 v1, 0xffffffa0, v1
	s_waitcnt lgkmcnt(0)
	v_fma_f64 v[3:4], -v[7:8], v[9:10], v[3:4]
	s_cbranch_scc1 .LBB81_78
	s_branch .LBB81_74
.LBB81_79:
	s_mov_b32 s6, 0
.LBB81_80:
	s_delay_alu instid0(SALU_CYCLE_1)
	s_and_not1_b32 vcc_lo, exec_lo, s6
	s_cbranch_vccnz .LBB81_99
; %bb.81:
	s_cmp_lt_i32 s28, 4
	s_mov_b32 s5, 0
	s_cbranch_scc1 .LBB81_88
; %bb.82:
	v_lshl_or_b32 v9, v0, 3, 0x480
	s_mov_b32 s1, 0
	s_mov_b32 s4, 0
.LBB81_83:                              ; =>This Loop Header: Depth=1
                                        ;     Child Loop BB81_85 Depth 2
	s_delay_alu instid0(SALU_CYCLE_1) | instskip(NEXT) | instid1(SALU_CYCLE_1)
	s_mul_i32 s5, s4, 12
	s_add_i32 s7, s5, 12
	v_add_lshl_u32 v10, s5, v0, 3
	s_add_i32 s6, s5, 24
	v_add_lshl_u32 v11, s7, v0, 3
	;; [unrolled: 2-line block ×3, first 2 shown]
	v_add_lshl_u32 v13, s5, v0, 3
	ds_load_b64 v[7:8], v10 offset:1152
	ds_load_b64 v[5:6], v11 offset:1152
	;; [unrolled: 1-line block ×4, first 2 shown]
	s_cmp_eq_u32 s4, 0
	s_cbranch_scc1 .LBB81_86
; %bb.84:                               ;   in Loop: Header=BB81_83 Depth=1
	v_mov_b32_e32 v14, v9
	s_mov_b32 s8, 0
	s_mov_b32 s9, s1
.LBB81_85:                              ;   Parent Loop BB81_83 Depth=1
                                        ; =>  This Inner Loop Header: Depth=2
	s_delay_alu instid0(SALU_CYCLE_1)
	v_mov_b32_e32 v47, s9
	s_add_i32 s8, s8, 4
	s_add_i32 s9, s9, 32
	s_cmp_ge_u32 s8, s4
	ds_load_2addr_b64 v[15:18], v14 offset1:12
	ds_load_b128 v[19:22], v47
	ds_load_b128 v[23:26], v47 offset:96
	ds_load_b128 v[27:30], v47 offset:192
	;; [unrolled: 1-line block ×7, first 2 shown]
	s_waitcnt lgkmcnt(7)
	v_fma_f64 v[7:8], -v[15:16], v[19:20], v[7:8]
	s_waitcnt lgkmcnt(6)
	v_fma_f64 v[5:6], -v[15:16], v[23:24], v[5:6]
	;; [unrolled: 2-line block ×4, first 2 shown]
	s_delay_alu instid0(VALU_DEP_4) | instskip(NEXT) | instid1(VALU_DEP_4)
	v_fma_f64 v[7:8], -v[17:18], v[21:22], v[7:8]
	v_fma_f64 v[5:6], -v[17:18], v[25:26], v[5:6]
	s_delay_alu instid0(VALU_DEP_4) | instskip(NEXT) | instid1(VALU_DEP_4)
	v_fma_f64 v[3:4], -v[17:18], v[29:30], v[3:4]
	v_fma_f64 v[1:2], -v[17:18], v[33:34], v[1:2]
	ds_load_2addr_b64 v[15:18], v14 offset0:24 offset1:36
	v_add_nc_u32_e32 v14, 0x180, v14
	s_waitcnt lgkmcnt(0)
	v_fma_f64 v[7:8], -v[15:16], v[35:36], v[7:8]
	v_fma_f64 v[5:6], -v[15:16], v[39:40], v[5:6]
	;; [unrolled: 1-line block ×4, first 2 shown]
	s_delay_alu instid0(VALU_DEP_4) | instskip(NEXT) | instid1(VALU_DEP_4)
	v_fma_f64 v[7:8], -v[17:18], v[37:38], v[7:8]
	v_fma_f64 v[5:6], -v[17:18], v[41:42], v[5:6]
	s_delay_alu instid0(VALU_DEP_4) | instskip(NEXT) | instid1(VALU_DEP_4)
	v_fma_f64 v[3:4], -v[17:18], v[45:46], v[3:4]
	v_fma_f64 v[1:2], -v[17:18], v[49:50], v[1:2]
	s_cbranch_scc0 .LBB81_85
.LBB81_86:                              ;   in Loop: Header=BB81_83 Depth=1
	s_mul_i32 s8, s4, 0x68
	s_delay_alu instid0(SALU_CYCLE_1)
	v_dual_mov_b32 v14, s8 :: v_dual_add_nc_u32 v11, 0x480, v11
	s_add_i32 s7, s7, s4
	s_add_i32 s6, s6, s4
	s_lshl_b32 s7, s7, 3
	v_add_nc_u32_e32 v13, 0x480, v13
	ds_load_2addr_b64 v[14:17], v14 offset1:26
	s_lshl_b32 s6, s6, 3
	s_add_i32 s5, s5, s4
	v_add_nc_u32_e32 v10, 0x480, v10
	s_lshl_b32 s5, s5, 3
	v_add_nc_u32_e32 v12, 0x480, v12
	s_addk_i32 s1, 0x180
	s_waitcnt lgkmcnt(0)
	v_div_scale_f64 v[18:19], null, v[14:15], v[14:15], v[7:8]
	v_div_scale_f64 v[24:25], vcc_lo, v[7:8], v[14:15], v[7:8]
	s_delay_alu instid0(VALU_DEP_2) | instskip(SKIP_2) | instid1(VALU_DEP_1)
	v_rcp_f64_e32 v[20:21], v[18:19]
	s_waitcnt_depctr 0xfff
	v_fma_f64 v[22:23], -v[18:19], v[20:21], 1.0
	v_fma_f64 v[20:21], v[20:21], v[22:23], v[20:21]
	s_delay_alu instid0(VALU_DEP_1) | instskip(NEXT) | instid1(VALU_DEP_1)
	v_fma_f64 v[22:23], -v[18:19], v[20:21], 1.0
	v_fma_f64 v[20:21], v[20:21], v[22:23], v[20:21]
	s_delay_alu instid0(VALU_DEP_1) | instskip(NEXT) | instid1(VALU_DEP_1)
	v_mul_f64 v[22:23], v[24:25], v[20:21]
	v_fma_f64 v[18:19], -v[18:19], v[22:23], v[24:25]
	s_delay_alu instid0(VALU_DEP_1) | instskip(NEXT) | instid1(VALU_DEP_1)
	v_div_fmas_f64 v[18:19], v[18:19], v[20:21], v[22:23]
	v_div_fixup_f64 v[7:8], v[18:19], v[14:15], v[7:8]
	v_mov_b32_e32 v14, s7
	ds_load_b128 v[18:21], v14
	v_mov_b32_e32 v14, s6
	ds_load_b128 v[22:25], v14
	s_waitcnt lgkmcnt(1)
	v_fma_f64 v[5:6], -v[7:8], v[18:19], v[5:6]
	s_waitcnt lgkmcnt(0)
	v_fma_f64 v[3:4], -v[7:8], v[22:23], v[3:4]
	s_delay_alu instid0(VALU_DEP_2) | instskip(SKIP_1) | instid1(VALU_DEP_2)
	v_div_scale_f64 v[14:15], null, v[20:21], v[20:21], v[5:6]
	v_div_scale_f64 v[28:29], vcc_lo, v[5:6], v[20:21], v[5:6]
	v_rcp_f64_e32 v[18:19], v[14:15]
	s_waitcnt_depctr 0xfff
	v_fma_f64 v[26:27], -v[14:15], v[18:19], 1.0
	s_delay_alu instid0(VALU_DEP_1) | instskip(NEXT) | instid1(VALU_DEP_1)
	v_fma_f64 v[18:19], v[18:19], v[26:27], v[18:19]
	v_fma_f64 v[26:27], -v[14:15], v[18:19], 1.0
	s_delay_alu instid0(VALU_DEP_1) | instskip(NEXT) | instid1(VALU_DEP_1)
	v_fma_f64 v[18:19], v[18:19], v[26:27], v[18:19]
	v_mul_f64 v[26:27], v[28:29], v[18:19]
	s_delay_alu instid0(VALU_DEP_1) | instskip(NEXT) | instid1(VALU_DEP_1)
	v_fma_f64 v[14:15], -v[14:15], v[26:27], v[28:29]
	v_div_fmas_f64 v[14:15], v[14:15], v[18:19], v[26:27]
	s_delay_alu instid0(VALU_DEP_1) | instskip(NEXT) | instid1(VALU_DEP_1)
	v_div_fixup_f64 v[14:15], v[14:15], v[20:21], v[5:6]
	v_fma_f64 v[22:23], -v[14:15], v[24:25], v[3:4]
	s_delay_alu instid0(VALU_DEP_1) | instskip(SKIP_1) | instid1(VALU_DEP_2)
	v_div_scale_f64 v[3:4], null, v[16:17], v[16:17], v[22:23]
	v_div_scale_f64 v[20:21], vcc_lo, v[22:23], v[16:17], v[22:23]
	v_rcp_f64_e32 v[5:6], v[3:4]
	s_waitcnt_depctr 0xfff
	v_fma_f64 v[18:19], -v[3:4], v[5:6], 1.0
	s_delay_alu instid0(VALU_DEP_1) | instskip(NEXT) | instid1(VALU_DEP_1)
	v_fma_f64 v[5:6], v[5:6], v[18:19], v[5:6]
	v_fma_f64 v[18:19], -v[3:4], v[5:6], 1.0
	s_delay_alu instid0(VALU_DEP_1) | instskip(SKIP_3) | instid1(SALU_CYCLE_1)
	v_fma_f64 v[24:25], v[5:6], v[18:19], v[5:6]
	v_mov_b32_e32 v18, s5
	s_add_i32 s5, s4, 4
	s_add_i32 s4, s4, 7
	s_cmp_ge_i32 s4, s29
	s_delay_alu instid0(VALU_DEP_2) | instskip(NEXT) | instid1(VALU_DEP_1)
	v_mul_f64 v[26:27], v[20:21], v[24:25]
	v_fma_f64 v[28:29], -v[3:4], v[26:27], v[20:21]
	ds_load_b128 v[3:6], v18
	ds_load_b128 v[18:21], v18 offset:16
	s_waitcnt lgkmcnt(1)
	v_fma_f64 v[1:2], -v[7:8], v[3:4], v[1:2]
	v_div_fmas_f64 v[3:4], v[28:29], v[24:25], v[26:27]
	s_delay_alu instid0(VALU_DEP_2) | instskip(NEXT) | instid1(VALU_DEP_2)
	v_fma_f64 v[1:2], -v[14:15], v[5:6], v[1:2]
	v_div_fixup_f64 v[3:4], v[3:4], v[16:17], v[22:23]
	s_waitcnt lgkmcnt(0)
	s_delay_alu instid0(VALU_DEP_1) | instskip(NEXT) | instid1(VALU_DEP_1)
	v_fma_f64 v[1:2], -v[3:4], v[18:19], v[1:2]
	v_div_scale_f64 v[5:6], null, v[20:21], v[20:21], v[1:2]
	s_delay_alu instid0(VALU_DEP_1) | instskip(SKIP_2) | instid1(VALU_DEP_1)
	v_rcp_f64_e32 v[16:17], v[5:6]
	s_waitcnt_depctr 0xfff
	v_fma_f64 v[18:19], -v[5:6], v[16:17], 1.0
	v_fma_f64 v[16:17], v[16:17], v[18:19], v[16:17]
	s_delay_alu instid0(VALU_DEP_1) | instskip(NEXT) | instid1(VALU_DEP_1)
	v_fma_f64 v[18:19], -v[5:6], v[16:17], 1.0
	v_fma_f64 v[16:17], v[16:17], v[18:19], v[16:17]
	v_div_scale_f64 v[18:19], vcc_lo, v[1:2], v[20:21], v[1:2]
	s_delay_alu instid0(VALU_DEP_1) | instskip(NEXT) | instid1(VALU_DEP_1)
	v_mul_f64 v[22:23], v[18:19], v[16:17]
	v_fma_f64 v[5:6], -v[5:6], v[22:23], v[18:19]
	s_delay_alu instid0(VALU_DEP_1) | instskip(NEXT) | instid1(VALU_DEP_1)
	v_div_fmas_f64 v[5:6], v[5:6], v[16:17], v[22:23]
	v_div_fixup_f64 v[1:2], v[5:6], v[20:21], v[1:2]
	ds_store_b64 v10, v[7:8]
	ds_store_b64 v11, v[14:15]
	;; [unrolled: 1-line block ×4, first 2 shown]
	s_cbranch_scc1 .LBB81_88
; %bb.87:                               ;   in Loop: Header=BB81_83 Depth=1
	s_mov_b32 s4, s5
	s_branch .LBB81_83
.LBB81_88:
	s_cmp_ge_i32 s5, s29
	s_cbranch_scc1 .LBB81_99
; %bb.89:
	v_lshl_or_b32 v1, v0, 3, 0x480
	s_add_i32 s1, s5, -1
	s_mul_i32 s4, s5, 0x60
	s_mov_b32 s6, 0
	s_mov_b32 s7, s5
	s_branch .LBB81_91
.LBB81_90:                              ;   in Loop: Header=BB81_91 Depth=1
	s_mul_i32 s8, s5, 0x68
	s_delay_alu instid0(SALU_CYCLE_1)
	v_dual_mov_b32 v5, s8 :: v_dual_add_nc_u32 v4, 0x480, v6
	s_add_i32 s5, s5, 1
	s_add_i32 s6, s6, 1
	s_addk_i32 s4, 0x60
	s_cmp_ge_i32 s5, s29
	ds_load_b64 v[5:6], v5
	s_waitcnt lgkmcnt(0)
	v_div_scale_f64 v[7:8], null, v[5:6], v[5:6], v[2:3]
	s_delay_alu instid0(VALU_DEP_1) | instskip(SKIP_2) | instid1(VALU_DEP_1)
	v_rcp_f64_e32 v[9:10], v[7:8]
	s_waitcnt_depctr 0xfff
	v_fma_f64 v[11:12], -v[7:8], v[9:10], 1.0
	v_fma_f64 v[9:10], v[9:10], v[11:12], v[9:10]
	s_delay_alu instid0(VALU_DEP_1) | instskip(NEXT) | instid1(VALU_DEP_1)
	v_fma_f64 v[11:12], -v[7:8], v[9:10], 1.0
	v_fma_f64 v[9:10], v[9:10], v[11:12], v[9:10]
	v_div_scale_f64 v[11:12], vcc_lo, v[2:3], v[5:6], v[2:3]
	s_delay_alu instid0(VALU_DEP_1) | instskip(NEXT) | instid1(VALU_DEP_1)
	v_mul_f64 v[13:14], v[11:12], v[9:10]
	v_fma_f64 v[7:8], -v[7:8], v[13:14], v[11:12]
	s_delay_alu instid0(VALU_DEP_1) | instskip(NEXT) | instid1(VALU_DEP_1)
	v_div_fmas_f64 v[7:8], v[7:8], v[9:10], v[13:14]
	v_div_fixup_f64 v[2:3], v[7:8], v[5:6], v[2:3]
	v_add_nc_u16 v5, s7, 1
	s_delay_alu instid0(VALU_DEP_1)
	v_readfirstlane_b32 s7, v5
	ds_store_b64 v4, v[2:3]
	s_cbranch_scc1 .LBB81_99
.LBB81_91:                              ; =>This Loop Header: Depth=1
                                        ;     Child Loop BB81_94 Depth 2
                                        ;     Child Loop BB81_98 Depth 2
	s_mul_i32 s8, s5, 12
	s_cmp_eq_u32 s5, 0
	v_add_lshl_u32 v6, s8, v0, 3
	ds_load_b64 v[2:3], v6 offset:1152
	s_cbranch_scc1 .LBB81_90
; %bb.92:                               ;   in Loop: Header=BB81_91 Depth=1
	s_add_i32 s8, s1, s6
	s_delay_alu instid0(SALU_CYCLE_1)
	s_cmp_lt_u32 s8, 7
	s_cbranch_scc1 .LBB81_96
; %bb.93:                               ;   in Loop: Header=BB81_91 Depth=1
	v_mov_b32_e32 v4, v1
	s_and_b32 s8, s5, -8
	s_mov_b32 s9, 0
	s_mov_b32 s12, s4
	s_set_inst_prefetch_distance 0x1
	.p2align	6
.LBB81_94:                              ;   Parent Loop BB81_91 Depth=1
                                        ; =>  This Inner Loop Header: Depth=2
	v_mov_b32_e32 v5, s12
	s_add_i32 s9, s9, 8
	s_add_i32 s12, s12, 64
	s_cmp_eq_u32 s8, s9
	ds_load_2addr_b64 v[7:10], v4 offset1:12
	ds_load_b128 v[11:14], v5
	ds_load_b128 v[15:18], v5 offset:16
	s_waitcnt lgkmcnt(1)
	v_fma_f64 v[2:3], -v[7:8], v[11:12], v[2:3]
	s_delay_alu instid0(VALU_DEP_1) | instskip(SKIP_3) | instid1(VALU_DEP_1)
	v_fma_f64 v[2:3], -v[9:10], v[13:14], v[2:3]
	ds_load_2addr_b64 v[7:10], v4 offset0:24 offset1:36
	s_waitcnt lgkmcnt(0)
	v_fma_f64 v[2:3], -v[7:8], v[15:16], v[2:3]
	v_fma_f64 v[2:3], -v[9:10], v[17:18], v[2:3]
	ds_load_2addr_b64 v[7:10], v4 offset0:48 offset1:60
	ds_load_b128 v[11:14], v5 offset:32
	ds_load_b128 v[15:18], v5 offset:48
	s_waitcnt lgkmcnt(1)
	v_fma_f64 v[2:3], -v[7:8], v[11:12], v[2:3]
	s_delay_alu instid0(VALU_DEP_1) | instskip(SKIP_4) | instid1(VALU_DEP_1)
	v_fma_f64 v[2:3], -v[9:10], v[13:14], v[2:3]
	ds_load_2addr_b64 v[7:10], v4 offset0:72 offset1:84
	v_add_nc_u32_e32 v4, 0x300, v4
	s_waitcnt lgkmcnt(0)
	v_fma_f64 v[2:3], -v[7:8], v[15:16], v[2:3]
	v_fma_f64 v[2:3], -v[9:10], v[17:18], v[2:3]
	s_cbranch_scc0 .LBB81_94
; %bb.95:                               ;   in Loop: Header=BB81_91 Depth=1
	s_set_inst_prefetch_distance 0x2
	s_and_b32 s9, s5, 7
	s_delay_alu instid0(SALU_CYCLE_1)
	s_cmp_eq_u32 s9, 0
	s_cbranch_scc0 .LBB81_97
	s_branch .LBB81_90
.LBB81_96:                              ;   in Loop: Header=BB81_91 Depth=1
	s_mov_b32 s8, 0
	s_and_b32 s9, s5, 7
	s_delay_alu instid0(SALU_CYCLE_1)
	s_cmp_eq_u32 s9, 0
	s_cbranch_scc1 .LBB81_90
.LBB81_97:                              ;   in Loop: Header=BB81_91 Depth=1
	s_waitcnt lgkmcnt(0)
	s_delay_alu instid0(VALU_DEP_1)
	v_mad_u64_u32 v[4:5], null, 0x60, s8, v[1:2]
	s_and_b32 s9, s7, 7
	s_lshl_b32 s8, s8, 3
.LBB81_98:                              ;   Parent Loop BB81_91 Depth=1
                                        ; =>  This Inner Loop Header: Depth=2
	s_delay_alu instid0(SALU_CYCLE_1)
	s_add_i32 s12, s4, s8
	s_add_i32 s9, s9, -1
	v_mov_b32_e32 v5, s12
	s_add_i32 s8, s8, 8
	s_cmp_lg_u32 s9, 0
	ds_load_b64 v[7:8], v4
	ds_load_b64 v[9:10], v5
	v_add_nc_u32_e32 v4, 0x60, v4
	s_waitcnt lgkmcnt(0)
	v_fma_f64 v[2:3], -v[7:8], v[9:10], v[2:3]
	s_cbranch_scc1 .LBB81_98
	s_branch .LBB81_90
.LBB81_99:
	s_and_saveexec_b32 s1, s20
	s_cbranch_execz .LBB81_106
; %bb.100:
	v_lshlrev_b32_e32 v3, 3, v0
	s_ashr_i32 s1, s0, 31
	s_cmp_lt_u32 s28, 4
	s_mov_b32 s12, 0
	s_cbranch_scc1 .LBB81_103
; %bb.101:
	v_add_co_u32 v1, s4, s18, v3
	s_delay_alu instid0(VALU_DEP_1)
	v_add_co_ci_u32_e64 v2, null, s19, 0, s4
	v_lshl_or_b32 v0, v0, 3, 0x480
	s_and_b32 s12, s28, 0x7ffffffc
	s_mul_hi_i32 s13, s0, 24
	s_mul_i32 s14, s0, 24
	s_lshl_b64 s[4:5], s[0:1], 5
	s_lshl_b64 s[6:7], s[0:1], 4
	;; [unrolled: 1-line block ×3, first 2 shown]
	s_mov_b32 s15, 0
	.p2align	6
.LBB81_102:                             ; =>This Inner Loop Header: Depth=1
	ds_load_2addr_b64 v[4:7], v0 offset1:12
	ds_load_2addr_b64 v[8:11], v0 offset0:24 offset1:36
	v_add_co_u32 v12, vcc_lo, v1, s8
	v_add_co_ci_u32_e32 v13, vcc_lo, s9, v2, vcc_lo
	v_add_co_u32 v14, vcc_lo, v1, s6
	v_add_co_ci_u32_e32 v15, vcc_lo, s7, v2, vcc_lo
	;; [unrolled: 2-line block ×3, first 2 shown]
	v_add_nc_u32_e32 v0, 0x180, v0
	s_add_i32 s15, s15, 4
	s_delay_alu instid0(SALU_CYCLE_1)
	s_cmp_lg_u32 s12, s15
	s_waitcnt lgkmcnt(1)
	global_store_b64 v[1:2], v[4:5], off
	v_add_co_u32 v1, vcc_lo, v1, s4
	v_add_co_ci_u32_e32 v2, vcc_lo, s5, v2, vcc_lo
	global_store_b64 v[12:13], v[6:7], off
	s_waitcnt lgkmcnt(0)
	s_clause 0x1
	global_store_b64 v[14:15], v[8:9], off
	global_store_b64 v[16:17], v[10:11], off
	s_cbranch_scc1 .LBB81_102
.LBB81_103:
	s_and_b32 s4, s28, 3
	s_delay_alu instid0(SALU_CYCLE_1)
	s_cmp_eq_u32 s4, 0
	s_cbranch_scc1 .LBB81_106
; %bb.104:
	s_mul_hi_i32 s7, s0, s12
	s_mul_i32 s6, s0, s12
	s_mul_i32 s5, s12, 0x60
	s_lshl_b64 s[6:7], s[6:7], 3
	v_add3_u32 v2, s5, v3, 0x480
	s_add_u32 s6, s6, s16
	s_addc_u32 s7, s7, s17
	s_add_u32 s6, s6, s10
	s_addc_u32 s7, s7, s11
	;; [unrolled: 2-line block ×3, first 2 shown]
	v_add_co_u32 v0, s2, s2, v3
	s_delay_alu instid0(VALU_DEP_1)
	v_add_co_ci_u32_e64 v1, null, s3, 0, s2
	s_lshl_b64 s[0:1], s[0:1], 3
.LBB81_105:                             ; =>This Inner Loop Header: Depth=1
	ds_load_b64 v[3:4], v2
	v_add_nc_u32_e32 v2, 0x60, v2
	s_add_i32 s4, s4, -1
	s_delay_alu instid0(SALU_CYCLE_1)
	s_cmp_lg_u32 s4, 0
	s_waitcnt lgkmcnt(0)
	global_store_b64 v[0:1], v[3:4], off
	v_add_co_u32 v0, vcc_lo, v0, s0
	v_add_co_ci_u32_e32 v1, vcc_lo, s1, v1, vcc_lo
	s_cbranch_scc1 .LBB81_105
.LBB81_106:
	s_nop 0
	s_sendmsg sendmsg(MSG_DEALLOC_VGPRS)
	s_endpgm
	.section	.rodata,"a",@progbits
	.p2align	6, 0x0
	.amdhsa_kernel _ZL31rocblas_trsm_small_right_deviceIddPKPKdPKPdLi12EEv13rocblas_fill_18rocblas_operation_17rocblas_diagonal_iiT0_T1_lilT2_lili
		.amdhsa_group_segment_fixed_size 2304
		.amdhsa_private_segment_fixed_size 0
		.amdhsa_kernarg_size 360
		.amdhsa_user_sgpr_count 14
		.amdhsa_user_sgpr_dispatch_ptr 0
		.amdhsa_user_sgpr_queue_ptr 0
		.amdhsa_user_sgpr_kernarg_segment_ptr 1
		.amdhsa_user_sgpr_dispatch_id 0
		.amdhsa_user_sgpr_private_segment_size 0
		.amdhsa_wavefront_size32 1
		.amdhsa_uses_dynamic_stack 0
		.amdhsa_enable_private_segment 0
		.amdhsa_system_sgpr_workgroup_id_x 1
		.amdhsa_system_sgpr_workgroup_id_y 0
		.amdhsa_system_sgpr_workgroup_id_z 1
		.amdhsa_system_sgpr_workgroup_info 0
		.amdhsa_system_vgpr_workitem_id 0
		.amdhsa_next_free_vgpr 51
		.amdhsa_next_free_sgpr 34
		.amdhsa_reserve_vcc 1
		.amdhsa_float_round_mode_32 0
		.amdhsa_float_round_mode_16_64 0
		.amdhsa_float_denorm_mode_32 3
		.amdhsa_float_denorm_mode_16_64 3
		.amdhsa_dx10_clamp 1
		.amdhsa_ieee_mode 1
		.amdhsa_fp16_overflow 0
		.amdhsa_workgroup_processor_mode 1
		.amdhsa_memory_ordered 1
		.amdhsa_forward_progress 0
		.amdhsa_shared_vgpr_count 0
		.amdhsa_exception_fp_ieee_invalid_op 0
		.amdhsa_exception_fp_denorm_src 0
		.amdhsa_exception_fp_ieee_div_zero 0
		.amdhsa_exception_fp_ieee_overflow 0
		.amdhsa_exception_fp_ieee_underflow 0
		.amdhsa_exception_fp_ieee_inexact 0
		.amdhsa_exception_int_div_zero 0
	.end_amdhsa_kernel
	.section	.text._ZL31rocblas_trsm_small_right_deviceIddPKPKdPKPdLi12EEv13rocblas_fill_18rocblas_operation_17rocblas_diagonal_iiT0_T1_lilT2_lili,"axG",@progbits,_ZL31rocblas_trsm_small_right_deviceIddPKPKdPKPdLi12EEv13rocblas_fill_18rocblas_operation_17rocblas_diagonal_iiT0_T1_lilT2_lili,comdat
.Lfunc_end81:
	.size	_ZL31rocblas_trsm_small_right_deviceIddPKPKdPKPdLi12EEv13rocblas_fill_18rocblas_operation_17rocblas_diagonal_iiT0_T1_lilT2_lili, .Lfunc_end81-_ZL31rocblas_trsm_small_right_deviceIddPKPKdPKPdLi12EEv13rocblas_fill_18rocblas_operation_17rocblas_diagonal_iiT0_T1_lilT2_lili
                                        ; -- End function
	.section	.AMDGPU.csdata,"",@progbits
; Kernel info:
; codeLenInByte = 9012
; NumSgprs: 36
; NumVgprs: 51
; ScratchSize: 0
; MemoryBound: 0
; FloatMode: 240
; IeeeMode: 1
; LDSByteSize: 2304 bytes/workgroup (compile time only)
; SGPRBlocks: 4
; VGPRBlocks: 6
; NumSGPRsForWavesPerEU: 36
; NumVGPRsForWavesPerEU: 51
; Occupancy: 14
; WaveLimiterHint : 0
; COMPUTE_PGM_RSRC2:SCRATCH_EN: 0
; COMPUTE_PGM_RSRC2:USER_SGPR: 14
; COMPUTE_PGM_RSRC2:TRAP_HANDLER: 0
; COMPUTE_PGM_RSRC2:TGID_X_EN: 1
; COMPUTE_PGM_RSRC2:TGID_Y_EN: 0
; COMPUTE_PGM_RSRC2:TGID_Z_EN: 1
; COMPUTE_PGM_RSRC2:TIDIG_COMP_CNT: 0
	.section	.text._ZL38rocblas_trsm_small_left_device_sharedBILi16ELi16ELb0EddPKPKdPKPdEv13rocblas_fill_18rocblas_operation_17rocblas_diagonal_iiT3_T4_lilT5_lili,"axG",@progbits,_ZL38rocblas_trsm_small_left_device_sharedBILi16ELi16ELb0EddPKPKdPKPdEv13rocblas_fill_18rocblas_operation_17rocblas_diagonal_iiT3_T4_lilT5_lili,comdat
	.globl	_ZL38rocblas_trsm_small_left_device_sharedBILi16ELi16ELb0EddPKPKdPKPdEv13rocblas_fill_18rocblas_operation_17rocblas_diagonal_iiT3_T4_lilT5_lili ; -- Begin function _ZL38rocblas_trsm_small_left_device_sharedBILi16ELi16ELb0EddPKPKdPKPdEv13rocblas_fill_18rocblas_operation_17rocblas_diagonal_iiT3_T4_lilT5_lili
	.p2align	8
	.type	_ZL38rocblas_trsm_small_left_device_sharedBILi16ELi16ELb0EddPKPKdPKPdEv13rocblas_fill_18rocblas_operation_17rocblas_diagonal_iiT3_T4_lilT5_lili,@function
_ZL38rocblas_trsm_small_left_device_sharedBILi16ELi16ELb0EddPKPKdPKPdEv13rocblas_fill_18rocblas_operation_17rocblas_diagonal_iiT3_T4_lilT5_lili: ; @_ZL38rocblas_trsm_small_left_device_sharedBILi16ELi16ELb0EddPKPKdPKPdEv13rocblas_fill_18rocblas_operation_17rocblas_diagonal_iiT3_T4_lilT5_lili
; %bb.0:
	s_load_b128 s[16:19], s[0:1], 0x40
	s_mov_b32 s12, s15
	s_mov_b32 s13, 0
	s_clause 0x1
	s_load_b128 s[4:7], s[0:1], 0x4
	s_load_b64 s[20:21], s[0:1], 0x28
	s_lshl_b64 s[22:23], s[12:13], 3
	s_mov_b32 s12, exec_lo
	s_waitcnt lgkmcnt(0)
	s_add_u32 s2, s16, s22
	s_addc_u32 s3, s17, s23
	s_load_b128 s[8:11], s[0:1], 0x18
	s_load_b64 s[2:3], s[2:3], 0x0
	s_min_i32 s28, s6, 16
	s_delay_alu instid0(SALU_CYCLE_1)
	s_add_i32 s29, s28, -1
	v_cmpx_gt_i32_e64 s28, v0
	s_cbranch_execz .LBB82_10
; %bb.1:
	s_load_b32 s16, s[0:1], 0x30
	s_waitcnt lgkmcnt(0)
	s_ashr_i32 s17, s16, 31
	s_add_u32 s10, s10, s22
	s_addc_u32 s11, s11, s23
	s_cmp_lt_u32 s29, 3
	s_load_b64 s[10:11], s[10:11], 0x0
	s_cbranch_scc1 .LBB82_4
; %bb.2:
	v_lshlrev_b32_e32 v3, 3, v0
	s_lshl_b64 s[22:23], s[20:21], 3
	s_mul_i32 s30, s16, 24
	s_waitcnt lgkmcnt(0)
	s_add_u32 s13, s10, s22
	s_addc_u32 s15, s11, s23
	v_add_co_u32 v1, s13, s13, v3
	s_delay_alu instid0(VALU_DEP_1)
	v_add_co_ci_u32_e64 v2, null, s15, 0, s13
	s_and_b32 s13, s28, -4
	s_mul_hi_i32 s15, s16, 24
	s_lshl_b64 s[22:23], s[16:17], 5
	s_lshl_b64 s[24:25], s[16:17], 4
	;; [unrolled: 1-line block ×3, first 2 shown]
	s_mov_b32 s31, 0
	.p2align	6
.LBB82_3:                               ; =>This Inner Loop Header: Depth=1
	v_add_co_u32 v4, vcc_lo, v1, s26
	v_add_co_ci_u32_e32 v5, vcc_lo, s27, v2, vcc_lo
	v_add_co_u32 v6, vcc_lo, v1, s24
	v_add_co_ci_u32_e32 v7, vcc_lo, s25, v2, vcc_lo
	;; [unrolled: 2-line block ×3, first 2 shown]
	s_clause 0x3
	global_load_b64 v[10:11], v[1:2], off
	global_load_b64 v[4:5], v[4:5], off
	;; [unrolled: 1-line block ×4, first 2 shown]
	v_add_co_u32 v1, vcc_lo, v1, s22
	v_add_co_ci_u32_e32 v2, vcc_lo, s23, v2, vcc_lo
	s_add_i32 s31, s31, 4
	s_waitcnt vmcnt(2)
	ds_store_2addr_b64 v3, v[10:11], v[4:5] offset1:16
	s_waitcnt vmcnt(0)
	ds_store_2addr_b64 v3, v[6:7], v[8:9] offset0:32 offset1:48
	v_add_nc_u32_e32 v3, 0x200, v3
	s_cmp_eq_u32 s13, s31
	s_cbranch_scc0 .LBB82_3
.LBB82_4:
	s_and_b32 s15, s28, 3
	s_delay_alu instid0(SALU_CYCLE_1)
	s_cmp_eq_u32 s15, 0
	s_cbranch_scc1 .LBB82_7
; %bb.5:
	s_mul_i32 s22, s17, s13
	s_mul_hi_u32 s23, s16, s13
	v_lshlrev_b32_e32 v1, 3, v0
	s_add_i32 s23, s23, s22
	s_mul_i32 s22, s16, s13
	s_lshl_b64 s[20:21], s[20:21], 3
	s_lshl_b64 s[22:23], s[22:23], 3
	v_lshl_or_b32 v3, s13, 7, v1
	s_add_u32 s13, s22, s20
	s_addc_u32 s20, s23, s21
	s_waitcnt lgkmcnt(0)
	s_add_u32 s10, s10, s13
	s_addc_u32 s11, s11, s20
	v_add_co_u32 v1, s10, s10, v1
	s_delay_alu instid0(VALU_DEP_1)
	v_add_co_ci_u32_e64 v2, null, s11, 0, s10
	s_lshl_b64 s[10:11], s[16:17], 3
.LBB82_6:                               ; =>This Inner Loop Header: Depth=1
	global_load_b64 v[4:5], v[1:2], off
	v_add_co_u32 v1, vcc_lo, v1, s10
	v_add_co_ci_u32_e32 v2, vcc_lo, s11, v2, vcc_lo
	s_add_i32 s15, s15, -1
	s_delay_alu instid0(SALU_CYCLE_1)
	s_cmp_lg_u32 s15, 0
	s_waitcnt vmcnt(0)
	ds_store_b64 v3, v[4:5]
	v_add_nc_u32_e32 v3, 0x80, v3
	s_cbranch_scc1 .LBB82_6
.LBB82_7:
	v_mul_u32_u24_e32 v3, 17, v0
	v_mov_b32_e32 v1, 0
	v_mov_b32_e32 v2, 0x3ff00000
	s_cmpk_lg_i32 s5, 0x84
	s_delay_alu instid0(VALU_DEP_3)
	v_lshlrev_b32_e32 v3, 3, v3
	s_cbranch_scc0 .LBB82_9
; %bb.8:
	ds_load_b64 v[1:2], v3
	s_waitcnt lgkmcnt(0)
	v_div_scale_f64 v[4:5], null, v[1:2], v[1:2], 1.0
	s_delay_alu instid0(VALU_DEP_1) | instskip(SKIP_2) | instid1(VALU_DEP_1)
	v_rcp_f64_e32 v[6:7], v[4:5]
	s_waitcnt_depctr 0xfff
	v_fma_f64 v[8:9], -v[4:5], v[6:7], 1.0
	v_fma_f64 v[6:7], v[6:7], v[8:9], v[6:7]
	s_delay_alu instid0(VALU_DEP_1) | instskip(NEXT) | instid1(VALU_DEP_1)
	v_fma_f64 v[8:9], -v[4:5], v[6:7], 1.0
	v_fma_f64 v[6:7], v[6:7], v[8:9], v[6:7]
	v_div_scale_f64 v[8:9], vcc_lo, 1.0, v[1:2], 1.0
	s_delay_alu instid0(VALU_DEP_1) | instskip(NEXT) | instid1(VALU_DEP_1)
	v_mul_f64 v[10:11], v[8:9], v[6:7]
	v_fma_f64 v[4:5], -v[4:5], v[10:11], v[8:9]
	s_delay_alu instid0(VALU_DEP_1) | instskip(NEXT) | instid1(VALU_DEP_1)
	v_div_fmas_f64 v[4:5], v[4:5], v[6:7], v[10:11]
	v_div_fixup_f64 v[1:2], v[4:5], v[1:2], 1.0
.LBB82_9:
	ds_store_b64 v3, v[1:2]
.LBB82_10:
	s_or_b32 exec_lo, exec_lo, s12
	s_clause 0x1
	s_load_b32 s5, s[0:1], 0x68
	s_load_b32 s16, s[0:1], 0x50
	s_lshl_b64 s[0:1], s[18:19], 3
	s_waitcnt lgkmcnt(0)
	s_ashr_i32 s17, s16, 31
	s_add_u32 s15, s2, s0
	s_addc_u32 s18, s3, s1
	s_lshl_b32 s10, s14, 4
	s_add_i32 s5, s5, -1
	s_sub_i32 s7, s7, s10
	s_mul_hi_i32 s13, s16, s10
	s_cmp_ge_u32 s14, s5
	s_mul_i32 s12, s16, s10
	s_cselect_b32 s14, s7, 16
	s_lshl_b64 s[12:13], s[12:13], 3
	s_ashr_i32 s11, s10, 31
	s_add_u32 s5, s15, s12
	s_addc_u32 s7, s18, s13
	v_cmp_gt_i32_e32 vcc_lo, s14, v0
	s_cmp_gt_i32 s6, 0
	s_mov_b32 s12, 0
	s_cselect_b32 s13, -1, 0
	s_delay_alu instid0(SALU_CYCLE_1) | instskip(NEXT) | instid1(SALU_CYCLE_1)
	s_and_b32 s18, vcc_lo, s13
	s_and_saveexec_b32 s19, s18
	s_cbranch_execz .LBB82_17
; %bb.11:
	s_cmp_lt_i32 s6, 8
	s_cbranch_scc1 .LBB82_14
; %bb.12:
	v_mad_i64_i32 v[1:2], null, s16, v0, 0
	v_lshl_or_b32 v3, v0, 3, 0x800
	s_lshl_b32 s12, s28, 3
	s_mov_b64 s[14:15], 0
	s_and_b32 s13, s12, 0xc0
	s_mov_b32 s12, 0
	s_delay_alu instid0(VALU_DEP_2) | instskip(NEXT) | instid1(VALU_DEP_1)
	v_lshlrev_b64 v[1:2], 3, v[1:2]
	v_add_co_u32 v1, vcc_lo, s5, v1
	s_delay_alu instid0(VALU_DEP_2)
	v_add_co_ci_u32_e32 v2, vcc_lo, s7, v2, vcc_lo
	s_set_inst_prefetch_distance 0x1
	.p2align	6
.LBB82_13:                              ; =>This Inner Loop Header: Depth=1
	s_delay_alu instid0(VALU_DEP_2) | instskip(NEXT) | instid1(VALU_DEP_2)
	v_add_co_u32 v16, vcc_lo, v1, s14
	v_add_co_ci_u32_e32 v17, vcc_lo, s15, v2, vcc_lo
	s_add_i32 s12, s12, 8
	s_add_u32 s14, s14, 64
	s_addc_u32 s15, s15, 0
	s_clause 0x3
	global_load_b128 v[4:7], v[16:17], off
	global_load_b128 v[8:11], v[16:17], off offset:16
	global_load_b128 v[12:15], v[16:17], off offset:32
	;; [unrolled: 1-line block ×3, first 2 shown]
	s_cmp_lg_u32 s13, s14
	s_waitcnt vmcnt(3)
	v_mul_f64 v[4:5], v[4:5], s[8:9]
	v_mul_f64 v[6:7], v[6:7], s[8:9]
	s_waitcnt vmcnt(2)
	v_mul_f64 v[8:9], v[8:9], s[8:9]
	v_mul_f64 v[10:11], v[10:11], s[8:9]
	;; [unrolled: 3-line block ×4, first 2 shown]
	ds_store_2addr_b64 v3, v[4:5], v[6:7] offset1:16
	ds_store_2addr_b64 v3, v[8:9], v[10:11] offset0:32 offset1:48
	ds_store_2addr_b64 v3, v[12:13], v[14:15] offset0:64 offset1:80
	;; [unrolled: 1-line block ×3, first 2 shown]
	v_add_nc_u32_e32 v3, 0x400, v3
	s_cbranch_scc1 .LBB82_13
.LBB82_14:
	s_set_inst_prefetch_distance 0x2
	s_and_b32 s14, s28, 7
	s_mov_b32 s13, 0
	s_cmp_eq_u32 s14, 0
	s_cbranch_scc1 .LBB82_17
; %bb.15:
	v_lshlrev_b32_e32 v3, 3, v0
	s_lshl_b64 s[20:21], s[10:11], 3
	s_lshl_b64 s[22:23], s[12:13], 3
	s_delay_alu instid0(VALU_DEP_1) | instskip(NEXT) | instid1(VALU_DEP_1)
	v_add_co_u32 v4, s13, s20, v3
	v_add_co_ci_u32_e64 v5, null, s21, 0, s13
	s_add_u32 s13, s2, s22
	s_addc_u32 s15, s3, s23
	s_add_u32 s20, s13, s0
	s_addc_u32 s21, s15, s1
	v_mul_lo_u32 v5, v5, s16
	v_mad_u64_u32 v[1:2], null, v4, s16, s[20:21]
	v_mul_lo_u32 v4, v4, s17
	v_lshl_or_b32 v3, s12, 7, v3
	s_delay_alu instid0(VALU_DEP_1) | instskip(NEXT) | instid1(VALU_DEP_3)
	v_add_nc_u32_e32 v3, 0x800, v3
	v_add3_u32 v2, v5, v2, v4
.LBB82_16:                              ; =>This Inner Loop Header: Depth=1
	global_load_b64 v[4:5], v[1:2], off
	v_add_co_u32 v1, vcc_lo, v1, 8
	v_add_co_ci_u32_e32 v2, vcc_lo, 0, v2, vcc_lo
	s_add_i32 s14, s14, -1
	s_delay_alu instid0(SALU_CYCLE_1)
	s_cmp_lg_u32 s14, 0
	s_waitcnt vmcnt(0)
	v_mul_f64 v[4:5], v[4:5], s[8:9]
	ds_store_b64 v3, v[4:5]
	v_add_nc_u32_e32 v3, 0x80, v3
	s_cbranch_scc1 .LBB82_16
.LBB82_17:
	s_or_b32 exec_lo, exec_lo, s19
	s_cmpk_eq_i32 s4, 0x6f
	s_mov_b32 s4, -1
	s_waitcnt vmcnt(0) lgkmcnt(0)
	s_waitcnt_vscnt null, 0x0
	; wave barrier
	s_waitcnt lgkmcnt(0)
	buffer_gl0_inv
	s_cbranch_scc1 .LBB82_42
; %bb.18:
	s_cmp_gt_i32 s6, 15
	s_cselect_b32 s8, -1, 0
	s_delay_alu instid0(SALU_CYCLE_1)
	s_and_b32 vcc_lo, exec_lo, s8
	s_cbranch_vccz .LBB82_20
; %bb.19:
	v_dual_mov_b32 v14, 0 :: v_dual_lshlrev_b32 v1, 3, v0
	s_mov_b32 s4, 16
	s_delay_alu instid0(VALU_DEP_1)
	v_add_nc_u32_e32 v13, 0x800, v1
	ds_load_2addr_b64 v[3:6], v14 offset1:34
	ds_load_2addr_b64 v[7:10], v13 offset1:16
	ds_load_b128 v[15:18], v14 offset:128
	ds_load_b128 v[19:22], v14 offset:256
	s_waitcnt lgkmcnt(2)
	v_mul_f64 v[1:2], v[7:8], v[3:4]
	s_waitcnt lgkmcnt(1)
	s_delay_alu instid0(VALU_DEP_1)
	v_fma_f64 v[3:4], -v[1:2], v[15:16], v[9:10]
	ds_load_2addr_b64 v[7:10], v13 offset0:32 offset1:48
	s_waitcnt lgkmcnt(0)
	v_fma_f64 v[7:8], -v[1:2], v[19:20], v[7:8]
	v_mul_f64 v[3:4], v[3:4], v[17:18]
	ds_load_b128 v[15:18], v14 offset:384
	ds_load_b128 v[23:26], v14 offset:400
	s_waitcnt lgkmcnt(1)
	v_fma_f64 v[11:12], -v[1:2], v[15:16], v[9:10]
	v_fma_f64 v[15:16], -v[3:4], v[21:22], v[7:8]
	ds_load_2addr_b64 v[7:10], v13 offset0:64 offset1:80
	ds_load_b128 v[19:22], v14 offset:512
	ds_load_b128 v[27:30], v14 offset:528
	s_waitcnt lgkmcnt(1)
	v_fma_f64 v[7:8], -v[1:2], v[19:20], v[7:8]
	v_fma_f64 v[11:12], -v[3:4], v[17:18], v[11:12]
	v_mul_f64 v[5:6], v[15:16], v[5:6]
	ds_load_b128 v[15:18], v14 offset:640
	ds_load_b128 v[31:34], v14 offset:656
	s_waitcnt lgkmcnt(1)
	v_fma_f64 v[15:16], -v[1:2], v[15:16], v[9:10]
	v_fma_f64 v[35:36], -v[3:4], v[21:22], v[7:8]
	ds_load_b128 v[7:10], v14 offset:768
	ds_load_2addr_b64 v[19:22], v13 offset0:96 offset1:112
	v_fma_f64 v[11:12], -v[5:6], v[23:24], v[11:12]
	s_waitcnt lgkmcnt(0)
	v_fma_f64 v[19:20], -v[1:2], v[7:8], v[19:20]
	v_fma_f64 v[37:38], -v[3:4], v[17:18], v[15:16]
	;; [unrolled: 1-line block ×3, first 2 shown]
	s_delay_alu instid0(VALU_DEP_4)
	v_mul_f64 v[7:8], v[11:12], v[25:26]
	ds_load_b128 v[15:18], v14 offset:896
	ds_load_b128 v[23:26], v14 offset:912
	v_fma_f64 v[47:48], -v[3:4], v[9:10], v[19:20]
	s_waitcnt lgkmcnt(1)
	v_fma_f64 v[15:16], -v[1:2], v[15:16], v[21:22]
	v_fma_f64 v[31:32], -v[5:6], v[31:32], v[37:38]
	;; [unrolled: 1-line block ×3, first 2 shown]
	ds_load_b128 v[9:12], v14 offset:1024
	ds_load_2addr_b64 v[19:22], v13 offset0:128 offset1:144
	ds_load_b128 v[27:30], v14 offset:784
	ds_load_2addr_b64 v[35:38], v14 offset0:68 offset1:102
	ds_load_b128 v[39:42], v14 offset:800
	ds_load_b128 v[43:46], v14 offset:1040
	s_waitcnt lgkmcnt(4)
	v_fma_f64 v[19:20], -v[1:2], v[9:10], v[19:20]
	s_waitcnt lgkmcnt(3)
	v_fma_f64 v[27:28], -v[5:6], v[27:28], v[47:48]
	v_fma_f64 v[51:52], -v[3:4], v[17:18], v[15:16]
	;; [unrolled: 1-line block ×3, first 2 shown]
	s_waitcnt lgkmcnt(2)
	v_mul_f64 v[9:10], v[49:50], v[35:36]
	ds_load_b128 v[15:18], v14 offset:1152
	ds_load_b128 v[31:34], v14 offset:672
	;; [unrolled: 1-line block ×3, first 2 shown]
	v_fma_f64 v[11:12], -v[3:4], v[11:12], v[19:20]
	v_fma_f64 v[35:36], -v[7:8], v[29:30], v[27:28]
	s_waitcnt lgkmcnt(2)
	v_fma_f64 v[15:16], -v[1:2], v[15:16], v[21:22]
	v_fma_f64 v[23:24], -v[5:6], v[23:24], v[51:52]
	ds_load_b128 v[19:22], v14 offset:1280
	ds_load_2addr_b64 v[27:30], v13 offset0:160 offset1:176
	s_waitcnt lgkmcnt(3)
	v_fma_f64 v[31:32], -v[9:10], v[31:32], v[53:54]
	s_waitcnt lgkmcnt(0)
	v_fma_f64 v[19:20], -v[1:2], v[19:20], v[27:28]
	v_fma_f64 v[43:44], -v[5:6], v[43:44], v[11:12]
	;; [unrolled: 1-line block ×5, first 2 shown]
	v_mul_f64 v[11:12], v[31:32], v[33:34]
	ds_load_b128 v[15:18], v14 offset:1408
	ds_load_b128 v[23:26], v14 offset:928
	;; [unrolled: 1-line block ×4, first 2 shown]
	v_fma_f64 v[67:68], -v[3:4], v[21:22], v[19:20]
	v_fma_f64 v[69:70], -v[7:8], v[45:46], v[43:44]
	s_waitcnt lgkmcnt(3)
	v_fma_f64 v[15:16], -v[1:2], v[15:16], v[29:30]
	v_fma_f64 v[47:48], -v[5:6], v[47:48], v[27:28]
	s_waitcnt lgkmcnt(2)
	v_fma_f64 v[23:24], -v[9:10], v[23:24], v[55:56]
	v_fma_f64 v[35:36], -v[11:12], v[41:42], v[35:36]
	ds_load_b128 v[19:22], v14 offset:1536
	ds_load_2addr_b64 v[27:30], v13 offset0:192 offset1:208
	ds_load_b128 v[39:42], v14 offset:1296
	ds_load_b128 v[43:46], v14 offset:1056
	;; [unrolled: 1-line block ×5, first 2 shown]
	s_waitcnt lgkmcnt(5)
	v_fma_f64 v[19:20], -v[1:2], v[19:20], v[27:28]
	s_waitcnt lgkmcnt(4)
	v_fma_f64 v[39:40], -v[5:6], v[39:40], v[67:68]
	v_fma_f64 v[27:28], -v[3:4], v[17:18], v[15:16]
	;; [unrolled: 1-line block ×3, first 2 shown]
	s_waitcnt lgkmcnt(3)
	v_fma_f64 v[43:44], -v[9:10], v[43:44], v[69:70]
	v_fma_f64 v[69:70], -v[11:12], v[25:26], v[23:24]
	v_mul_f64 v[71:72], v[35:36], v[37:38]
	ds_load_b128 v[15:18], v14 offset:1664
	ds_load_b128 v[23:26], v14 offset:1184
	;; [unrolled: 1-line block ×4, first 2 shown]
	v_fma_f64 v[73:74], -v[3:4], v[21:22], v[19:20]
	v_fma_f64 v[39:40], -v[7:8], v[41:42], v[39:40]
	s_waitcnt lgkmcnt(3)
	v_fma_f64 v[15:16], -v[1:2], v[15:16], v[29:30]
	v_fma_f64 v[51:52], -v[5:6], v[51:52], v[27:28]
	s_waitcnt lgkmcnt(2)
	v_fma_f64 v[23:24], -v[9:10], v[23:24], v[67:68]
	v_fma_f64 v[41:42], -v[11:12], v[45:46], v[43:44]
	ds_load_b128 v[19:22], v14 offset:1792
	ds_load_2addr_b64 v[27:30], v13 offset0:224 offset1:240
	v_fma_f64 v[31:32], -v[71:72], v[31:32], v[69:70]
	s_waitcnt lgkmcnt(0)
	v_fma_f64 v[19:20], -v[1:2], v[19:20], v[27:28]
	v_fma_f64 v[43:44], -v[5:6], v[63:64], v[73:74]
	;; [unrolled: 1-line block ×7, first 2 shown]
	v_mul_f64 v[67:68], v[31:32], v[33:34]
	ds_load_b128 v[15:18], v14 offset:1440
	ds_load_b128 v[23:26], v14 offset:1920
	;; [unrolled: 1-line block ×4, first 2 shown]
	v_fma_f64 v[69:70], -v[3:4], v[21:22], v[19:20]
	v_fma_f64 v[73:74], -v[7:8], v[65:66], v[43:44]
	;; [unrolled: 1-line block ×3, first 2 shown]
	s_waitcnt lgkmcnt(3)
	v_fma_f64 v[15:16], -v[9:10], v[15:16], v[45:46]
	v_fma_f64 v[75:76], -v[11:12], v[61:62], v[51:52]
	;; [unrolled: 1-line block ×3, first 2 shown]
	s_waitcnt lgkmcnt(2)
	v_fma_f64 v[23:24], -v[1:2], v[23:24], v[29:30]
	v_fma_f64 v[77:78], -v[67:68], v[57:58], v[55:56]
	ds_load_b128 v[19:22], v14 offset:1808
	ds_load_b128 v[27:30], v14 offset:1568
	;; [unrolled: 1-line block ×3, first 2 shown]
	ds_load_2addr_b64 v[51:54], v14 offset0:136 offset1:170
	ds_load_b128 v[55:58], v14 offset:1344
	ds_load_b128 v[59:62], v14 offset:1584
	;; [unrolled: 1-line block ×3, first 2 shown]
	s_waitcnt lgkmcnt(6)
	v_fma_f64 v[19:20], -v[5:6], v[19:20], v[69:70]
	s_waitcnt lgkmcnt(5)
	v_fma_f64 v[27:28], -v[9:10], v[27:28], v[73:74]
	v_fma_f64 v[47:48], -v[7:8], v[49:50], v[47:48]
	;; [unrolled: 1-line block ×3, first 2 shown]
	s_waitcnt lgkmcnt(4)
	v_fma_f64 v[43:44], -v[71:72], v[43:44], v[75:76]
	v_fma_f64 v[69:70], -v[67:68], v[37:38], v[35:36]
	;; [unrolled: 1-line block ×3, first 2 shown]
	ds_load_b128 v[15:18], v14 offset:1696
	ds_load_b128 v[23:26], v14 offset:1216
	;; [unrolled: 1-line block ×3, first 2 shown]
	s_waitcnt lgkmcnt(6)
	v_mul_f64 v[51:52], v[77:78], v[51:52]
	v_fma_f64 v[19:20], -v[7:8], v[21:22], v[19:20]
	v_fma_f64 v[21:22], -v[11:12], v[29:30], v[27:28]
	s_waitcnt lgkmcnt(2)
	v_fma_f64 v[15:16], -v[9:10], v[15:16], v[47:48]
	v_fma_f64 v[27:28], -v[71:72], v[31:32], v[49:50]
	;; [unrolled: 1-line block ×4, first 2 shown]
	s_waitcnt lgkmcnt(1)
	v_fma_f64 v[23:24], -v[51:52], v[23:24], v[69:70]
	v_fma_f64 v[39:40], -v[9:10], v[63:64], v[19:20]
	;; [unrolled: 1-line block ×7, first 2 shown]
	v_mul_f64 v[55:56], v[23:24], v[25:26]
	ds_load_b128 v[15:18], v14 offset:1472
	ds_load_b128 v[19:22], v14 offset:1952
	;; [unrolled: 1-line block ×4, first 2 shown]
	v_fma_f64 v[59:60], -v[11:12], v[65:66], v[39:40]
	v_fma_f64 v[61:62], -v[67:68], v[61:62], v[45:46]
	s_waitcnt lgkmcnt(4)
	v_fma_f64 v[35:36], -v[71:72], v[35:36], v[43:44]
	s_waitcnt lgkmcnt(3)
	;; [unrolled: 2-line block ×3, first 2 shown]
	v_fma_f64 v[19:20], -v[9:10], v[19:20], v[31:32]
	v_fma_f64 v[57:58], -v[55:56], v[57:58], v[47:48]
	ds_load_b128 v[31:34], v14 offset:1840
	ds_load_b128 v[39:42], v14 offset:1600
	;; [unrolled: 1-line block ×4, first 2 shown]
	s_waitcnt lgkmcnt(3)
	v_fma_f64 v[31:32], -v[71:72], v[31:32], v[59:60]
	v_fma_f64 v[35:36], -v[67:68], v[37:38], v[35:36]
	s_waitcnt lgkmcnt(2)
	v_fma_f64 v[37:38], -v[51:52], v[39:40], v[61:62]
	v_fma_f64 v[39:40], -v[55:56], v[17:18], v[15:16]
	v_mul_f64 v[53:54], v[57:58], v[53:54]
	v_fma_f64 v[57:58], -v[11:12], v[21:22], v[19:20]
	ds_load_b128 v[15:18], v14 offset:1728
	ds_load_b128 v[19:22], v14 offset:1744
	v_fma_f64 v[31:32], -v[67:68], v[33:34], v[31:32]
	v_fma_f64 v[33:34], -v[55:56], v[41:42], v[37:38]
	s_waitcnt lgkmcnt(1)
	v_fma_f64 v[15:16], -v[51:52], v[15:16], v[35:36]
	v_fma_f64 v[23:24], -v[53:54], v[23:24], v[39:40]
	;; [unrolled: 1-line block ×6, first 2 shown]
	v_mul_f64 v[39:40], v[23:24], v[25:26]
	v_fma_f64 v[27:28], -v[67:68], v[29:30], v[27:28]
	ds_load_b128 v[15:18], v14 offset:1984
	ds_load_b128 v[23:26], v14 offset:2000
	v_fma_f64 v[41:42], -v[55:56], v[49:50], v[31:32]
	s_waitcnt lgkmcnt(2)
	v_fma_f64 v[19:20], -v[53:54], v[19:20], v[35:36]
	v_fma_f64 v[43:44], -v[39:40], v[45:46], v[33:34]
	s_waitcnt lgkmcnt(1)
	v_fma_f64 v[15:16], -v[51:52], v[15:16], v[27:28]
	ds_load_b128 v[27:30], v14 offset:1872
	ds_load_2addr_b64 v[31:34], v14 offset0:204 offset1:238
	ds_load_b128 v[35:38], v14 offset:1888
	s_waitcnt lgkmcnt(2)
	v_fma_f64 v[27:28], -v[53:54], v[27:28], v[41:42]
	v_fma_f64 v[19:20], -v[39:40], v[21:22], v[19:20]
	s_waitcnt lgkmcnt(1)
	v_mul_f64 v[31:32], v[43:44], v[31:32]
	v_fma_f64 v[21:22], -v[55:56], v[17:18], v[15:16]
	ds_load_b128 v[15:18], v14 offset:1760
	v_fma_f64 v[27:28], -v[39:40], v[29:30], v[27:28]
	s_waitcnt lgkmcnt(0)
	v_fma_f64 v[15:16], -v[31:32], v[15:16], v[19:20]
	v_fma_f64 v[19:20], -v[53:54], v[23:24], v[21:22]
	s_delay_alu instid0(VALU_DEP_3) | instskip(NEXT) | instid1(VALU_DEP_3)
	v_fma_f64 v[23:24], -v[31:32], v[35:36], v[27:28]
	v_mul_f64 v[27:28], v[15:16], v[17:18]
	s_delay_alu instid0(VALU_DEP_3)
	v_fma_f64 v[25:26], -v[39:40], v[25:26], v[19:20]
	ds_load_b128 v[15:18], v14 offset:2016
	ds_load_b128 v[19:22], v14 offset:2032
	ds_store_2addr_b64 v13, v[1:2], v[3:4] offset1:16
	ds_store_2addr_b64 v13, v[5:6], v[7:8] offset0:32 offset1:48
	ds_store_2addr_b64 v13, v[9:10], v[11:12] offset0:64 offset1:80
	;; [unrolled: 1-line block ×6, first 2 shown]
	v_fma_f64 v[23:24], -v[27:28], v[37:38], v[23:24]
	s_waitcnt lgkmcnt(8)
	v_fma_f64 v[14:15], -v[31:32], v[15:16], v[25:26]
	s_delay_alu instid0(VALU_DEP_2) | instskip(NEXT) | instid1(VALU_DEP_2)
	v_mul_f64 v[23:24], v[23:24], v[33:34]
	v_fma_f64 v[14:15], -v[27:28], v[17:18], v[14:15]
	s_waitcnt lgkmcnt(7)
	s_delay_alu instid0(VALU_DEP_1) | instskip(NEXT) | instid1(VALU_DEP_1)
	v_fma_f64 v[14:15], -v[23:24], v[19:20], v[14:15]
	v_mul_f64 v[14:15], v[14:15], v[21:22]
	ds_store_2addr_b64 v13, v[23:24], v[14:15] offset0:224 offset1:240
	s_cmp_lt_i32 s4, s28
	s_cbranch_scc1 .LBB82_21
	s_branch .LBB82_41
.LBB82_20:
	s_mov_b32 s4, 0
	s_delay_alu instid0(SALU_CYCLE_1)
	s_cmp_lt_i32 s4, s28
	s_cbranch_scc0 .LBB82_41
.LBB82_21:
	s_or_b32 s12, s4, 11
	s_delay_alu instid0(SALU_CYCLE_1)
	s_cmp_ge_u32 s12, s28
	s_cbranch_scc1 .LBB82_30
; %bb.22:
	s_lshl_b32 s9, s4, 4
	s_lshl_b32 s12, s12, 4
	v_or_b32_e32 v1, s9, v0
	s_and_not1_b32 vcc_lo, exec_lo, s8
	s_delay_alu instid0(VALU_DEP_1) | instskip(SKIP_1) | instid1(VALU_DEP_2)
	v_lshlrev_b32_e32 v25, 3, v1
	v_or_b32_e32 v1, s12, v0
	v_add_nc_u32_e32 v2, 0x800, v25
	s_delay_alu instid0(VALU_DEP_2)
	v_lshlrev_b32_e32 v27, 3, v1
	ds_load_2addr_b64 v[17:20], v2 offset1:16
	ds_load_2addr_b64 v[13:16], v2 offset0:32 offset1:48
	ds_load_2addr_b64 v[9:12], v2 offset0:64 offset1:80
	;; [unrolled: 1-line block ×4, first 2 shown]
	ds_load_b64 v[23:24], v25 offset:3328
	ds_load_b64 v[21:22], v27 offset:2048
	s_cbranch_vccnz .LBB82_29
; %bb.23:
	s_max_u32 s13, s4, 1
	s_delay_alu instid0(SALU_CYCLE_1)
	s_cmp_eq_u32 s13, 1
	s_cbranch_scc1 .LBB82_26
; %bb.24:
	v_lshl_or_b32 v26, v0, 3, 0x800
	s_and_b32 s8, s13, 16
	s_lshl_b32 s14, s4, 7
	s_mov_b32 s15, 0
.LBB82_25:                              ; =>This Inner Loop Header: Depth=1
	v_mov_b32_e32 v76, s14
	s_add_i32 s15, s15, 2
	s_add_i32 s14, s14, 16
	s_cmp_lg_u32 s8, s15
	ds_load_2addr_b64 v[28:31], v26 offset1:16
	ds_load_b128 v[32:35], v76
	ds_load_b128 v[36:39], v76 offset:128
	ds_load_b128 v[40:43], v76 offset:256
	;; [unrolled: 1-line block ×11, first 2 shown]
	v_add_nc_u32_e32 v26, 0x100, v26
	s_waitcnt lgkmcnt(11)
	v_fma_f64 v[17:18], -v[28:29], v[32:33], v[17:18]
	s_waitcnt lgkmcnt(10)
	v_fma_f64 v[19:20], -v[28:29], v[36:37], v[19:20]
	s_waitcnt lgkmcnt(9)
	v_fma_f64 v[13:14], -v[28:29], v[40:41], v[13:14]
	s_waitcnt lgkmcnt(8)
	v_fma_f64 v[15:16], -v[28:29], v[44:45], v[15:16]
	s_waitcnt lgkmcnt(7)
	v_fma_f64 v[9:10], -v[28:29], v[48:49], v[9:10]
	s_waitcnt lgkmcnt(6)
	v_fma_f64 v[11:12], -v[28:29], v[52:53], v[11:12]
	s_waitcnt lgkmcnt(5)
	v_fma_f64 v[5:6], -v[28:29], v[56:57], v[5:6]
	s_waitcnt lgkmcnt(4)
	v_fma_f64 v[7:8], -v[28:29], v[60:61], v[7:8]
	s_waitcnt lgkmcnt(3)
	v_fma_f64 v[1:2], -v[28:29], v[64:65], v[1:2]
	s_waitcnt lgkmcnt(2)
	v_fma_f64 v[3:4], -v[28:29], v[68:69], v[3:4]
	s_waitcnt lgkmcnt(1)
	v_fma_f64 v[23:24], -v[28:29], v[72:73], v[23:24]
	s_waitcnt lgkmcnt(0)
	v_fma_f64 v[21:22], -v[28:29], v[76:77], v[21:22]
	v_fma_f64 v[17:18], -v[30:31], v[34:35], v[17:18]
	v_fma_f64 v[19:20], -v[30:31], v[38:39], v[19:20]
	;; [unrolled: 1-line block ×12, first 2 shown]
	s_cbranch_scc1 .LBB82_25
	s_branch .LBB82_27
.LBB82_26:
	s_mov_b32 s8, 0
.LBB82_27:
	s_bitcmp0_b32 s13, 0
	s_cbranch_scc1 .LBB82_29
; %bb.28:
	v_lshlrev_b32_e32 v26, 3, v0
	s_add_i32 s13, s9, s8
	s_delay_alu instid0(SALU_CYCLE_1) | instskip(NEXT) | instid1(SALU_CYCLE_1)
	s_lshl_b32 s13, s13, 3
	v_mov_b32_e32 v50, s13
	s_delay_alu instid0(VALU_DEP_2)
	v_lshl_or_b32 v26, s8, 7, v26
	s_add_i32 s8, s12, s8
	ds_load_2addr_b64 v[28:31], v50 offset1:16
	ds_load_b64 v[48:49], v26 offset:2048
	s_lshl_b32 s8, s8, 3
	ds_load_2addr_b64 v[32:35], v50 offset0:32 offset1:48
	v_mov_b32_e32 v26, s8
	ds_load_2addr_b64 v[36:39], v50 offset0:64 offset1:80
	ds_load_2addr_b64 v[40:43], v50 offset0:96 offset1:112
	ds_load_2addr_b64 v[44:47], v50 offset0:128 offset1:144
	ds_load_b64 v[50:51], v50 offset:1280
	ds_load_b64 v[52:53], v26
	s_waitcnt lgkmcnt(6)
	v_fma_f64 v[17:18], -v[48:49], v[28:29], v[17:18]
	v_fma_f64 v[19:20], -v[48:49], v[30:31], v[19:20]
	s_waitcnt lgkmcnt(5)
	v_fma_f64 v[13:14], -v[48:49], v[32:33], v[13:14]
	v_fma_f64 v[15:16], -v[48:49], v[34:35], v[15:16]
	;; [unrolled: 3-line block ×5, first 2 shown]
	s_waitcnt lgkmcnt(1)
	v_fma_f64 v[23:24], -v[48:49], v[50:51], v[23:24]
	s_waitcnt lgkmcnt(0)
	v_fma_f64 v[21:22], -v[48:49], v[52:53], v[21:22]
.LBB82_29:
	s_mul_i32 s8, s4, 0x88
	v_add_nc_u32_e32 v26, 0x800, v25
	v_add_nc_u32_e32 v25, 0x800, v27
	v_mov_b32_e32 v27, s8
	s_or_b32 s8, s9, 16
	s_add_i32 s12, s12, s4
	s_add_i32 s13, s8, s4
	s_lshl_b32 s12, s12, 3
	ds_load_2addr_b64 v[28:31], v27 offset1:34
	s_lshl_b32 s13, s13, 3
	v_mov_b32_e32 v64, s12
	s_waitcnt lgkmcnt(0)
	v_mul_f64 v[17:18], v[17:18], v[28:29]
	v_mov_b32_e32 v28, s13
	s_or_b32 s13, s9, 32
	s_delay_alu instid0(SALU_CYCLE_1) | instskip(SKIP_2) | instid1(SALU_CYCLE_1)
	s_or_b32 s14, s13, s4
	ds_load_b128 v[32:35], v28
	s_lshl_b32 s14, s14, 3
	v_mov_b32_e32 v28, s14
	s_or_b32 s14, s9, 48
	s_delay_alu instid0(SALU_CYCLE_1)
	s_add_i32 s15, s14, s4
	ds_load_b128 v[36:39], v28
	s_lshl_b32 s15, s15, 3
	s_waitcnt lgkmcnt(1)
	v_fma_f64 v[19:20], -v[17:18], v[32:33], v[19:20]
	s_waitcnt lgkmcnt(0)
	v_fma_f64 v[28:29], -v[17:18], v[36:37], v[13:14]
	s_delay_alu instid0(VALU_DEP_2)
	v_mul_f64 v[13:14], v[19:20], v[34:35]
	v_mov_b32_e32 v19, s15
	s_or_b32 s15, s9, 64
	ds_load_b128 v[32:35], v19
	ds_load_b128 v[40:43], v19 offset:16
	s_or_b32 s19, s15, s4
	s_delay_alu instid0(SALU_CYCLE_1)
	s_lshl_b32 s19, s19, 3
	s_waitcnt lgkmcnt(1)
	v_fma_f64 v[15:16], -v[17:18], v[32:33], v[15:16]
	v_fma_f64 v[19:20], -v[13:14], v[38:39], v[28:29]
	v_mov_b32_e32 v28, s19
	s_or_b32 s19, s9, 0x50
	s_delay_alu instid0(SALU_CYCLE_1) | instskip(NEXT) | instid1(SALU_CYCLE_1)
	s_add_i32 s20, s19, s4
	s_lshl_b32 s20, s20, 3
	s_delay_alu instid0(SALU_CYCLE_1) | instskip(SKIP_1) | instid1(SALU_CYCLE_1)
	v_mov_b32_e32 v54, s20
	s_or_b32 s20, s9, 0x60
	s_or_b32 s21, s20, s4
	s_delay_alu instid0(SALU_CYCLE_1) | instskip(NEXT) | instid1(SALU_CYCLE_1)
	s_lshl_b32 s21, s21, 3
	v_mov_b32_e32 v48, s21
	s_or_b32 s21, s9, 0x70
	s_delay_alu instid0(SALU_CYCLE_1) | instskip(NEXT) | instid1(SALU_CYCLE_1)
	s_add_i32 s22, s21, s4
	s_lshl_b32 s22, s22, 3
	s_delay_alu instid0(SALU_CYCLE_1) | instskip(SKIP_1) | instid1(SALU_CYCLE_1)
	v_mov_b32_e32 v60, s22
	s_or_b32 s22, s9, 0x80
	s_or_b32 s23, s22, s4
	v_fma_f64 v[15:16], -v[13:14], v[34:35], v[15:16]
	s_lshl_b32 s23, s23, 3
	s_delay_alu instid0(SALU_CYCLE_1)
	v_mov_b32_e32 v61, s23
	ds_load_b128 v[36:39], v28
	ds_load_b128 v[44:47], v28 offset:16
	s_or_b32 s23, s9, 0x90
	s_or_b32 s9, s9, 0xa0
	s_add_i32 s24, s23, s4
	s_delay_alu instid0(SALU_CYCLE_1) | instskip(NEXT) | instid1(SALU_CYCLE_1)
	s_lshl_b32 s24, s24, 3
	v_mov_b32_e32 v62, s24
	v_mul_f64 v[56:57], v[19:20], v[30:31]
	s_or_b32 s24, s9, s4
	s_or_b32 s4, s4, 12
	s_lshl_b32 s24, s24, 3
	s_delay_alu instid0(SALU_CYCLE_1)
	v_mov_b32_e32 v63, s24
	ds_load_b128 v[28:31], v54
	ds_load_b128 v[32:35], v54 offset:16
	s_waitcnt lgkmcnt(3)
	v_fma_f64 v[9:10], -v[17:18], v[36:37], v[9:10]
	s_waitcnt lgkmcnt(1)
	v_fma_f64 v[19:20], -v[17:18], v[28:29], v[11:12]
	v_fma_f64 v[15:16], -v[56:57], v[40:41], v[15:16]
	s_delay_alu instid0(VALU_DEP_3)
	v_fma_f64 v[28:29], -v[13:14], v[38:39], v[9:10]
	ds_load_b128 v[9:12], v48
	s_waitcnt lgkmcnt(0)
	v_fma_f64 v[5:6], -v[17:18], v[9:10], v[5:6]
	v_fma_f64 v[9:10], -v[13:14], v[30:31], v[19:20]
	v_mul_f64 v[15:16], v[15:16], v[42:43]
	v_fma_f64 v[19:20], -v[56:57], v[44:45], v[28:29]
	ds_load_b128 v[28:31], v60
	ds_load_b128 v[36:39], v60 offset:16
	s_waitcnt lgkmcnt(1)
	v_fma_f64 v[28:29], -v[17:18], v[28:29], v[7:8]
	v_fma_f64 v[52:53], -v[13:14], v[11:12], v[5:6]
	v_fma_f64 v[32:33], -v[56:57], v[32:33], v[9:10]
	v_fma_f64 v[19:20], -v[15:16], v[46:47], v[19:20]
	ds_load_b128 v[5:8], v61
	ds_load_b128 v[9:12], v48 offset:16
	ds_load_2addr_b64 v[40:43], v27 offset0:68 offset1:102
	ds_load_b128 v[44:47], v48 offset:32
	ds_load_b128 v[48:51], v61 offset:16
	s_waitcnt lgkmcnt(4)
	v_fma_f64 v[1:2], -v[17:18], v[5:6], v[1:2]
	v_fma_f64 v[5:6], -v[13:14], v[30:31], v[28:29]
	s_waitcnt lgkmcnt(3)
	v_fma_f64 v[9:10], -v[56:57], v[9:10], v[52:53]
	v_fma_f64 v[58:59], -v[15:16], v[34:35], v[32:33]
	ds_load_b128 v[28:31], v62
	ds_load_b128 v[32:35], v54 offset:32
	ds_load_b128 v[52:55], v62 offset:16
	s_waitcnt lgkmcnt(5)
	v_mul_f64 v[40:41], v[19:20], v[40:41]
	s_waitcnt lgkmcnt(2)
	v_fma_f64 v[19:20], -v[17:18], v[28:29], v[3:4]
	v_fma_f64 v[7:8], -v[13:14], v[7:8], v[1:2]
	ds_load_b128 v[1:4], v63
	v_fma_f64 v[5:6], -v[56:57], v[36:37], v[5:6]
	v_fma_f64 v[9:10], -v[15:16], v[11:12], v[9:10]
	s_waitcnt lgkmcnt(0)
	v_fma_f64 v[1:2], -v[17:18], v[1:2], v[23:24]
	v_fma_f64 v[11:12], -v[40:41], v[32:33], v[58:59]
	;; [unrolled: 1-line block ×7, first 2 shown]
	v_mul_f64 v[44:45], v[11:12], v[34:35]
	ds_load_b128 v[5:8], v60 offset:32
	ds_load_b128 v[9:12], v64
	ds_load_b128 v[28:31], v64 offset:16
	ds_load_b64 v[48:49], v60 offset:48
	v_fma_f64 v[52:53], -v[56:57], v[52:53], v[19:20]
	v_fma_f64 v[23:24], -v[15:16], v[50:51], v[23:24]
	s_waitcnt lgkmcnt(3)
	v_fma_f64 v[5:6], -v[40:41], v[5:6], v[32:33]
	s_waitcnt lgkmcnt(2)
	v_fma_f64 v[9:10], -v[17:18], v[9:10], v[21:22]
	v_fma_f64 v[46:47], -v[44:45], v[46:47], v[36:37]
	ds_load_b128 v[1:4], v63 offset:16
	ds_load_b128 v[19:22], v61 offset:32
	;; [unrolled: 1-line block ×4, first 2 shown]
	v_fma_f64 v[50:51], -v[15:16], v[54:55], v[52:53]
	s_waitcnt lgkmcnt(3)
	v_fma_f64 v[1:2], -v[56:57], v[1:2], v[58:59]
	s_waitcnt lgkmcnt(2)
	v_fma_f64 v[19:20], -v[40:41], v[19:20], v[23:24]
	v_fma_f64 v[23:24], -v[44:45], v[7:8], v[5:6]
	v_mul_f64 v[42:43], v[46:47], v[42:43]
	v_fma_f64 v[46:47], -v[13:14], v[11:12], v[9:10]
	ds_load_b128 v[5:8], v62 offset:32
	ds_load_b128 v[9:12], v62 offset:48
	v_fma_f64 v[52:53], -v[15:16], v[3:4], v[1:2]
	v_fma_f64 v[19:20], -v[44:45], v[21:22], v[19:20]
	ds_load_2addr_b64 v[1:4], v27 offset0:119 offset1:136
	s_waitcnt lgkmcnt(2)
	v_fma_f64 v[5:6], -v[40:41], v[5:6], v[50:51]
	v_fma_f64 v[21:22], -v[42:43], v[48:49], v[23:24]
	;; [unrolled: 1-line block ×6, first 2 shown]
	s_waitcnt lgkmcnt(0)
	v_mul_f64 v[46:47], v[21:22], v[1:2]
	v_fma_f64 v[1:2], -v[15:16], v[30:31], v[23:24]
	ds_load_b128 v[5:8], v64 offset:32
	ds_load_b128 v[19:22], v64 offset:48
	v_fma_f64 v[23:24], -v[44:45], v[38:39], v[28:29]
	v_fma_f64 v[9:10], -v[42:43], v[9:10], v[36:37]
	;; [unrolled: 1-line block ×3, first 2 shown]
	s_waitcnt lgkmcnt(1)
	v_fma_f64 v[1:2], -v[40:41], v[5:6], v[1:2]
	ds_load_b128 v[28:31], v63 offset:48
	ds_load_b128 v[32:35], v63 offset:64
	s_waitcnt lgkmcnt(1)
	v_fma_f64 v[5:6], -v[42:43], v[28:29], v[23:24]
	v_fma_f64 v[9:10], -v[46:47], v[11:12], v[9:10]
	v_mul_f64 v[11:12], v[36:37], v[3:4]
	v_fma_f64 v[1:2], -v[44:45], v[7:8], v[1:2]
	ds_load_b64 v[3:4], v62 offset:64
	v_fma_f64 v[5:6], -v[46:47], v[30:31], v[5:6]
	s_waitcnt lgkmcnt(0)
	v_fma_f64 v[7:8], -v[11:12], v[3:4], v[9:10]
	v_fma_f64 v[9:10], -v[42:43], v[19:20], v[1:2]
	ds_load_2addr_b64 v[1:4], v27 offset0:153 offset1:170
	v_fma_f64 v[19:20], -v[11:12], v[32:33], v[5:6]
	s_waitcnt lgkmcnt(0)
	v_mul_f64 v[1:2], v[7:8], v[1:2]
	v_fma_f64 v[9:10], -v[46:47], v[21:22], v[9:10]
	ds_load_b128 v[5:8], v64 offset:64
	ds_load_b64 v[21:22], v64 offset:80
	v_fma_f64 v[19:20], -v[1:2], v[34:35], v[19:20]
	s_waitcnt lgkmcnt(1)
	v_fma_f64 v[5:6], -v[11:12], v[5:6], v[9:10]
	v_or_b32_e32 v9, s14, v0
	v_or_b32_e32 v10, s15, v0
	s_delay_alu instid0(VALU_DEP_4) | instskip(NEXT) | instid1(VALU_DEP_4)
	v_mul_f64 v[3:4], v[19:20], v[3:4]
	v_fma_f64 v[5:6], -v[1:2], v[7:8], v[5:6]
	ds_load_b64 v[7:8], v27 offset:1496
	v_or_b32_e32 v19, s22, v0
	v_or_b32_e32 v20, s23, v0
	s_delay_alu instid0(VALU_DEP_2) | instskip(NEXT) | instid1(VALU_DEP_2)
	v_lshlrev_b32_e32 v19, 3, v19
	v_lshlrev_b32_e32 v20, 3, v20
	s_waitcnt lgkmcnt(1)
	v_fma_f64 v[5:6], -v[3:4], v[21:22], v[5:6]
	v_or_b32_e32 v21, s9, v0
	s_delay_alu instid0(VALU_DEP_1) | instskip(SKIP_1) | instid1(VALU_DEP_3)
	v_lshlrev_b32_e32 v21, 3, v21
	s_waitcnt lgkmcnt(0)
	v_mul_f64 v[5:6], v[5:6], v[7:8]
	v_or_b32_e32 v7, s13, v0
	v_or_b32_e32 v8, s8, v0
	s_delay_alu instid0(VALU_DEP_2)
	v_lshlrev_b32_e32 v7, 3, v7
	ds_store_b64 v26, v[17:18]
	v_or_b32_e32 v17, s19, v0
	v_or_b32_e32 v18, s21, v0
	v_lshlrev_b32_e32 v8, 3, v8
	ds_store_b64 v7, v[56:57] offset:2048
	v_lshlrev_b32_e32 v7, 3, v9
	v_lshlrev_b32_e32 v9, 3, v10
	;; [unrolled: 1-line block ×3, first 2 shown]
	v_or_b32_e32 v17, s20, v0
	v_lshlrev_b32_e32 v18, 3, v18
	s_delay_alu instid0(VALU_DEP_2)
	v_lshlrev_b32_e32 v17, 3, v17
	ds_store_b64 v7, v[15:16] offset:2048
	ds_store_b64 v9, v[40:41] offset:2048
	;; [unrolled: 1-line block ×9, first 2 shown]
	ds_store_b64 v25, v[5:6]
.LBB82_30:
	s_cmp_ge_i32 s4, s28
	s_cbranch_scc1 .LBB82_41
; %bb.31:
	v_lshl_or_b32 v3, v0, 3, 0x800
	v_lshlrev_b32_e32 v4, 3, v0
	s_add_i32 s8, s4, -1
	s_lshl_b32 s9, s4, 7
	s_mov_b32 s12, 0
	s_mov_b32 s13, s4
	s_branch .LBB82_33
.LBB82_32:                              ;   in Loop: Header=BB82_33 Depth=1
	s_mul_i32 s14, s4, 0x88
	s_delay_alu instid0(SALU_CYCLE_1)
	v_dual_mov_b32 v6, s14 :: v_dual_add_nc_u32 v5, 0x800, v5
	s_add_i32 s4, s4, 1
	s_add_i32 s12, s12, 1
	s_addk_i32 s9, 0x80
	s_cmp_ge_i32 s4, s28
	ds_load_b64 v[6:7], v6
	s_waitcnt lgkmcnt(0)
	v_mul_f64 v[1:2], v[1:2], v[6:7]
	v_add_nc_u16 v6, s13, 1
	s_delay_alu instid0(VALU_DEP_1)
	v_readfirstlane_b32 s13, v6
	ds_store_b64 v5, v[1:2]
	s_cbranch_scc1 .LBB82_41
.LBB82_33:                              ; =>This Loop Header: Depth=1
                                        ;     Child Loop BB82_36 Depth 2
                                        ;     Child Loop BB82_40 Depth 2
	v_lshl_or_b32 v5, s4, 7, v4
	s_cmp_eq_u32 s4, 0
	ds_load_b64 v[1:2], v5 offset:2048
	s_cbranch_scc1 .LBB82_32
; %bb.34:                               ;   in Loop: Header=BB82_33 Depth=1
	s_add_i32 s14, s8, s12
	s_delay_alu instid0(SALU_CYCLE_1)
	s_cmp_lt_u32 s14, 7
	s_cbranch_scc1 .LBB82_38
; %bb.35:                               ;   in Loop: Header=BB82_33 Depth=1
	v_mov_b32_e32 v6, v3
	s_and_b32 s14, s4, -8
	s_mov_b32 s15, 0
	s_mov_b32 s19, s9
	s_set_inst_prefetch_distance 0x1
	.p2align	6
.LBB82_36:                              ;   Parent Loop BB82_33 Depth=1
                                        ; =>  This Inner Loop Header: Depth=2
	v_mov_b32_e32 v19, s19
	s_add_i32 s15, s15, 8
	s_add_i32 s19, s19, 64
	s_cmp_lg_u32 s14, s15
	ds_load_2addr_b64 v[7:10], v6 offset1:16
	ds_load_b128 v[11:14], v19
	ds_load_b128 v[15:18], v19 offset:16
	s_waitcnt lgkmcnt(1)
	v_fma_f64 v[1:2], -v[7:8], v[11:12], v[1:2]
	s_delay_alu instid0(VALU_DEP_1) | instskip(SKIP_3) | instid1(VALU_DEP_1)
	v_fma_f64 v[1:2], -v[9:10], v[13:14], v[1:2]
	ds_load_2addr_b64 v[7:10], v6 offset0:32 offset1:48
	s_waitcnt lgkmcnt(0)
	v_fma_f64 v[1:2], -v[7:8], v[15:16], v[1:2]
	v_fma_f64 v[1:2], -v[9:10], v[17:18], v[1:2]
	ds_load_2addr_b64 v[7:10], v6 offset0:64 offset1:80
	ds_load_b128 v[11:14], v19 offset:32
	ds_load_b128 v[15:18], v19 offset:48
	s_waitcnt lgkmcnt(1)
	v_fma_f64 v[1:2], -v[7:8], v[11:12], v[1:2]
	s_delay_alu instid0(VALU_DEP_1) | instskip(SKIP_4) | instid1(VALU_DEP_1)
	v_fma_f64 v[1:2], -v[9:10], v[13:14], v[1:2]
	ds_load_2addr_b64 v[7:10], v6 offset0:96 offset1:112
	v_add_nc_u32_e32 v6, 0x400, v6
	s_waitcnt lgkmcnt(0)
	v_fma_f64 v[1:2], -v[7:8], v[15:16], v[1:2]
	v_fma_f64 v[1:2], -v[9:10], v[17:18], v[1:2]
	s_cbranch_scc1 .LBB82_36
; %bb.37:                               ;   in Loop: Header=BB82_33 Depth=1
	s_set_inst_prefetch_distance 0x2
	s_and_b32 s15, s4, 7
	s_delay_alu instid0(SALU_CYCLE_1)
	s_cmp_eq_u32 s15, 0
	s_cbranch_scc0 .LBB82_39
	s_branch .LBB82_32
.LBB82_38:                              ;   in Loop: Header=BB82_33 Depth=1
	s_mov_b32 s14, 0
	s_and_b32 s15, s4, 7
	s_delay_alu instid0(SALU_CYCLE_1)
	s_cmp_eq_u32 s15, 0
	s_cbranch_scc1 .LBB82_32
.LBB82_39:                              ;   in Loop: Header=BB82_33 Depth=1
	v_lshl_add_u32 v6, s14, 7, v3
	s_and_b32 s15, s13, 7
	s_lshl_b32 s14, s14, 3
.LBB82_40:                              ;   Parent Loop BB82_33 Depth=1
                                        ; =>  This Inner Loop Header: Depth=2
	s_delay_alu instid0(SALU_CYCLE_1)
	s_add_i32 s19, s9, s14
	s_add_i32 s15, s15, -1
	v_mov_b32_e32 v9, s19
	s_add_i32 s14, s14, 8
	s_cmp_lg_u32 s15, 0
	ds_load_b64 v[7:8], v6
	ds_load_b64 v[9:10], v9
	v_add_nc_u32_e32 v6, 0x80, v6
	s_waitcnt lgkmcnt(0)
	v_fma_f64 v[1:2], -v[7:8], v[9:10], v[1:2]
	s_cbranch_scc1 .LBB82_40
	s_branch .LBB82_32
.LBB82_41:
	s_mov_b32 s4, 0
.LBB82_42:
	s_delay_alu instid0(SALU_CYCLE_1)
	s_and_b32 vcc_lo, exec_lo, s4
	s_cbranch_vccz .LBB82_64
; %bb.43:
	s_cmp_gt_i32 s6, 15
	s_cbranch_scc0 .LBB82_45
; %bb.44:
	s_lshl_b32 s15, s29, 4
	s_add_i32 s4, s28, -2
	s_lshl_b32 s25, s28, 4
	s_add_i32 s8, s4, s15
	v_or_b32_e32 v1, s15, v0
	s_lshl_b32 s8, s8, 3
	s_sub_i32 s9, s25, 48
	s_sub_i32 s12, s25, 32
	v_or_b32_e32 v8, s9, v0
	v_mov_b32_e32 v3, s8
	s_mul_i32 s8, s29, 0x88
	s_sub_i32 s13, s25, 64
	s_add_i32 s14, s8, 0xffffff78
	v_lshlrev_b32_e32 v16, 3, v8
	v_dual_mov_b32 v10, s14 :: v_dual_lshlrev_b32 v15, 3, v1
	ds_load_b64 v[1:2], v15 offset:2048
	ds_load_2addr_b64 v[3:6], v3 offset1:1
	v_or_b32_e32 v7, s12, v0
	v_or_b32_e32 v9, s13, v0
	s_add_i32 s12, s28, -4
	s_lshl_b32 s4, s4, 4
	s_add_i32 s19, s12, s9
	v_lshlrev_b32_e32 v7, 3, v7
	s_lshl_b32 s19, s19, 3
	v_lshlrev_b32_e32 v9, 3, v9
	ds_load_b64 v[13:14], v10
	ds_load_b64 v[7:8], v7 offset:2048
	ds_load_b64 v[17:18], v16 offset:2048
	;; [unrolled: 1-line block ×3, first 2 shown]
	s_add_i32 s13, s12, s15
	s_add_i32 s22, s28, -6
	s_lshl_b32 s13, s13, 3
	s_add_i32 s14, s25, 0xffffffb0
	s_add_i32 s21, s8, 0xfffffe68
	;; [unrolled: 1-line block ×3, first 2 shown]
	v_mov_b32_e32 v25, s21
	s_add_i32 s21, s28, -10
	v_or_b32_e32 v24, s20, v0
	s_waitcnt lgkmcnt(4)
	v_mul_f64 v[1:2], v[1:2], v[5:6]
	v_mov_b32_e32 v5, s13
	s_add_i32 s13, s12, s4
	s_add_i32 s30, s21, s15
	s_lshl_b32 s13, s13, 3
	s_lshl_b32 s30, s30, 3
	v_mov_b32_e32 v9, s13
	s_add_i32 s13, s22, s15
	s_add_i32 s33, s8, 0xfffffcd0
	s_lshl_b32 s13, s13, 3
	v_lshlrev_b32_e32 v31, 3, v24
	s_add_i32 s24, s28, -8
	s_add_i32 s20, s22, s9
	s_lshl_b32 s12, s12, 4
	s_lshl_b32 s20, s20, 3
	s_add_i32 s23, s25, 0xffffff60
	s_add_i32 s31, s24, s9
	s_add_i32 s26, s25, 0xffffff40
	s_lshl_b32 s31, s31, 3
	s_add_i32 s27, s8, 0xfffffd58
	ds_load_2addr_b64 v[9:12], v9 offset1:1
	s_waitcnt lgkmcnt(3)
	v_fma_f64 v[3:4], -v[1:2], v[3:4], v[7:8]
	ds_load_2addr_b64 v[5:8], v5 offset1:1
	s_waitcnt lgkmcnt(0)
	v_fma_f64 v[7:8], -v[1:2], v[7:8], v[17:18]
	v_fma_f64 v[5:6], -v[1:2], v[5:6], v[19:20]
	v_mov_b32_e32 v18, s19
	s_add_i32 s19, s25, 0xffffffa0
	v_mul_f64 v[3:4], v[3:4], v[13:14]
	s_delay_alu instid0(VALU_DEP_1) | instskip(SKIP_4) | instid1(VALU_DEP_3)
	v_fma_f64 v[7:8], -v[3:4], v[11:12], v[7:8]
	v_or_b32_e32 v11, s14, v0
	v_mov_b32_e32 v12, s13
	v_fma_f64 v[9:10], -v[3:4], v[9:10], v[5:6]
	s_add_i32 s13, s25, 0xffffff90
	v_lshlrev_b32_e32 v17, 3, v11
	ds_load_2addr_b64 v[11:14], v12 offset1:1
	ds_load_b64 v[27:28], v17 offset:2048
	ds_load_2addr_b64 v[19:22], v18 offset1:1
	v_or_b32_e32 v18, s19, v0
	s_add_i32 s19, s22, s4
	v_or_b32_e32 v23, s13, v0
	s_lshl_b32 s19, s19, 3
	s_delay_alu instid0(VALU_DEP_2) | instid1(SALU_CYCLE_1)
	v_dual_mov_b32 v26, s19 :: v_dual_lshlrev_b32 v29, 3, v18
	s_delay_alu instid0(VALU_DEP_2)
	v_lshlrev_b32_e32 v18, 3, v23
	ds_load_b64 v[33:34], v25
	ds_load_2addr_b64 v[23:26], v26 offset1:1
	ds_load_b64 v[29:30], v29 offset:2048
	ds_load_b64 v[35:36], v18 offset:2048
	;; [unrolled: 1-line block ×3, first 2 shown]
	s_add_i32 s19, s24, s15
	s_delay_alu instid0(SALU_CYCLE_1)
	s_lshl_b32 s19, s19, 3
	s_waitcnt lgkmcnt(6)
	v_fma_f64 v[13:14], -v[1:2], v[13:14], v[27:28]
	s_waitcnt lgkmcnt(5)
	v_mul_f64 v[5:6], v[7:8], v[21:22]
	s_waitcnt lgkmcnt(2)
	v_fma_f64 v[7:8], -v[1:2], v[11:12], v[29:30]
	s_delay_alu instid0(VALU_DEP_3) | instskip(NEXT) | instid1(VALU_DEP_3)
	v_fma_f64 v[13:14], -v[3:4], v[25:26], v[13:14]
	v_fma_f64 v[39:40], -v[5:6], v[19:20], v[9:10]
	v_mov_b32_e32 v9, s19
	v_mov_b32_e32 v19, s20
	ds_load_2addr_b64 v[9:12], v9 offset1:1
	ds_load_2addr_b64 v[19:22], v19 offset1:1
	v_fma_f64 v[23:24], -v[3:4], v[23:24], v[7:8]
	s_add_i32 s19, s22, s12
	s_add_i32 s20, s24, s4
	s_lshl_b32 s19, s19, 3
	s_lshl_b32 s20, s20, 3
	v_mov_b32_e32 v25, s19
	v_mov_b32_e32 v29, s20
	ds_load_2addr_b64 v[25:28], v25 offset1:1
	ds_load_2addr_b64 v[29:32], v29 offset1:1
	s_add_i32 s20, s25, 0xffffff70
	s_add_i32 s19, s25, 0xffffff50
	s_waitcnt lgkmcnt(3)
	v_fma_f64 v[11:12], -v[1:2], v[11:12], v[35:36]
	v_fma_f64 v[9:10], -v[1:2], v[9:10], v[37:38]
	v_or_b32_e32 v36, s26, v0
	s_add_i32 s26, s21, s4
	v_or_b32_e32 v35, s19, v0
	s_waitcnt lgkmcnt(2)
	v_fma_f64 v[13:14], -v[5:6], v[21:22], v[13:14]
	v_mov_b32_e32 v21, s31
	v_mov_b32_e32 v37, s27
	s_lshl_b32 s26, s26, 3
	v_lshlrev_b32_e32 v51, 3, v36
	s_add_i32 s27, s24, s14
	s_add_i32 s31, s25, 0xffffff20
	v_mul_f64 v[7:8], v[39:40], v[33:34]
	v_mov_b32_e32 v39, s26
	v_fma_f64 v[45:46], -v[5:6], v[19:20], v[23:24]
	v_or_b32_e32 v20, s23, v0
	s_add_i32 s23, s22, s14
	s_lshl_b32 s22, s22, 4
	s_lshl_b32 s23, s23, 3
	s_delay_alu instid0(VALU_DEP_1)
	v_lshlrev_b32_e32 v49, 3, v20
	v_lshlrev_b32_e32 v20, 3, v35
	s_waitcnt lgkmcnt(0)
	v_fma_f64 v[43:44], -v[3:4], v[31:32], v[11:12]
	v_or_b32_e32 v11, s20, v0
	v_dual_mov_b32 v12, s30 :: v_dual_mov_b32 v31, s23
	v_fma_f64 v[29:30], -v[3:4], v[29:30], v[9:10]
	s_add_i32 s23, s24, s12
	s_delay_alu instid0(VALU_DEP_3)
	v_lshlrev_b32_e32 v19, 3, v11
	s_lshl_b32 s23, s23, 3
	s_add_i32 s30, s21, s9
	v_mov_b32_e32 v38, s23
	s_add_i32 s23, s28, -12
	s_lshl_b32 s30, s30, 3
	s_add_i32 s26, s23, s15
	v_fma_f64 v[27:28], -v[7:8], v[27:28], v[13:14]
	ds_load_2addr_b64 v[11:14], v12 offset1:1
	ds_load_b64 v[47:48], v19 offset:2048
	ds_load_2addr_b64 v[21:24], v21 offset1:1
	ds_load_2addr_b64 v[31:34], v31 offset1:1
	ds_load_b64 v[53:54], v37
	ds_load_2addr_b64 v[35:38], v38 offset1:1
	ds_load_2addr_b64 v[39:42], v39 offset1:1
	ds_load_b64 v[49:50], v49 offset:2048
	ds_load_b64 v[55:56], v20 offset:2048
	;; [unrolled: 1-line block ×3, first 2 shown]
	s_lshl_b32 s26, s26, 3
	s_add_i32 s35, s23, s12
	v_fma_f64 v[25:26], -v[7:8], v[25:26], v[45:46]
	s_waitcnt lgkmcnt(8)
	v_fma_f64 v[13:14], -v[1:2], v[13:14], v[47:48]
	s_waitcnt lgkmcnt(2)
	v_fma_f64 v[11:12], -v[1:2], v[11:12], v[49:50]
	v_fma_f64 v[23:24], -v[5:6], v[23:24], v[43:44]
	v_mul_f64 v[9:10], v[27:28], v[33:34]
	v_fma_f64 v[33:34], -v[5:6], v[21:22], v[29:30]
	v_mov_b32_e32 v21, s26
	s_lshl_b32 s26, s27, 3
	s_add_i32 s27, s21, s12
	v_mov_b32_e32 v29, s26
	s_add_i32 s26, s24, s22
	s_lshl_b32 s27, s27, 3
	s_lshl_b32 s26, s26, 3
	v_mov_b32_e32 v45, s27
	s_add_i32 s27, s28, -14
	s_delay_alu instid0(SALU_CYCLE_1)
	s_add_i32 s34, s27, s15
	s_add_i32 s36, s27, s9
	s_lshl_b32 s34, s34, 3
	s_lshl_b32 s36, s36, 3
	s_add_i32 s37, s27, s12
	v_fma_f64 v[13:14], -v[3:4], v[41:42], v[13:14]
	v_fma_f64 v[39:40], -v[3:4], v[39:40], v[11:12]
	v_mov_b32_e32 v41, s26
	s_add_i32 s26, s25, 0xffffff10
	v_fma_f64 v[37:38], -v[7:8], v[37:38], v[23:24]
	v_fma_f64 v[59:60], -v[9:10], v[31:32], v[25:26]
	v_mov_b32_e32 v25, s30
	ds_load_2addr_b64 v[21:24], v21 offset1:1
	ds_load_2addr_b64 v[25:28], v25 offset1:1
	;; [unrolled: 1-line block ×3, first 2 shown]
	s_add_i32 s30, s23, s4
	s_delay_alu instid0(SALU_CYCLE_1) | instskip(NEXT) | instid1(SALU_CYCLE_1)
	s_lshl_b32 s30, s30, 3
	v_mov_b32_e32 v49, s30
	ds_load_2addr_b64 v[41:44], v41 offset1:1
	ds_load_2addr_b64 v[45:48], v45 offset1:1
	;; [unrolled: 1-line block ×3, first 2 shown]
	s_add_i32 s30, s25, 0xffffff30
	s_addk_i32 s25, 0xff00
	s_waitcnt lgkmcnt(5)
	v_fma_f64 v[23:24], -v[1:2], v[23:24], v[55:56]
	s_waitcnt lgkmcnt(4)
	v_fma_f64 v[13:14], -v[5:6], v[27:28], v[13:14]
	v_fma_f64 v[27:28], -v[7:8], v[35:36], v[33:34]
	s_waitcnt lgkmcnt(3)
	v_fma_f64 v[31:32], -v[9:10], v[31:32], v[37:38]
	v_fma_f64 v[39:40], -v[5:6], v[25:26], v[39:40]
	v_or_b32_e32 v33, s30, v0
	v_or_b32_e32 v37, s25, v0
	v_mov_b32_e32 v38, s33
	s_add_i32 s25, s21, s14
	s_add_i32 s33, s23, s9
	s_lshl_b32 s25, s25, 3
	s_lshl_b32 s33, s33, 3
	v_or_b32_e32 v35, s31, v0
	s_add_i32 s31, s21, s22
	v_mul_f64 v[11:12], v[59:60], v[53:54]
	v_fma_f64 v[59:60], -v[1:2], v[21:22], v[57:58]
	v_dual_mov_b32 v22, s34 :: v_dual_lshlrev_b32 v21, 3, v33
	s_lshl_b32 s31, s31, 3
	v_or_b32_e32 v36, s26, v0
	v_lshlrev_b32_e32 v67, 3, v35
	v_lshlrev_b32_e32 v71, 3, v37
	s_add_i32 s34, s23, s14
	s_waitcnt lgkmcnt(0)
	v_fma_f64 v[61:62], -v[3:4], v[51:52], v[23:24]
	v_fma_f64 v[13:14], -v[7:8], v[47:48], v[13:14]
	;; [unrolled: 1-line block ×3, first 2 shown]
	v_mov_b32_e32 v27, s33
	ds_load_2addr_b64 v[23:26], v22 offset1:1
	ds_load_b64 v[63:64], v21 offset:2048
	ds_load_b64 v[65:66], v38
	v_fma_f64 v[39:40], -v[7:8], v[45:46], v[39:40]
	s_lshl_b32 s33, s35, 3
	ds_load_2addr_b64 v[27:30], v27 offset1:1
	v_dual_mov_b32 v38, s31 :: v_dual_mov_b32 v51, s33
	v_lshlrev_b32_e32 v22, 3, v36
	s_add_i32 s31, s8, 0xfffffc48
	s_add_i32 s35, s23, s22
	v_fma_f64 v[43:44], -v[11:12], v[43:44], v[31:32]
	v_mov_b32_e32 v31, s25
	v_fma_f64 v[49:50], -v[3:4], v[49:50], v[59:60]
	s_add_i32 s25, s27, s4
	v_mov_b32_e32 v45, s31
	s_lshl_b32 s25, s25, 3
	ds_load_2addr_b64 v[31:34], v31 offset1:1
	v_mov_b32_e32 v55, s25
	s_add_i32 s25, s24, s13
	ds_load_2addr_b64 v[35:38], v38 offset1:1
	ds_load_2addr_b64 v[51:54], v51 offset1:1
	;; [unrolled: 1-line block ×3, first 2 shown]
	ds_load_b64 v[67:68], v67 offset:2048
	ds_load_b64 v[69:70], v22 offset:2048
	ds_load_b64 v[71:72], v71 offset:2048
	s_waitcnt lgkmcnt(9)
	v_fma_f64 v[25:26], -v[1:2], v[25:26], v[63:64]
	s_lshl_b32 s25, s25, 3
	s_add_i32 s31, s21, s13
	s_lshl_b32 s24, s24, 4
	s_lshl_b32 s31, s31, 3
	s_add_i32 s33, s21, s24
	s_waitcnt lgkmcnt(7)
	v_fma_f64 v[29:30], -v[5:6], v[29:30], v[61:62]
	s_waitcnt lgkmcnt(6)
	v_fma_f64 v[33:34], -v[9:10], v[33:34], v[13:14]
	v_fma_f64 v[41:42], -v[11:12], v[41:42], v[47:48]
	v_fma_f64 v[73:74], -v[9:10], v[31:32], v[39:40]
	v_mul_f64 v[13:14], v[43:44], v[65:66]
	v_mov_b32_e32 v43, s25
	s_add_i32 s25, s28, -16
	s_waitcnt lgkmcnt(2)
	v_fma_f64 v[65:66], -v[1:2], v[23:24], v[67:68]
	s_add_i32 s15, s25, s15
	v_fma_f64 v[49:50], -v[5:6], v[27:28], v[49:50]
	ds_load_b64 v[43:44], v43
	s_lshl_b32 s15, s15, 3
	v_mov_b32_e32 v27, s36
	v_mov_b32_e32 v23, s15
	s_lshl_b32 s15, s34, 3
	v_fma_f64 v[67:68], -v[3:4], v[57:58], v[25:26]
	v_mov_b32_e32 v31, s15
	s_add_i32 s15, s25, s4
	ds_load_2addr_b64 v[23:26], v23 offset1:1
	s_lshl_b32 s34, s37, 3
	s_lshl_b32 s15, s15, 3
	v_mov_b32_e32 v57, s34
	v_mov_b32_e32 v61, s15
	s_add_i32 s9, s25, s9
	s_add_i32 s15, s23, s13
	s_lshl_b32 s9, s9, 3
	v_fma_f64 v[53:54], -v[7:8], v[53:54], v[29:30]
	ds_load_2addr_b64 v[27:30], v27 offset1:1
	v_fma_f64 v[75:76], -v[11:12], v[37:38], v[33:34]
	ds_load_2addr_b64 v[31:34], v31 offset1:1
	v_mov_b32_e32 v37, s31
	ds_load_2addr_b64 v[37:40], v37 offset1:1
	ds_load_b64 v[79:80], v45
	s_waitcnt lgkmcnt(4)
	v_fma_f64 v[25:26], -v[1:2], v[25:26], v[69:70]
	v_fma_f64 v[35:36], -v[11:12], v[35:36], v[73:74]
	s_lshl_b32 s31, s33, 3
	s_lshl_b32 s33, s35, 3
	v_fma_f64 v[77:78], -v[13:14], v[43:44], v[41:42]
	v_mov_b32_e32 v41, s31
	v_mov_b32_e32 v45, s33
	v_fma_f64 v[55:56], -v[3:4], v[55:56], v[65:66]
	ds_load_2addr_b64 v[41:44], v41 offset1:1
	ds_load_2addr_b64 v[45:48], v45 offset1:1
	;; [unrolled: 1-line block ×4, first 2 shown]
	v_fma_f64 v[49:50], -v[7:8], v[51:52], v[49:50]
	s_add_i32 s31, s27, s14
	s_add_i32 s14, s25, s14
	s_lshl_b32 s31, s31, 3
	s_waitcnt lgkmcnt(7)
	v_fma_f64 v[29:30], -v[5:6], v[29:30], v[67:68]
	s_lshl_b32 s14, s14, 3
	s_waitcnt lgkmcnt(6)
	v_fma_f64 v[33:34], -v[9:10], v[33:34], v[53:54]
	s_waitcnt lgkmcnt(5)
	v_fma_f64 v[39:40], -v[13:14], v[39:40], v[75:76]
	;; [unrolled: 2-line block ×3, first 2 shown]
	v_fma_f64 v[73:74], -v[13:14], v[37:38], v[35:36]
	v_mul_f64 v[65:66], v[77:78], v[79:80]
	v_fma_f64 v[55:56], -v[5:6], v[27:28], v[55:56]
	v_mov_b32_e32 v27, s31
	s_add_i32 s31, s25, s12
	v_fma_f64 v[67:68], -v[9:10], v[31:32], v[49:50]
	s_lshl_b32 s31, s31, 3
	s_delay_alu instid0(SALU_CYCLE_1)
	v_mov_b32_e32 v51, s31
	v_fma_f64 v[59:60], -v[7:8], v[59:60], v[29:30]
	v_fma_f64 v[69:70], -v[11:12], v[47:48], v[33:34]
	;; [unrolled: 1-line block ×4, first 2 shown]
	v_mov_b32_e32 v23, s9
	s_lshl_b32 s9, s15, 3
	s_add_i32 s15, s8, 0xfffffbc0
	v_mov_b32_e32 v31, s9
	v_mov_b32_e32 v35, s15
	ds_load_2addr_b64 v[23:26], v23 offset1:1
	ds_load_2addr_b64 v[27:30], v27 offset1:1
	;; [unrolled: 1-line block ×3, first 2 shown]
	v_fma_f64 v[55:56], -v[7:8], v[57:58], v[55:56]
	ds_load_b64 v[71:72], v35
	v_fma_f64 v[45:46], -v[11:12], v[45:46], v[67:68]
	v_fma_f64 v[41:42], -v[65:66], v[41:42], v[73:74]
	s_add_i32 s9, s23, s24
	s_add_i32 s15, s27, s22
	s_lshl_b32 s9, s9, 3
	s_lshl_b32 s15, s15, 3
	v_mov_b32_e32 v35, s9
	s_add_i32 s9, s21, s20
	v_mov_b32_e32 v47, s15
	s_lshl_b32 s9, s9, 3
	ds_load_2addr_b64 v[35:38], v35 offset1:1
	ds_load_2addr_b64 v[47:50], v47 offset1:1
	;; [unrolled: 1-line block ×3, first 2 shown]
	s_add_i32 s15, s27, s13
	s_addk_i32 s8, 0xfb38
	s_waitcnt lgkmcnt(6)
	v_fma_f64 v[25:26], -v[5:6], v[25:26], v[63:64]
	s_waitcnt lgkmcnt(5)
	v_fma_f64 v[29:30], -v[9:10], v[29:30], v[59:60]
	;; [unrolled: 2-line block ×3, first 2 shown]
	s_lshl_b32 s15, s15, 3
	s_add_i32 s13, s25, s13
	s_delay_alu instid0(SALU_CYCLE_1)
	s_lshl_b32 s13, s13, 3
	s_waitcnt lgkmcnt(3)
	v_mul_f64 v[57:58], v[39:40], v[71:72]
	v_fma_f64 v[39:40], -v[3:4], v[61:62], v[43:44]
	v_mov_b32_e32 v43, s9
	s_add_i32 s9, s23, s20
	s_delay_alu instid0(SALU_CYCLE_1)
	s_lshl_b32 s9, s9, 3
	ds_load_b64 v[43:44], v43
	v_fma_f64 v[61:62], -v[9:10], v[27:28], v[55:56]
	v_mov_b32_e32 v27, s15
	v_fma_f64 v[45:46], -v[13:14], v[31:32], v[45:46]
	v_mov_b32_e32 v31, s9
	s_add_i32 s15, s25, s22
	s_delay_alu instid0(SALU_CYCLE_1)
	s_lshl_b32 s15, s15, 3
	s_waitcnt lgkmcnt(1)
	v_fma_f64 v[59:60], -v[7:8], v[53:54], v[25:26]
	v_fma_f64 v[49:50], -v[11:12], v[49:50], v[29:30]
	;; [unrolled: 1-line block ×3, first 2 shown]
	v_mov_b32_e32 v37, s8
	s_lshl_b32 s8, s21, 4
	v_mov_b32_e32 v53, s15
	s_add_i32 s9, s23, s8
	s_add_i32 s15, s25, s8
	s_lshl_b32 s9, s9, 3
	s_lshl_b32 s15, s15, 3
	s_waitcnt lgkmcnt(0)
	v_fma_f64 v[67:68], -v[57:58], v[43:44], v[41:42]
	v_fma_f64 v[69:70], -v[5:6], v[23:24], v[39:40]
	v_mov_b32_e32 v23, s14
	ds_load_2addr_b64 v[23:26], v23 offset1:1
	ds_load_2addr_b64 v[27:30], v27 offset1:1
	;; [unrolled: 1-line block ×3, first 2 shown]
	ds_load_b64 v[71:72], v37
	s_add_i32 s14, s27, s24
	v_fma_f64 v[47:48], -v[11:12], v[47:48], v[61:62]
	s_lshl_b32 s14, s14, 3
	v_fma_f64 v[35:36], -v[65:66], v[35:36], v[45:46]
	v_mov_b32_e32 v37, s9
	v_mov_b32_e32 v41, s14
	ds_load_2addr_b64 v[37:40], v37 offset1:1
	ds_load_2addr_b64 v[41:44], v41 offset1:1
	;; [unrolled: 1-line block ×3, first 2 shown]
	s_add_i32 s9, s23, s19
	s_add_i32 s14, s27, s20
	s_lshl_b32 s9, s9, 3
	s_lshl_b32 s14, s14, 3
	s_waitcnt lgkmcnt(6)
	v_fma_f64 v[25:26], -v[9:10], v[25:26], v[59:60]
	s_waitcnt lgkmcnt(5)
	v_fma_f64 v[29:30], -v[13:14], v[29:30], v[49:50]
	;; [unrolled: 2-line block ×3, first 2 shown]
	s_waitcnt lgkmcnt(3)
	v_mul_f64 v[59:60], v[67:68], v[71:72]
	v_fma_f64 v[45:46], -v[7:8], v[51:52], v[69:70]
	v_fma_f64 v[35:36], -v[57:58], v[31:32], v[35:36]
	v_mov_b32_e32 v31, s9
	s_mul_i32 s9, s28, 0x88
	s_waitcnt lgkmcnt(0)
	v_fma_f64 v[51:52], -v[11:12], v[55:56], v[25:26]
	v_fma_f64 v[55:56], -v[13:14], v[27:28], v[47:48]
	;; [unrolled: 1-line block ×3, first 2 shown]
	v_mov_b32_e32 v27, s14
	s_add_i32 s14, s25, s24
	s_delay_alu instid0(SALU_CYCLE_1) | instskip(NEXT) | instid1(SALU_CYCLE_1)
	s_lshl_b32 s14, s14, 3
	v_mov_b32_e32 v47, s14
	s_add_i32 s14, s27, s19
	v_fma_f64 v[39:40], -v[59:60], v[39:40], v[33:34]
	v_fma_f64 v[63:64], -v[9:10], v[23:24], v[45:46]
	v_mov_b32_e32 v23, s13
	ds_load_2addr_b64 v[23:26], v23 offset1:1
	ds_load_2addr_b64 v[27:30], v27 offset1:1
	;; [unrolled: 1-line block ×3, first 2 shown]
	s_add_i32 s13, s9, 0xfffff9a0
	s_lshl_b32 s14, s14, 3
	v_mov_b32_e32 v43, s13
	v_fma_f64 v[35:36], -v[59:60], v[37:38], v[35:36]
	s_add_i32 s13, s27, s8
	s_delay_alu instid0(SALU_CYCLE_1) | instskip(NEXT) | instid1(SALU_CYCLE_1)
	s_lshl_b32 s13, s13, 3
	v_mov_b32_e32 v44, s13
	ds_load_b64 v[67:68], v43
	ds_load_2addr_b64 v[43:46], v44 offset1:1
	ds_load_2addr_b64 v[47:50], v47 offset1:1
	s_add_i32 s13, s25, s20
	s_delay_alu instid0(SALU_CYCLE_1)
	s_lshl_b32 s13, s13, 3
	s_waitcnt lgkmcnt(5)
	v_fma_f64 v[25:26], -v[13:14], v[25:26], v[51:52]
	v_fma_f64 v[41:42], -v[65:66], v[41:42], v[55:56]
	s_waitcnt lgkmcnt(4)
	v_fma_f64 v[29:30], -v[57:58], v[29:30], v[61:62]
	s_waitcnt lgkmcnt(3)
	v_mul_f64 v[51:52], v[39:40], v[33:34]
	v_fma_f64 v[33:34], -v[11:12], v[53:54], v[63:64]
	s_waitcnt lgkmcnt(0)
	v_fma_f64 v[39:40], -v[65:66], v[49:50], v[25:26]
	v_fma_f64 v[41:42], -v[57:58], v[27:28], v[41:42]
	;; [unrolled: 1-line block ×3, first 2 shown]
	v_mov_b32_e32 v27, s14
	v_fma_f64 v[49:50], -v[51:52], v[31:32], v[35:36]
	v_fma_f64 v[53:54], -v[13:14], v[23:24], v[33:34]
	v_mov_b32_e32 v23, s13
	ds_load_2addr_b64 v[23:26], v23 offset1:1
	ds_load_2addr_b64 v[27:30], v27 offset1:1
	s_lshl_b32 s13, s23, 4
	v_mov_b32_e32 v35, s15
	s_add_i32 s14, s27, s13
	s_add_i32 s15, s27, s30
	s_lshl_b32 s14, s14, 3
	s_lshl_b32 s15, s15, 3
	v_mov_b32_e32 v31, s14
	ds_load_2addr_b64 v[31:34], v31 offset1:1
	ds_load_2addr_b64 v[35:38], v35 offset1:1
	s_add_i32 s14, s25, s19
	s_delay_alu instid0(SALU_CYCLE_1)
	s_lshl_b32 s14, s14, 3
	s_waitcnt lgkmcnt(3)
	v_fma_f64 v[25:26], -v[57:58], v[25:26], v[39:40]
	v_fma_f64 v[39:40], -v[59:60], v[43:44], v[41:42]
	s_waitcnt lgkmcnt(2)
	v_fma_f64 v[29:30], -v[51:52], v[29:30], v[45:46]
	v_mul_f64 v[41:42], v[49:50], v[67:68]
	v_fma_f64 v[43:44], -v[65:66], v[47:48], v[53:54]
	s_waitcnt lgkmcnt(0)
	v_fma_f64 v[45:46], -v[59:60], v[37:38], v[25:26]
	v_fma_f64 v[47:48], -v[51:52], v[27:28], v[39:40]
	v_mov_b32_e32 v27, s15
	s_add_i32 s15, s9, 0xfffff890
	s_addk_i32 s9, 0xf780
	v_mov_b32_e32 v37, s15
	v_fma_f64 v[33:34], -v[41:42], v[33:34], v[29:30]
	v_fma_f64 v[43:44], -v[57:58], v[23:24], v[43:44]
	v_mov_b32_e32 v23, s14
	ds_load_2addr_b64 v[23:26], v23 offset1:1
	ds_load_2addr_b64 v[27:30], v27 offset1:1
	s_add_i32 s14, s25, s13
	s_delay_alu instid0(SALU_CYCLE_1) | instskip(NEXT) | instid1(SALU_CYCLE_1)
	s_lshl_b32 s14, s14, 3
	v_mov_b32_e32 v38, s14
	ds_load_b64 v[49:50], v37
	ds_load_2addr_b64 v[37:40], v38 offset1:1
	s_add_i32 s14, s25, s30
	s_delay_alu instid0(SALU_CYCLE_1)
	s_lshl_b32 s14, s14, 3
	s_waitcnt lgkmcnt(3)
	v_fma_f64 v[25:26], -v[51:52], v[25:26], v[45:46]
	v_fma_f64 v[31:32], -v[41:42], v[31:32], v[47:48]
	s_waitcnt lgkmcnt(2)
	v_mul_f64 v[33:34], v[33:34], v[29:30]
	v_fma_f64 v[29:30], -v[59:60], v[35:36], v[43:44]
	s_waitcnt lgkmcnt(0)
	s_delay_alu instid0(VALU_DEP_4) | instskip(NEXT) | instid1(VALU_DEP_3)
	v_fma_f64 v[35:36], -v[41:42], v[39:40], v[25:26]
	v_fma_f64 v[31:32], -v[33:34], v[27:28], v[31:32]
	s_delay_alu instid0(VALU_DEP_3) | instskip(SKIP_2) | instid1(SALU_CYCLE_1)
	v_fma_f64 v[39:40], -v[51:52], v[23:24], v[29:30]
	v_mov_b32_e32 v23, s14
	s_lshl_b32 s14, s27, 4
	s_add_i32 s15, s25, s14
	ds_load_2addr_b64 v[23:26], v23 offset1:1
	s_lshl_b32 s15, s15, 3
	s_delay_alu instid0(SALU_CYCLE_1) | instskip(SKIP_1) | instid1(SALU_CYCLE_1)
	v_mov_b32_e32 v27, s15
	s_add_i32 s15, s25, s26
	s_lshl_b32 s15, s15, 3
	ds_load_2addr_b64 v[27:30], v27 offset1:1
	s_waitcnt lgkmcnt(1)
	v_fma_f64 v[25:26], -v[33:34], v[25:26], v[35:36]
	v_mul_f64 v[31:32], v[31:32], v[49:50]
	v_fma_f64 v[35:36], -v[41:42], v[37:38], v[39:40]
	v_mov_b32_e32 v37, s9
	ds_load_b64 v[37:38], v37
	s_waitcnt lgkmcnt(1)
	v_fma_f64 v[29:30], -v[31:32], v[29:30], v[25:26]
	v_fma_f64 v[35:36], -v[33:34], v[23:24], v[35:36]
	v_mov_b32_e32 v23, s15
	ds_load_2addr_b64 v[23:26], v23 offset1:1
	ds_store_b64 v15, v[1:2] offset:2048
	ds_store_b64 v16, v[5:6] offset:2048
	;; [unrolled: 1-line block ×4, first 2 shown]
	v_or_b32_e32 v2, s8, v0
	v_or_b32_e32 v5, s13, v0
	;; [unrolled: 1-line block ×3, first 2 shown]
	s_waitcnt lgkmcnt(4)
	v_mul_f64 v[25:26], v[29:30], v[25:26]
	v_fma_f64 v[27:28], -v[31:32], v[27:28], v[35:36]
	v_or_b32_e32 v29, s22, v0
	v_or_b32_e32 v30, s24, v0
	s_delay_alu instid0(VALU_DEP_2) | instskip(NEXT) | instid1(VALU_DEP_2)
	v_lshlrev_b32_e32 v29, 3, v29
	v_lshlrev_b32_e32 v1, 3, v30
	v_fma_f64 v[23:24], -v[25:26], v[23:24], v[27:28]
	v_or_b32_e32 v27, s4, v0
	v_or_b32_e32 v28, s12, v0
	s_sub_i32 s4, s28, 17
	s_delay_alu instid0(VALU_DEP_2) | instskip(NEXT) | instid1(VALU_DEP_2)
	v_lshlrev_b32_e32 v27, 3, v27
	v_lshlrev_b32_e32 v28, 3, v28
	ds_store_b64 v27, v[3:4] offset:2048
	ds_store_b64 v28, v[7:8] offset:2048
	;; [unrolled: 1-line block ×4, first 2 shown]
	v_lshlrev_b32_e32 v4, 3, v0
	v_lshlrev_b32_e32 v1, 3, v2
	v_lshlrev_b32_e32 v2, 3, v5
	v_lshlrev_b32_e32 v3, 3, v6
	ds_store_b64 v19, v[57:58] offset:2048
	ds_store_b64 v20, v[51:52] offset:2048
	;; [unrolled: 1-line block ×4, first 2 shown]
	v_lshl_or_b32 v4, s25, 7, v4
	v_mul_f64 v[23:24], v[23:24], v[37:38]
	ds_store_b64 v1, v[59:60] offset:2048
	ds_store_b64 v2, v[41:42] offset:2048
	;; [unrolled: 1-line block ×4, first 2 shown]
	s_cmp_gt_i32 s4, -1
	s_cbranch_scc1 .LBB82_46
	s_branch .LBB82_64
.LBB82_45:
	s_mov_b32 s4, s29
	s_delay_alu instid0(SALU_CYCLE_1)
	s_cmp_gt_i32 s4, -1
	s_cbranch_scc0 .LBB82_64
.LBB82_46:
	s_cmp_lt_u32 s4, 11
	s_cbranch_scc1 .LBB82_51
; %bb.47:
	s_lshl_b32 s8, s4, 4
	s_cmp_le_i32 s29, s4
	v_or_b32_e32 v1, s8, v0
	s_delay_alu instid0(VALU_DEP_1)
	v_lshlrev_b32_e32 v29, 3, v1
	ds_load_2addr_b64 v[17:20], v29 offset0:208 offset1:224
	ds_load_2addr_b64 v[13:16], v29 offset0:176 offset1:192
	s_waitcnt lgkmcnt(1)
	v_dual_mov_b32 v28, v20 :: v_dual_add_nc_u32 v21, 0x400, v29
	ds_load_2addr_b64 v[9:12], v29 offset0:144 offset1:160
	ds_load_2addr_b64 v[5:8], v29 offset0:112 offset1:128
	;; [unrolled: 1-line block ×4, first 2 shown]
	v_mov_b32_e32 v27, v19
	s_waitcnt lgkmcnt(3)
	v_dual_mov_b32 v25, v11 :: v_dual_mov_b32 v26, v12
	s_waitcnt lgkmcnt(2)
	v_dual_mov_b32 v19, v7 :: v_dual_mov_b32 v20, v8
	;; [unrolled: 2-line block ×3, first 2 shown]
	s_cbranch_scc1 .LBB82_50
; %bb.48:
	s_lshl_b32 s9, s28, 7
	s_lshl_b32 s12, s4, 3
	v_lshl_or_b32 v11, v0, 3, s9
	s_add_i32 s9, s9, s12
	s_mov_b32 s12, s29
	s_addk_i32 s9, 0xff28
	s_delay_alu instid0(VALU_DEP_1)
	v_add_nc_u32_e32 v11, 0x780, v11
	s_set_inst_prefetch_distance 0x1
	.p2align	6
.LBB82_49:                              ; =>This Inner Loop Header: Depth=1
	v_mov_b32_e32 v12, s9
	s_add_i32 s12, s12, -1
	s_addk_i32 s9, 0xff80
	s_cmp_gt_i32 s12, s4
	ds_load_b64 v[23:24], v11
	ds_load_2addr_b64 v[30:33], v12 offset0:10 offset1:11
	ds_load_2addr_b64 v[34:37], v12 offset0:8 offset1:9
	;; [unrolled: 1-line block ×5, first 2 shown]
	ds_load_2addr_b64 v[50:53], v12 offset1:1
	v_add_nc_u32_e32 v11, 0xffffff80, v11
	s_waitcnt lgkmcnt(5)
	v_fma_f64 v[7:8], -v[23:24], v[32:33], v[7:8]
	v_fma_f64 v[21:22], -v[23:24], v[30:31], v[21:22]
	s_waitcnt lgkmcnt(4)
	v_fma_f64 v[27:28], -v[23:24], v[36:37], v[27:28]
	v_fma_f64 v[17:18], -v[23:24], v[34:35], v[17:18]
	;; [unrolled: 3-line block ×6, first 2 shown]
	s_cbranch_scc1 .LBB82_49
.LBB82_50:
	s_set_inst_prefetch_distance 0x2
	s_add_i32 s12, s4, -1
	v_add_nc_u32_e32 v23, 0x800, v29
	s_add_i32 s9, s12, s8
	s_add_i32 s21, s4, -5
	s_lshl_b32 s9, s9, 3
	s_add_i32 s14, s4, -3
	v_mov_b32_e32 v11, s9
	s_mul_i32 s9, s4, 0x88
	s_add_i32 s15, s21, s8
	s_add_i32 s13, s9, 0xffffff78
	s_lshl_b32 s15, s15, 3
	ds_load_2addr_b64 v[29:32], v11 offset1:1
	v_mov_b32_e32 v11, s13
	s_add_i32 s13, s14, s8
	s_lshl_b32 s12, s12, 4
	s_lshl_b32 s13, s13, 3
	s_add_i32 s26, s9, 0xfffffb38
	v_mov_b32_e32 v24, s13
	ds_load_b64 v[11:12], v11
	s_add_i32 s13, s14, s12
	s_delay_alu instid0(SALU_CYCLE_1) | instskip(SKIP_2) | instid1(VALU_DEP_1)
	s_lshl_b32 s13, s13, 3
	s_waitcnt lgkmcnt(1)
	v_mul_f64 v[7:8], v[7:8], v[31:32]
	v_fma_f64 v[21:22], -v[7:8], v[29:30], v[21:22]
	ds_load_2addr_b64 v[29:32], v24 offset1:1
	v_mov_b32_e32 v24, s13
	s_sub_i32 s13, s8, 32
	s_delay_alu instid0(SALU_CYCLE_1)
	s_add_i32 s19, s14, s13
	s_add_i32 s20, s21, s13
	ds_load_2addr_b64 v[33:36], v24 offset1:1
	s_lshl_b32 s19, s19, 3
	v_mov_b32_e32 v24, s15
	s_add_i32 s15, s21, s12
	s_lshl_b32 s14, s14, 4
	s_lshl_b32 s15, s15, 3
	;; [unrolled: 1-line block ×3, first 2 shown]
	s_waitcnt lgkmcnt(1)
	v_fma_f64 v[27:28], -v[7:8], v[31:32], v[27:28]
	v_fma_f64 v[17:18], -v[7:8], v[29:30], v[17:18]
	v_mov_b32_e32 v31, s19
	s_add_i32 s19, s9, 0xfffffe68
	v_mul_f64 v[11:12], v[21:22], v[11:12]
	s_waitcnt lgkmcnt(0)
	s_delay_alu instid0(VALU_DEP_1)
	v_fma_f64 v[21:22], -v[11:12], v[35:36], v[27:28]
	ds_load_2addr_b64 v[27:30], v24 offset1:1
	ds_load_2addr_b64 v[35:38], v31 offset1:1
	v_mov_b32_e32 v24, s19
	v_fma_f64 v[17:18], -v[11:12], v[33:34], v[17:18]
	v_mov_b32_e32 v31, s15
	ds_load_b64 v[45:46], v24
	ds_load_2addr_b64 v[39:42], v31 offset1:1
	s_add_i32 s15, s4, -7
	s_delay_alu instid0(SALU_CYCLE_1)
	s_add_i32 s19, s15, s8
	s_add_i32 s24, s15, s13
	s_lshl_b32 s19, s19, 3
	s_lshl_b32 s24, s24, 3
	v_mov_b32_e32 v24, s19
	s_add_i32 s19, s21, s14
	s_delay_alu instid0(SALU_CYCLE_1)
	s_lshl_b32 s19, s19, 3
	v_mov_b32_e32 v31, s20
	s_waitcnt lgkmcnt(3)
	v_fma_f64 v[29:30], -v[7:8], v[29:30], v[15:16]
	v_fma_f64 v[13:14], -v[7:8], v[27:28], v[13:14]
	s_add_i32 s20, s15, s12
	s_delay_alu instid0(SALU_CYCLE_1) | instskip(SKIP_3) | instid1(VALU_DEP_3)
	s_lshl_b32 s20, s20, 3
	s_waitcnt lgkmcnt(2)
	v_mul_f64 v[15:16], v[21:22], v[37:38]
	s_waitcnt lgkmcnt(0)
	v_fma_f64 v[21:22], -v[11:12], v[41:42], v[29:30]
	ds_load_2addr_b64 v[27:30], v24 offset1:1
	ds_load_2addr_b64 v[31:34], v31 offset1:1
	v_dual_mov_b32 v24, s19 :: v_dual_mov_b32 v41, s20
	s_add_i32 s20, s4, -9
	s_sub_i32 s19, s8, 64
	s_add_i32 s23, s20, s8
	s_add_i32 s22, s21, s19
	s_lshl_b32 s23, s23, 3
	s_lshl_b32 s22, s22, 3
	;; [unrolled: 1-line block ×3, first 2 shown]
	s_add_i32 s25, s20, s13
	s_delay_alu instid0(SALU_CYCLE_1)
	s_lshl_b32 s25, s25, 3
	v_fma_f64 v[17:18], -v[15:16], v[35:36], v[17:18]
	ds_load_2addr_b64 v[35:38], v24 offset1:1
	ds_load_2addr_b64 v[41:44], v41 offset1:1
	s_waitcnt lgkmcnt(3)
	v_fma_f64 v[24:25], -v[7:8], v[29:30], v[25:26]
	v_fma_f64 v[29:30], -v[11:12], v[39:40], v[13:14]
	;; [unrolled: 1-line block ×3, first 2 shown]
	v_mov_b32_e32 v28, s24
	s_waitcnt lgkmcnt(2)
	v_fma_f64 v[21:22], -v[15:16], v[33:34], v[21:22]
	v_mul_f64 v[13:14], v[17:18], v[45:46]
	s_waitcnt lgkmcnt(0)
	v_fma_f64 v[17:18], -v[11:12], v[43:44], v[24:25]
	v_fma_f64 v[32:33], -v[15:16], v[31:32], v[29:30]
	v_mov_b32_e32 v24, s23
	s_add_i32 s23, s20, s12
	v_fma_f64 v[9:10], -v[11:12], v[41:42], v[9:10]
	s_lshl_b32 s23, s23, 3
	s_delay_alu instid0(SALU_CYCLE_1) | instskip(SKIP_2) | instid1(SALU_CYCLE_1)
	v_dual_mov_b32 v34, s22 :: v_dual_mov_b32 v47, s23
	s_add_i32 s22, s9, 0xfffffd58
	s_add_i32 s23, s15, s19
	s_lshl_b32 s23, s23, 3
	v_fma_f64 v[21:22], -v[13:14], v[37:38], v[21:22]
	ds_load_2addr_b64 v[24:27], v24 offset1:1
	ds_load_2addr_b64 v[28:31], v28 offset1:1
	;; [unrolled: 1-line block ×3, first 2 shown]
	v_mov_b32_e32 v34, s22
	s_add_i32 s22, s15, s14
	s_delay_alu instid0(SALU_CYCLE_1) | instskip(NEXT) | instid1(SALU_CYCLE_1)
	s_lshl_b32 s22, s22, 3
	v_mov_b32_e32 v43, s22
	ds_load_b64 v[53:54], v34
	ds_load_2addr_b64 v[43:46], v43 offset1:1
	ds_load_2addr_b64 v[47:50], v47 offset1:1
	s_add_i32 s22, s4, -11
	s_add_i32 s4, s4, -12
	s_add_i32 s24, s22, s8
	s_delay_alu instid0(SALU_CYCLE_1)
	s_lshl_b32 s24, s24, 3
	s_waitcnt lgkmcnt(5)
	v_fma_f64 v[19:20], -v[7:8], v[26:27], v[19:20]
	s_waitcnt lgkmcnt(4)
	v_fma_f64 v[17:18], -v[15:16], v[30:31], v[17:18]
	v_fma_f64 v[26:27], -v[13:14], v[35:36], v[32:33]
	;; [unrolled: 1-line block ×4, first 2 shown]
	s_waitcnt lgkmcnt(3)
	v_mul_f64 v[40:41], v[21:22], v[39:40]
	s_waitcnt lgkmcnt(0)
	v_fma_f64 v[21:22], -v[11:12], v[49:50], v[19:20]
	v_fma_f64 v[45:46], -v[13:14], v[45:46], v[17:18]
	v_mov_b32_e32 v17, s24
	s_add_i32 s24, s20, s14
	v_fma_f64 v[5:6], -v[11:12], v[47:48], v[5:6]
	s_lshl_b32 s24, s24, 3
	v_fma_f64 v[9:10], -v[13:14], v[43:44], v[9:10]
	v_mov_b32_e32 v36, s24
	s_add_i32 s24, s20, s19
	s_delay_alu instid0(SALU_CYCLE_1) | instskip(SKIP_2) | instid1(SALU_CYCLE_1)
	s_lshl_b32 s24, s24, 3
	v_mov_b32_e32 v28, s23
	s_add_i32 s23, s15, s21
	s_lshl_b32 s23, s23, 3
	s_delay_alu instid0(SALU_CYCLE_1) | instskip(SKIP_1) | instid1(SALU_CYCLE_1)
	v_mov_b32_e32 v32, s23
	s_add_i32 s23, s22, s13
	s_lshl_b32 s23, s23, 3
	v_fma_f64 v[55:56], -v[40:41], v[37:38], v[26:27]
	v_mov_b32_e32 v24, s25
	ds_load_2addr_b64 v[17:20], v17 offset1:1
	ds_load_2addr_b64 v[24:27], v24 offset1:1
	;; [unrolled: 1-line block ×3, first 2 shown]
	s_add_i32 s25, s22, s12
	s_delay_alu instid0(SALU_CYCLE_1) | instskip(NEXT) | instid1(SALU_CYCLE_1)
	s_lshl_b32 s25, s25, 3
	v_mov_b32_e32 v42, s25
	ds_load_2addr_b64 v[32:35], v32 offset1:1
	ds_load_2addr_b64 v[36:39], v36 offset1:1
	;; [unrolled: 1-line block ×3, first 2 shown]
	s_waitcnt lgkmcnt(5)
	v_fma_f64 v[3:4], -v[7:8], v[19:20], v[3:4]
	s_waitcnt lgkmcnt(4)
	v_fma_f64 v[19:20], -v[15:16], v[26:27], v[21:22]
	;; [unrolled: 2-line block ×3, first 2 shown]
	v_fma_f64 v[5:6], -v[15:16], v[24:25], v[5:6]
	v_fma_f64 v[9:10], -v[40:41], v[28:29], v[9:10]
	v_mul_f64 v[42:43], v[55:56], v[53:54]
	s_waitcnt lgkmcnt(0)
	v_fma_f64 v[44:45], -v[11:12], v[51:52], v[3:4]
	v_fma_f64 v[38:39], -v[13:14], v[38:39], v[19:20]
	;; [unrolled: 1-line block ×3, first 2 shown]
	s_delay_alu instid0(VALU_DEP_4) | instskip(SKIP_3) | instid1(SALU_CYCLE_1)
	v_fma_f64 v[21:22], -v[42:43], v[34:35], v[21:22]
	v_fma_f64 v[34:35], -v[7:8], v[17:18], v[1:2]
	v_mov_b32_e32 v1, s23
	s_add_i32 s23, s9, 0xfffffcd0
	v_dual_mov_b32 v17, s24 :: v_dual_mov_b32 v24, s23
	ds_load_2addr_b64 v[1:4], v1 offset1:1
	ds_load_2addr_b64 v[17:20], v17 offset1:1
	ds_load_b64 v[46:47], v24
	v_fma_f64 v[9:10], -v[42:43], v[32:33], v[9:10]
	s_add_i32 s23, s20, s21
	s_add_i32 s24, s22, s14
	s_lshl_b32 s23, s23, 3
	s_lshl_b32 s24, s24, 3
	v_mov_b32_e32 v24, s23
	s_add_i32 s23, s8, 0xffffffa0
	v_mov_b32_e32 v28, s24
	s_add_i32 s24, s15, s23
	ds_load_2addr_b64 v[24:27], v24 offset1:1
	ds_load_2addr_b64 v[28:31], v28 offset1:1
	s_lshl_b32 s24, s24, 3
	s_add_i32 s25, s20, s23
	v_mov_b32_e32 v32, s24
	s_add_i32 s24, s22, s19
	s_lshl_b32 s25, s25, 3
	s_waitcnt lgkmcnt(4)
	v_fma_f64 v[3:4], -v[15:16], v[3:4], v[44:45]
	s_waitcnt lgkmcnt(3)
	v_fma_f64 v[19:20], -v[40:41], v[19:20], v[38:39]
	ds_load_b64 v[32:33], v32
	v_fma_f64 v[5:6], -v[40:41], v[17:18], v[5:6]
	s_lshl_b32 s24, s24, 3
	v_mov_b32_e32 v17, s25
	s_lshl_b32 s15, s15, 4
	s_add_i32 s25, s22, s21
	s_delay_alu instid0(SALU_CYCLE_1)
	s_lshl_b32 s25, s25, 3
	s_waitcnt lgkmcnt(3)
	v_mul_f64 v[38:39], v[21:22], v[46:47]
	v_fma_f64 v[21:22], -v[11:12], v[49:50], v[34:35]
	v_mov_b32_e32 v34, s25
	s_add_i32 s25, s9, 0xfffffbc0
	s_waitcnt lgkmcnt(1)
	v_fma_f64 v[44:45], -v[13:14], v[30:31], v[3:4]
	v_fma_f64 v[26:27], -v[42:43], v[26:27], v[19:20]
	;; [unrolled: 1-line block ×3, first 2 shown]
	s_waitcnt lgkmcnt(0)
	v_fma_f64 v[9:10], -v[38:39], v[32:33], v[9:10]
	v_fma_f64 v[21:22], -v[15:16], v[1:2], v[21:22]
	v_mov_b32_e32 v1, s24
	s_add_i32 s24, s9, 0xfffffc48
	s_addk_i32 s9, 0xfa28
	v_mov_b32_e32 v30, s24
	ds_load_2addr_b64 v[1:4], v1 offset1:1
	ds_load_2addr_b64 v[17:20], v17 offset1:1
	ds_load_b64 v[46:47], v30
	s_add_i32 s24, s20, s15
	s_delay_alu instid0(SALU_CYCLE_1) | instskip(NEXT) | instid1(SALU_CYCLE_1)
	s_lshl_b32 s24, s24, 3
	v_mov_b32_e32 v30, s24
	ds_load_2addr_b64 v[30:33], v30 offset1:1
	ds_load_2addr_b64 v[34:37], v34 offset1:1
	s_add_i32 s24, s22, s23
	s_delay_alu instid0(SALU_CYCLE_1)
	s_lshl_b32 s24, s24, 3
	s_waitcnt lgkmcnt(4)
	v_fma_f64 v[3:4], -v[40:41], v[3:4], v[44:45]
	s_waitcnt lgkmcnt(3)
	v_fma_f64 v[19:20], -v[38:39], v[19:20], v[26:27]
	v_fma_f64 v[5:6], -v[38:39], v[17:18], v[5:6]
	v_mov_b32_e32 v17, s25
	s_waitcnt lgkmcnt(2)
	v_mul_f64 v[9:10], v[9:10], v[46:47]
	v_fma_f64 v[21:22], -v[13:14], v[28:29], v[21:22]
	s_waitcnt lgkmcnt(0)
	v_fma_f64 v[24:25], -v[42:43], v[36:37], v[3:4]
	s_delay_alu instid0(VALU_DEP_3) | instskip(NEXT) | instid1(VALU_DEP_3)
	v_fma_f64 v[26:27], -v[9:10], v[32:33], v[19:20]
	v_fma_f64 v[21:22], -v[40:41], v[1:2], v[21:22]
	v_mov_b32_e32 v1, s24
	v_fma_f64 v[5:6], -v[9:10], v[30:31], v[5:6]
	ds_load_2addr_b64 v[1:4], v1 offset1:1
	ds_load_b64 v[28:29], v17
	s_add_i32 s24, s22, s15
	s_delay_alu instid0(SALU_CYCLE_1) | instskip(NEXT) | instid1(SALU_CYCLE_1)
	s_lshl_b32 s24, s24, 3
	v_mov_b32_e32 v17, s24
	s_add_i32 s24, s8, 0xffffff80
	s_addk_i32 s8, 0xff60
	s_add_i32 s25, s20, s24
	s_lshl_b32 s20, s20, 4
	s_lshl_b32 s25, s25, 3
	ds_load_2addr_b64 v[17:20], v17 offset1:1
	s_waitcnt lgkmcnt(2)
	v_fma_f64 v[3:4], -v[38:39], v[3:4], v[24:25]
	s_waitcnt lgkmcnt(1)
	v_mul_f64 v[24:25], v[26:27], v[28:29]
	v_fma_f64 v[21:22], -v[42:43], v[34:35], v[21:22]
	v_mov_b32_e32 v26, s25
	s_add_i32 s25, s22, s24
	s_delay_alu instid0(SALU_CYCLE_1)
	s_lshl_b32 s25, s25, 3
	ds_load_b64 v[26:27], v26
	s_waitcnt lgkmcnt(1)
	v_fma_f64 v[28:29], -v[9:10], v[19:20], v[3:4]
	v_mov_b32_e32 v19, s26
	s_waitcnt lgkmcnt(0)
	v_fma_f64 v[5:6], -v[24:25], v[26:27], v[5:6]
	v_fma_f64 v[26:27], -v[38:39], v[1:2], v[21:22]
	v_mov_b32_e32 v1, s25
	s_add_i32 s25, s22, s20
	ds_load_2addr_b64 v[1:4], v1 offset1:1
	ds_load_b64 v[30:31], v19
	s_lshl_b32 s25, s25, 3
	ds_store_b64 v23, v[7:8]
	v_mov_b32_e32 v19, s25
	s_add_i32 s25, s22, s8
	s_delay_alu instid0(SALU_CYCLE_1)
	s_lshl_b32 s25, s25, 3
	ds_load_2addr_b64 v[19:22], v19 offset1:1
	s_waitcnt lgkmcnt(3)
	v_fma_f64 v[3:4], -v[24:25], v[3:4], v[28:29]
	s_waitcnt lgkmcnt(2)
	v_mul_f64 v[5:6], v[5:6], v[30:31]
	v_fma_f64 v[17:18], -v[9:10], v[17:18], v[26:27]
	v_mov_b32_e32 v26, s9
	ds_load_b64 v[26:27], v26
	s_waitcnt lgkmcnt(1)
	v_fma_f64 v[21:22], -v[5:6], v[21:22], v[3:4]
	v_fma_f64 v[17:18], -v[24:25], v[1:2], v[17:18]
	v_mov_b32_e32 v1, s25
	ds_load_2addr_b64 v[1:4], v1 offset1:1
	s_waitcnt lgkmcnt(0)
	v_mul_f64 v[3:4], v[21:22], v[3:4]
	v_fma_f64 v[17:18], -v[5:6], v[19:20], v[17:18]
	v_or_b32_e32 v19, s14, v0
	v_or_b32_e32 v20, s19, v0
	s_delay_alu instid0(VALU_DEP_3) | instskip(SKIP_2) | instid1(VALU_DEP_2)
	v_fma_f64 v[1:2], -v[3:4], v[1:2], v[17:18]
	v_or_b32_e32 v17, s12, v0
	v_or_b32_e32 v18, s13, v0
	v_lshlrev_b32_e32 v7, 3, v17
	s_delay_alu instid0(VALU_DEP_2)
	v_lshlrev_b32_e32 v8, 3, v18
	v_lshlrev_b32_e32 v17, 3, v19
	;; [unrolled: 1-line block ×3, first 2 shown]
	v_or_b32_e32 v19, s21, v0
	ds_store_b64 v7, v[11:12] offset:2048
	ds_store_b64 v8, v[15:16] offset:2048
	;; [unrolled: 1-line block ×4, first 2 shown]
	v_or_b32_e32 v13, s20, v0
	v_or_b32_e32 v20, s23, v0
	;; [unrolled: 1-line block ×4, first 2 shown]
	v_lshlrev_b32_e32 v15, 3, v0
	v_or_b32_e32 v12, s24, v0
	v_lshlrev_b32_e32 v7, 3, v19
	v_lshlrev_b32_e32 v13, 3, v13
	;; [unrolled: 1-line block ×5, first 2 shown]
	v_lshl_or_b32 v15, s22, 7, v15
	v_lshlrev_b32_e32 v12, 3, v12
	ds_store_b64 v7, v[42:43] offset:2048
	ds_store_b64 v8, v[38:39] offset:2048
	;; [unrolled: 1-line block ×4, first 2 shown]
	v_mul_f64 v[1:2], v[1:2], v[26:27]
	ds_store_b64 v13, v[5:6] offset:2048
	ds_store_b64 v14, v[3:4] offset:2048
	;; [unrolled: 1-line block ×3, first 2 shown]
.LBB82_51:
	s_cmp_lt_i32 s4, 0
	s_cbranch_scc1 .LBB82_64
; %bb.52:
	s_bitcmp1_b32 s4, 0
	s_cselect_b32 s8, -1, 0
	s_delay_alu instid0(SALU_CYCLE_1)
	s_and_b32 vcc_lo, exec_lo, s8
	s_mov_b32 s8, s4
	s_cbranch_vccnz .LBB82_57
; %bb.53:
	v_lshlrev_b32_e32 v1, 3, v0
	s_cmp_le_i32 s29, s4
	s_delay_alu instid0(VALU_DEP_1)
	v_lshl_or_b32 v3, s4, 7, v1
	ds_load_b64 v[1:2], v3 offset:2048
	s_cbranch_scc1 .LBB82_56
; %bb.54:
	s_lshl_b32 s8, s28, 7
	s_lshl_b32 s9, s4, 3
	v_lshl_or_b32 v4, v0, 3, s8
	s_add_i32 s8, s8, s9
	s_mov_b32 s9, s29
	s_addk_i32 s8, 0xff80
	s_delay_alu instid0(VALU_DEP_1)
	v_add_nc_u32_e32 v4, 0x780, v4
.LBB82_55:                              ; =>This Inner Loop Header: Depth=1
	v_mov_b32_e32 v7, s8
	s_add_i32 s9, s9, -1
	s_addk_i32 s8, 0xff80
	s_cmp_gt_i32 s9, s4
	ds_load_b64 v[5:6], v4
	ds_load_b64 v[7:8], v7
	v_add_nc_u32_e32 v4, 0xffffff80, v4
	s_waitcnt lgkmcnt(0)
	v_fma_f64 v[1:2], -v[5:6], v[7:8], v[1:2]
	s_cbranch_scc1 .LBB82_55
.LBB82_56:
	s_mul_i32 s8, s4, 0x88
	s_delay_alu instid0(SALU_CYCLE_1)
	v_dual_mov_b32 v4, s8 :: v_dual_add_nc_u32 v3, 0x800, v3
	s_add_i32 s8, s4, -1
	ds_load_b64 v[4:5], v4
	s_waitcnt lgkmcnt(0)
	v_mul_f64 v[1:2], v[1:2], v[4:5]
	ds_store_b64 v3, v[1:2]
.LBB82_57:
	s_cmp_eq_u32 s4, 0
	s_cbranch_scc1 .LBB82_64
; %bb.58:
	s_lshl_b32 s4, s28, 7
	s_lshl_b32 s9, s8, 3
	v_lshl_or_b32 v1, v0, 3, s4
	v_lshlrev_b32_e32 v6, 3, v0
	s_add_i32 s9, s4, s9
	s_delay_alu instid0(SALU_CYCLE_1) | instskip(NEXT) | instid1(VALU_DEP_2)
	s_add_i32 s4, s9, 0xffffff80
	v_add_nc_u32_e32 v5, 0x780, v1
	s_addk_i32 s9, 0xff78
	s_branch .LBB82_60
.LBB82_59:                              ;   in Loop: Header=BB82_60 Depth=1
	s_addk_i32 s12, 0xff78
	s_delay_alu instid0(SALU_CYCLE_1)
	v_dual_mov_b32 v2, s12 :: v_dual_add_nc_u32 v1, 0x800, v7
	s_add_i32 s12, s8, -2
	s_add_i32 s4, s4, -16
	;; [unrolled: 1-line block ×3, first 2 shown]
	s_cmp_lt_i32 s8, 2
	ds_load_b64 v[7:8], v2
	s_mov_b32 s8, s12
	s_waitcnt lgkmcnt(0)
	v_mul_f64 v[2:3], v[3:4], v[7:8]
	ds_store_b64 v1, v[2:3]
	s_cbranch_scc1 .LBB82_64
.LBB82_60:                              ; =>This Loop Header: Depth=1
                                        ;     Child Loop BB82_61 Depth 2
                                        ;     Child Loop BB82_63 Depth 2
	v_lshl_or_b32 v3, s8, 7, v6
	s_delay_alu instid0(VALU_DEP_2)
	v_mov_b32_e32 v4, v5
	s_cmp_le_i32 s29, s8
	s_mov_b32 s12, s4
	s_mov_b32 s13, s29
	ds_load_b64 v[1:2], v3 offset:2048
	s_cbranch_scc1 .LBB82_62
.LBB82_61:                              ;   Parent Loop BB82_60 Depth=1
                                        ; =>  This Inner Loop Header: Depth=2
	v_mov_b32_e32 v9, s12
	s_add_i32 s13, s13, -1
	s_addk_i32 s12, 0xff80
	s_cmp_gt_i32 s13, s8
	ds_load_b64 v[7:8], v4
	ds_load_b64 v[9:10], v9
	v_add_nc_u32_e32 v4, 0xffffff80, v4
	s_waitcnt lgkmcnt(0)
	v_fma_f64 v[1:2], -v[7:8], v[9:10], v[1:2]
	s_cbranch_scc1 .LBB82_61
.LBB82_62:                              ;   in Loop: Header=BB82_60 Depth=1
	s_mul_i32 s12, s8, 0x88
	s_delay_alu instid0(SALU_CYCLE_1)
	v_dual_mov_b32 v3, s12 :: v_dual_add_nc_u32 v8, 0x800, v3
	s_lshl_b32 s13, s8, 7
	s_mov_b32 s14, s28
	s_addk_i32 s13, 0xff80
	s_cmp_lt_i32 s29, s8
	ds_load_b64 v[9:10], v3
	v_lshl_or_b32 v7, v0, 3, s13
	s_mov_b32 s13, s9
	ds_load_b64 v[3:4], v7 offset:2048
	s_waitcnt lgkmcnt(1)
	v_mul_f64 v[9:10], v[1:2], v[9:10]
	v_mov_b32_e32 v1, v5
	ds_store_b64 v8, v[9:10]
	s_cbranch_scc1 .LBB82_59
.LBB82_63:                              ;   Parent Loop BB82_60 Depth=1
                                        ; =>  This Inner Loop Header: Depth=2
	v_mov_b32_e32 v2, s13
	s_add_i32 s14, s14, -1
	s_addk_i32 s13, 0xff80
	s_cmp_gt_i32 s14, s8
	ds_load_b64 v[8:9], v1
	ds_load_b64 v[10:11], v2
	v_add_nc_u32_e32 v1, 0xffffff80, v1
	s_waitcnt lgkmcnt(0)
	v_fma_f64 v[3:4], -v[8:9], v[10:11], v[3:4]
	s_cbranch_scc1 .LBB82_63
	s_branch .LBB82_59
.LBB82_64:
	s_waitcnt vmcnt(0) lgkmcnt(0)
	s_waitcnt_vscnt null, 0x0
	; wave barrier
	s_waitcnt lgkmcnt(0)
	buffer_gl0_inv
	s_and_saveexec_b32 s4, s18
	s_cbranch_execz .LBB82_71
; %bb.65:
	s_cmp_lt_i32 s6, 8
	s_mov_b32 s4, 0
	s_cbranch_scc1 .LBB82_68
; %bb.66:
	v_mad_i64_i32 v[1:2], null, s16, v0, 0
	v_lshl_or_b32 v3, v0, 3, 0x800
	s_lshl_b32 s4, s28, 3
	s_delay_alu instid0(VALU_DEP_2) | instskip(NEXT) | instid1(VALU_DEP_1)
	v_lshlrev_b64 v[1:2], 3, v[1:2]
	v_add_co_u32 v1, vcc_lo, s5, v1
	s_delay_alu instid0(VALU_DEP_2)
	v_add_co_ci_u32_e32 v2, vcc_lo, s7, v2, vcc_lo
	s_and_b32 s5, s4, 0xc0
	s_mov_b32 s4, 0
	s_mov_b64 s[6:7], 0
	.p2align	6
.LBB82_67:                              ; =>This Inner Loop Header: Depth=1
	ds_load_2addr_b64 v[4:7], v3 offset1:16
	ds_load_2addr_b64 v[8:11], v3 offset0:32 offset1:48
	ds_load_2addr_b64 v[12:15], v3 offset0:64 offset1:80
	;; [unrolled: 1-line block ×3, first 2 shown]
	v_add_co_u32 v20, vcc_lo, v1, s6
	v_add_co_ci_u32_e32 v21, vcc_lo, s7, v2, vcc_lo
	s_add_i32 s4, s4, 8
	v_add_nc_u32_e32 v3, 0x400, v3
	s_add_u32 s6, s6, 64
	s_addc_u32 s7, s7, 0
	s_cmp_lg_u32 s5, s6
	s_waitcnt lgkmcnt(3)
	global_store_b128 v[20:21], v[4:7], off
	s_waitcnt lgkmcnt(2)
	global_store_b128 v[20:21], v[8:11], off offset:16
	s_waitcnt lgkmcnt(1)
	global_store_b128 v[20:21], v[12:15], off offset:32
	;; [unrolled: 2-line block ×3, first 2 shown]
	s_cbranch_scc1 .LBB82_67
.LBB82_68:
	s_and_b32 s6, s28, 7
	s_mov_b32 s5, 0
	s_cmp_eq_u32 s6, 0
	s_cbranch_scc1 .LBB82_71
; %bb.69:
	v_lshlrev_b32_e32 v2, 3, v0
	s_lshl_b64 s[8:9], s[10:11], 3
	s_lshl_b64 s[10:11], s[4:5], 3
	s_delay_alu instid0(SALU_CYCLE_1) | instskip(NEXT) | instid1(VALU_DEP_1)
	s_add_u32 s2, s2, s10
	v_add_co_u32 v3, s5, s8, v2
	s_delay_alu instid0(VALU_DEP_1) | instskip(SKIP_3) | instid1(VALU_DEP_1)
	v_add_co_ci_u32_e64 v4, null, s9, 0, s5
	s_addc_u32 s3, s3, s11
	s_add_u32 s0, s2, s0
	s_addc_u32 s1, s3, s1
	v_mul_lo_u32 v4, v4, s16
	v_mad_u64_u32 v[0:1], null, v3, s16, s[0:1]
	v_mul_lo_u32 v3, v3, s17
	v_lshl_or_b32 v2, s4, 7, v2
	s_delay_alu instid0(VALU_DEP_1) | instskip(NEXT) | instid1(VALU_DEP_3)
	v_add_nc_u32_e32 v2, 0x800, v2
	v_add3_u32 v1, v4, v1, v3
.LBB82_70:                              ; =>This Inner Loop Header: Depth=1
	ds_load_b64 v[3:4], v2
	v_add_nc_u32_e32 v2, 0x80, v2
	s_add_i32 s6, s6, -1
	s_delay_alu instid0(SALU_CYCLE_1)
	s_cmp_lg_u32 s6, 0
	s_waitcnt lgkmcnt(0)
	global_store_b64 v[0:1], v[3:4], off
	v_add_co_u32 v0, vcc_lo, v0, 8
	v_add_co_ci_u32_e32 v1, vcc_lo, 0, v1, vcc_lo
	s_cbranch_scc1 .LBB82_70
.LBB82_71:
	s_nop 0
	s_sendmsg sendmsg(MSG_DEALLOC_VGPRS)
	s_endpgm
	.section	.rodata,"a",@progbits
	.p2align	6, 0x0
	.amdhsa_kernel _ZL38rocblas_trsm_small_left_device_sharedBILi16ELi16ELb0EddPKPKdPKPdEv13rocblas_fill_18rocblas_operation_17rocblas_diagonal_iiT3_T4_lilT5_lili
		.amdhsa_group_segment_fixed_size 4096
		.amdhsa_private_segment_fixed_size 0
		.amdhsa_kernarg_size 360
		.amdhsa_user_sgpr_count 14
		.amdhsa_user_sgpr_dispatch_ptr 0
		.amdhsa_user_sgpr_queue_ptr 0
		.amdhsa_user_sgpr_kernarg_segment_ptr 1
		.amdhsa_user_sgpr_dispatch_id 0
		.amdhsa_user_sgpr_private_segment_size 0
		.amdhsa_wavefront_size32 1
		.amdhsa_uses_dynamic_stack 0
		.amdhsa_enable_private_segment 0
		.amdhsa_system_sgpr_workgroup_id_x 1
		.amdhsa_system_sgpr_workgroup_id_y 0
		.amdhsa_system_sgpr_workgroup_id_z 1
		.amdhsa_system_sgpr_workgroup_info 0
		.amdhsa_system_vgpr_workitem_id 0
		.amdhsa_next_free_vgpr 81
		.amdhsa_next_free_sgpr 38
		.amdhsa_reserve_vcc 1
		.amdhsa_float_round_mode_32 0
		.amdhsa_float_round_mode_16_64 0
		.amdhsa_float_denorm_mode_32 3
		.amdhsa_float_denorm_mode_16_64 3
		.amdhsa_dx10_clamp 1
		.amdhsa_ieee_mode 1
		.amdhsa_fp16_overflow 0
		.amdhsa_workgroup_processor_mode 1
		.amdhsa_memory_ordered 1
		.amdhsa_forward_progress 0
		.amdhsa_shared_vgpr_count 0
		.amdhsa_exception_fp_ieee_invalid_op 0
		.amdhsa_exception_fp_denorm_src 0
		.amdhsa_exception_fp_ieee_div_zero 0
		.amdhsa_exception_fp_ieee_overflow 0
		.amdhsa_exception_fp_ieee_underflow 0
		.amdhsa_exception_fp_ieee_inexact 0
		.amdhsa_exception_int_div_zero 0
	.end_amdhsa_kernel
	.section	.text._ZL38rocblas_trsm_small_left_device_sharedBILi16ELi16ELb0EddPKPKdPKPdEv13rocblas_fill_18rocblas_operation_17rocblas_diagonal_iiT3_T4_lilT5_lili,"axG",@progbits,_ZL38rocblas_trsm_small_left_device_sharedBILi16ELi16ELb0EddPKPKdPKPdEv13rocblas_fill_18rocblas_operation_17rocblas_diagonal_iiT3_T4_lilT5_lili,comdat
.Lfunc_end82:
	.size	_ZL38rocblas_trsm_small_left_device_sharedBILi16ELi16ELb0EddPKPKdPKPdEv13rocblas_fill_18rocblas_operation_17rocblas_diagonal_iiT3_T4_lilT5_lili, .Lfunc_end82-_ZL38rocblas_trsm_small_left_device_sharedBILi16ELi16ELb0EddPKPKdPKPdEv13rocblas_fill_18rocblas_operation_17rocblas_diagonal_iiT3_T4_lilT5_lili
                                        ; -- End function
	.section	.AMDGPU.csdata,"",@progbits
; Kernel info:
; codeLenInByte = 13048
; NumSgprs: 40
; NumVgprs: 81
; ScratchSize: 0
; MemoryBound: 0
; FloatMode: 240
; IeeeMode: 1
; LDSByteSize: 4096 bytes/workgroup (compile time only)
; SGPRBlocks: 4
; VGPRBlocks: 10
; NumSGPRsForWavesPerEU: 40
; NumVGPRsForWavesPerEU: 81
; Occupancy: 8
; WaveLimiterHint : 1
; COMPUTE_PGM_RSRC2:SCRATCH_EN: 0
; COMPUTE_PGM_RSRC2:USER_SGPR: 14
; COMPUTE_PGM_RSRC2:TRAP_HANDLER: 0
; COMPUTE_PGM_RSRC2:TGID_X_EN: 1
; COMPUTE_PGM_RSRC2:TGID_Y_EN: 0
; COMPUTE_PGM_RSRC2:TGID_Z_EN: 1
; COMPUTE_PGM_RSRC2:TIDIG_COMP_CNT: 0
	.section	.text._ZL30rocblas_trsm_small_left_deviceILi16ELi16ELb0EddPKPKdPKPdEv13rocblas_fill_18rocblas_operation_17rocblas_diagonal_iiT3_T4_lilT5_lili,"axG",@progbits,_ZL30rocblas_trsm_small_left_deviceILi16ELi16ELb0EddPKPKdPKPdEv13rocblas_fill_18rocblas_operation_17rocblas_diagonal_iiT3_T4_lilT5_lili,comdat
	.globl	_ZL30rocblas_trsm_small_left_deviceILi16ELi16ELb0EddPKPKdPKPdEv13rocblas_fill_18rocblas_operation_17rocblas_diagonal_iiT3_T4_lilT5_lili ; -- Begin function _ZL30rocblas_trsm_small_left_deviceILi16ELi16ELb0EddPKPKdPKPdEv13rocblas_fill_18rocblas_operation_17rocblas_diagonal_iiT3_T4_lilT5_lili
	.p2align	8
	.type	_ZL30rocblas_trsm_small_left_deviceILi16ELi16ELb0EddPKPKdPKPdEv13rocblas_fill_18rocblas_operation_17rocblas_diagonal_iiT3_T4_lilT5_lili,@function
_ZL30rocblas_trsm_small_left_deviceILi16ELi16ELb0EddPKPKdPKPdEv13rocblas_fill_18rocblas_operation_17rocblas_diagonal_iiT3_T4_lilT5_lili: ; @_ZL30rocblas_trsm_small_left_deviceILi16ELi16ELb0EddPKPKdPKPdEv13rocblas_fill_18rocblas_operation_17rocblas_diagonal_iiT3_T4_lilT5_lili
; %bb.0:
	s_load_b128 s[16:19], s[0:1], 0x40
	s_mov_b32 s2, s15
	s_mov_b32 s3, 0
	s_clause 0x1
	s_load_b128 s[8:11], s[0:1], 0x4
	s_load_b64 s[20:21], s[0:1], 0x28
	s_lshl_b64 s[24:25], s[2:3], 3
	s_waitcnt lgkmcnt(0)
	s_add_u32 s12, s16, s24
	s_addc_u32 s13, s17, s25
	s_load_b128 s[4:7], s[0:1], 0x18
	s_load_b64 s[16:17], s[12:13], 0x0
	s_min_i32 s2, s10, 16
	s_mov_b32 s13, exec_lo
	s_add_i32 s12, s2, -1
	v_cmpx_gt_i32_e64 s2, v0
	s_cbranch_execz .LBB83_10
; %bb.1:
	s_load_b32 s22, s[0:1], 0x30
	v_lshlrev_b32_e32 v3, 3, v0
	s_waitcnt lgkmcnt(0)
	s_ashr_i32 s23, s22, 31
	s_add_u32 s6, s6, s24
	s_addc_u32 s7, s7, s25
	s_cmp_lt_u32 s12, 3
	s_load_b64 s[6:7], s[6:7], 0x0
	s_cbranch_scc1 .LBB83_4
; %bb.2:
	s_lshl_b64 s[24:25], s[20:21], 3
	v_mov_b32_e32 v4, v3
	s_waitcnt lgkmcnt(0)
	s_add_u32 s3, s6, s24
	s_addc_u32 s15, s7, s25
	v_add_co_u32 v1, s3, s3, v3
	s_delay_alu instid0(VALU_DEP_1)
	v_add_co_ci_u32_e64 v2, null, s15, 0, s3
	s_and_b32 s3, s2, -4
	s_mul_hi_i32 s15, s22, 24
	s_mul_i32 s30, s22, 24
	s_lshl_b64 s[24:25], s[22:23], 5
	s_lshl_b64 s[26:27], s[22:23], 4
	;; [unrolled: 1-line block ×3, first 2 shown]
	s_mov_b32 s31, 0
	.p2align	6
.LBB83_3:                               ; =>This Inner Loop Header: Depth=1
	v_add_co_u32 v5, vcc_lo, v1, s28
	v_add_co_ci_u32_e32 v6, vcc_lo, s29, v2, vcc_lo
	v_add_co_u32 v7, vcc_lo, v1, s26
	v_add_co_ci_u32_e32 v8, vcc_lo, s27, v2, vcc_lo
	;; [unrolled: 2-line block ×3, first 2 shown]
	s_clause 0x3
	global_load_b64 v[11:12], v[1:2], off
	global_load_b64 v[5:6], v[5:6], off
	;; [unrolled: 1-line block ×4, first 2 shown]
	v_add_co_u32 v1, vcc_lo, v1, s24
	v_add_co_ci_u32_e32 v2, vcc_lo, s25, v2, vcc_lo
	s_add_i32 s31, s31, 4
	s_waitcnt vmcnt(2)
	ds_store_2addr_b64 v4, v[11:12], v[5:6] offset1:16
	s_waitcnt vmcnt(0)
	ds_store_2addr_b64 v4, v[7:8], v[9:10] offset0:32 offset1:48
	v_add_nc_u32_e32 v4, 0x200, v4
	s_cmp_eq_u32 s3, s31
	s_cbranch_scc0 .LBB83_3
.LBB83_4:
	s_and_b32 s15, s2, 3
	s_delay_alu instid0(SALU_CYCLE_1)
	s_cmp_eq_u32 s15, 0
	s_cbranch_scc1 .LBB83_7
; %bb.5:
	s_mul_i32 s25, s23, s3
	s_mul_hi_u32 s26, s22, s3
	s_mul_i32 s24, s22, s3
	s_add_i32 s25, s26, s25
	s_lshl_b64 s[20:21], s[20:21], 3
	s_lshl_b64 s[24:25], s[24:25], 3
	v_lshl_or_b32 v4, s3, 7, v3
	s_add_u32 s3, s24, s20
	s_addc_u32 s20, s25, s21
	s_waitcnt lgkmcnt(0)
	s_add_u32 s3, s6, s3
	s_addc_u32 s6, s7, s20
	v_add_co_u32 v1, s3, s3, v3
	s_delay_alu instid0(VALU_DEP_1)
	v_add_co_ci_u32_e64 v2, null, s6, 0, s3
	s_lshl_b64 s[6:7], s[22:23], 3
.LBB83_6:                               ; =>This Inner Loop Header: Depth=1
	global_load_b64 v[5:6], v[1:2], off
	v_add_co_u32 v1, vcc_lo, v1, s6
	v_add_co_ci_u32_e32 v2, vcc_lo, s7, v2, vcc_lo
	s_add_i32 s15, s15, -1
	s_delay_alu instid0(SALU_CYCLE_1)
	s_cmp_lg_u32 s15, 0
	s_waitcnt vmcnt(0)
	ds_store_b64 v4, v[5:6]
	v_add_nc_u32_e32 v4, 0x80, v4
	s_cbranch_scc1 .LBB83_6
.LBB83_7:
	v_mul_u32_u24_e32 v3, 17, v0
	v_mov_b32_e32 v1, 0
	v_mov_b32_e32 v2, 0x3ff00000
	s_cmpk_lg_i32 s9, 0x84
	s_delay_alu instid0(VALU_DEP_3)
	v_lshlrev_b32_e32 v3, 3, v3
	s_cbranch_scc0 .LBB83_9
; %bb.8:
	ds_load_b64 v[1:2], v3
	s_waitcnt lgkmcnt(0)
	v_div_scale_f64 v[4:5], null, v[1:2], v[1:2], 1.0
	s_delay_alu instid0(VALU_DEP_1) | instskip(SKIP_2) | instid1(VALU_DEP_1)
	v_rcp_f64_e32 v[6:7], v[4:5]
	s_waitcnt_depctr 0xfff
	v_fma_f64 v[8:9], -v[4:5], v[6:7], 1.0
	v_fma_f64 v[6:7], v[6:7], v[8:9], v[6:7]
	s_delay_alu instid0(VALU_DEP_1) | instskip(NEXT) | instid1(VALU_DEP_1)
	v_fma_f64 v[8:9], -v[4:5], v[6:7], 1.0
	v_fma_f64 v[6:7], v[6:7], v[8:9], v[6:7]
	v_div_scale_f64 v[8:9], vcc_lo, 1.0, v[1:2], 1.0
	s_delay_alu instid0(VALU_DEP_1) | instskip(NEXT) | instid1(VALU_DEP_1)
	v_mul_f64 v[10:11], v[8:9], v[6:7]
	v_fma_f64 v[4:5], -v[4:5], v[10:11], v[8:9]
	s_delay_alu instid0(VALU_DEP_1) | instskip(NEXT) | instid1(VALU_DEP_1)
	v_div_fmas_f64 v[4:5], v[4:5], v[6:7], v[10:11]
	v_div_fixup_f64 v[1:2], v[4:5], v[1:2], 1.0
.LBB83_9:
	ds_store_b64 v3, v[1:2]
.LBB83_10:
	s_or_b32 exec_lo, exec_lo, s13
	s_load_b32 s3, s[0:1], 0x68
	s_waitcnt lgkmcnt(0)
	s_lshl_b32 s6, s14, 4
	s_delay_alu instid0(SALU_CYCLE_1) | instskip(SKIP_2) | instid1(SALU_CYCLE_1)
	s_sub_i32 s7, s11, s6
	; wave barrier
	buffer_gl0_inv
	s_add_i32 s3, s3, -1
	s_cmp_ge_u32 s14, s3
	s_cselect_b32 s3, s7, 16
	s_delay_alu instid0(SALU_CYCLE_1)
	v_cmp_gt_i32_e32 vcc_lo, s3, v0
	s_mov_b32 s3, -1
	s_and_saveexec_b32 s7, vcc_lo
	s_cbranch_execz .LBB83_61
; %bb.11:
	s_load_b32 s0, s[0:1], 0x50
	v_add_nc_u32_e32 v2, s6, v0
	s_waitcnt lgkmcnt(0)
	s_delay_alu instid0(VALU_DEP_1) | instskip(SKIP_1) | instid1(SALU_CYCLE_1)
	v_mad_i64_i32 v[0:1], null, s0, v2, 0
	s_lshl_b64 s[0:1], s[18:19], 3
	s_add_u32 s6, s16, s0
	s_addc_u32 s7, s17, s1
	s_cmpk_eq_i32 s8, 0x6f
	s_delay_alu instid0(VALU_DEP_1) | instskip(NEXT) | instid1(VALU_DEP_1)
	v_lshlrev_b64 v[22:23], 3, v[0:1]
	v_add_co_u32 v20, vcc_lo, s6, v22
	s_delay_alu instid0(VALU_DEP_2)
	v_add_co_ci_u32_e32 v21, vcc_lo, s7, v23, vcc_lo
	s_cbranch_scc1 .LBB83_39
; %bb.12:
	s_cmp_lt_i32 s10, 16
	s_mov_b32 s6, 16
	s_cselect_b32 s3, -1, 0
	s_cmp_gt_i32 s10, 15
	s_cbranch_scc0 .LBB83_14
; %bb.13:
	s_clause 0x3
	global_load_b128 v[0:3], v[20:21], off
	global_load_b128 v[4:7], v[20:21], off offset:16
	global_load_b128 v[8:11], v[20:21], off offset:32
	global_load_b128 v[25:28], v[20:21], off offset:48
	v_mov_b32_e32 v24, 0
	global_load_b128 v[29:32], v[20:21], off offset:64
	ds_load_2addr_b64 v[12:15], v24 offset1:34
	ds_load_b128 v[16:19], v24 offset:128
	ds_load_b128 v[33:36], v24 offset:256
	;; [unrolled: 1-line block ×4, first 2 shown]
	global_load_b128 v[41:44], v[20:21], off offset:80
	ds_load_b128 v[49:52], v24 offset:512
	ds_load_b128 v[53:56], v24 offset:528
	s_waitcnt vmcnt(5)
	v_mul_f64 v[0:1], v[0:1], s[4:5]
	s_waitcnt lgkmcnt(6)
	s_delay_alu instid0(VALU_DEP_1) | instskip(SKIP_1) | instid1(VALU_DEP_1)
	v_mul_f64 v[0:1], v[0:1], v[12:13]
	s_waitcnt lgkmcnt(5)
	v_mul_f64 v[12:13], v[0:1], v[16:17]
	s_waitcnt lgkmcnt(4)
	v_mul_f64 v[16:17], v[0:1], v[33:34]
	s_delay_alu instid0(VALU_DEP_2) | instskip(SKIP_3) | instid1(VALU_DEP_3)
	v_fma_f64 v[2:3], v[2:3], s[4:5], -v[12:13]
	s_waitcnt lgkmcnt(3)
	v_mul_f64 v[12:13], v[0:1], v[37:38]
	s_waitcnt vmcnt(4)
	v_fma_f64 v[4:5], v[4:5], s[4:5], -v[16:17]
	s_waitcnt lgkmcnt(1)
	v_mul_f64 v[37:38], v[0:1], v[49:50]
	s_delay_alu instid0(VALU_DEP_4) | instskip(NEXT) | instid1(VALU_DEP_4)
	v_mul_f64 v[2:3], v[2:3], v[18:19]
	v_fma_f64 v[12:13], v[6:7], s[4:5], -v[12:13]
	global_load_b128 v[16:19], v[20:21], off offset:96
	s_waitcnt vmcnt(4)
	v_fma_f64 v[8:9], v[8:9], s[4:5], -v[37:38]
	v_fma_f64 v[49:50], -v[2:3], v[35:36], v[4:5]
	ds_load_b128 v[4:7], v24 offset:640
	ds_load_b128 v[33:36], v24 offset:656
	v_fma_f64 v[12:13], -v[2:3], v[39:40], v[12:13]
	ds_load_b128 v[37:40], v24 offset:768
	v_fma_f64 v[59:60], -v[2:3], v[51:52], v[8:9]
	s_waitcnt lgkmcnt(2)
	v_mul_f64 v[57:58], v[0:1], v[4:5]
	v_mul_f64 v[4:5], v[49:50], v[14:15]
	ds_load_b128 v[49:52], v24 offset:912
	v_fma_f64 v[57:58], v[10:11], s[4:5], -v[57:58]
	ds_load_b128 v[8:11], v24 offset:896
	s_waitcnt lgkmcnt(2)
	v_mul_f64 v[37:38], v[0:1], v[37:38]
	v_fma_f64 v[45:46], -v[4:5], v[45:46], v[12:13]
	global_load_b128 v[12:15], v[20:21], off offset:112
	v_fma_f64 v[53:54], -v[4:5], v[53:54], v[59:60]
	s_waitcnt lgkmcnt(0)
	v_mul_f64 v[8:9], v[0:1], v[8:9]
	s_waitcnt vmcnt(4)
	v_fma_f64 v[25:26], v[25:26], s[4:5], -v[37:38]
	v_fma_f64 v[37:38], -v[2:3], v[6:7], v[57:58]
	v_mul_f64 v[6:7], v[45:46], v[47:48]
	ds_load_b128 v[45:48], v24 offset:1024
	ds_load_b128 v[57:60], v24 offset:1040
	v_fma_f64 v[8:9], v[27:28], s[4:5], -v[8:9]
	s_waitcnt lgkmcnt(1)
	v_mul_f64 v[45:46], v[0:1], v[45:46]
	v_fma_f64 v[69:70], -v[2:3], v[39:40], v[25:26]
	v_fma_f64 v[33:34], -v[4:5], v[33:34], v[37:38]
	;; [unrolled: 1-line block ×3, first 2 shown]
	ds_load_b128 v[25:28], v24 offset:1152
	ds_load_b128 v[37:40], v24 offset:784
	ds_load_2addr_b64 v[53:56], v24 offset0:68 offset1:102
	ds_load_b128 v[61:64], v24 offset:800
	ds_load_b128 v[65:68], v24 offset:1168
	v_fma_f64 v[10:11], -v[2:3], v[10:11], v[8:9]
	s_waitcnt lgkmcnt(4)
	v_mul_f64 v[25:26], v[0:1], v[25:26]
	s_waitcnt vmcnt(3)
	v_fma_f64 v[29:30], v[29:30], s[4:5], -v[45:46]
	s_waitcnt lgkmcnt(3)
	v_fma_f64 v[37:38], -v[4:5], v[37:38], v[69:70]
	v_fma_f64 v[45:46], -v[6:7], v[35:36], v[33:34]
	s_waitcnt lgkmcnt(2)
	v_mul_f64 v[8:9], v[71:72], v[53:54]
	ds_load_b128 v[33:36], v24 offset:1280
	ds_load_b128 v[69:72], v24 offset:672
	v_fma_f64 v[10:11], -v[4:5], v[49:50], v[10:11]
	v_fma_f64 v[25:26], v[31:32], s[4:5], -v[25:26]
	s_waitcnt lgkmcnt(1)
	v_mul_f64 v[33:34], v[0:1], v[33:34]
	v_fma_f64 v[47:48], -v[2:3], v[47:48], v[29:30]
	v_fma_f64 v[49:50], -v[6:7], v[39:40], v[37:38]
	ds_load_b128 v[29:32], v24 offset:1408
	ds_load_b128 v[37:40], v24 offset:1424
	s_waitcnt lgkmcnt(2)
	v_fma_f64 v[45:46], -v[8:9], v[69:70], v[45:46]
	v_fma_f64 v[69:70], -v[6:7], v[51:52], v[10:11]
	s_waitcnt lgkmcnt(1)
	v_mul_f64 v[29:30], v[0:1], v[29:30]
	v_fma_f64 v[53:54], -v[2:3], v[27:28], v[25:26]
	s_waitcnt vmcnt(2)
	v_fma_f64 v[33:34], v[41:42], s[4:5], -v[33:34]
	v_fma_f64 v[57:58], -v[4:5], v[57:58], v[47:48]
	v_fma_f64 v[61:62], -v[8:9], v[61:62], v[49:50]
	v_mul_f64 v[10:11], v[45:46], v[71:72]
	ds_load_b128 v[25:28], v24 offset:1536
	ds_load_b128 v[45:48], v24 offset:928
	;; [unrolled: 1-line block ×3, first 2 shown]
	v_fma_f64 v[29:30], v[43:44], s[4:5], -v[29:30]
	ds_load_b128 v[41:44], v24 offset:1552
	v_fma_f64 v[53:54], -v[4:5], v[65:66], v[53:54]
	s_waitcnt lgkmcnt(3)
	v_mul_f64 v[25:26], v[0:1], v[25:26]
	v_fma_f64 v[77:78], -v[2:3], v[35:36], v[33:34]
	v_fma_f64 v[65:66], -v[6:7], v[59:60], v[57:58]
	s_waitcnt lgkmcnt(2)
	v_fma_f64 v[45:46], -v[8:9], v[45:46], v[69:70]
	v_fma_f64 v[79:80], -v[10:11], v[63:64], v[61:62]
	ds_load_b128 v[33:36], v24 offset:1664
	ds_load_b128 v[57:60], v24 offset:1296
	;; [unrolled: 1-line block ×5, first 2 shown]
	v_fma_f64 v[81:82], -v[2:3], v[31:32], v[29:30]
	ds_load_b128 v[29:32], v24 offset:1312
	s_waitcnt lgkmcnt(5)
	v_mul_f64 v[33:34], v[0:1], v[33:34]
	s_waitcnt vmcnt(1)
	v_fma_f64 v[25:26], v[16:17], s[4:5], -v[25:26]
	s_waitcnt lgkmcnt(4)
	v_fma_f64 v[57:58], -v[4:5], v[57:58], v[77:78]
	v_fma_f64 v[77:78], -v[6:7], v[67:68], v[53:54]
	s_waitcnt lgkmcnt(3)
	v_fma_f64 v[61:62], -v[8:9], v[61:62], v[65:66]
	v_fma_f64 v[83:84], -v[10:11], v[47:48], v[45:46]
	v_mul_f64 v[16:17], v[79:80], v[55:56]
	ds_load_b128 v[45:48], v24 offset:1792
	ds_load_b128 v[53:56], v24 offset:1184
	;; [unrolled: 1-line block ×3, first 2 shown]
	v_fma_f64 v[37:38], -v[4:5], v[37:38], v[81:82]
	v_fma_f64 v[18:19], v[18:19], s[4:5], -v[33:34]
	v_fma_f64 v[33:34], -v[2:3], v[27:28], v[25:26]
	s_waitcnt lgkmcnt(2)
	v_mul_f64 v[45:46], v[0:1], v[45:46]
	v_fma_f64 v[79:80], -v[6:7], v[59:60], v[57:58]
	s_waitcnt lgkmcnt(1)
	v_fma_f64 v[53:54], -v[8:9], v[53:54], v[77:78]
	v_fma_f64 v[61:62], -v[10:11], v[63:64], v[61:62]
	ds_load_b128 v[25:28], v24 offset:1920
	ds_load_b128 v[57:60], v24 offset:1936
	v_fma_f64 v[49:50], -v[16:17], v[49:50], v[83:84]
	v_fma_f64 v[63:64], -v[6:7], v[39:40], v[37:38]
	s_waitcnt lgkmcnt(1)
	v_mul_f64 v[25:26], v[0:1], v[25:26]
	v_fma_f64 v[41:42], -v[4:5], v[41:42], v[33:34]
	s_waitcnt vmcnt(0)
	v_fma_f64 v[12:13], v[12:13], s[4:5], -v[45:46]
	v_fma_f64 v[45:46], -v[2:3], v[35:36], v[18:19]
	v_fma_f64 v[29:30], -v[8:9], v[29:30], v[79:80]
	;; [unrolled: 1-line block ×4, first 2 shown]
	ds_load_b128 v[33:36], v24 offset:1440
	ds_load_b128 v[37:40], v24 offset:1456
	v_mul_f64 v[18:19], v[49:50], v[51:52]
	s_waitcnt lgkmcnt(1)
	v_fma_f64 v[33:34], -v[8:9], v[33:34], v[63:64]
	v_fma_f64 v[25:26], v[14:15], s[4:5], -v[25:26]
	v_fma_f64 v[77:78], -v[6:7], v[43:44], v[41:42]
	v_fma_f64 v[69:70], -v[2:3], v[47:48], v[12:13]
	v_fma_f64 v[73:74], -v[4:5], v[73:74], v[45:46]
	v_fma_f64 v[79:80], -v[10:11], v[31:32], v[29:30]
	v_fma_f64 v[65:66], -v[16:17], v[65:66], v[53:54]
	v_fma_f64 v[71:72], -v[18:19], v[71:72], v[55:56]
	ds_load_b128 v[12:15], v24 offset:1808
	ds_load_b128 v[29:32], v24 offset:1568
	;; [unrolled: 1-line block ×3, first 2 shown]
	ds_load_2addr_b64 v[45:48], v24 offset0:136 offset1:170
	ds_load_b128 v[49:52], v24 offset:1344
	ds_load_b128 v[53:56], v24 offset:1584
	ds_load_b128 v[61:64], v24 offset:1824
	s_waitcnt lgkmcnt(5)
	v_fma_f64 v[29:30], -v[8:9], v[29:30], v[77:78]
	v_fma_f64 v[69:70], -v[4:5], v[12:13], v[69:70]
	;; [unrolled: 1-line block ×4, first 2 shown]
	s_waitcnt lgkmcnt(4)
	v_fma_f64 v[41:42], -v[16:17], v[41:42], v[79:80]
	v_fma_f64 v[77:78], -v[18:19], v[67:68], v[65:66]
	s_waitcnt lgkmcnt(3)
	v_mul_f64 v[12:13], v[71:72], v[45:46]
	v_fma_f64 v[45:46], -v[2:3], v[27:28], v[25:26]
	ds_load_b128 v[25:28], v24 offset:1696
	ds_load_b128 v[33:36], v24 offset:1216
	;; [unrolled: 1-line block ×3, first 2 shown]
	v_fma_f64 v[29:30], -v[10:11], v[31:32], v[29:30]
	v_fma_f64 v[14:15], -v[6:7], v[14:15], v[69:70]
	s_waitcnt lgkmcnt(2)
	v_fma_f64 v[25:26], -v[8:9], v[25:26], v[73:74]
	v_fma_f64 v[31:32], -v[16:17], v[37:38], v[75:76]
	;; [unrolled: 1-line block ×3, first 2 shown]
	s_waitcnt lgkmcnt(1)
	v_fma_f64 v[33:34], -v[12:13], v[33:34], v[77:78]
	v_fma_f64 v[41:42], -v[4:5], v[57:58], v[45:46]
	;; [unrolled: 1-line block ×7, first 2 shown]
	v_mul_f64 v[14:15], v[33:34], v[35:36]
	v_fma_f64 v[41:42], -v[6:7], v[59:60], v[41:42]
	ds_load_b128 v[25:28], v24 offset:1472
	ds_load_b128 v[29:32], v24 offset:1952
	;; [unrolled: 1-line block ×4, first 2 shown]
	v_fma_f64 v[61:62], -v[10:11], v[63:64], v[43:44]
	s_waitcnt lgkmcnt(4)
	v_fma_f64 v[45:46], -v[16:17], v[65:66], v[45:46]
	v_fma_f64 v[63:64], -v[18:19], v[55:56], v[53:54]
	s_waitcnt lgkmcnt(3)
	v_fma_f64 v[25:26], -v[12:13], v[25:26], v[57:58]
	;; [unrolled: 3-line block ×3, first 2 shown]
	ds_load_b128 v[41:44], v24 offset:1840
	ds_load_b128 v[49:52], v24 offset:1600
	;; [unrolled: 1-line block ×4, first 2 shown]
	s_waitcnt lgkmcnt(3)
	v_fma_f64 v[41:42], -v[16:17], v[41:42], v[61:62]
	v_fma_f64 v[61:62], -v[18:19], v[67:68], v[45:46]
	s_waitcnt lgkmcnt(2)
	v_fma_f64 v[49:50], -v[12:13], v[49:50], v[63:64]
	v_fma_f64 v[63:64], -v[14:15], v[27:28], v[25:26]
	v_mul_f64 v[25:26], v[65:66], v[47:48]
	v_fma_f64 v[31:32], -v[10:11], v[31:32], v[29:30]
	ds_load_b128 v[27:30], v24 offset:1728
	ds_load_b128 v[45:48], v24 offset:1744
	v_fma_f64 v[41:42], -v[18:19], v[43:44], v[41:42]
	s_waitcnt lgkmcnt(1)
	v_fma_f64 v[27:28], -v[12:13], v[27:28], v[61:62]
	v_fma_f64 v[43:44], -v[14:15], v[51:52], v[49:50]
	;; [unrolled: 1-line block ×7, first 2 shown]
	v_mul_f64 v[27:28], v[33:34], v[35:36]
	v_fma_f64 v[39:40], -v[18:19], v[39:40], v[31:32]
	ds_load_b128 v[29:32], v24 offset:1984
	ds_load_b128 v[33:36], v24 offset:2000
	v_fma_f64 v[53:54], -v[14:15], v[59:60], v[37:38]
	s_waitcnt lgkmcnt(2)
	v_fma_f64 v[45:46], -v[25:26], v[45:46], v[41:42]
	v_fma_f64 v[55:56], -v[27:28], v[55:56], v[43:44]
	s_waitcnt lgkmcnt(1)
	v_fma_f64 v[57:58], -v[12:13], v[29:30], v[39:40]
	ds_load_b128 v[37:40], v24 offset:1872
	ds_load_2addr_b64 v[41:44], v24 offset0:204 offset1:238
	ds_load_b128 v[49:52], v24 offset:1888
	s_waitcnt lgkmcnt(2)
	v_fma_f64 v[37:38], -v[25:26], v[37:38], v[53:54]
	v_fma_f64 v[53:54], -v[27:28], v[47:48], v[45:46]
	ds_load_b128 v[45:48], v24 offset:1760
	s_waitcnt lgkmcnt(2)
	v_mul_f64 v[29:30], v[55:56], v[41:42]
	v_fma_f64 v[31:32], -v[14:15], v[31:32], v[57:58]
	v_fma_f64 v[37:38], -v[27:28], v[39:40], v[37:38]
	s_waitcnt lgkmcnt(0)
	s_delay_alu instid0(VALU_DEP_3) | instskip(NEXT) | instid1(VALU_DEP_3)
	v_fma_f64 v[39:40], -v[29:30], v[45:46], v[53:54]
	v_fma_f64 v[33:34], -v[25:26], v[33:34], v[31:32]
	s_delay_alu instid0(VALU_DEP_3) | instskip(NEXT) | instid1(VALU_DEP_3)
	v_fma_f64 v[41:42], -v[29:30], v[49:50], v[37:38]
	v_mul_f64 v[31:32], v[39:40], v[47:48]
	s_delay_alu instid0(VALU_DEP_3)
	v_fma_f64 v[45:46], -v[27:28], v[35:36], v[33:34]
	ds_load_b128 v[33:36], v24 offset:2016
	ds_load_b128 v[37:40], v24 offset:2032
	v_fma_f64 v[41:42], -v[31:32], v[51:52], v[41:42]
	s_waitcnt lgkmcnt(1)
	v_fma_f64 v[45:46], -v[29:30], v[33:34], v[45:46]
	s_delay_alu instid0(VALU_DEP_2) | instskip(NEXT) | instid1(VALU_DEP_2)
	v_mul_f64 v[33:34], v[41:42], v[43:44]
	v_fma_f64 v[35:36], -v[31:32], v[35:36], v[45:46]
	s_waitcnt lgkmcnt(0)
	s_delay_alu instid0(VALU_DEP_1) | instskip(NEXT) | instid1(VALU_DEP_1)
	v_fma_f64 v[35:36], -v[33:34], v[37:38], v[35:36]
	v_mul_f64 v[35:36], v[35:36], v[39:40]
	s_clause 0x7
	global_store_b128 v[20:21], v[0:3], off
	global_store_b128 v[20:21], v[4:7], off offset:16
	global_store_b128 v[20:21], v[8:11], off offset:32
	;; [unrolled: 1-line block ×7, first 2 shown]
	s_cmp_lt_i32 s6, s2
	s_cbranch_scc1 .LBB83_15
	s_branch .LBB83_38
.LBB83_14:
	s_mov_b32 s6, 0
	s_delay_alu instid0(SALU_CYCLE_1)
	s_cmp_lt_i32 s6, s2
	s_cbranch_scc0 .LBB83_38
.LBB83_15:
	s_or_b32 s8, s6, 11
	s_delay_alu instid0(SALU_CYCLE_1)
	s_cmp_ge_u32 s8, s2
	s_cbranch_scc1 .LBB83_27
; %bb.16:
	s_lshl_b32 s7, s6, 3
	s_mov_b32 s9, 0
	v_add_co_u32 v4, vcc_lo, v20, s7
	v_add_co_ci_u32_e32 v5, vcc_lo, 0, v21, vcc_lo
	s_and_not1_b32 vcc_lo, exec_lo, s3
	s_clause 0x5
	global_load_b128 v[0:3], v[4:5], off
	global_load_b128 v[6:9], v[4:5], off offset:16
	global_load_b128 v[12:15], v[4:5], off offset:32
	;; [unrolled: 1-line block ×5, first 2 shown]
	s_waitcnt vmcnt(5)
	v_mul_f64 v[0:1], v[0:1], s[4:5]
	v_mul_f64 v[28:29], v[2:3], s[4:5]
	s_waitcnt vmcnt(4)
	v_mul_f64 v[2:3], v[6:7], s[4:5]
	v_mul_f64 v[10:11], v[8:9], s[4:5]
	;; [unrolled: 3-line block ×6, first 2 shown]
	s_cbranch_vccnz .LBB83_18
; %bb.17:
	s_lshl_b32 s3, s8, 4
	s_branch .LBB83_19
.LBB83_18:
	s_mov_b32 s9, -1
                                        ; implicit-def: $sgpr3
.LBB83_19:
	s_delay_alu instid0(SALU_CYCLE_1)
	s_and_not1_b32 vcc_lo, exec_lo, s9
	s_cbranch_vccnz .LBB83_26
; %bb.20:
	s_max_u32 s11, s6, 1
	s_delay_alu instid0(SALU_CYCLE_1)
	s_cmp_eq_u32 s11, 1
	s_cbranch_scc1 .LBB83_23
; %bb.21:
	s_and_b32 s9, s11, 16
	s_lshl_b32 s3, s6, 7
	s_add_u32 s13, s16, s0
	s_addc_u32 s14, s17, s1
	v_add_co_u32 v30, vcc_lo, s13, v22
	v_add_co_ci_u32_e32 v31, vcc_lo, s14, v23, vcc_lo
	s_mov_b32 s13, 0
	s_delay_alu instid0(VALU_DEP_2) | instskip(NEXT) | instid1(VALU_DEP_2)
	v_add_co_u32 v30, vcc_lo, v30, 8
	v_add_co_ci_u32_e32 v31, vcc_lo, 0, v31, vcc_lo
.LBB83_22:                              ; =>This Inner Loop Header: Depth=1
	global_load_b128 v[32:35], v[30:31], off offset:-8
	v_mov_b32_e32 v80, s3
	v_add_co_u32 v30, vcc_lo, v30, 16
	v_add_co_ci_u32_e32 v31, vcc_lo, 0, v31, vcc_lo
	ds_load_b128 v[36:39], v80
	ds_load_b128 v[40:43], v80 offset:128
	ds_load_b128 v[44:47], v80 offset:256
	;; [unrolled: 1-line block ×11, first 2 shown]
	s_add_i32 s13, s13, 2
	s_add_i32 s3, s3, 16
	s_cmp_lg_u32 s9, s13
	s_waitcnt vmcnt(0) lgkmcnt(11)
	v_fma_f64 v[0:1], -v[32:33], v[36:37], v[0:1]
	s_waitcnt lgkmcnt(10)
	v_fma_f64 v[28:29], -v[32:33], v[40:41], v[28:29]
	s_waitcnt lgkmcnt(9)
	;; [unrolled: 2-line block ×11, first 2 shown]
	v_fma_f64 v[6:7], -v[32:33], v[80:81], v[6:7]
	v_fma_f64 v[0:1], -v[34:35], v[38:39], v[0:1]
	;; [unrolled: 1-line block ×13, first 2 shown]
	s_cbranch_scc1 .LBB83_22
	s_branch .LBB83_24
.LBB83_23:
	s_mov_b32 s9, 0
.LBB83_24:
	s_lshl_b32 s3, s8, 4
	s_bitcmp0_b32 s11, 0
	s_cbranch_scc1 .LBB83_26
; %bb.25:
	s_lshl_b32 s8, s9, 3
	s_delay_alu instid0(SALU_CYCLE_1) | instskip(SKIP_2) | instid1(SALU_CYCLE_1)
	v_add_co_u32 v30, vcc_lo, v20, s8
	v_add_co_ci_u32_e32 v31, vcc_lo, 0, v21, vcc_lo
	s_lshl_b32 s8, s6, 4
	s_add_i32 s8, s8, s9
	global_load_b64 v[50:51], v[30:31], off
	s_lshl_b32 s8, s8, 3
	s_delay_alu instid0(SALU_CYCLE_1) | instskip(SKIP_1) | instid1(SALU_CYCLE_1)
	v_mov_b32_e32 v52, s8
	s_add_i32 s8, s3, s9
	s_lshl_b32 s8, s8, 3
	s_delay_alu instid0(SALU_CYCLE_1)
	v_mov_b32_e32 v54, s8
	ds_load_2addr_b64 v[30:33], v52 offset1:16
	ds_load_2addr_b64 v[34:37], v52 offset0:32 offset1:48
	ds_load_2addr_b64 v[38:41], v52 offset0:64 offset1:80
	;; [unrolled: 1-line block ×4, first 2 shown]
	ds_load_b64 v[52:53], v52 offset:1280
	ds_load_b64 v[54:55], v54
	s_waitcnt vmcnt(0) lgkmcnt(6)
	v_fma_f64 v[0:1], -v[50:51], v[30:31], v[0:1]
	v_fma_f64 v[28:29], -v[50:51], v[32:33], v[28:29]
	s_waitcnt lgkmcnt(5)
	v_fma_f64 v[2:3], -v[50:51], v[34:35], v[2:3]
	v_fma_f64 v[10:11], -v[50:51], v[36:37], v[10:11]
	s_waitcnt lgkmcnt(4)
	;; [unrolled: 3-line block ×5, first 2 shown]
	v_fma_f64 v[8:9], -v[50:51], v[52:53], v[8:9]
	s_waitcnt lgkmcnt(0)
	v_fma_f64 v[6:7], -v[50:51], v[54:55], v[6:7]
.LBB83_26:
	s_mul_i32 s8, s6, 0x88
	s_add_i32 s3, s3, s6
	v_mov_b32_e32 v30, s8
	s_lshl_b32 s8, s6, 4
	s_lshl_b32 s3, s3, 3
	s_add_i32 s8, s6, s8
	v_mov_b32_e32 v70, s3
	s_lshl_b32 s8, s8, 3
	s_delay_alu instid0(SALU_CYCLE_1)
	v_mov_b32_e32 v67, s8
	ds_load_2addr_b64 v[31:34], v30 offset1:34
	ds_load_b128 v[35:38], v67 offset:128
	ds_load_b128 v[39:42], v67 offset:384
	s_lshl_b32 s8, s6, 7
	s_or_b32 s6, s6, 12
	s_or_b32 s7, s8, s7
	s_delay_alu instid0(SALU_CYCLE_1)
	s_or_b32 s8, s7, 0x100
	s_waitcnt lgkmcnt(2)
	v_mul_f64 v[0:1], v[0:1], v[31:32]
	v_mov_b32_e32 v31, s8
	ds_load_b128 v[43:46], v31
	ds_load_b128 v[47:50], v67 offset:1200
	s_or_b32 s8, s7, 0x200
	s_waitcnt lgkmcnt(3)
	v_fma_f64 v[28:29], -v[0:1], v[35:36], v[28:29]
	s_waitcnt lgkmcnt(1)
	v_fma_f64 v[31:32], -v[0:1], v[43:44], v[2:3]
	v_fma_f64 v[10:11], -v[0:1], v[39:40], v[10:11]
	s_delay_alu instid0(VALU_DEP_3) | instskip(NEXT) | instid1(VALU_DEP_1)
	v_mul_f64 v[2:3], v[28:29], v[37:38]
	v_fma_f64 v[28:29], -v[2:3], v[45:46], v[31:32]
	v_mov_b32_e32 v31, s8
	s_or_b32 s8, s7, 0x300
	ds_load_b128 v[35:38], v31
	ds_load_b128 v[43:46], v31 offset:16
	v_mov_b32_e32 v63, s8
	s_or_b32 s8, s7, 0x400
	s_or_b32 s7, s7, 0x500
	s_delay_alu instid0(SALU_CYCLE_1)
	v_dual_mov_b32 v68, s8 :: v_dual_mov_b32 v69, s7
	s_waitcnt lgkmcnt(1)
	v_fma_f64 v[12:13], -v[0:1], v[35:36], v[12:13]
	v_fma_f64 v[35:36], -v[2:3], v[41:42], v[10:11]
	v_mul_f64 v[10:11], v[28:29], v[33:34]
	ds_load_b128 v[31:34], v67 offset:640
	ds_load_b128 v[39:42], v67 offset:400
	s_waitcnt lgkmcnt(1)
	v_fma_f64 v[18:19], -v[0:1], v[31:32], v[18:19]
	v_fma_f64 v[12:13], -v[2:3], v[37:38], v[12:13]
	s_waitcnt lgkmcnt(0)
	v_fma_f64 v[28:29], -v[10:11], v[39:40], v[35:36]
	ds_load_b128 v[35:38], v63
	ds_load_b128 v[51:54], v63 offset:16
	s_waitcnt lgkmcnt(1)
	v_fma_f64 v[35:36], -v[0:1], v[35:36], v[16:17]
	v_fma_f64 v[59:60], -v[2:3], v[33:34], v[18:19]
	;; [unrolled: 1-line block ×3, first 2 shown]
	v_mul_f64 v[12:13], v[28:29], v[41:42]
	ds_load_b128 v[16:19], v67 offset:896
	ds_load_b128 v[31:34], v67 offset:656
	;; [unrolled: 1-line block ×4, first 2 shown]
	s_waitcnt lgkmcnt(3)
	v_fma_f64 v[28:29], -v[0:1], v[16:17], v[14:15]
	v_fma_f64 v[61:62], -v[2:3], v[37:38], v[35:36]
	s_waitcnt lgkmcnt(2)
	v_fma_f64 v[31:32], -v[10:11], v[31:32], v[59:60]
	ds_load_b128 v[14:17], v68
	ds_load_2addr_b64 v[35:38], v30 offset0:68 offset1:102
	v_fma_f64 v[43:44], -v[12:13], v[45:46], v[43:44]
	s_waitcnt lgkmcnt(1)
	v_fma_f64 v[45:46], -v[0:1], v[14:15], v[26:27]
	v_fma_f64 v[18:19], -v[2:3], v[18:19], v[28:29]
	ds_load_b128 v[26:29], v67 offset:1152
	v_fma_f64 v[51:52], -v[10:11], v[51:52], v[61:62]
	v_fma_f64 v[31:32], -v[12:13], v[33:34], v[31:32]
	s_waitcnt lgkmcnt(1)
	v_mul_f64 v[14:15], v[43:44], v[35:36]
	s_waitcnt lgkmcnt(0)
	v_fma_f64 v[35:36], -v[0:1], v[26:27], v[24:25]
	v_fma_f64 v[59:60], -v[2:3], v[16:17], v[45:46]
	;; [unrolled: 1-line block ×5, first 2 shown]
	ds_load_b128 v[16:19], v69
	ds_load_b128 v[24:27], v68 offset:16
	ds_load_b128 v[31:34], v63 offset:32
	;; [unrolled: 1-line block ×3, first 2 shown]
	v_fma_f64 v[28:29], -v[2:3], v[28:29], v[35:36]
	s_waitcnt lgkmcnt(3)
	v_fma_f64 v[8:9], -v[0:1], v[16:17], v[8:9]
	s_waitcnt lgkmcnt(2)
	v_fma_f64 v[24:25], -v[10:11], v[24:25], v[59:60]
	v_fma_f64 v[35:36], -v[12:13], v[57:58], v[55:56]
	s_waitcnt lgkmcnt(1)
	v_fma_f64 v[31:32], -v[14:15], v[31:32], v[51:52]
	v_mul_f64 v[16:17], v[39:40], v[41:42]
	ds_load_b128 v[39:42], v67 offset:1168
	ds_load_b128 v[51:54], v67 offset:928
	ds_load_b128 v[55:58], v70
	ds_load_b128 v[59:62], v70 offset:16
	ds_load_b128 v[63:66], v67 offset:1184
	s_waitcnt lgkmcnt(4)
	v_fma_f64 v[28:29], -v[10:11], v[39:40], v[28:29]
	v_fma_f64 v[18:19], -v[2:3], v[18:19], v[8:9]
	;; [unrolled: 1-line block ×3, first 2 shown]
	s_waitcnt lgkmcnt(3)
	v_fma_f64 v[35:36], -v[14:15], v[51:52], v[35:36]
	v_fma_f64 v[31:32], -v[16:17], v[33:34], v[31:32]
	s_waitcnt lgkmcnt(2)
	v_fma_f64 v[33:34], -v[0:1], v[55:56], v[6:7]
	ds_load_b128 v[6:9], v69 offset:16
	ds_load_b128 v[24:27], v69 offset:32
	v_fma_f64 v[28:29], -v[12:13], v[41:42], v[28:29]
	v_fma_f64 v[39:40], -v[14:15], v[43:44], v[39:40]
	;; [unrolled: 1-line block ×3, first 2 shown]
	s_waitcnt lgkmcnt(1)
	v_fma_f64 v[18:19], -v[10:11], v[6:7], v[18:19]
	v_mul_f64 v[6:7], v[31:32], v[37:38]
	v_fma_f64 v[37:38], -v[2:3], v[57:58], v[33:34]
	ds_load_2addr_b64 v[31:34], v67 offset0:118 offset1:152
	v_fma_f64 v[8:9], -v[12:13], v[8:9], v[18:19]
	v_fma_f64 v[18:19], -v[14:15], v[63:64], v[28:29]
	;; [unrolled: 1-line block ×3, first 2 shown]
	s_waitcnt lgkmcnt(0)
	v_fma_f64 v[31:32], -v[6:7], v[31:32], v[35:36]
	v_fma_f64 v[43:44], -v[10:11], v[59:60], v[37:38]
	ds_load_b128 v[35:38], v68 offset:48
	ds_load_2addr_b64 v[39:42], v30 offset0:119 offset1:136
	v_fma_f64 v[24:25], -v[14:15], v[24:25], v[8:9]
	v_fma_f64 v[18:19], -v[16:17], v[65:66], v[18:19]
	s_waitcnt lgkmcnt(1)
	v_fma_f64 v[28:29], -v[6:7], v[35:36], v[28:29]
	s_waitcnt lgkmcnt(0)
	v_mul_f64 v[8:9], v[31:32], v[39:40]
	v_fma_f64 v[31:32], -v[12:13], v[61:62], v[43:44]
	ds_load_b128 v[43:46], v70 offset:32
	ds_load_b128 v[51:54], v70 offset:48
	v_fma_f64 v[39:40], -v[16:17], v[26:27], v[24:25]
	v_fma_f64 v[18:19], -v[6:7], v[47:48], v[18:19]
	;; [unrolled: 1-line block ×3, first 2 shown]
	s_waitcnt lgkmcnt(1)
	v_fma_f64 v[31:32], -v[14:15], v[43:44], v[31:32]
	ds_load_b128 v[24:27], v69 offset:48
	ds_load_b128 v[35:38], v69 offset:64
	s_waitcnt lgkmcnt(1)
	v_fma_f64 v[39:40], -v[6:7], v[24:25], v[39:40]
	v_fma_f64 v[18:19], -v[8:9], v[49:50], v[18:19]
	v_mul_f64 v[24:25], v[28:29], v[41:42]
	v_fma_f64 v[28:29], -v[16:17], v[45:46], v[31:32]
	s_delay_alu instid0(VALU_DEP_4) | instskip(NEXT) | instid1(VALU_DEP_3)
	v_fma_f64 v[31:32], -v[8:9], v[26:27], v[39:40]
	v_fma_f64 v[18:19], -v[24:25], v[33:34], v[18:19]
	s_delay_alu instid0(VALU_DEP_3)
	v_fma_f64 v[33:34], -v[6:7], v[51:52], v[28:29]
	ds_load_2addr_b64 v[26:29], v30 offset0:153 offset1:170
	s_waitcnt lgkmcnt(1)
	v_fma_f64 v[35:36], -v[24:25], v[35:36], v[31:32]
	s_waitcnt lgkmcnt(0)
	v_mul_f64 v[26:27], v[18:19], v[26:27]
	v_fma_f64 v[18:19], -v[8:9], v[53:54], v[33:34]
	ds_load_b128 v[31:34], v70 offset:64
	ds_load_b64 v[39:40], v70 offset:80
	v_fma_f64 v[35:36], -v[26:27], v[37:38], v[35:36]
	s_waitcnt lgkmcnt(1)
	v_fma_f64 v[18:19], -v[24:25], v[31:32], v[18:19]
	ds_load_b64 v[30:31], v30 offset:1496
	s_clause 0x3
	global_store_b128 v[4:5], v[0:3], off
	global_store_b128 v[4:5], v[10:13], off offset:16
	global_store_b128 v[4:5], v[14:17], off offset:32
	;; [unrolled: 1-line block ×3, first 2 shown]
	v_mul_f64 v[28:29], v[35:36], v[28:29]
	v_fma_f64 v[18:19], -v[26:27], v[33:34], v[18:19]
	s_waitcnt lgkmcnt(1)
	s_delay_alu instid0(VALU_DEP_1) | instskip(SKIP_1) | instid1(VALU_DEP_1)
	v_fma_f64 v[18:19], -v[28:29], v[39:40], v[18:19]
	s_waitcnt lgkmcnt(0)
	v_mul_f64 v[30:31], v[18:19], v[30:31]
	s_clause 0x1
	global_store_b128 v[4:5], v[24:27], off offset:64
	global_store_b128 v[4:5], v[28:31], off offset:80
.LBB83_27:
	s_cmp_ge_i32 s6, s2
	s_cbranch_scc1 .LBB83_38
; %bb.28:
	s_add_i32 s3, s6, -1
	s_lshl_b32 s11, s6, 7
	s_add_u32 s7, s16, s0
	s_addc_u32 s8, s17, s1
	v_add_co_u32 v8, vcc_lo, s7, v22
	v_add_co_ci_u32_e32 v9, vcc_lo, s8, v23, vcc_lo
	s_mov_b32 s9, 0
	s_delay_alu instid0(VALU_DEP_2) | instskip(NEXT) | instid1(VALU_DEP_2)
	v_add_co_u32 v0, vcc_lo, v8, 56
	v_add_co_ci_u32_e32 v1, vcc_lo, 0, v9, vcc_lo
	s_mov_b32 s14, s6
	s_mov_b32 s13, 0
	s_branch .LBB83_30
.LBB83_29:                              ;   in Loop: Header=BB83_30 Depth=1
	s_mul_i32 s7, s6, 0x88
	s_add_i32 s6, s6, 1
	v_mov_b32_e32 v6, s7
	s_add_i32 s13, s13, 1
	s_addk_i32 s11, 0x80
	s_cmp_ge_i32 s6, s2
	ds_load_b64 v[6:7], v6
	s_waitcnt lgkmcnt(0)
	v_mul_f64 v[4:5], v[4:5], v[6:7]
	v_add_nc_u16 v6, s14, 1
	s_delay_alu instid0(VALU_DEP_1)
	v_readfirstlane_b32 s14, v6
	global_store_b64 v[2:3], v[4:5], off
	s_cbranch_scc1 .LBB83_38
.LBB83_30:                              ; =>This Loop Header: Depth=1
                                        ;     Child Loop BB83_33 Depth 2
                                        ;     Child Loop BB83_37 Depth 2
	s_ashr_i32 s7, s6, 31
	s_delay_alu instid0(SALU_CYCLE_1)
	s_lshl_b64 s[18:19], s[6:7], 3
	s_cmp_eq_u32 s6, 0
	v_add_co_u32 v2, vcc_lo, v20, s18
	v_add_co_ci_u32_e32 v3, vcc_lo, s19, v21, vcc_lo
	global_load_b64 v[4:5], v[2:3], off
	s_waitcnt vmcnt(0)
	v_mul_f64 v[4:5], v[4:5], s[4:5]
	s_cbranch_scc1 .LBB83_29
; %bb.31:                               ;   in Loop: Header=BB83_30 Depth=1
	s_add_i32 s7, s3, s13
	s_delay_alu instid0(SALU_CYCLE_1)
	s_cmp_lt_u32 s7, 7
	s_cbranch_scc1 .LBB83_35
; %bb.32:                               ;   in Loop: Header=BB83_30 Depth=1
	v_dual_mov_b32 v7, v1 :: v_dual_mov_b32 v6, v0
	s_and_b32 s8, s6, -8
	s_mov_b32 s7, 0
	s_mov_b32 s15, s11
	s_set_inst_prefetch_distance 0x1
	.p2align	6
.LBB83_33:                              ;   Parent Loop BB83_30 Depth=1
                                        ; =>  This Inner Loop Header: Depth=2
	s_clause 0x3
	global_load_b128 v[10:13], v[6:7], off offset:-56
	global_load_b128 v[14:17], v[6:7], off offset:-40
	;; [unrolled: 1-line block ×4, first 2 shown]
	v_mov_b32_e32 v18, s15
	v_add_co_u32 v6, vcc_lo, v6, 64
	v_add_co_ci_u32_e32 v7, vcc_lo, 0, v7, vcc_lo
	ds_load_b128 v[32:35], v18
	ds_load_b128 v[36:39], v18 offset:16
	s_add_i32 s7, s7, 8
	s_add_i32 s15, s15, 64
	s_cmp_lg_u32 s8, s7
	s_waitcnt vmcnt(3) lgkmcnt(1)
	v_fma_f64 v[4:5], -v[10:11], v[32:33], v[4:5]
	s_delay_alu instid0(VALU_DEP_1) | instskip(SKIP_1) | instid1(VALU_DEP_1)
	v_fma_f64 v[4:5], -v[12:13], v[34:35], v[4:5]
	s_waitcnt vmcnt(2) lgkmcnt(0)
	v_fma_f64 v[4:5], -v[14:15], v[36:37], v[4:5]
	s_delay_alu instid0(VALU_DEP_1) | instskip(SKIP_4) | instid1(VALU_DEP_1)
	v_fma_f64 v[4:5], -v[16:17], v[38:39], v[4:5]
	ds_load_b128 v[10:13], v18 offset:32
	ds_load_b128 v[14:17], v18 offset:48
	s_waitcnt vmcnt(1) lgkmcnt(1)
	v_fma_f64 v[4:5], -v[24:25], v[10:11], v[4:5]
	v_fma_f64 v[4:5], -v[26:27], v[12:13], v[4:5]
	s_waitcnt vmcnt(0) lgkmcnt(0)
	s_delay_alu instid0(VALU_DEP_1) | instskip(NEXT) | instid1(VALU_DEP_1)
	v_fma_f64 v[4:5], -v[28:29], v[14:15], v[4:5]
	v_fma_f64 v[4:5], -v[30:31], v[16:17], v[4:5]
	s_cbranch_scc1 .LBB83_33
; %bb.34:                               ;   in Loop: Header=BB83_30 Depth=1
	s_set_inst_prefetch_distance 0x2
	s_and_b32 s7, s6, 7
	s_delay_alu instid0(SALU_CYCLE_1)
	s_cmp_eq_u32 s7, 0
	s_cbranch_scc0 .LBB83_36
	s_branch .LBB83_29
.LBB83_35:                              ;   in Loop: Header=BB83_30 Depth=1
	s_mov_b32 s8, 0
	s_and_b32 s7, s6, 7
	s_delay_alu instid0(SALU_CYCLE_1)
	s_cmp_eq_u32 s7, 0
	s_cbranch_scc1 .LBB83_29
.LBB83_36:                              ;   in Loop: Header=BB83_30 Depth=1
	s_lshl_b64 s[18:19], s[8:9], 3
	s_and_b32 s7, s14, 7
	v_add_co_u32 v6, vcc_lo, v8, s18
	v_add_co_ci_u32_e32 v7, vcc_lo, s19, v9, vcc_lo
	s_lshl_b32 s8, s8, 3
.LBB83_37:                              ;   Parent Loop BB83_30 Depth=1
                                        ; =>  This Inner Loop Header: Depth=2
	global_load_b64 v[10:11], v[6:7], off
	s_add_i32 s15, s11, s8
	v_add_co_u32 v6, vcc_lo, v6, 8
	v_mov_b32_e32 v12, s15
	v_add_co_ci_u32_e32 v7, vcc_lo, 0, v7, vcc_lo
	s_add_i32 s7, s7, -1
	s_add_i32 s8, s8, 8
	ds_load_b64 v[12:13], v12
	s_cmp_lg_u32 s7, 0
	s_waitcnt vmcnt(0) lgkmcnt(0)
	v_fma_f64 v[4:5], -v[10:11], v[12:13], v[4:5]
	s_cbranch_scc1 .LBB83_37
	s_branch .LBB83_29
.LBB83_38:
	s_mov_b32 s3, 0
.LBB83_39:
	s_delay_alu instid0(SALU_CYCLE_1)
	s_and_b32 vcc_lo, exec_lo, s3
	s_cbranch_vccz .LBB83_61
; %bb.40:
	s_cmp_gt_i32 s10, 15
	s_cbranch_scc0 .LBB83_42
; %bb.41:
	s_ashr_i32 s13, s12, 31
	s_mov_b32 s3, 0
	s_lshl_b64 s[6:7], s[12:13], 3
	s_lshl_b32 s9, s12, 4
	v_add_co_u32 v24, vcc_lo, v20, s6
	v_add_co_ci_u32_e32 v25, vcc_lo, s7, v21, vcc_lo
	s_lshl_b64 s[6:7], s[2:3], 3
	s_add_i32 s8, s2, -4
	v_add_co_u32 v50, vcc_lo, v20, s6
	global_load_b64 v[12:13], v[24:25], off
	v_add_co_ci_u32_e32 v51, vcc_lo, s7, v21, vcc_lo
	s_clause 0x4
	global_load_b64 v[16:17], v[50:51], off offset:-16
	global_load_b128 v[4:7], v[50:51], off offset:-32
	global_load_b128 v[8:11], v[50:51], off offset:-48
	;; [unrolled: 1-line block ×4, first 2 shown]
	s_add_i32 s6, s2, -2
	global_load_b128 v[34:37], v[50:51], off offset:-80
	s_add_i32 s3, s6, s9
	s_lshl_b32 s11, s6, 4
	s_lshl_b32 s3, s3, 3
	s_add_i32 s6, s8, s11
	s_add_i32 s18, s2, -6
	s_lshl_b32 s6, s6, 3
	s_add_i32 s15, s2, -8
	v_mov_b32_e32 v38, s6
	s_add_i32 s6, s18, s9
	s_delay_alu instid0(SALU_CYCLE_1)
	s_lshl_b32 s6, s6, 3
	ds_load_2addr_b64 v[38:41], v38 offset1:1
	s_waitcnt vmcnt(6)
	v_mul_f64 v[18:19], v[12:13], s[4:5]
	v_mov_b32_e32 v12, s3
	s_mul_i32 s3, s12, 0x88
	s_delay_alu instid0(SALU_CYCLE_1) | instskip(SKIP_3) | instid1(SALU_CYCLE_1)
	s_add_i32 s7, s3, 0xffffff78
	ds_load_2addr_b64 v[12:15], v12 offset1:1
	v_mov_b32_e32 v26, s7
	s_add_i32 s7, s8, s9
	s_lshl_b32 s7, s7, 3
	ds_load_b64 v[28:29], v26
	s_waitcnt lgkmcnt(1)
	v_mul_f64 v[26:27], v[18:19], v[14:15]
	s_delay_alu instid0(VALU_DEP_1)
	v_mul_f64 v[18:19], v[26:27], v[12:13]
	v_mov_b32_e32 v12, s7
	ds_load_2addr_b64 v[12:15], v12 offset1:1
	s_waitcnt lgkmcnt(0)
	v_mul_f64 v[14:15], v[26:27], v[14:15]
	v_mul_f64 v[12:13], v[26:27], v[12:13]
	s_waitcnt vmcnt(5)
	v_fma_f64 v[42:43], v[16:17], s[4:5], -v[18:19]
	global_load_b128 v[16:19], v[50:51], off offset:-96
	s_waitcnt vmcnt(5)
	v_fma_f64 v[6:7], v[6:7], s[4:5], -v[14:15]
	v_mov_b32_e32 v14, s6
	s_add_i32 s6, s18, s11
	v_fma_f64 v[52:53], v[4:5], s[4:5], -v[12:13]
	s_lshl_b32 s6, s6, 3
	v_mul_f64 v[28:29], v[42:43], v[28:29]
	ds_load_2addr_b64 v[42:45], v14 offset1:1
	v_mov_b32_e32 v14, s6
	s_lshl_b32 s6, s2, 4
	s_delay_alu instid0(SALU_CYCLE_1) | instskip(NEXT) | instid1(SALU_CYCLE_1)
	s_sub_i32 s7, s6, 48
	s_add_i32 s10, s8, s7
	ds_load_2addr_b64 v[46:49], v14 offset1:1
	s_lshl_b32 s10, s10, 3
	global_load_b128 v[12:15], v[50:51], off offset:-112
	v_mov_b32_e32 v4, s10
	s_add_i32 s10, s3, 0xfffffe68
	s_lshl_b32 s8, s8, 4
	v_mov_b32_e32 v50, s10
	s_add_i32 s10, s15, s9
	s_add_i32 s14, s15, s7
	s_lshl_b32 s10, s10, 3
	s_lshl_b32 s14, s14, 3
	ds_load_b64 v[54:55], v50
	s_waitcnt lgkmcnt(2)
	v_mul_f64 v[44:45], v[26:27], v[44:45]
	v_mul_f64 v[50:51], v[26:27], v[42:43]
	v_fma_f64 v[40:41], -v[28:29], v[40:41], v[6:7]
	ds_load_2addr_b64 v[4:7], v4 offset1:1
	v_fma_f64 v[52:53], -v[28:29], v[38:39], v[52:53]
	v_mov_b32_e32 v38, s10
	s_add_i32 s10, s15, s11
	s_delay_alu instid0(SALU_CYCLE_1) | instskip(NEXT) | instid1(SALU_CYCLE_1)
	s_lshl_b32 s10, s10, 3
	v_mov_b32_e32 v42, s10
	s_add_i32 s10, s18, s7
	s_delay_alu instid0(SALU_CYCLE_1)
	s_lshl_b32 s10, s10, 3
	s_waitcnt vmcnt(5)
	v_fma_f64 v[10:11], v[10:11], s[4:5], -v[44:45]
	v_fma_f64 v[56:57], v[8:9], s[4:5], -v[50:51]
	v_mov_b32_e32 v8, s10
	s_add_i32 s10, s18, s8
	ds_load_2addr_b64 v[42:45], v42 offset1:1
	s_lshl_b32 s10, s10, 3
	s_waitcnt lgkmcnt(3)
	v_fma_f64 v[58:59], -v[28:29], v[48:49], v[10:11]
	ds_load_2addr_b64 v[8:11], v8 offset1:1
	s_waitcnt lgkmcnt(2)
	v_mul_f64 v[6:7], v[40:41], v[6:7]
	ds_load_2addr_b64 v[38:41], v38 offset1:1
	v_fma_f64 v[46:47], -v[28:29], v[46:47], v[56:57]
	v_mov_b32_e32 v48, s10
	s_add_i32 s10, s2, -10
	s_delay_alu instid0(SALU_CYCLE_1) | instskip(NEXT) | instid1(SALU_CYCLE_1)
	s_add_i32 s13, s10, s9
	s_lshl_b32 s13, s13, 3
	ds_load_2addr_b64 v[48:51], v48 offset1:1
	s_waitcnt lgkmcnt(1)
	v_mul_f64 v[40:41], v[26:27], v[40:41]
	v_mul_f64 v[60:61], v[26:27], v[38:39]
	v_mov_b32_e32 v38, s13
	s_add_i32 s13, s10, s11
	s_delay_alu instid0(SALU_CYCLE_1) | instskip(SKIP_4) | instid1(SALU_CYCLE_1)
	s_lshl_b32 s13, s13, 3
	v_fma_f64 v[4:5], -v[6:7], v[4:5], v[52:53]
	v_fma_f64 v[10:11], -v[6:7], v[10:11], v[58:59]
	v_mov_b32_e32 v52, s13
	s_add_i32 s13, s6, 0xffffffb0
	s_add_i32 s19, s18, s13
	;; [unrolled: 1-line block ×3, first 2 shown]
	s_lshl_b32 s19, s19, 3
	s_lshl_b32 s20, s20, 3
	;; [unrolled: 1-line block ×3, first 2 shown]
	s_add_i32 s21, s10, s13
	s_delay_alu instid0(SALU_CYCLE_1)
	s_lshl_b32 s21, s21, 3
	s_waitcnt vmcnt(4)
	v_fma_f64 v[32:33], v[32:33], s[4:5], -v[40:41]
	ds_load_2addr_b64 v[38:41], v38 offset1:1
	v_fma_f64 v[56:57], v[30:31], s[4:5], -v[60:61]
	v_fma_f64 v[60:61], -v[6:7], v[8:9], v[46:47]
	v_mov_b32_e32 v8, s14
	v_mov_b32_e32 v30, s19
	s_add_i32 s14, s15, s8
	s_add_i32 s19, s3, 0xfffffd58
	s_lshl_b32 s14, s14, 3
	v_mul_f64 v[4:5], v[4:5], v[54:55]
	ds_load_2addr_b64 v[52:55], v52 offset1:1
	s_waitcnt lgkmcnt(1)
	v_mul_f64 v[40:41], v[26:27], v[40:41]
	v_mul_f64 v[64:65], v[26:27], v[38:39]
	v_fma_f64 v[58:59], -v[28:29], v[44:45], v[32:33]
	v_mov_b32_e32 v45, s14
	v_fma_f64 v[56:57], -v[28:29], v[42:43], v[56:57]
	s_add_i32 s14, s2, -12
	v_mov_b32_e32 v44, s19
	s_add_i32 s19, s14, s9
	s_add_i32 s23, s14, s13
	s_lshl_b32 s19, s19, 3
	s_lshl_b32 s23, s23, 3
	v_fma_f64 v[50:51], -v[4:5], v[50:51], v[10:11]
	ds_load_2addr_b64 v[8:11], v8 offset1:1
	ds_load_2addr_b64 v[30:33], v30 offset1:1
	v_fma_f64 v[48:49], -v[4:5], v[48:49], v[60:61]
	ds_load_b64 v[62:63], v44
	ds_load_2addr_b64 v[44:47], v45 offset1:1
	s_waitcnt vmcnt(2)
	v_fma_f64 v[66:67], v[36:37], s[4:5], -v[40:41]
	v_fma_f64 v[34:35], v[34:35], s[4:5], -v[64:65]
	s_waitcnt lgkmcnt(3)
	v_fma_f64 v[58:59], -v[6:7], v[10:11], v[58:59]
	v_fma_f64 v[8:9], -v[6:7], v[8:9], v[56:57]
	s_waitcnt lgkmcnt(2)
	v_mul_f64 v[10:11], v[50:51], v[32:33]
	v_mov_b32_e32 v32, s19
	s_add_i32 s19, s14, s11
	v_fma_f64 v[50:51], -v[28:29], v[54:55], v[66:67]
	s_lshl_b32 s19, s19, 3
	ds_load_2addr_b64 v[36:39], v32 offset1:1
	v_mov_b32_e32 v32, s19
	s_add_i32 s19, s10, s7
	v_fma_f64 v[52:53], -v[28:29], v[52:53], v[34:35]
	s_lshl_b32 s19, s19, 3
	ds_load_2addr_b64 v[40:43], v32 offset1:1
	s_waitcnt lgkmcnt(2)
	v_fma_f64 v[64:65], -v[4:5], v[46:47], v[58:59]
	v_mov_b32_e32 v46, s20
	v_fma_f64 v[44:45], -v[4:5], v[44:45], v[8:9]
	s_add_i32 s20, s10, s8
	s_waitcnt lgkmcnt(1)
	v_mul_f64 v[38:39], v[26:27], v[38:39]
	v_mul_f64 v[68:69], v[26:27], v[36:37]
	s_lshl_b32 s20, s20, 3
	s_delay_alu instid0(SALU_CYCLE_1)
	v_mov_b32_e32 v58, s20
	v_fma_f64 v[66:67], -v[10:11], v[30:31], v[48:49]
	v_mov_b32_e32 v30, s19
	ds_load_2addr_b64 v[30:33], v30 offset1:1
	ds_load_2addr_b64 v[46:49], v46 offset1:1
	s_add_i32 s19, s15, s18
	s_delay_alu instid0(SALU_CYCLE_1) | instskip(NEXT) | instid1(SALU_CYCLE_1)
	s_lshl_b32 s19, s19, 3
	v_mov_b32_e32 v54, s19
	s_add_i32 s19, s2, -14
	ds_load_2addr_b64 v[54:57], v54 offset1:1
	ds_load_2addr_b64 v[58:61], v58 offset1:1
	s_add_i32 s20, s19, s9
	s_add_i32 s22, s19, s7
	s_lshl_b32 s20, s20, 3
	s_lshl_b32 s22, s22, 3
	s_waitcnt lgkmcnt(3)
	v_fma_f64 v[50:51], -v[6:7], v[32:33], v[50:51]
	s_waitcnt vmcnt(1)
	v_fma_f64 v[18:19], v[18:19], s[4:5], -v[38:39]
	s_waitcnt lgkmcnt(2)
	v_fma_f64 v[48:49], -v[10:11], v[48:49], v[64:65]
	v_mov_b32_e32 v32, s20
	s_add_i32 s20, s19, s11
	v_fma_f64 v[30:31], -v[6:7], v[30:31], v[52:53]
	s_lshl_b32 s20, s20, 3
	ds_load_2addr_b64 v[32:35], v32 offset1:1
	v_mov_b32_e32 v36, s20
	s_add_i32 s20, s14, s7
	s_delay_alu instid0(SALU_CYCLE_1)
	s_lshl_b32 s20, s20, 3
	v_mul_f64 v[8:9], v[66:67], v[62:63]
	ds_load_2addr_b64 v[36:39], v36 offset1:1
	v_fma_f64 v[62:63], v[16:17], s[4:5], -v[68:69]
	v_fma_f64 v[66:67], -v[10:11], v[46:47], v[44:45]
	v_mov_b32_e32 v16, s20
	s_add_i32 s20, s3, 0xfffffcd0
	s_delay_alu instid0(SALU_CYCLE_1) | instskip(SKIP_1) | instid1(SALU_CYCLE_1)
	v_mov_b32_e32 v46, s20
	s_add_i32 s20, s10, s18
	s_lshl_b32 s20, s20, 3
	s_waitcnt lgkmcnt(1)
	v_mul_f64 v[34:35], v[26:27], v[34:35]
	v_mul_f64 v[70:71], v[26:27], v[32:33]
	v_fma_f64 v[60:61], -v[4:5], v[60:61], v[50:51]
	v_fma_f64 v[64:65], -v[28:29], v[42:43], v[18:19]
	v_mov_b32_e32 v42, s21
	ds_load_2addr_b64 v[16:19], v16 offset1:1
	ds_load_2addr_b64 v[42:45], v42 offset1:1
	ds_load_b64 v[68:69], v46
	v_fma_f64 v[58:59], -v[4:5], v[58:59], v[30:31]
	s_add_i32 s21, s14, s8
	v_mov_b32_e32 v46, s20
	s_add_i32 s20, s2, -16
	s_lshl_b32 s21, s21, 3
	s_add_i32 s9, s20, s9
	v_fma_f64 v[56:57], -v[8:9], v[56:57], v[48:49]
	v_mov_b32_e32 v50, s21
	v_fma_f64 v[40:41], -v[28:29], v[40:41], v[62:63]
	s_lshl_b32 s21, s9, 3
	s_add_i32 s9, s6, 0xffffff90
	v_mov_b32_e32 v30, s21
	s_add_i32 s21, s15, s9
	ds_load_2addr_b64 v[46:49], v46 offset1:1
	ds_load_2addr_b64 v[50:53], v50 offset1:1
	s_lshl_b32 s21, s21, 3
	s_add_i32 s11, s20, s11
	ds_load_2addr_b64 v[30:33], v30 offset1:1
	s_lshl_b32 s11, s11, 3
	s_add_i32 s7, s20, s7
	s_delay_alu instid0(SALU_CYCLE_1)
	s_lshl_b32 s7, s7, 3
	s_waitcnt vmcnt(0)
	v_fma_f64 v[34:35], v[14:15], s[4:5], -v[34:35]
	v_fma_f64 v[12:13], v[12:13], s[4:5], -v[70:71]
	s_waitcnt lgkmcnt(4)
	v_fma_f64 v[44:45], -v[10:11], v[44:45], v[60:61]
	v_fma_f64 v[18:19], -v[6:7], v[18:19], v[64:65]
	;; [unrolled: 1-line block ×3, first 2 shown]
	v_mov_b32_e32 v54, s21
	s_add_i32 s21, s3, 0xfffffc48
	v_fma_f64 v[72:73], -v[10:11], v[42:43], v[58:59]
	ds_load_b64 v[62:63], v54
	v_mov_b32_e32 v42, s21
	s_add_i32 s21, s14, s18
	s_delay_alu instid0(SALU_CYCLE_1)
	s_lshl_b32 s21, s21, 3
	s_waitcnt lgkmcnt(4)
	v_mul_f64 v[14:15], v[56:57], v[68:69]
	v_mov_b32_e32 v58, s21
	v_fma_f64 v[70:71], -v[6:7], v[16:17], v[40:41]
	v_mov_b32_e32 v16, s22
	s_add_i32 s22, s19, s8
	s_add_i32 s21, s19, s13
	s_lshl_b32 s22, s22, 3
	s_lshl_b32 s21, s21, 3
	s_add_i32 s8, s20, s8
	s_add_i32 s13, s20, s13
	s_lshl_b32 s8, s8, 3
	s_lshl_b32 s13, s13, 3
	v_fma_f64 v[68:69], -v[28:29], v[38:39], v[34:35]
	v_fma_f64 v[36:37], -v[28:29], v[36:37], v[12:13]
	s_waitcnt lgkmcnt(3)
	v_fma_f64 v[48:49], -v[8:9], v[48:49], v[44:45]
	s_waitcnt lgkmcnt(2)
	v_fma_f64 v[52:53], -v[4:5], v[52:53], v[18:19]
	ds_load_2addr_b64 v[16:19], v16 offset1:1
	s_waitcnt lgkmcnt(2)
	v_mul_f64 v[66:67], v[26:27], v[32:33]
	v_mov_b32_e32 v32, s23
	v_mul_f64 v[30:31], v[26:27], v[30:31]
	v_fma_f64 v[46:47], -v[8:9], v[46:47], v[72:73]
	ds_load_2addr_b64 v[32:35], v32 offset1:1
	v_mov_b32_e32 v54, s11
	s_lshl_b32 s11, s15, 4
	s_add_i32 s15, s10, s9
	s_waitcnt lgkmcnt(2)
	v_fma_f64 v[74:75], -v[14:15], v[62:63], v[60:61]
	s_lshl_b32 s15, s15, 3
	ds_load_2addr_b64 v[54:57], v54 offset1:1
	v_mov_b32_e32 v38, s15
	ds_load_2addr_b64 v[38:41], v38 offset1:1
	ds_load_b64 v[76:77], v42
	v_fma_f64 v[50:51], -v[4:5], v[50:51], v[70:71]
	s_add_i32 s15, s10, s11
	v_mov_b32_e32 v62, s22
	s_lshl_b32 s15, s15, 3
	s_delay_alu instid0(SALU_CYCLE_1)
	v_mov_b32_e32 v42, s15
	s_waitcnt lgkmcnt(4)
	v_fma_f64 v[18:19], -v[6:7], v[18:19], v[68:69]
	ds_load_2addr_b64 v[42:45], v42 offset1:1
	ds_load_2addr_b64 v[58:61], v58 offset1:1
	;; [unrolled: 1-line block ×3, first 2 shown]
	s_add_i32 s15, s14, s9
	s_waitcnt lgkmcnt(6)
	v_fma_f64 v[34:35], -v[10:11], v[34:35], v[52:53]
	s_waitcnt lgkmcnt(4)
	v_fma_f64 v[40:41], -v[14:15], v[40:41], v[48:49]
	v_fma_f64 v[2:3], v[2:3], s[4:5], -v[66:67]
	v_fma_f64 v[52:53], -v[6:7], v[16:17], v[36:37]
	v_fma_f64 v[68:69], v[0:1], s[4:5], -v[30:31]
	v_mov_b32_e32 v0, s7
	s_lshl_b32 s7, s15, 3
	s_add_i32 s15, s3, 0xfffffbc0
	v_mov_b32_e32 v16, s21
	v_mov_b32_e32 v30, s7
	s_add_i32 s7, s14, s11
	s_add_i32 s21, s19, s9
	s_waitcnt lgkmcnt(3)
	v_mul_f64 v[12:13], v[74:75], v[76:77]
	s_lshl_b32 s7, s7, 3
	s_lshl_b32 s21, s21, 3
	s_add_i32 s9, s20, s9
	s_delay_alu instid0(SALU_CYCLE_1)
	s_lshl_b32 s9, s9, 3
	v_fma_f64 v[50:51], -v[10:11], v[32:33], v[50:51]
	s_waitcnt lgkmcnt(1)
	v_fma_f64 v[60:61], -v[8:9], v[60:61], v[34:35]
	v_mov_b32_e32 v34, s15
	v_fma_f64 v[48:49], -v[28:29], v[56:57], v[2:3]
	s_waitcnt lgkmcnt(0)
	v_fma_f64 v[56:57], -v[4:5], v[64:65], v[18:19]
	v_fma_f64 v[64:65], -v[14:15], v[38:39], v[46:47]
	ds_load_2addr_b64 v[0:3], v0 offset1:1
	ds_load_2addr_b64 v[16:19], v16 offset1:1
	;; [unrolled: 1-line block ×3, first 2 shown]
	ds_load_b64 v[70:71], v34
	v_fma_f64 v[52:53], -v[4:5], v[62:63], v[52:53]
	v_fma_f64 v[54:55], -v[28:29], v[54:55], v[68:69]
	v_mov_b32_e32 v34, s7
	s_add_i32 s7, s6, 0xffffff70
	v_fma_f64 v[66:67], -v[12:13], v[44:45], v[40:41]
	v_mov_b32_e32 v44, s8
	s_add_i32 s8, s10, s7
	s_add_i32 s15, s19, s18
	s_lshl_b32 s8, s8, 3
	s_lshl_b32 s15, s15, 3
	s_delay_alu instid0(SALU_CYCLE_1)
	v_mov_b32_e32 v38, s15
	ds_load_2addr_b64 v[34:37], v34 offset1:1
	ds_load_2addr_b64 v[38:41], v38 offset1:1
	;; [unrolled: 1-line block ×3, first 2 shown]
	v_fma_f64 v[50:51], -v[8:9], v[58:59], v[50:51]
	s_add_i32 s15, s14, s7
	s_waitcnt lgkmcnt(4)
	v_fma_f64 v[32:33], -v[14:15], v[32:33], v[60:61]
	v_fma_f64 v[48:49], -v[6:7], v[2:3], v[48:49]
	;; [unrolled: 1-line block ×4, first 2 shown]
	v_mov_b32_e32 v56, s8
	s_add_i32 s8, s3, 0xfffffb38
	s_addk_i32 s3, 0xfab0
	v_fma_f64 v[60:61], -v[10:11], v[16:17], v[52:53]
	v_fma_f64 v[68:69], -v[6:7], v[0:1], v[54:55]
	ds_load_b64 v[56:57], v56
	v_mov_b32_e32 v0, s13
	s_waitcnt lgkmcnt(4)
	v_mul_f64 v[2:3], v[66:67], v[70:71]
	s_lshl_b32 s13, s15, 3
	v_mov_b32_e32 v1, s21
	s_add_i32 s15, s20, s18
	s_delay_alu instid0(SALU_CYCLE_1) | instskip(NEXT) | instid1(SALU_CYCLE_1)
	s_lshl_b32 s15, s15, 3
	v_mov_b32_e32 v54, s15
	v_fma_f64 v[64:65], -v[14:15], v[30:31], v[50:51]
	s_waitcnt lgkmcnt(3)
	v_fma_f64 v[36:37], -v[12:13], v[36:37], v[32:33]
	s_waitcnt lgkmcnt(1)
	v_fma_f64 v[58:59], -v[4:5], v[46:47], v[48:49]
	v_fma_f64 v[62:63], -v[8:9], v[40:41], v[18:19]
	v_mov_b32_e32 v40, s13
	v_mov_b32_e32 v46, s8
	ds_load_2addr_b64 v[16:19], v0 offset1:1
	ds_load_2addr_b64 v[30:33], v1 offset1:1
	s_lshl_b32 s8, s10, 4
	v_fma_f64 v[38:39], -v[8:9], v[38:39], v[60:61]
	s_add_i32 s10, s14, s8
	s_add_i32 s13, s19, s11
	s_lshl_b32 s10, s10, 3
	s_waitcnt lgkmcnt(2)
	v_fma_f64 v[66:67], -v[2:3], v[56:57], v[42:43]
	ds_load_2addr_b64 v[40:43], v40 offset1:1
	ds_load_b64 v[0:1], v46
	s_lshl_b32 s13, s13, 3
	v_mov_b32_e32 v46, s10
	v_mov_b32_e32 v50, s13
	ds_load_2addr_b64 v[46:49], v46 offset1:1
	ds_load_2addr_b64 v[50:53], v50 offset1:1
	;; [unrolled: 1-line block ×3, first 2 shown]
	s_add_i32 s10, s19, s7
	s_add_i32 s7, s20, s7
	s_lshl_b32 s10, s10, 3
	v_fma_f64 v[34:35], -v[12:13], v[34:35], v[64:65]
	s_lshl_b32 s7, s7, 3
	s_waitcnt lgkmcnt(4)
	v_fma_f64 v[36:37], -v[2:3], v[42:43], v[36:37]
	v_fma_f64 v[42:43], -v[4:5], v[44:45], v[68:69]
	;; [unrolled: 1-line block ×4, first 2 shown]
	s_waitcnt lgkmcnt(3)
	v_mul_f64 v[0:1], v[66:67], v[0:1]
	v_fma_f64 v[58:59], -v[2:3], v[40:41], v[34:35]
	v_mov_b32_e32 v34, s3
	s_add_i32 s3, s19, s8
	s_add_i32 s8, s20, s8
	s_lshl_b32 s3, s3, 3
	s_lshl_b32 s8, s8, 3
	v_fma_f64 v[42:43], -v[10:11], v[16:17], v[42:43]
	s_waitcnt lgkmcnt(0)
	v_fma_f64 v[44:45], -v[8:9], v[56:57], v[18:19]
	v_fma_f64 v[56:57], -v[14:15], v[30:31], v[38:39]
	;; [unrolled: 1-line block ×3, first 2 shown]
	v_mov_b32_e32 v16, s9
	v_mov_b32_e32 v30, s10
	ds_load_2addr_b64 v[16:19], v16 offset1:1
	ds_load_2addr_b64 v[30:33], v30 offset1:1
	ds_load_b64 v[60:61], v34
	s_add_i32 s9, s20, s11
	v_fma_f64 v[48:49], -v[0:1], v[48:49], v[36:37]
	s_lshl_b32 s9, s9, 3
	v_mov_b32_e32 v34, s3
	s_add_i32 s3, s6, 0xffffff50
	v_mov_b32_e32 v38, s9
	s_add_i32 s9, s14, s3
	ds_load_2addr_b64 v[34:37], v34 offset1:1
	ds_load_2addr_b64 v[38:41], v38 offset1:1
	s_lshl_b32 s9, s9, 3
	v_fma_f64 v[46:47], -v[0:1], v[46:47], v[58:59]
	v_fma_f64 v[42:43], -v[8:9], v[54:55], v[42:43]
	s_waitcnt lgkmcnt(4)
	v_fma_f64 v[44:45], -v[14:15], v[18:19], v[44:45]
	v_fma_f64 v[50:51], -v[12:13], v[50:51], v[56:57]
	s_waitcnt lgkmcnt(3)
	v_fma_f64 v[32:33], -v[2:3], v[32:33], v[52:53]
	s_waitcnt lgkmcnt(2)
	v_mul_f64 v[18:19], v[48:49], v[60:61]
	v_mov_b32_e32 v48, s9
	s_mul_i32 s9, s2, 0x88
	s_delay_alu instid0(SALU_CYCLE_1)
	s_add_i32 s10, s9, 0xfffff9a0
	ds_load_b64 v[48:49], v48
	v_mov_b32_e32 v52, s10
	s_add_i32 s10, s19, s3
	s_add_i32 s3, s20, s3
	s_lshl_b32 s10, s10, 3
	s_lshl_b32 s3, s3, 3
	ds_load_b64 v[52:53], v52
	v_fma_f64 v[60:61], -v[14:15], v[16:17], v[42:43]
	s_waitcnt lgkmcnt(2)
	v_fma_f64 v[54:55], -v[12:13], v[40:41], v[44:45]
	v_fma_f64 v[56:57], -v[2:3], v[30:31], v[50:51]
	;; [unrolled: 1-line block ×3, first 2 shown]
	v_dual_mov_b32 v16, s7 :: v_dual_mov_b32 v17, s10
	ds_load_2addr_b64 v[30:33], v16 offset1:1
	ds_load_2addr_b64 v[40:43], v17 offset1:1
	s_lshl_b32 s7, s14, 4
	s_waitcnt lgkmcnt(3)
	v_fma_f64 v[58:59], -v[18:19], v[48:49], v[46:47]
	s_add_i32 s10, s19, s7
	v_mov_b32_e32 v17, s8
	s_lshl_b32 s10, s10, 3
	s_add_i32 s8, s6, 0xffffff30
	v_mov_b32_e32 v16, s10
	ds_load_2addr_b64 v[44:47], v16 offset1:1
	ds_load_2addr_b64 v[48:51], v17 offset1:1
	s_add_i32 s10, s19, s8
	s_add_i32 s6, s6, s20
	s_lshl_b32 s10, s10, 3
	v_fma_f64 v[38:39], -v[12:13], v[38:39], v[60:61]
	s_waitcnt lgkmcnt(3)
	v_fma_f64 v[32:33], -v[2:3], v[32:33], v[54:55]
	v_fma_f64 v[34:35], -v[0:1], v[34:35], v[56:57]
	s_waitcnt lgkmcnt(2)
	v_fma_f64 v[36:37], -v[18:19], v[42:43], v[36:37]
	v_mul_f64 v[16:17], v[58:59], v[52:53]
	v_fma_f64 v[52:53], -v[2:3], v[30:31], v[38:39]
	s_waitcnt lgkmcnt(0)
	v_fma_f64 v[42:43], -v[0:1], v[50:51], v[32:33]
	v_fma_f64 v[50:51], -v[18:19], v[40:41], v[34:35]
	v_mov_b32_e32 v30, s3
	v_mov_b32_e32 v34, s10
	s_add_i32 s3, s20, s7
	s_add_i32 s7, s9, 0xfffff890
	s_lshl_b32 s3, s3, 3
	s_delay_alu instid0(SALU_CYCLE_1)
	v_dual_mov_b32 v38, s7 :: v_dual_mov_b32 v39, s3
	s_add_i32 s3, s20, s8
	v_fma_f64 v[46:47], -v[16:17], v[46:47], v[36:37]
	ds_load_2addr_b64 v[30:33], v30 offset1:1
	ds_load_2addr_b64 v[34:37], v34 offset1:1
	ds_load_b64 v[54:55], v38
	ds_load_2addr_b64 v[38:41], v39 offset1:1
	s_lshl_b32 s3, s3, 3
	s_waitcnt lgkmcnt(3)
	v_fma_f64 v[42:43], -v[18:19], v[32:33], v[42:43]
	v_fma_f64 v[44:45], -v[16:17], v[44:45], v[50:51]
	s_waitcnt lgkmcnt(2)
	v_mul_f64 v[32:33], v[46:47], v[36:37]
	v_fma_f64 v[36:37], -v[0:1], v[48:49], v[52:53]
	s_waitcnt lgkmcnt(0)
	s_delay_alu instid0(VALU_DEP_4) | instskip(NEXT) | instid1(VALU_DEP_3)
	v_fma_f64 v[46:47], -v[16:17], v[40:41], v[42:43]
	v_fma_f64 v[44:45], -v[32:33], v[34:35], v[44:45]
	s_delay_alu instid0(VALU_DEP_3) | instskip(SKIP_2) | instid1(SALU_CYCLE_1)
	v_fma_f64 v[48:49], -v[18:19], v[30:31], v[36:37]
	v_mov_b32_e32 v30, s3
	s_lshl_b32 s3, s19, 4
	s_add_i32 s3, s20, s3
	ds_load_2addr_b64 v[34:37], v30 offset1:1
	s_lshl_b32 s3, s3, 3
	s_delay_alu instid0(SALU_CYCLE_1) | instskip(SKIP_1) | instid1(SALU_CYCLE_1)
	v_mov_b32_e32 v30, s3
	s_lshl_b32 s3, s6, 3
	s_addk_i32 s3, 0xf880
	ds_load_2addr_b64 v[40:43], v30 offset1:1
	s_waitcnt lgkmcnt(1)
	v_fma_f64 v[36:37], -v[32:33], v[36:37], v[46:47]
	v_mul_f64 v[30:31], v[44:45], v[54:55]
	v_fma_f64 v[38:39], -v[16:17], v[38:39], v[48:49]
	s_waitcnt lgkmcnt(0)
	s_delay_alu instid0(VALU_DEP_2) | instskip(NEXT) | instid1(VALU_DEP_2)
	v_fma_f64 v[42:43], -v[30:31], v[42:43], v[36:37]
	v_fma_f64 v[38:39], -v[32:33], v[34:35], v[38:39]
	v_mov_b32_e32 v34, s3
	s_add_i32 s3, s9, 0xfffff780
	s_delay_alu instid0(SALU_CYCLE_1)
	v_mov_b32_e32 v44, s3
	s_ashr_i32 s3, s2, 31
	ds_load_2addr_b64 v[34:37], v34 offset1:1
	s_lshl_b64 s[6:7], s[2:3], 3
	ds_load_b64 v[44:45], v44
	s_waitcnt lgkmcnt(1)
	v_mul_f64 v[36:37], v[42:43], v[36:37]
	v_fma_f64 v[38:39], -v[30:31], v[40:41], v[38:39]
	s_delay_alu instid0(VALU_DEP_1)
	v_fma_f64 v[34:35], -v[36:37], v[34:35], v[38:39]
	v_add_co_u32 v38, vcc_lo, v20, s6
	v_add_co_ci_u32_e32 v39, vcc_lo, s7, v21, vcc_lo
	s_sub_i32 s6, s2, 17
	s_clause 0x6
	global_store_b64 v[24:25], v[26:27], off
	global_store_b64 v[38:39], v[28:29], off offset:-16
	global_store_b128 v[38:39], v[4:7], off offset:-32
	global_store_b128 v[38:39], v[8:11], off offset:-48
	;; [unrolled: 1-line block ×5, first 2 shown]
	s_waitcnt lgkmcnt(0)
	v_mul_f64 v[34:35], v[34:35], v[44:45]
	s_clause 0x1
	global_store_b128 v[38:39], v[30:33], off offset:-112
	global_store_b128 v[38:39], v[34:37], off offset:-128
	s_cmp_gt_i32 s6, -1
	s_cbranch_scc1 .LBB83_43
	s_branch .LBB83_61
.LBB83_42:
	s_mov_b32 s6, s12
	s_delay_alu instid0(SALU_CYCLE_1)
	s_cmp_gt_i32 s6, -1
	s_cbranch_scc0 .LBB83_61
.LBB83_43:
	s_cmp_lt_u32 s6, 11
	s_cbranch_scc1 .LBB83_48
; %bb.44:
	s_mov_b32 s7, 0
	s_delay_alu instid0(SALU_CYCLE_1)
	s_lshl_b64 s[8:9], s[6:7], 3
	s_cmp_le_i32 s12, s6
	v_add_co_u32 v4, vcc_lo, v20, s8
	v_add_co_ci_u32_e32 v5, vcc_lo, s9, v21, vcc_lo
	s_clause 0x5
	global_load_b128 v[0:3], v[4:5], off offset:-8
	global_load_b128 v[6:9], v[4:5], off offset:-24
	;; [unrolled: 1-line block ×6, first 2 shown]
	s_waitcnt vmcnt(5)
	v_mul_f64 v[10:11], v[2:3], s[4:5]
	v_mul_f64 v[28:29], v[0:1], s[4:5]
	s_waitcnt vmcnt(4)
	v_mul_f64 v[14:15], v[8:9], s[4:5]
	v_mul_f64 v[26:27], v[6:7], s[4:5]
	;; [unrolled: 3-line block ×6, first 2 shown]
	s_cbranch_scc1 .LBB83_47
; %bb.45:
	s_lshl_b32 s3, s2, 7
	s_lshl_b32 s7, s6, 3
	s_ashr_i32 s13, s12, 31
	s_add_i32 s3, s3, s7
	s_lshl_b64 s[8:9], s[12:13], 3
	s_addk_i32 s3, 0xff28
	s_add_u32 s7, s16, s8
	s_addc_u32 s8, s17, s9
	s_add_u32 s7, s7, s0
	s_addc_u32 s8, s8, s1
	v_add_co_u32 v30, vcc_lo, s7, v22
	v_add_co_ci_u32_e32 v31, vcc_lo, s8, v23, vcc_lo
	s_mov_b32 s7, s12
	s_set_inst_prefetch_distance 0x1
	.p2align	6
.LBB83_46:                              ; =>This Inner Loop Header: Depth=1
	global_load_b64 v[56:57], v[30:31], off
	v_mov_b32_e32 v52, s3
	v_add_co_u32 v30, vcc_lo, v30, -8
	v_add_co_ci_u32_e32 v31, vcc_lo, -1, v31, vcc_lo
	ds_load_2addr_b64 v[32:35], v52 offset0:10 offset1:11
	ds_load_2addr_b64 v[36:39], v52 offset0:8 offset1:9
	;; [unrolled: 1-line block ×5, first 2 shown]
	ds_load_2addr_b64 v[52:55], v52 offset1:1
	s_add_i32 s7, s7, -1
	s_addk_i32 s3, 0xff80
	s_cmp_gt_i32 s7, s6
	s_waitcnt vmcnt(0) lgkmcnt(5)
	v_fma_f64 v[10:11], -v[56:57], v[34:35], v[10:11]
	v_fma_f64 v[28:29], -v[56:57], v[32:33], v[28:29]
	s_waitcnt lgkmcnt(4)
	v_fma_f64 v[14:15], -v[56:57], v[38:39], v[14:15]
	v_fma_f64 v[26:27], -v[56:57], v[36:37], v[26:27]
	s_waitcnt lgkmcnt(3)
	;; [unrolled: 3-line block ×5, first 2 shown]
	v_fma_f64 v[8:9], -v[56:57], v[54:55], v[8:9]
	v_fma_f64 v[6:7], -v[56:57], v[52:53], v[6:7]
	s_cbranch_scc1 .LBB83_46
.LBB83_47:
	s_set_inst_prefetch_distance 0x2
	s_add_i32 s8, s6, -1
	s_lshl_b32 s7, s6, 4
	s_add_i32 s11, s6, -3
	s_add_i32 s3, s8, s7
	s_lshl_b32 s10, s8, 4
	s_lshl_b32 s3, s3, 3
	s_add_i32 s8, s11, s10
	v_mov_b32_e32 v30, s3
	s_mul_i32 s3, s6, 0x88
	s_lshl_b32 s8, s8, 3
	s_add_i32 s9, s3, 0xffffff78
	s_add_i32 s14, s6, -5
	ds_load_2addr_b64 v[30:33], v30 offset1:1
	v_mov_b32_e32 v34, s9
	s_add_i32 s9, s11, s7
	s_delay_alu instid0(SALU_CYCLE_1)
	s_lshl_b32 s9, s9, 3
	ds_load_b64 v[36:37], v34
	s_waitcnt lgkmcnt(1)
	v_mul_f64 v[10:11], v[10:11], v[32:33]
	v_mov_b32_e32 v32, s8
	s_sub_i32 s8, s7, 32
	s_delay_alu instid0(SALU_CYCLE_1)
	s_add_i32 s13, s11, s8
	s_add_i32 s15, s14, s8
	s_lshl_b32 s13, s13, 3
	s_lshl_b32 s15, s15, 3
	;; [unrolled: 1-line block ×3, first 2 shown]
	ds_load_2addr_b64 v[32:35], v32 offset1:1
	v_fma_f64 v[38:39], -v[10:11], v[30:31], v[28:29]
	v_mov_b32_e32 v28, s9
	s_add_i32 s9, s14, s7
	s_delay_alu instid0(SALU_CYCLE_1)
	s_lshl_b32 s9, s9, 3
	ds_load_2addr_b64 v[28:31], v28 offset1:1
	s_waitcnt lgkmcnt(0)
	v_fma_f64 v[30:31], -v[10:11], v[30:31], v[14:15]
	v_fma_f64 v[42:43], -v[10:11], v[28:29], v[26:27]
	v_mov_b32_e32 v26, s9
	s_add_i32 s9, s14, s10
	s_delay_alu instid0(SALU_CYCLE_1) | instskip(SKIP_3) | instid1(SALU_CYCLE_1)
	s_lshl_b32 s9, s9, 3
	v_mul_f64 v[14:15], v[38:39], v[36:37]
	v_mov_b32_e32 v39, s9
	s_add_i32 s9, s6, -7
	s_add_i32 s20, s9, s8
	s_delay_alu instid0(SALU_CYCLE_1) | instskip(NEXT) | instid1(VALU_DEP_2)
	s_lshl_b32 s20, s20, 3
	v_fma_f64 v[30:31], -v[14:15], v[34:35], v[30:31]
	v_mov_b32_e32 v34, s13
	v_fma_f64 v[32:33], -v[14:15], v[32:33], v[42:43]
	ds_load_2addr_b64 v[26:29], v26 offset1:1
	ds_load_2addr_b64 v[34:37], v34 offset1:1
	s_add_i32 s13, s3, 0xfffffe68
	s_delay_alu instid0(SALU_CYCLE_1) | instskip(SKIP_3) | instid1(SALU_CYCLE_1)
	v_mov_b32_e32 v38, s13
	ds_load_b64 v[44:45], v38
	ds_load_2addr_b64 v[38:41], v39 offset1:1
	s_add_i32 s13, s9, s7
	s_lshl_b32 s13, s13, 3
	s_waitcnt lgkmcnt(3)
	v_fma_f64 v[28:29], -v[10:11], v[28:29], v[2:3]
	s_waitcnt lgkmcnt(2)
	v_mul_f64 v[2:3], v[30:31], v[36:37]
	v_fma_f64 v[36:37], -v[10:11], v[26:27], v[24:25]
	v_mov_b32_e32 v24, s13
	s_add_i32 s13, s14, s11
	s_delay_alu instid0(SALU_CYCLE_1) | instskip(SKIP_1) | instid1(VALU_DEP_4)
	s_lshl_b32 s13, s13, 3
	s_waitcnt lgkmcnt(0)
	v_fma_f64 v[46:47], -v[14:15], v[40:41], v[28:29]
	v_mov_b32_e32 v28, s15
	ds_load_2addr_b64 v[24:27], v24 offset1:1
	ds_load_2addr_b64 v[28:31], v28 offset1:1
	s_add_i32 s15, s9, s10
	s_delay_alu instid0(SALU_CYCLE_1) | instskip(NEXT) | instid1(SALU_CYCLE_1)
	s_lshl_b32 s15, s15, 3
	v_mov_b32_e32 v40, s15
	s_sub_i32 s15, s7, 64
	s_delay_alu instid0(SALU_CYCLE_1)
	s_add_i32 s19, s14, s15
	v_fma_f64 v[48:49], -v[2:3], v[34:35], v[32:33]
	v_fma_f64 v[36:37], -v[14:15], v[38:39], v[36:37]
	v_mov_b32_e32 v32, s13
	s_add_i32 s13, s6, -9
	ds_load_2addr_b64 v[32:35], v32 offset1:1
	ds_load_2addr_b64 v[40:43], v40 offset1:1
	s_add_i32 s18, s13, s7
	s_add_i32 s21, s13, s8
	s_waitcnt lgkmcnt(3)
	v_fma_f64 v[26:27], -v[10:11], v[26:27], v[0:1]
	v_fma_f64 v[18:19], -v[10:11], v[24:25], v[18:19]
	s_lshl_b32 s18, s18, 3
	s_lshl_b32 s21, s21, 3
	v_mov_b32_e32 v24, s18
	s_lshl_b32 s18, s19, 3
	s_add_i32 s19, s13, s10
	s_lshl_b32 s14, s14, 4
	s_lshl_b32 s19, s19, 3
	s_waitcnt lgkmcnt(2)
	v_fma_f64 v[30:31], -v[2:3], v[30:31], v[46:47]
	v_mov_b32_e32 v46, s19
	s_add_i32 s19, s6, -11
	s_delay_alu instid0(SALU_CYCLE_1)
	s_add_i32 s10, s19, s10
	s_add_i32 s8, s19, s8
	s_lshl_b32 s10, s10, 3
	s_lshl_b32 s8, s8, 3
	v_mul_f64 v[0:1], v[48:49], v[44:45]
	v_fma_f64 v[50:51], -v[2:3], v[28:29], v[36:37]
	v_mov_b32_e32 v28, s20
	s_add_i32 s20, s9, s15
	s_delay_alu instid0(SALU_CYCLE_1) | instskip(SKIP_2) | instid1(VALU_DEP_4)
	s_lshl_b32 s20, s20, 3
	s_waitcnt lgkmcnt(0)
	v_fma_f64 v[38:39], -v[14:15], v[42:43], v[26:27]
	v_fma_f64 v[52:53], -v[0:1], v[34:35], v[30:31]
	v_mov_b32_e32 v34, s18
	ds_load_2addr_b64 v[24:27], v24 offset1:1
	ds_load_2addr_b64 v[28:31], v28 offset1:1
	;; [unrolled: 1-line block ×3, first 2 shown]
	v_fma_f64 v[32:33], -v[0:1], v[32:33], v[50:51]
	s_add_i32 s18, s3, 0xfffffd58
	s_delay_alu instid0(SALU_CYCLE_1) | instskip(SKIP_1) | instid1(SALU_CYCLE_1)
	v_mov_b32_e32 v42, s18
	s_add_i32 s18, s9, s11
	s_lshl_b32 s18, s18, 3
	s_delay_alu instid0(SALU_CYCLE_1) | instskip(SKIP_4) | instid1(SALU_CYCLE_1)
	v_mov_b32_e32 v43, s18
	ds_load_b64 v[56:57], v42
	ds_load_2addr_b64 v[42:45], v43 offset1:1
	ds_load_2addr_b64 v[46:49], v46 offset1:1
	s_add_i32 s18, s19, s7
	s_lshl_b32 s18, s18, 3
	s_waitcnt lgkmcnt(5)
	v_fma_f64 v[16:17], -v[10:11], v[26:27], v[16:17]
	v_fma_f64 v[26:27], -v[14:15], v[40:41], v[18:19]
	s_waitcnt lgkmcnt(4)
	v_fma_f64 v[30:31], -v[2:3], v[30:31], v[38:39]
	v_fma_f64 v[12:13], -v[10:11], v[24:25], v[12:13]
	v_mov_b32_e32 v24, s18
	s_waitcnt lgkmcnt(3)
	v_mul_f64 v[18:19], v[52:53], v[36:37]
	v_mov_b32_e32 v52, s10
	s_add_i32 s10, s13, s15
	s_delay_alu instid0(SALU_CYCLE_1)
	s_lshl_b32 s10, s10, 3
	s_waitcnt lgkmcnt(0)
	v_fma_f64 v[16:17], -v[14:15], v[48:49], v[16:17]
	v_fma_f64 v[40:41], -v[2:3], v[28:29], v[26:27]
	;; [unrolled: 1-line block ×3, first 2 shown]
	v_mov_b32_e32 v28, s21
	ds_load_2addr_b64 v[24:27], v24 offset1:1
	ds_load_2addr_b64 v[28:31], v28 offset1:1
	v_fma_f64 v[12:13], -v[14:15], v[46:47], v[12:13]
	s_add_i32 s21, s13, s11
	s_delay_alu instid0(SALU_CYCLE_1) | instskip(NEXT) | instid1(SALU_CYCLE_1)
	s_lshl_b32 s21, s21, 3
	v_mov_b32_e32 v48, s21
	v_fma_f64 v[58:59], -v[18:19], v[34:35], v[32:33]
	v_mov_b32_e32 v32, s20
	s_add_i32 s20, s9, s14
	s_delay_alu instid0(SALU_CYCLE_1)
	s_lshl_b32 s20, s20, 3
	ds_load_2addr_b64 v[32:35], v32 offset1:1
	v_mov_b32_e32 v36, s20
	ds_load_2addr_b64 v[36:39], v36 offset1:1
	ds_load_2addr_b64 v[48:51], v48 offset1:1
	;; [unrolled: 1-line block ×3, first 2 shown]
	s_waitcnt lgkmcnt(5)
	v_fma_f64 v[8:9], -v[10:11], v[26:27], v[8:9]
	v_fma_f64 v[46:47], -v[10:11], v[24:25], v[6:7]
	v_mov_b32_e32 v6, s8
	s_add_i32 s8, s3, 0xfffffcd0
	v_mov_b32_e32 v24, s10
	s_add_i32 s10, s19, s11
	s_delay_alu instid0(SALU_CYCLE_1)
	s_lshl_b32 s10, s10, 3
	s_waitcnt lgkmcnt(4)
	v_fma_f64 v[26:27], -v[2:3], v[30:31], v[16:17]
	v_fma_f64 v[30:31], -v[0:1], v[42:43], v[40:41]
	s_waitcnt lgkmcnt(3)
	v_fma_f64 v[34:35], -v[18:19], v[34:35], v[44:45]
	v_fma_f64 v[12:13], -v[2:3], v[28:29], v[12:13]
	v_mov_b32_e32 v28, s8
	s_add_i32 s8, s13, s14
	s_delay_alu instid0(SALU_CYCLE_1)
	s_lshl_b32 s8, s8, 3
	v_mul_f64 v[16:17], v[58:59], v[56:57]
	s_waitcnt lgkmcnt(0)
	v_fma_f64 v[40:41], -v[14:15], v[54:55], v[8:9]
	v_fma_f64 v[42:43], -v[0:1], v[50:51], v[26:27]
	;; [unrolled: 1-line block ×3, first 2 shown]
	ds_load_2addr_b64 v[6:9], v6 offset1:1
	ds_load_2addr_b64 v[24:27], v24 offset1:1
	ds_load_b64 v[50:51], v28
	v_mov_b32_e32 v28, s8
	s_add_i32 s8, s7, 0xffffffa0
	v_mov_b32_e32 v32, s10
	s_add_i32 s10, s9, s8
	s_add_i32 s11, s13, s8
	v_fma_f64 v[12:13], -v[0:1], v[48:49], v[12:13]
	s_lshl_b32 s10, s10, 3
	s_lshl_b32 s11, s11, 3
	;; [unrolled: 1-line block ×3, first 2 shown]
	s_add_i32 s8, s19, s8
	s_addk_i32 s7, 0xff80
	s_lshl_b32 s8, s8, 3
	v_fma_f64 v[38:39], -v[16:17], v[38:39], v[34:35]
	ds_load_2addr_b64 v[28:31], v28 offset1:1
	ds_load_2addr_b64 v[32:35], v32 offset1:1
	s_waitcnt lgkmcnt(4)
	v_fma_f64 v[40:41], -v[2:3], v[8:9], v[40:41]
	s_waitcnt lgkmcnt(3)
	v_fma_f64 v[26:27], -v[18:19], v[26:27], v[42:43]
	v_fma_f64 v[36:37], -v[16:17], v[36:37], v[44:45]
	v_mov_b32_e32 v42, s10
	s_add_i32 s10, s19, s15
	s_delay_alu instid0(SALU_CYCLE_1)
	s_lshl_b32 s10, s10, 3
	ds_load_b64 v[42:43], v42
	v_fma_f64 v[12:13], -v[18:19], v[24:25], v[12:13]
	s_waitcnt lgkmcnt(3)
	v_mul_f64 v[8:9], v[38:39], v[50:51]
	v_fma_f64 v[38:39], -v[14:15], v[52:53], v[46:47]
	s_waitcnt lgkmcnt(1)
	v_fma_f64 v[46:47], -v[0:1], v[34:35], v[40:41]
	v_fma_f64 v[30:31], -v[16:17], v[30:31], v[26:27]
	;; [unrolled: 1-line block ×3, first 2 shown]
	s_waitcnt lgkmcnt(0)
	v_fma_f64 v[48:49], -v[8:9], v[42:43], v[36:37]
	v_fma_f64 v[50:51], -v[2:3], v[6:7], v[38:39]
	v_mov_b32_e32 v6, s10
	s_add_i32 s10, s3, 0xfffffc48
	s_delay_alu instid0(SALU_CYCLE_1)
	v_dual_mov_b32 v7, s11 :: v_dual_mov_b32 v38, s10
	ds_load_2addr_b64 v[24:27], v6 offset1:1
	ds_load_2addr_b64 v[34:37], v7 offset1:1
	ds_load_b64 v[6:7], v38
	s_add_i32 s10, s13, s9
	s_add_i32 s11, s19, s14
	s_lshl_b32 s10, s10, 3
	s_lshl_b32 s11, s11, 3
	v_mov_b32_e32 v38, s10
	v_mov_b32_e32 v42, s11
	ds_load_2addr_b64 v[38:41], v38 offset1:1
	ds_load_2addr_b64 v[42:45], v42 offset1:1
	s_add_i32 s10, s3, 0xfffffbc0
	s_waitcnt lgkmcnt(4)
	v_fma_f64 v[26:27], -v[18:19], v[26:27], v[46:47]
	s_waitcnt lgkmcnt(3)
	v_fma_f64 v[28:29], -v[8:9], v[36:37], v[30:31]
	v_fma_f64 v[12:13], -v[8:9], v[34:35], v[12:13]
	s_waitcnt lgkmcnt(2)
	v_mul_f64 v[6:7], v[48:49], v[6:7]
	v_fma_f64 v[30:31], -v[0:1], v[32:33], v[50:51]
	s_waitcnt lgkmcnt(0)
	v_fma_f64 v[32:33], -v[16:17], v[44:45], v[26:27]
	s_delay_alu instid0(VALU_DEP_3) | instskip(NEXT) | instid1(VALU_DEP_3)
	v_fma_f64 v[34:35], -v[6:7], v[40:41], v[28:29]
	v_fma_f64 v[36:37], -v[18:19], v[24:25], v[30:31]
	v_mov_b32_e32 v24, s8
	v_mov_b32_e32 v28, s10
	ds_load_2addr_b64 v[24:27], v24 offset1:1
	ds_load_b64 v[40:41], v28
	v_fma_f64 v[12:13], -v[6:7], v[38:39], v[12:13]
	s_add_i32 s8, s19, s9
	s_delay_alu instid0(SALU_CYCLE_1) | instskip(NEXT) | instid1(SALU_CYCLE_1)
	s_lshl_b32 s8, s8, 3
	v_mov_b32_e32 v28, s8
	s_add_i32 s8, s13, s7
	s_add_i32 s7, s19, s7
	s_lshl_b32 s8, s8, 3
	s_lshl_b32 s7, s7, 3
	ds_load_2addr_b64 v[28:31], v28 offset1:1
	s_waitcnt lgkmcnt(2)
	v_fma_f64 v[32:33], -v[8:9], v[26:27], v[32:33]
	s_waitcnt lgkmcnt(1)
	v_mul_f64 v[26:27], v[34:35], v[40:41]
	v_fma_f64 v[34:35], -v[16:17], v[42:43], v[36:37]
	v_mov_b32_e32 v36, s8
	s_add_i32 s8, s3, 0xfffffb38
	ds_load_b64 v[36:37], v36
	s_waitcnt lgkmcnt(1)
	v_fma_f64 v[38:39], -v[6:7], v[30:31], v[32:33]
	s_waitcnt lgkmcnt(0)
	v_fma_f64 v[12:13], -v[26:27], v[36:37], v[12:13]
	v_fma_f64 v[40:41], -v[8:9], v[24:25], v[34:35]
	v_dual_mov_b32 v24, s7 :: v_dual_mov_b32 v25, s8
	ds_load_2addr_b64 v[30:33], v24 offset1:1
	ds_load_b64 v[24:25], v25
	s_lshl_b32 s7, s13, 4
	s_delay_alu instid0(SALU_CYCLE_1) | instskip(NEXT) | instid1(SALU_CYCLE_1)
	s_add_i32 s19, s19, s7
	s_lshl_b32 s7, s19, 3
	s_delay_alu instid0(SALU_CYCLE_1)
	v_mov_b32_e32 v34, s7
	s_add_i32 s7, s3, 0xfffffab0
	s_addk_i32 s3, 0xfa28
	ds_load_2addr_b64 v[34:37], v34 offset1:1
	s_waitcnt lgkmcnt(2)
	v_fma_f64 v[32:33], -v[26:27], v[32:33], v[38:39]
	s_waitcnt lgkmcnt(1)
	v_mul_f64 v[24:25], v[12:13], v[24:25]
	v_fma_f64 v[12:13], -v[6:7], v[28:29], v[40:41]
	s_waitcnt lgkmcnt(0)
	s_delay_alu instid0(VALU_DEP_2) | instskip(NEXT) | instid1(VALU_DEP_2)
	v_fma_f64 v[28:29], -v[24:25], v[36:37], v[32:33]
	v_fma_f64 v[12:13], -v[26:27], v[30:31], v[12:13]
	v_mov_b32_e32 v30, s7
	s_add_i32 s7, s18, 0xfffffb00
	v_mov_b32_e32 v32, s3
	ds_load_b64 v[30:31], v30
	ds_load_b64 v[32:33], v32
	s_waitcnt lgkmcnt(1)
	v_mul_f64 v[30:31], v[28:29], v[30:31]
	v_fma_f64 v[12:13], -v[24:25], v[34:35], v[12:13]
	v_mov_b32_e32 v28, s7
	s_ashr_i32 s7, s6, 31
	s_delay_alu instid0(SALU_CYCLE_1) | instskip(SKIP_4) | instid1(VALU_DEP_1)
	s_lshl_b64 s[8:9], s[6:7], 3
	s_add_i32 s6, s6, -12
	ds_load_b64 v[28:29], v28
	s_waitcnt lgkmcnt(0)
	v_fma_f64 v[12:13], -v[30:31], v[28:29], v[12:13]
	v_mul_f64 v[28:29], v[12:13], v[32:33]
	v_add_co_u32 v12, vcc_lo, v20, s8
	v_add_co_ci_u32_e32 v13, vcc_lo, s9, v21, vcc_lo
	s_clause 0x6
	global_store_b64 v[12:13], v[14:15], off offset:-8
	global_store_b128 v[12:13], v[0:3], off offset:-24
	global_store_b128 v[12:13], v[16:19], off offset:-40
	;; [unrolled: 1-line block ×4, first 2 shown]
	global_store_b64 v[4:5], v[10:11], off
	global_store_b128 v[12:13], v[28:31], off offset:-88
.LBB83_48:
	s_cmp_lt_i32 s6, 0
	s_cbranch_scc1 .LBB83_61
; %bb.49:
	s_bitcmp1_b32 s6, 0
	s_mov_b32 s8, s6
	s_cselect_b32 s3, -1, 0
	s_delay_alu instid0(SALU_CYCLE_1)
	s_and_b32 vcc_lo, exec_lo, s3
	s_cbranch_vccnz .LBB83_54
; %bb.50:
	s_mov_b32 s7, 0
	s_delay_alu instid0(SALU_CYCLE_1)
	s_lshl_b64 s[8:9], s[6:7], 3
	s_cmp_le_i32 s12, s6
	v_add_co_u32 v0, vcc_lo, v20, s8
	v_add_co_ci_u32_e32 v1, vcc_lo, s9, v21, vcc_lo
	global_load_b64 v[2:3], v[0:1], off
	s_waitcnt vmcnt(0)
	v_mul_f64 v[2:3], v[2:3], s[4:5]
	s_cbranch_scc1 .LBB83_53
; %bb.51:
	s_lshl_b32 s3, s2, 7
	s_lshl_b32 s7, s6, 3
	s_ashr_i32 s13, s12, 31
	s_add_i32 s3, s3, s7
	s_lshl_b64 s[8:9], s[12:13], 3
	s_addk_i32 s3, 0xff80
	s_add_u32 s7, s16, s8
	s_addc_u32 s8, s17, s9
	s_add_u32 s7, s7, s0
	s_addc_u32 s8, s8, s1
	v_add_co_u32 v4, vcc_lo, s7, v22
	v_add_co_ci_u32_e32 v5, vcc_lo, s8, v23, vcc_lo
	s_mov_b32 s7, s12
.LBB83_52:                              ; =>This Inner Loop Header: Depth=1
	global_load_b64 v[6:7], v[4:5], off
	v_mov_b32_e32 v8, s3
	v_add_co_u32 v4, vcc_lo, v4, -8
	v_add_co_ci_u32_e32 v5, vcc_lo, -1, v5, vcc_lo
	ds_load_b64 v[8:9], v8
	s_add_i32 s7, s7, -1
	s_addk_i32 s3, 0xff80
	s_cmp_gt_i32 s7, s6
	s_waitcnt vmcnt(0) lgkmcnt(0)
	v_fma_f64 v[2:3], -v[6:7], v[8:9], v[2:3]
	s_cbranch_scc1 .LBB83_52
.LBB83_53:
	s_mul_i32 s3, s6, 0x88
	s_add_i32 s8, s6, -1
	v_mov_b32_e32 v4, s3
	ds_load_b64 v[4:5], v4
	s_waitcnt lgkmcnt(0)
	v_mul_f64 v[2:3], v[2:3], v[4:5]
	global_store_b64 v[0:1], v[2:3], off
.LBB83_54:
	s_cmp_eq_u32 s6, 0
	s_mov_b32 s9, 0
	s_cbranch_scc1 .LBB83_61
; %bb.55:
	s_lshl_b32 s3, s2, 7
	s_lshl_b32 s6, s8, 3
	s_ashr_i32 s13, s12, 31
	s_add_i32 s10, s3, s6
	s_lshl_b64 s[6:7], s[12:13], 3
	s_add_i32 s3, s10, 0xffffff80
	s_add_u32 s6, s16, s6
	s_addc_u32 s7, s17, s7
	s_add_u32 s0, s6, s0
	s_addc_u32 s1, s7, s1
	v_add_co_u32 v0, vcc_lo, s0, v22
	v_add_co_ci_u32_e32 v1, vcc_lo, s1, v23, vcc_lo
	s_add_i32 s0, s10, 0xffffff78
	s_branch .LBB83_57
.LBB83_56:                              ;   in Loop: Header=BB83_57 Depth=1
	s_addk_i32 s1, 0xff78
	s_add_i32 s3, s3, -16
	v_mov_b32_e32 v6, s1
	s_add_i32 s1, s8, -2
	s_add_i32 s0, s0, -16
	s_cmp_lt_i32 s8, 2
	s_mov_b32 s8, s1
	ds_load_b64 v[6:7], v6
	s_waitcnt lgkmcnt(0)
	v_mul_f64 v[4:5], v[4:5], v[6:7]
	global_store_b64 v[2:3], v[4:5], off offset:-8
	s_cbranch_scc1 .LBB83_61
.LBB83_57:                              ; =>This Loop Header: Depth=1
                                        ;     Child Loop BB83_58 Depth 2
                                        ;     Child Loop BB83_60 Depth 2
	s_lshl_b64 s[6:7], s[8:9], 3
	s_delay_alu instid0(VALU_DEP_1)
	v_dual_mov_b32 v5, v1 :: v_dual_mov_b32 v4, v0
	v_add_co_u32 v2, vcc_lo, v20, s6
	v_add_co_ci_u32_e32 v3, vcc_lo, s7, v21, vcc_lo
	s_cmp_le_i32 s12, s8
	s_mov_b32 s1, s3
	s_mov_b32 s6, s12
	global_load_b64 v[2:3], v[2:3], off
	s_waitcnt vmcnt(0)
	v_mul_f64 v[2:3], v[2:3], s[4:5]
	s_cbranch_scc1 .LBB83_59
.LBB83_58:                              ;   Parent Loop BB83_57 Depth=1
                                        ; =>  This Inner Loop Header: Depth=2
	global_load_b64 v[6:7], v[4:5], off
	v_mov_b32_e32 v8, s1
	v_add_co_u32 v4, vcc_lo, v4, -8
	v_add_co_ci_u32_e32 v5, vcc_lo, -1, v5, vcc_lo
	ds_load_b64 v[8:9], v8
	s_add_i32 s6, s6, -1
	s_addk_i32 s1, 0xff80
	s_cmp_gt_i32 s6, s8
	s_waitcnt vmcnt(0) lgkmcnt(0)
	v_fma_f64 v[2:3], -v[6:7], v[8:9], v[2:3]
	s_cbranch_scc1 .LBB83_58
.LBB83_59:                              ;   in Loop: Header=BB83_57 Depth=1
	s_add_i32 s6, s8, -1
	s_mov_b32 s7, s9
	s_mul_i32 s1, s8, 0x88
	s_lshl_b64 s[6:7], s[6:7], 3
	v_mov_b32_e32 v6, s1
	v_add_co_u32 v4, vcc_lo, v20, s6
	v_add_co_ci_u32_e32 v5, vcc_lo, s7, v21, vcc_lo
	ds_load_b64 v[6:7], v6
	s_ashr_i32 s7, s8, 31
	s_mov_b32 s6, s8
	global_load_b64 v[4:5], v[4:5], off
	s_lshl_b64 s[6:7], s[6:7], 3
	s_cmp_lt_i32 s12, s8
	s_waitcnt lgkmcnt(0)
	v_mul_f64 v[8:9], v[2:3], v[6:7]
	v_add_co_u32 v2, vcc_lo, v20, s6
	v_add_co_ci_u32_e32 v3, vcc_lo, s7, v21, vcc_lo
	v_dual_mov_b32 v7, v1 :: v_dual_mov_b32 v6, v0
	s_mov_b32 s6, s0
	s_mov_b32 s7, s2
	global_store_b64 v[2:3], v[8:9], off
	s_waitcnt vmcnt(0)
	v_mul_f64 v[4:5], v[4:5], s[4:5]
	s_cbranch_scc1 .LBB83_56
.LBB83_60:                              ;   Parent Loop BB83_57 Depth=1
                                        ; =>  This Inner Loop Header: Depth=2
	global_load_b64 v[8:9], v[6:7], off
	v_mov_b32_e32 v10, s6
	v_add_co_u32 v6, vcc_lo, v6, -8
	v_add_co_ci_u32_e32 v7, vcc_lo, -1, v7, vcc_lo
	ds_load_b64 v[10:11], v10
	s_add_i32 s7, s7, -1
	s_addk_i32 s6, 0xff80
	s_cmp_gt_i32 s7, s8
	s_waitcnt vmcnt(0) lgkmcnt(0)
	v_fma_f64 v[4:5], -v[8:9], v[10:11], v[4:5]
	s_cbranch_scc1 .LBB83_60
	s_branch .LBB83_56
.LBB83_61:
	s_nop 0
	s_sendmsg sendmsg(MSG_DEALLOC_VGPRS)
	s_endpgm
	.section	.rodata,"a",@progbits
	.p2align	6, 0x0
	.amdhsa_kernel _ZL30rocblas_trsm_small_left_deviceILi16ELi16ELb0EddPKPKdPKPdEv13rocblas_fill_18rocblas_operation_17rocblas_diagonal_iiT3_T4_lilT5_lili
		.amdhsa_group_segment_fixed_size 2048
		.amdhsa_private_segment_fixed_size 0
		.amdhsa_kernarg_size 360
		.amdhsa_user_sgpr_count 14
		.amdhsa_user_sgpr_dispatch_ptr 0
		.amdhsa_user_sgpr_queue_ptr 0
		.amdhsa_user_sgpr_kernarg_segment_ptr 1
		.amdhsa_user_sgpr_dispatch_id 0
		.amdhsa_user_sgpr_private_segment_size 0
		.amdhsa_wavefront_size32 1
		.amdhsa_uses_dynamic_stack 0
		.amdhsa_enable_private_segment 0
		.amdhsa_system_sgpr_workgroup_id_x 1
		.amdhsa_system_sgpr_workgroup_id_y 0
		.amdhsa_system_sgpr_workgroup_id_z 1
		.amdhsa_system_sgpr_workgroup_info 0
		.amdhsa_system_vgpr_workitem_id 0
		.amdhsa_next_free_vgpr 85
		.amdhsa_next_free_sgpr 32
		.amdhsa_reserve_vcc 1
		.amdhsa_float_round_mode_32 0
		.amdhsa_float_round_mode_16_64 0
		.amdhsa_float_denorm_mode_32 3
		.amdhsa_float_denorm_mode_16_64 3
		.amdhsa_dx10_clamp 1
		.amdhsa_ieee_mode 1
		.amdhsa_fp16_overflow 0
		.amdhsa_workgroup_processor_mode 1
		.amdhsa_memory_ordered 1
		.amdhsa_forward_progress 0
		.amdhsa_shared_vgpr_count 0
		.amdhsa_exception_fp_ieee_invalid_op 0
		.amdhsa_exception_fp_denorm_src 0
		.amdhsa_exception_fp_ieee_div_zero 0
		.amdhsa_exception_fp_ieee_overflow 0
		.amdhsa_exception_fp_ieee_underflow 0
		.amdhsa_exception_fp_ieee_inexact 0
		.amdhsa_exception_int_div_zero 0
	.end_amdhsa_kernel
	.section	.text._ZL30rocblas_trsm_small_left_deviceILi16ELi16ELb0EddPKPKdPKPdEv13rocblas_fill_18rocblas_operation_17rocblas_diagonal_iiT3_T4_lilT5_lili,"axG",@progbits,_ZL30rocblas_trsm_small_left_deviceILi16ELi16ELb0EddPKPKdPKPdEv13rocblas_fill_18rocblas_operation_17rocblas_diagonal_iiT3_T4_lilT5_lili,comdat
.Lfunc_end83:
	.size	_ZL30rocblas_trsm_small_left_deviceILi16ELi16ELb0EddPKPKdPKPdEv13rocblas_fill_18rocblas_operation_17rocblas_diagonal_iiT3_T4_lilT5_lili, .Lfunc_end83-_ZL30rocblas_trsm_small_left_deviceILi16ELi16ELb0EddPKPKdPKPdEv13rocblas_fill_18rocblas_operation_17rocblas_diagonal_iiT3_T4_lilT5_lili
                                        ; -- End function
	.section	.AMDGPU.csdata,"",@progbits
; Kernel info:
; codeLenInByte = 12296
; NumSgprs: 34
; NumVgprs: 85
; ScratchSize: 0
; MemoryBound: 1
; FloatMode: 240
; IeeeMode: 1
; LDSByteSize: 2048 bytes/workgroup (compile time only)
; SGPRBlocks: 4
; VGPRBlocks: 10
; NumSGPRsForWavesPerEU: 34
; NumVGPRsForWavesPerEU: 85
; Occupancy: 16
; WaveLimiterHint : 1
; COMPUTE_PGM_RSRC2:SCRATCH_EN: 0
; COMPUTE_PGM_RSRC2:USER_SGPR: 14
; COMPUTE_PGM_RSRC2:TRAP_HANDLER: 0
; COMPUTE_PGM_RSRC2:TGID_X_EN: 1
; COMPUTE_PGM_RSRC2:TGID_Y_EN: 0
; COMPUTE_PGM_RSRC2:TGID_Z_EN: 1
; COMPUTE_PGM_RSRC2:TIDIG_COMP_CNT: 0
	.section	.text._ZL38rocblas_trsm_small_left_device_sharedBILi16ELi16ELb1EddPKPKdPKPdEv13rocblas_fill_18rocblas_operation_17rocblas_diagonal_iiT3_T4_lilT5_lili,"axG",@progbits,_ZL38rocblas_trsm_small_left_device_sharedBILi16ELi16ELb1EddPKPKdPKPdEv13rocblas_fill_18rocblas_operation_17rocblas_diagonal_iiT3_T4_lilT5_lili,comdat
	.globl	_ZL38rocblas_trsm_small_left_device_sharedBILi16ELi16ELb1EddPKPKdPKPdEv13rocblas_fill_18rocblas_operation_17rocblas_diagonal_iiT3_T4_lilT5_lili ; -- Begin function _ZL38rocblas_trsm_small_left_device_sharedBILi16ELi16ELb1EddPKPKdPKPdEv13rocblas_fill_18rocblas_operation_17rocblas_diagonal_iiT3_T4_lilT5_lili
	.p2align	8
	.type	_ZL38rocblas_trsm_small_left_device_sharedBILi16ELi16ELb1EddPKPKdPKPdEv13rocblas_fill_18rocblas_operation_17rocblas_diagonal_iiT3_T4_lilT5_lili,@function
_ZL38rocblas_trsm_small_left_device_sharedBILi16ELi16ELb1EddPKPKdPKPdEv13rocblas_fill_18rocblas_operation_17rocblas_diagonal_iiT3_T4_lilT5_lili: ; @_ZL38rocblas_trsm_small_left_device_sharedBILi16ELi16ELb1EddPKPKdPKPdEv13rocblas_fill_18rocblas_operation_17rocblas_diagonal_iiT3_T4_lilT5_lili
; %bb.0:
	s_load_b128 s[16:19], s[0:1], 0x40
	s_mov_b32 s12, s15
	s_mov_b32 s13, 0
	s_clause 0x1
	s_load_b128 s[4:7], s[0:1], 0x4
	s_load_b64 s[20:21], s[0:1], 0x28
	s_lshl_b64 s[22:23], s[12:13], 3
	s_mov_b32 s12, exec_lo
	s_waitcnt lgkmcnt(0)
	s_add_u32 s2, s16, s22
	s_addc_u32 s3, s17, s23
	s_load_b128 s[8:11], s[0:1], 0x18
	s_load_b64 s[2:3], s[2:3], 0x0
	s_min_i32 s28, s6, 16
	s_delay_alu instid0(SALU_CYCLE_1)
	s_add_i32 s29, s28, -1
	v_cmpx_gt_i32_e64 s28, v0
	s_cbranch_execz .LBB84_10
; %bb.1:
	s_load_b32 s16, s[0:1], 0x30
	s_waitcnt lgkmcnt(0)
	s_ashr_i32 s17, s16, 31
	s_add_u32 s10, s10, s22
	s_addc_u32 s11, s11, s23
	s_cmp_lt_u32 s29, 3
	s_load_b64 s[10:11], s[10:11], 0x0
	s_cbranch_scc1 .LBB84_4
; %bb.2:
	v_lshlrev_b32_e32 v3, 3, v0
	s_lshl_b64 s[22:23], s[20:21], 3
	s_mul_i32 s30, s16, 24
	s_waitcnt lgkmcnt(0)
	s_add_u32 s13, s10, s22
	s_addc_u32 s15, s11, s23
	v_add_co_u32 v1, s13, s13, v3
	s_delay_alu instid0(VALU_DEP_1)
	v_add_co_ci_u32_e64 v2, null, s15, 0, s13
	s_and_b32 s13, s28, -4
	s_mul_hi_i32 s15, s16, 24
	s_lshl_b64 s[22:23], s[16:17], 5
	s_lshl_b64 s[24:25], s[16:17], 4
	s_lshl_b64 s[26:27], s[16:17], 3
	s_mov_b32 s31, 0
	.p2align	6
.LBB84_3:                               ; =>This Inner Loop Header: Depth=1
	v_add_co_u32 v4, vcc_lo, v1, s26
	v_add_co_ci_u32_e32 v5, vcc_lo, s27, v2, vcc_lo
	v_add_co_u32 v6, vcc_lo, v1, s24
	v_add_co_ci_u32_e32 v7, vcc_lo, s25, v2, vcc_lo
	;; [unrolled: 2-line block ×3, first 2 shown]
	s_clause 0x3
	global_load_b64 v[10:11], v[1:2], off
	global_load_b64 v[4:5], v[4:5], off
	;; [unrolled: 1-line block ×4, first 2 shown]
	v_add_co_u32 v1, vcc_lo, v1, s22
	v_add_co_ci_u32_e32 v2, vcc_lo, s23, v2, vcc_lo
	s_add_i32 s31, s31, 4
	s_waitcnt vmcnt(2)
	ds_store_2addr_b64 v3, v[10:11], v[4:5] offset1:16
	s_waitcnt vmcnt(0)
	ds_store_2addr_b64 v3, v[6:7], v[8:9] offset0:32 offset1:48
	v_add_nc_u32_e32 v3, 0x200, v3
	s_cmp_eq_u32 s13, s31
	s_cbranch_scc0 .LBB84_3
.LBB84_4:
	s_and_b32 s15, s28, 3
	s_delay_alu instid0(SALU_CYCLE_1)
	s_cmp_eq_u32 s15, 0
	s_cbranch_scc1 .LBB84_7
; %bb.5:
	s_mul_i32 s22, s17, s13
	s_mul_hi_u32 s23, s16, s13
	v_lshlrev_b32_e32 v1, 3, v0
	s_add_i32 s23, s23, s22
	s_mul_i32 s22, s16, s13
	s_lshl_b64 s[20:21], s[20:21], 3
	s_lshl_b64 s[22:23], s[22:23], 3
	v_lshl_or_b32 v3, s13, 7, v1
	s_add_u32 s13, s22, s20
	s_addc_u32 s20, s23, s21
	s_waitcnt lgkmcnt(0)
	s_add_u32 s10, s10, s13
	s_addc_u32 s11, s11, s20
	v_add_co_u32 v1, s10, s10, v1
	s_delay_alu instid0(VALU_DEP_1)
	v_add_co_ci_u32_e64 v2, null, s11, 0, s10
	s_lshl_b64 s[10:11], s[16:17], 3
.LBB84_6:                               ; =>This Inner Loop Header: Depth=1
	global_load_b64 v[4:5], v[1:2], off
	v_add_co_u32 v1, vcc_lo, v1, s10
	v_add_co_ci_u32_e32 v2, vcc_lo, s11, v2, vcc_lo
	s_add_i32 s15, s15, -1
	s_delay_alu instid0(SALU_CYCLE_1)
	s_cmp_lg_u32 s15, 0
	s_waitcnt vmcnt(0)
	ds_store_b64 v3, v[4:5]
	v_add_nc_u32_e32 v3, 0x80, v3
	s_cbranch_scc1 .LBB84_6
.LBB84_7:
	v_mul_u32_u24_e32 v3, 17, v0
	v_mov_b32_e32 v1, 0
	v_mov_b32_e32 v2, 0x3ff00000
	s_cmpk_lg_i32 s5, 0x84
	s_delay_alu instid0(VALU_DEP_3)
	v_lshlrev_b32_e32 v3, 3, v3
	s_cbranch_scc0 .LBB84_9
; %bb.8:
	ds_load_b64 v[1:2], v3
	s_waitcnt lgkmcnt(0)
	v_div_scale_f64 v[4:5], null, v[1:2], v[1:2], 1.0
	s_delay_alu instid0(VALU_DEP_1) | instskip(SKIP_2) | instid1(VALU_DEP_1)
	v_rcp_f64_e32 v[6:7], v[4:5]
	s_waitcnt_depctr 0xfff
	v_fma_f64 v[8:9], -v[4:5], v[6:7], 1.0
	v_fma_f64 v[6:7], v[6:7], v[8:9], v[6:7]
	s_delay_alu instid0(VALU_DEP_1) | instskip(NEXT) | instid1(VALU_DEP_1)
	v_fma_f64 v[8:9], -v[4:5], v[6:7], 1.0
	v_fma_f64 v[6:7], v[6:7], v[8:9], v[6:7]
	v_div_scale_f64 v[8:9], vcc_lo, 1.0, v[1:2], 1.0
	s_delay_alu instid0(VALU_DEP_1) | instskip(NEXT) | instid1(VALU_DEP_1)
	v_mul_f64 v[10:11], v[8:9], v[6:7]
	v_fma_f64 v[4:5], -v[4:5], v[10:11], v[8:9]
	s_delay_alu instid0(VALU_DEP_1) | instskip(NEXT) | instid1(VALU_DEP_1)
	v_div_fmas_f64 v[4:5], v[4:5], v[6:7], v[10:11]
	v_div_fixup_f64 v[1:2], v[4:5], v[1:2], 1.0
.LBB84_9:
	ds_store_b64 v3, v[1:2]
.LBB84_10:
	s_or_b32 exec_lo, exec_lo, s12
	s_clause 0x1
	s_load_b32 s5, s[0:1], 0x68
	s_load_b32 s16, s[0:1], 0x50
	s_lshl_b64 s[0:1], s[18:19], 3
	s_waitcnt lgkmcnt(0)
	s_ashr_i32 s17, s16, 31
	s_add_u32 s15, s2, s0
	s_addc_u32 s18, s3, s1
	s_lshl_b32 s10, s14, 4
	s_add_i32 s5, s5, -1
	s_sub_i32 s7, s7, s10
	s_mul_hi_i32 s13, s16, s10
	s_cmp_ge_u32 s14, s5
	s_mul_i32 s12, s16, s10
	s_cselect_b32 s14, s7, 16
	s_lshl_b64 s[12:13], s[12:13], 3
	s_ashr_i32 s11, s10, 31
	s_add_u32 s5, s15, s12
	s_addc_u32 s7, s18, s13
	v_cmp_gt_i32_e32 vcc_lo, s14, v0
	s_cmp_gt_i32 s6, 0
	s_mov_b32 s12, 0
	s_cselect_b32 s13, -1, 0
	s_delay_alu instid0(SALU_CYCLE_1) | instskip(NEXT) | instid1(SALU_CYCLE_1)
	s_and_b32 s18, vcc_lo, s13
	s_and_saveexec_b32 s19, s18
	s_cbranch_execz .LBB84_17
; %bb.11:
	s_cmp_lt_i32 s6, 8
	s_cbranch_scc1 .LBB84_14
; %bb.12:
	v_mad_i64_i32 v[1:2], null, s16, v0, 0
	v_lshl_or_b32 v3, v0, 3, 0x800
	s_lshl_b32 s12, s28, 3
	s_mov_b64 s[14:15], 0
	s_and_b32 s13, s12, 0xc0
	s_mov_b32 s12, 0
	s_delay_alu instid0(VALU_DEP_2) | instskip(NEXT) | instid1(VALU_DEP_1)
	v_lshlrev_b64 v[1:2], 3, v[1:2]
	v_add_co_u32 v1, vcc_lo, s5, v1
	s_delay_alu instid0(VALU_DEP_2)
	v_add_co_ci_u32_e32 v2, vcc_lo, s7, v2, vcc_lo
	s_set_inst_prefetch_distance 0x1
	.p2align	6
.LBB84_13:                              ; =>This Inner Loop Header: Depth=1
	s_delay_alu instid0(VALU_DEP_2) | instskip(NEXT) | instid1(VALU_DEP_2)
	v_add_co_u32 v16, vcc_lo, v1, s14
	v_add_co_ci_u32_e32 v17, vcc_lo, s15, v2, vcc_lo
	s_add_i32 s12, s12, 8
	s_add_u32 s14, s14, 64
	s_addc_u32 s15, s15, 0
	s_clause 0x3
	global_load_b128 v[4:7], v[16:17], off
	global_load_b128 v[8:11], v[16:17], off offset:16
	global_load_b128 v[12:15], v[16:17], off offset:32
	;; [unrolled: 1-line block ×3, first 2 shown]
	s_cmp_lg_u32 s13, s14
	s_waitcnt vmcnt(3)
	v_mul_f64 v[4:5], v[4:5], s[8:9]
	v_mul_f64 v[6:7], v[6:7], s[8:9]
	s_waitcnt vmcnt(2)
	v_mul_f64 v[8:9], v[8:9], s[8:9]
	v_mul_f64 v[10:11], v[10:11], s[8:9]
	;; [unrolled: 3-line block ×4, first 2 shown]
	ds_store_2addr_b64 v3, v[4:5], v[6:7] offset1:16
	ds_store_2addr_b64 v3, v[8:9], v[10:11] offset0:32 offset1:48
	ds_store_2addr_b64 v3, v[12:13], v[14:15] offset0:64 offset1:80
	ds_store_2addr_b64 v3, v[16:17], v[18:19] offset0:96 offset1:112
	v_add_nc_u32_e32 v3, 0x400, v3
	s_cbranch_scc1 .LBB84_13
.LBB84_14:
	s_set_inst_prefetch_distance 0x2
	s_and_b32 s14, s28, 7
	s_mov_b32 s13, 0
	s_cmp_eq_u32 s14, 0
	s_cbranch_scc1 .LBB84_17
; %bb.15:
	v_lshlrev_b32_e32 v3, 3, v0
	s_lshl_b64 s[20:21], s[10:11], 3
	s_lshl_b64 s[22:23], s[12:13], 3
	s_delay_alu instid0(VALU_DEP_1) | instskip(NEXT) | instid1(VALU_DEP_1)
	v_add_co_u32 v4, s13, s20, v3
	v_add_co_ci_u32_e64 v5, null, s21, 0, s13
	s_add_u32 s13, s2, s22
	s_addc_u32 s15, s3, s23
	s_add_u32 s20, s13, s0
	s_addc_u32 s21, s15, s1
	v_mul_lo_u32 v5, v5, s16
	v_mad_u64_u32 v[1:2], null, v4, s16, s[20:21]
	v_mul_lo_u32 v4, v4, s17
	v_lshl_or_b32 v3, s12, 7, v3
	s_delay_alu instid0(VALU_DEP_1) | instskip(NEXT) | instid1(VALU_DEP_3)
	v_add_nc_u32_e32 v3, 0x800, v3
	v_add3_u32 v2, v5, v2, v4
.LBB84_16:                              ; =>This Inner Loop Header: Depth=1
	global_load_b64 v[4:5], v[1:2], off
	v_add_co_u32 v1, vcc_lo, v1, 8
	v_add_co_ci_u32_e32 v2, vcc_lo, 0, v2, vcc_lo
	s_add_i32 s14, s14, -1
	s_delay_alu instid0(SALU_CYCLE_1)
	s_cmp_lg_u32 s14, 0
	s_waitcnt vmcnt(0)
	v_mul_f64 v[4:5], v[4:5], s[8:9]
	ds_store_b64 v3, v[4:5]
	v_add_nc_u32_e32 v3, 0x80, v3
	s_cbranch_scc1 .LBB84_16
.LBB84_17:
	s_or_b32 exec_lo, exec_lo, s19
	s_cmpk_eq_i32 s4, 0x6f
	s_mov_b32 s4, -1
	s_waitcnt vmcnt(0) lgkmcnt(0)
	s_waitcnt_vscnt null, 0x0
	; wave barrier
	s_waitcnt lgkmcnt(0)
	buffer_gl0_inv
	s_cbranch_scc1 .LBB84_40
; %bb.18:
	s_cmp_gt_i32 s6, 15
	s_cbranch_scc0 .LBB84_20
; %bb.19:
	s_mul_i32 s4, s29, 0x88
	s_lshl_b32 s12, s28, 4
	s_add_i32 s14, s4, 0xffffff78
	s_delay_alu instid0(SALU_CYCLE_1) | instskip(SKIP_3) | instid1(VALU_DEP_2)
	v_dual_mov_b32 v6, s14 :: v_dual_lshlrev_b32 v15, 3, v0
	s_sub_i32 s13, s12, 64
	s_sub_i32 s8, s12, 32
	v_or_b32_e32 v5, s13, v0
	v_lshl_or_b32 v16, s29, 7, v15
	v_mov_b32_e32 v3, s4
	s_sub_i32 s9, s12, 48
	s_add_i32 s13, s13, s29
	v_lshlrev_b32_e32 v18, 3, v5
	ds_load_b64 v[1:2], v16 offset:2048
	ds_load_b64 v[7:8], v3
	v_or_b32_e32 v3, s8, v0
	v_or_b32_e32 v4, s9, v0
	s_add_i32 s9, s9, s29
	s_add_i32 s14, s12, 0xffffff80
	s_lshl_b32 s8, s9, 3
	v_lshlrev_b32_e32 v9, 3, v3
	v_lshlrev_b32_e32 v17, 3, v4
	ds_load_2addr_b64 v[3:6], v6 offset1:1
	ds_load_b64 v[9:10], v9 offset:2048
	ds_load_b64 v[11:12], v17 offset:2048
	;; [unrolled: 1-line block ×3, first 2 shown]
	s_add_i32 s9, s12, 0xffffffa0
	s_add_i32 s15, s12, 0xffffff40
	s_waitcnt lgkmcnt(4)
	v_mul_f64 v[1:2], v[1:2], v[7:8]
	s_waitcnt lgkmcnt(2)
	s_delay_alu instid0(VALU_DEP_1)
	v_fma_f64 v[9:10], -v[1:2], v[5:6], v[9:10]
	v_mov_b32_e32 v5, s8
	s_add_i32 s8, s4, 0xfffffef0
	ds_load_b64 v[19:20], v5
	v_mov_b32_e32 v5, s8
	s_lshl_b32 s8, s13, 3
	s_add_i32 s13, s12, 0xffffff90
	s_add_i32 s8, s8, -8
	ds_load_2addr_b64 v[5:8], v5 offset1:1
	s_waitcnt lgkmcnt(1)
	v_fma_f64 v[19:20], -v[1:2], v[19:20], v[11:12]
	v_mul_f64 v[3:4], v[9:10], v[3:4]
	v_mov_b32_e32 v9, s8
	s_add_i32 s8, s4, 0xfffffe68
	s_delay_alu instid0(SALU_CYCLE_1)
	v_mov_b32_e32 v21, s8
	s_add_i32 s8, s12, 0xffffffb0
	ds_load_2addr_b64 v[9:12], v9 offset1:1
	ds_load_2addr_b64 v[23:26], v21 offset1:1
	s_waitcnt lgkmcnt(1)
	v_fma_f64 v[27:28], -v[1:2], v[11:12], v[13:14]
	v_or_b32_e32 v11, s8, v0
	s_add_i32 s8, s8, s29
	v_or_b32_e32 v13, s14, v0
	s_lshl_b32 s8, s8, 3
	s_add_i32 s14, s14, s29
	v_mov_b32_e32 v12, s8
	s_add_i32 s8, s8, -16
	v_lshlrev_b32_e32 v22, 3, v13
	s_lshl_b32 s19, s14, 3
	v_fma_f64 v[7:8], -v[3:4], v[7:8], v[19:20]
	v_lshlrev_b32_e32 v19, 3, v11
	v_or_b32_e32 v11, s9, v0
	ds_load_b64 v[29:30], v12
	ds_load_b64 v[31:32], v19 offset:2048
	s_add_i32 s9, s9, s29
	v_or_b32_e32 v12, s13, v0
	v_dual_mov_b32 v11, s8 :: v_dual_lshlrev_b32 v20, 3, v11
	s_lshl_b32 s8, s9, 3
	s_add_i32 s13, s13, s29
	s_add_i32 s9, s8, -8
	v_lshlrev_b32_e32 v21, 3, v12
	ds_load_b64 v[33:34], v20 offset:2048
	ds_load_b64 v[35:36], v21 offset:2048
	;; [unrolled: 1-line block ×3, first 2 shown]
	ds_load_2addr_b64 v[11:14], v11 offset1:1
	s_lshl_b32 s13, s13, 3
	s_sub_i32 s8, s8, 24
	s_waitcnt lgkmcnt(4)
	v_fma_f64 v[29:30], -v[1:2], v[29:30], v[31:32]
	v_fma_f64 v[27:28], -v[3:4], v[9:10], v[27:28]
	v_mul_f64 v[5:6], v[7:8], v[5:6]
	v_mov_b32_e32 v7, s9
	s_add_i32 s9, s13, -8
	ds_load_2addr_b64 v[7:10], v7 offset1:1
	s_waitcnt lgkmcnt(1)
	v_fma_f64 v[13:14], -v[3:4], v[13:14], v[29:30]
	s_waitcnt lgkmcnt(0)
	v_fma_f64 v[9:10], -v[1:2], v[9:10], v[33:34]
	v_fma_f64 v[33:34], -v[5:6], v[25:26], v[27:28]
	v_mov_b32_e32 v25, s9
	s_sub_i32 s9, s13, 24
	s_sub_i32 s13, s13, 40
	v_mov_b32_e32 v29, s9
	s_add_i32 s9, s4, 0xfffffde0
	ds_load_2addr_b64 v[25:28], v25 offset1:1
	ds_load_2addr_b64 v[29:32], v29 offset1:1
	v_fma_f64 v[13:14], -v[5:6], v[11:12], v[13:14]
	s_waitcnt lgkmcnt(1)
	v_fma_f64 v[27:28], -v[1:2], v[27:28], v[35:36]
	v_fma_f64 v[47:48], -v[3:4], v[7:8], v[9:10]
	v_dual_mov_b32 v9, s19 :: v_dual_mov_b32 v10, s8
	s_add_i32 s8, s4, 0xfffffd58
	s_delay_alu instid0(SALU_CYCLE_1)
	v_mov_b32_e32 v37, s8
	s_add_i32 s8, s12, 0xffffff70
	v_mul_f64 v[7:8], v[33:34], v[23:24]
	v_mov_b32_e32 v33, s9
	ds_load_b64 v[23:24], v9
	ds_load_2addr_b64 v[9:12], v10 offset1:1
	ds_load_2addr_b64 v[33:36], v33 offset1:1
	s_add_i32 s9, s19, -16
	s_delay_alu instid0(SALU_CYCLE_1)
	v_mov_b32_e32 v41, s9
	s_add_i32 s9, s8, s29
	ds_load_2addr_b64 v[37:40], v37 offset1:1
	ds_load_2addr_b64 v[41:44], v41 offset1:1
	s_lshl_b32 s14, s9, 3
	s_add_i32 s9, s12, 0xffffff50
	s_sub_i32 s20, s14, 24
	s_waitcnt lgkmcnt(4)
	v_fma_f64 v[49:50], -v[1:2], v[23:24], v[45:46]
	v_mov_b32_e32 v45, s20
	v_fma_f64 v[27:28], -v[3:4], v[25:26], v[27:28]
	s_waitcnt lgkmcnt(3)
	v_fma_f64 v[51:52], -v[5:6], v[11:12], v[47:48]
	v_or_b32_e32 v11, s8, v0
	s_add_i32 s8, s14, -8
	v_or_b32_e32 v25, s9, v0
	v_mov_b32_e32 v12, s8
	s_add_i32 s8, s12, 0xffffff60
	v_lshlrev_b32_e32 v23, 3, v11
	v_or_b32_e32 v24, s8, v0
	s_add_i32 s8, s8, s29
	v_or_b32_e32 v26, s15, v0
	s_lshl_b32 s8, s8, 3
	s_waitcnt lgkmcnt(2)
	v_fma_f64 v[35:36], -v[7:8], v[35:36], v[13:14]
	ds_load_2addr_b64 v[11:14], v12 offset1:1
	ds_load_b64 v[53:54], v23 offset:2048
	v_lshlrev_b32_e32 v24, 3, v24
	v_lshlrev_b32_e32 v25, 3, v25
	;; [unrolled: 1-line block ×3, first 2 shown]
	ds_load_b64 v[55:56], v24 offset:2048
	ds_load_b64 v[57:58], v25 offset:2048
	;; [unrolled: 1-line block ×3, first 2 shown]
	ds_load_2addr_b64 v[45:48], v45 offset1:1
	s_add_i32 s9, s9, s29
	s_add_i32 s20, s8, -16
	s_lshl_b32 s9, s9, 3
	s_add_i32 s15, s15, s29
	s_sub_i32 s22, s8, 32
	s_waitcnt lgkmcnt(4)
	v_fma_f64 v[13:14], -v[1:2], v[13:14], v[53:54]
	v_fma_f64 v[43:44], -v[3:4], v[43:44], v[49:50]
	;; [unrolled: 1-line block ×4, first 2 shown]
	v_mov_b32_e32 v31, s8
	v_mul_f64 v[9:10], v[35:36], v[33:34]
	ds_load_b64 v[35:36], v31
	v_mov_b32_e32 v31, s20
	s_sub_i32 s20, s19, 32
	ds_load_2addr_b64 v[31:34], v31 offset1:1
	s_waitcnt lgkmcnt(1)
	v_fma_f64 v[35:36], -v[1:2], v[35:36], v[55:56]
	v_fma_f64 v[11:12], -v[3:4], v[11:12], v[13:14]
	;; [unrolled: 1-line block ×4, first 2 shown]
	v_dual_mov_b32 v27, s9 :: v_dual_mov_b32 v28, s20
	s_add_i32 s20, s12, 0xffffff20
	v_fma_f64 v[61:62], -v[9:10], v[39:40], v[49:50]
	v_mov_b32_e32 v39, s13
	ds_load_b64 v[63:64], v27
	ds_load_2addr_b64 v[27:30], v28 offset1:1
	ds_load_2addr_b64 v[39:42], v39 offset1:1
	s_sub_i32 s13, s19, 48
	s_add_i32 s19, s9, -16
	v_mov_b32_e32 v49, s13
	s_lshl_b32 s13, s15, 3
	v_mov_b32_e32 v53, s19
	s_add_i32 s15, s13, -8
	ds_load_2addr_b64 v[49:52], v49 offset1:1
	ds_load_2addr_b64 v[53:56], v53 offset1:1
	s_sub_i32 s21, s13, 24
	s_add_i32 s19, s12, 0xffffff30
	v_fma_f64 v[47:48], -v[5:6], v[47:48], v[11:12]
	s_waitcnt lgkmcnt(4)
	v_fma_f64 v[57:58], -v[1:2], v[63:64], v[57:58]
	v_fma_f64 v[63:64], -v[3:4], v[33:34], v[35:36]
	s_waitcnt lgkmcnt(3)
	v_fma_f64 v[13:14], -v[7:8], v[29:30], v[13:14]
	s_waitcnt lgkmcnt(2)
	v_fma_f64 v[29:30], -v[9:10], v[41:42], v[43:44]
	v_mov_b32_e32 v33, s15
	s_add_i32 s15, s12, 0xffffff10
	s_addk_i32 s12, 0xff00
	ds_load_2addr_b64 v[33:36], v33 offset1:1
	v_mul_f64 v[11:12], v[61:62], v[37:38]
	v_mov_b32_e32 v37, s21
	v_or_b32_e32 v38, s19, v0
	s_add_i32 s19, s19, s29
	s_add_i32 s21, s4, 0xfffffcd0
	v_or_b32_e32 v61, s20, v0
	ds_load_2addr_b64 v[41:44], v37 offset1:1
	s_add_i32 s20, s20, s29
	s_waitcnt lgkmcnt(1)
	v_fma_f64 v[67:68], -v[1:2], v[35:36], v[59:60]
	v_mov_b32_e32 v35, s22
	v_fma_f64 v[71:72], -v[7:8], v[45:46], v[47:48]
	v_fma_f64 v[69:70], -v[3:4], v[55:56], v[57:58]
	;; [unrolled: 1-line block ×4, first 2 shown]
	v_lshlrev_b32_e32 v27, 3, v38
	v_fma_f64 v[39:40], -v[11:12], v[39:40], v[29:30]
	v_or_b32_e32 v30, s12, v0
	s_lshl_b32 s12, s19, 3
	s_sub_i32 s19, s14, 40
	s_delay_alu instid0(SALU_CYCLE_1)
	v_dual_mov_b32 v28, s12 :: v_dual_mov_b32 v45, s19
	ds_load_b64 v[73:74], v28
	ds_load_b64 v[75:76], v27 offset:2048
	v_mov_b32_e32 v28, s21
	ds_load_2addr_b64 v[35:38], v35 offset1:1
	ds_load_2addr_b64 v[45:48], v45 offset1:1
	v_or_b32_e32 v29, s15, v0
	s_sub_i32 s14, s14, 56
	v_fma_f64 v[67:68], -v[3:4], v[33:34], v[67:68]
	ds_load_b64 v[77:78], v28
	v_lshlrev_b32_e32 v28, 3, v61
	s_sub_i32 s19, s8, 48
	v_lshlrev_b32_e32 v29, 3, v29
	v_mov_b32_e32 v55, s14
	s_lshl_b32 s14, s20, 3
	s_add_i32 s21, s12, -16
	v_lshlrev_b32_e32 v30, 3, v30
	v_fma_f64 v[69:70], -v[5:6], v[53:54], v[69:70]
	v_mov_b32_e32 v59, s19
	s_add_i32 s19, s14, -8
	v_mov_b32_e32 v63, s21
	ds_load_b64 v[79:80], v28 offset:2048
	ds_load_b64 v[81:82], v29 offset:2048
	;; [unrolled: 1-line block ×3, first 2 shown]
	ds_load_2addr_b64 v[55:58], v55 offset1:1
	ds_load_2addr_b64 v[59:62], v59 offset1:1
	;; [unrolled: 1-line block ×3, first 2 shown]
	v_mov_b32_e32 v30, s19
	s_waitcnt lgkmcnt(9)
	v_fma_f64 v[73:74], -v[1:2], v[73:74], v[75:76]
	s_waitcnt lgkmcnt(8)
	v_fma_f64 v[75:76], -v[7:8], v[37:38], v[31:32]
	;; [unrolled: 2-line block ×3, first 2 shown]
	v_fma_f64 v[71:72], -v[11:12], v[51:52], v[13:14]
	s_sub_i32 s19, s9, 32
	s_add_i32 s15, s15, s29
	v_mov_b32_e32 v34, s19
	s_sub_i32 s19, s9, 48
	s_lshl_b32 s15, s15, 3
	s_waitcnt lgkmcnt(6)
	v_mul_f64 v[13:14], v[39:40], v[77:78]
	ds_load_2addr_b64 v[30:33], v30 offset1:1
	ds_load_2addr_b64 v[37:40], v34 offset1:1
	v_mov_b32_e32 v34, s19
	s_add_i32 s19, s4, 0xfffffc48
	s_sub_i32 s23, s14, 24
	s_sub_i32 s22, s12, 32
	;; [unrolled: 1-line block ×3, first 2 shown]
	ds_load_2addr_b64 v[51:54], v34 offset1:1
	s_sub_i32 s8, s8, 64
	v_fma_f64 v[43:44], -v[5:6], v[43:44], v[67:68]
	s_waitcnt lgkmcnt(2)
	v_fma_f64 v[77:78], -v[1:2], v[32:33], v[79:80]
	v_mov_b32_e32 v32, s15
	s_waitcnt lgkmcnt(1)
	v_fma_f64 v[39:40], -v[7:8], v[39:40], v[69:70]
	v_fma_f64 v[65:66], -v[3:4], v[65:66], v[73:74]
	;; [unrolled: 1-line block ×4, first 2 shown]
	v_mov_b32_e32 v36, s23
	s_sub_i32 s23, s14, 40
	s_delay_alu instid0(SALU_CYCLE_1)
	v_mov_b32_e32 v73, s23
	v_fma_f64 v[47:48], -v[13:14], v[49:50], v[71:72]
	ds_load_b64 v[49:50], v32
	v_mov_b32_e32 v32, s19
	s_add_i32 s19, s15, -16
	ds_load_b64 v[69:70], v32
	v_mov_b32_e32 v32, s19
	s_add_i32 s19, s28, -16
	s_delay_alu instid0(SALU_CYCLE_1) | instskip(NEXT) | instid1(SALU_CYCLE_1)
	s_lshl_b32 s19, s19, 4
	s_add_i32 s20, s19, s29
	v_fma_f64 v[85:86], -v[7:8], v[41:42], v[43:44]
	s_lshl_b32 s20, s20, 3
	v_mov_b32_e32 v44, s21
	s_add_i32 s24, s20, -8
	ds_load_2addr_b64 v[32:35], v32 offset1:1
	s_sub_i32 s21, s13, 56
	v_fma_f64 v[30:31], -v[3:4], v[30:31], v[77:78]
	s_waitcnt lgkmcnt(2)
	v_fma_f64 v[49:50], -v[1:2], v[49:50], v[81:82]
	v_fma_f64 v[87:88], -v[9:10], v[37:38], v[39:40]
	v_mov_b32_e32 v40, s22
	s_sub_i32 s22, s12, 48
	v_fma_f64 v[81:82], -v[5:6], v[63:64], v[65:66]
	v_fma_f64 v[89:90], -v[11:12], v[61:62], v[67:68]
	;; [unrolled: 1-line block ×3, first 2 shown]
	s_waitcnt lgkmcnt(1)
	v_mul_f64 v[91:92], v[47:48], v[69:70]
	v_mov_b32_e32 v48, s24
	ds_load_2addr_b64 v[36:39], v36 offset1:1
	ds_load_2addr_b64 v[40:43], v40 offset1:1
	;; [unrolled: 1-line block ×3, first 2 shown]
	s_sub_i32 s24, s20, 24
	v_mov_b32_e32 v69, s22
	v_mov_b32_e32 v77, s24
	ds_load_2addr_b64 v[61:64], v48 offset1:1
	v_mov_b32_e32 v48, s21
	s_add_i32 s21, s4, 0xfffffbc0
	ds_load_2addr_b64 v[65:68], v48 offset1:1
	ds_load_2addr_b64 v[69:72], v69 offset1:1
	;; [unrolled: 1-line block ×4, first 2 shown]
	s_addk_i32 s4, 0xfb38
	s_waitcnt lgkmcnt(7)
	v_fma_f64 v[30:31], -v[5:6], v[38:39], v[30:31]
	v_fma_f64 v[34:35], -v[3:4], v[34:35], v[49:50]
	v_mov_b32_e32 v50, s21
	v_fma_f64 v[53:54], -v[11:12], v[53:54], v[87:88]
	s_sub_i32 s21, s15, 48
	s_waitcnt lgkmcnt(6)
	v_fma_f64 v[38:39], -v[7:8], v[42:43], v[81:82]
	s_waitcnt lgkmcnt(5)
	v_fma_f64 v[42:43], -v[9:10], v[46:47], v[85:86]
	v_fma_f64 v[59:60], -v[13:14], v[59:60], v[89:90]
	v_mov_b32_e32 v46, s8
	s_sub_i32 s8, s15, 32
	v_fma_f64 v[55:56], -v[91:92], v[55:56], v[57:58]
	s_waitcnt lgkmcnt(4)
	v_fma_f64 v[57:58], -v[1:2], v[63:64], v[83:84]
	ds_load_2addr_b64 v[46:49], v46 offset1:1
	ds_load_b64 v[63:64], v50
	v_fma_f64 v[83:84], -v[7:8], v[36:37], v[30:31]
	v_fma_f64 v[81:82], -v[5:6], v[32:33], v[34:35]
	v_mov_b32_e32 v30, s8
	v_fma_f64 v[50:51], -v[13:14], v[51:52], v[53:54]
	s_sub_i32 s8, s9, 64
	s_delay_alu instid0(SALU_CYCLE_1)
	v_mov_b32_e32 v34, s8
	ds_load_2addr_b64 v[30:33], v30 offset1:1
	ds_load_2addr_b64 v[34:37], v34 offset1:1
	v_fma_f64 v[85:86], -v[9:10], v[40:41], v[38:39]
	v_fma_f64 v[87:88], -v[11:12], v[44:45], v[42:43]
	s_waitcnt lgkmcnt(3)
	v_fma_f64 v[48:49], -v[91:92], v[48:49], v[59:60]
	s_mul_i32 s8, s28, 0x88
	v_mov_b32_e32 v42, s21
	s_add_i32 s9, s8, 0xfffffa28
	s_sub_i32 s21, s20, 40
	s_waitcnt lgkmcnt(2)
	v_mul_f64 v[89:90], v[55:56], v[63:64]
	v_fma_f64 v[52:53], -v[3:4], v[61:62], v[57:58]
	v_mov_b32_e32 v38, s9
	ds_load_2addr_b64 v[38:41], v38 offset1:1
	ds_load_2addr_b64 v[42:45], v42 offset1:1
	s_sub_i32 s9, s12, 64
	v_fma_f64 v[54:55], -v[9:10], v[75:76], v[83:84]
	s_waitcnt lgkmcnt(3)
	v_fma_f64 v[32:33], -v[7:8], v[32:33], v[81:82]
	s_waitcnt lgkmcnt(2)
	v_fma_f64 v[36:37], -v[91:92], v[36:37], v[50:51]
	v_mov_b32_e32 v50, s4
	s_add_i32 s4, s13, 0xffffffb8
	s_sub_i32 s13, s14, 56
	ds_load_b64 v[50:51], v50
	v_fma_f64 v[56:57], -v[11:12], v[71:72], v[85:86]
	v_fma_f64 v[58:59], -v[13:14], v[67:68], v[87:88]
	;; [unrolled: 1-line block ×6, first 2 shown]
	v_mov_b32_e32 v30, s13
	v_fma_f64 v[81:82], -v[89:90], v[34:35], v[36:37]
	v_mov_b32_e32 v34, s9
	s_add_i32 s9, s14, 0xffffffb8
	s_delay_alu instid0(SALU_CYCLE_1)
	v_mov_b32_e32 v62, s9
	s_add_i32 s9, s14, 0xffffffa8
	v_fma_f64 v[75:76], -v[13:14], v[69:70], v[56:57]
	v_fma_f64 v[79:80], -v[91:92], v[65:66], v[58:59]
	s_waitcnt lgkmcnt(0)
	v_mul_f64 v[83:84], v[46:47], v[50:51]
	v_fma_f64 v[77:78], -v[7:8], v[77:78], v[48:49]
	v_mov_b32_e32 v46, s4
	v_mov_b32_e32 v50, s21
	ds_load_2addr_b64 v[30:33], v30 offset1:1
	ds_load_2addr_b64 v[34:37], v34 offset1:1
	;; [unrolled: 1-line block ×4, first 2 shown]
	s_add_i32 s4, s8, 0xfffff9a0
	s_delay_alu instid0(SALU_CYCLE_1)
	v_mov_b32_e32 v54, s4
	s_add_i32 s4, s12, 0xffffffb0
	s_sub_i32 s12, s20, 56
	v_mov_b32_e32 v58, s4
	s_sub_i32 s4, s15, 64
	v_mov_b32_e32 v66, s12
	ds_load_2addr_b64 v[54:57], v54 offset1:1
	ds_load_2addr_b64 v[58:61], v58 offset1:1
	;; [unrolled: 1-line block ×4, first 2 shown]
	s_add_i32 s12, s20, 0xffffffb8
	v_fma_f64 v[44:45], -v[11:12], v[44:45], v[71:72]
	s_waitcnt lgkmcnt(7)
	v_fma_f64 v[32:33], -v[13:14], v[32:33], v[73:74]
	s_waitcnt lgkmcnt(6)
	;; [unrolled: 2-line block ×3, first 2 shown]
	v_fma_f64 v[48:49], -v[89:90], v[48:49], v[79:80]
	v_fma_f64 v[40:41], -v[83:84], v[40:41], v[81:82]
	s_waitcnt lgkmcnt(4)
	v_fma_f64 v[52:53], -v[9:10], v[52:53], v[77:78]
	v_fma_f64 v[42:43], -v[13:14], v[42:43], v[44:45]
	;; [unrolled: 1-line block ×3, first 2 shown]
	v_mov_b32_e32 v30, s4
	s_add_i32 s4, s15, 0xffffffb0
	ds_load_2addr_b64 v[30:33], v30 offset1:1
	v_fma_f64 v[70:71], -v[89:90], v[34:35], v[36:37]
	v_fma_f64 v[46:47], -v[83:84], v[46:47], v[48:49]
	v_mov_b32_e32 v34, s4
	s_add_i32 s4, s8, 0xfffff918
	ds_load_2addr_b64 v[34:37], v34 offset1:1
	v_mul_f64 v[72:73], v[40:41], v[38:39]
	v_fma_f64 v[38:39], -v[11:12], v[50:51], v[52:53]
	s_waitcnt lgkmcnt(1)
	v_fma_f64 v[32:33], -v[91:92], v[32:33], v[42:43]
	v_fma_f64 v[40:41], -v[89:90], v[64:65], v[44:45]
	;; [unrolled: 1-line block ×7, first 2 shown]
	v_mov_b32_e32 v30, s9
	s_add_i32 s9, s20, 0xffffffa8
	s_delay_alu instid0(SALU_CYCLE_1)
	v_mov_b32_e32 v50, s9
	v_fma_f64 v[58:59], -v[72:73], v[58:59], v[42:43]
	v_mov_b32_e32 v42, s12
	v_mul_f64 v[54:55], v[44:45], v[54:55]
	v_fma_f64 v[62:63], -v[91:92], v[66:67], v[38:39]
	v_mov_b32_e32 v38, s4
	ds_load_2addr_b64 v[30:33], v30 offset1:1
	ds_load_2addr_b64 v[38:41], v38 offset1:1
	;; [unrolled: 1-line block ×3, first 2 shown]
	s_add_i32 s4, s8, 0xfffff890
	s_delay_alu instid0(SALU_CYCLE_1)
	v_mov_b32_e32 v46, s4
	s_add_i32 s4, s15, 0xffffffa0
	ds_load_2addr_b64 v[46:49], v46 offset1:1
	ds_load_2addr_b64 v[50:53], v50 offset1:1
	s_waitcnt lgkmcnt(5)
	v_fma_f64 v[36:37], -v[83:84], v[36:37], v[56:57]
	s_waitcnt lgkmcnt(4)
	v_fma_f64 v[32:33], -v[72:73], v[32:33], v[60:61]
	;; [unrolled: 2-line block ×4, first 2 shown]
	s_delay_alu instid0(VALU_DEP_4) | instskip(NEXT) | instid1(VALU_DEP_4)
	v_fma_f64 v[56:57], -v[72:73], v[34:35], v[36:37]
	v_fma_f64 v[58:59], -v[54:55], v[30:31], v[32:33]
	v_mov_b32_e32 v30, s4
	s_add_i32 s4, s8, 0xfffff808
	s_delay_alu instid0(SALU_CYCLE_1)
	v_mov_b32_e32 v34, s4
	s_add_i32 s4, s20, 0xffffff98
	ds_load_2addr_b64 v[30:33], v30 offset1:1
	ds_load_2addr_b64 v[34:37], v34 offset1:1
	v_mul_f64 v[60:61], v[40:41], v[38:39]
	v_fma_f64 v[38:39], -v[83:84], v[42:43], v[44:45]
	s_waitcnt lgkmcnt(1)
	v_fma_f64 v[32:33], -v[54:55], v[32:33], v[56:57]
	s_delay_alu instid0(VALU_DEP_3) | instskip(NEXT) | instid1(VALU_DEP_3)
	v_fma_f64 v[40:41], -v[60:61], v[48:49], v[58:59]
	v_fma_f64 v[38:39], -v[72:73], v[52:53], v[38:39]
	s_delay_alu instid0(VALU_DEP_3)
	v_fma_f64 v[42:43], -v[60:61], v[30:31], v[32:33]
	v_mov_b32_e32 v30, s4
	s_add_i32 s4, s8, 0xfffff780
	ds_load_2addr_b64 v[30:33], v30 offset1:1
	v_mul_f64 v[44:45], v[40:41], v[46:47]
	v_fma_f64 v[46:47], -v[54:55], v[50:51], v[38:39]
	v_mov_b32_e32 v38, s4
	s_lshl_b32 s4, s28, 7
	s_delay_alu instid0(SALU_CYCLE_1)
	s_addk_i32 s4, 0xff00
	ds_load_2addr_b64 v[38:41], v38 offset1:1
	ds_store_b64 v16, v[1:2] offset:2048
	ds_store_b64 v17, v[5:6] offset:2048
	;; [unrolled: 1-line block ×8, first 2 shown]
	v_or_b32_e32 v1, s19, v0
	v_or_b32_e32 v15, s4, v15
	s_sub_i32 s4, s28, 17
	ds_store_b64 v24, v[83:84] offset:2048
	ds_store_b64 v25, v[72:73] offset:2048
	;; [unrolled: 1-line block ×4, first 2 shown]
	v_lshlrev_b32_e32 v1, 3, v1
	s_waitcnt lgkmcnt(14)
	v_fma_f64 v[36:37], -v[44:45], v[36:37], v[42:43]
	s_waitcnt lgkmcnt(13)
	v_fma_f64 v[32:33], -v[60:61], v[32:33], v[46:47]
	s_delay_alu instid0(VALU_DEP_2) | instskip(NEXT) | instid1(VALU_DEP_2)
	v_mul_f64 v[34:35], v[36:37], v[34:35]
	v_fma_f64 v[30:31], -v[44:45], v[30:31], v[32:33]
	ds_store_b64 v28, v[44:45] offset:2048
	ds_store_b64 v29, v[34:35] offset:2048
	s_waitcnt lgkmcnt(14)
	v_fma_f64 v[30:31], -v[34:35], v[40:41], v[30:31]
	s_delay_alu instid0(VALU_DEP_1)
	v_mul_f64 v[30:31], v[30:31], v[38:39]
	ds_store_b64 v15, v[3:4] offset:2048
	ds_store_b64 v1, v[30:31] offset:2048
	s_cmp_gt_i32 s4, -1
	s_cbranch_scc1 .LBB84_21
	s_branch .LBB84_39
.LBB84_20:
	s_mov_b32 s4, s29
	s_delay_alu instid0(SALU_CYCLE_1)
	s_cmp_gt_i32 s4, -1
	s_cbranch_scc0 .LBB84_39
.LBB84_21:
	s_cmp_lt_u32 s4, 11
	s_cbranch_scc1 .LBB84_26
; %bb.22:
	s_lshl_b32 s8, s4, 4
	s_delay_alu instid0(SALU_CYCLE_1)
	s_add_i32 s9, s8, -16
	v_or_b32_e32 v1, s8, v0
	s_sub_i32 s22, s8, 32
	v_or_b32_e32 v2, s9, v0
	s_sub_i32 s21, s8, 48
	v_or_b32_e32 v3, s22, v0
	v_or_b32_e32 v4, s21, v0
	s_sub_i32 s20, s8, 64
	v_lshlrev_b32_e32 v34, 3, v1
	s_add_i32 s19, s8, 0xffffffb0
	s_add_i32 s15, s8, 0xffffffa0
	v_lshlrev_b32_e32 v1, 3, v2
	v_or_b32_e32 v2, s20, v0
	v_lshlrev_b32_e32 v25, 3, v3
	v_or_b32_e32 v5, s19, v0
	v_or_b32_e32 v6, s15, v0
	v_lshlrev_b32_e32 v26, 3, v4
	s_add_i32 s14, s8, 0xffffff90
	s_add_i32 s13, s8, 0xffffff80
	;; [unrolled: 1-line block ×4, first 2 shown]
	s_addk_i32 s8, 0xff50
	ds_load_b64 v[3:4], v34 offset:2048
	ds_load_b64 v[23:24], v1 offset:2048
	;; [unrolled: 1-line block ×4, first 2 shown]
	v_or_b32_e32 v1, s14, v0
	v_lshlrev_b32_e32 v27, 3, v2
	v_or_b32_e32 v2, s13, v0
	v_or_b32_e32 v11, s8, v0
	v_lshlrev_b32_e32 v28, 3, v5
	v_lshlrev_b32_e32 v29, 3, v6
	v_or_b32_e32 v5, s12, v0
	v_or_b32_e32 v6, s9, v0
	v_lshlrev_b32_e32 v30, 3, v1
	v_lshlrev_b32_e32 v31, 3, v2
	;; [unrolled: 1-line block ×5, first 2 shown]
	ds_load_b64 v[21:22], v27 offset:2048
	ds_load_b64 v[19:20], v28 offset:2048
	;; [unrolled: 1-line block ×8, first 2 shown]
	s_cmp_le_i32 s29, s4
	s_cbranch_scc1 .LBB84_25
; %bb.23:
	v_lshlrev_b32_e32 v35, 3, v0
	s_lshl_b32 s8, s4, 7
	s_lshl_b32 s23, s28, 3
	s_delay_alu instid0(SALU_CYCLE_1) | instskip(NEXT) | instid1(VALU_DEP_1)
	s_add_i32 s8, s8, s23
	v_lshl_or_b32 v35, s28, 7, v35
	s_addk_i32 s8, 0xfa78
	s_mov_b32 s23, s29
	s_delay_alu instid0(VALU_DEP_1)
	v_add_nc_u32_e32 v35, 0x780, v35
	s_set_inst_prefetch_distance 0x1
	.p2align	6
.LBB84_24:                              ; =>This Inner Loop Header: Depth=1
	v_mov_b32_e32 v56, s8
	s_add_i32 s23, s23, -1
	s_add_i32 s8, s8, -8
	s_cmp_gt_i32 s23, s4
	ds_load_b64 v[60:61], v35
	ds_load_2addr_b64 v[36:39], v56 offset0:160 offset1:176
	ds_load_2addr_b64 v[40:43], v56 offset0:128 offset1:144
	ds_load_2addr_b64 v[44:47], v56 offset0:96 offset1:112
	ds_load_2addr_b64 v[48:51], v56 offset0:64 offset1:80
	ds_load_2addr_b64 v[52:55], v56 offset0:32 offset1:48
	ds_load_2addr_b64 v[56:59], v56 offset1:16
	v_add_nc_u32_e32 v35, 0xffffff80, v35
	s_waitcnt lgkmcnt(5)
	v_fma_f64 v[3:4], -v[60:61], v[38:39], v[3:4]
	v_fma_f64 v[23:24], -v[60:61], v[36:37], v[23:24]
	s_waitcnt lgkmcnt(4)
	v_fma_f64 v[7:8], -v[60:61], v[42:43], v[7:8]
	v_fma_f64 v[9:10], -v[60:61], v[40:41], v[9:10]
	;; [unrolled: 3-line block ×6, first 2 shown]
	s_cbranch_scc1 .LBB84_24
.LBB84_25:
	s_set_inst_prefetch_distance 0x2
	s_mul_i32 s8, s4, 0x88
	s_delay_alu instid0(SALU_CYCLE_1)
	v_dual_mov_b32 v35, s8 :: v_dual_add_nc_u32 v34, 0x800, v34
	s_add_i32 s23, s8, 0xffffff78
	s_add_i32 s22, s22, s4
	;; [unrolled: 1-line block ×3, first 2 shown]
	s_lshl_b32 s22, s22, 3
	ds_load_b64 v[39:40], v35
	v_mov_b32_e32 v35, s23
	s_lshl_b32 s21, s21, 3
	s_add_i32 s20, s20, s4
	s_add_i32 s21, s21, -8
	s_lshl_b32 s20, s20, 3
	ds_load_2addr_b64 v[35:38], v35 offset1:1
	s_add_i32 s19, s19, s4
	s_add_i32 s15, s15, s4
	s_lshl_b32 s19, s19, 3
	s_lshl_b32 s15, s15, 3
	s_add_i32 s14, s14, s4
	s_add_i32 s13, s13, s4
	s_lshl_b32 s14, s14, 3
	s_lshl_b32 s13, s13, 3
	;; [unrolled: 4-line block ×3, first 2 shown]
	s_waitcnt lgkmcnt(1)
	v_mul_f64 v[3:4], v[3:4], v[39:40]
	s_waitcnt lgkmcnt(0)
	s_delay_alu instid0(VALU_DEP_1)
	v_fma_f64 v[23:24], -v[3:4], v[37:38], v[23:24]
	v_mov_b32_e32 v37, s22
	s_add_i32 s22, s8, 0xfffffef0
	ds_load_b64 v[41:42], v37
	v_mov_b32_e32 v37, s22
	ds_load_2addr_b64 v[37:40], v37 offset1:1
	s_waitcnt lgkmcnt(1)
	v_fma_f64 v[49:50], -v[3:4], v[41:42], v[7:8]
	v_mul_f64 v[7:8], v[23:24], v[35:36]
	v_mov_b32_e32 v23, s21
	v_mov_b32_e32 v35, s20
	s_add_i32 s21, s8, 0xfffffe68
	s_add_i32 s20, s20, -16
	ds_load_2addr_b64 v[41:44], v23 offset1:1
	ds_load_b64 v[35:36], v35
	v_mov_b32_e32 v23, s21
	s_sub_i32 s21, s13, 40
	ds_load_2addr_b64 v[45:48], v23 offset1:1
	s_waitcnt lgkmcnt(2)
	v_fma_f64 v[9:10], -v[3:4], v[43:44], v[9:10]
	s_waitcnt lgkmcnt(1)
	v_fma_f64 v[35:36], -v[3:4], v[35:36], v[21:22]
	v_fma_f64 v[23:24], -v[7:8], v[39:40], v[49:50]
	v_mov_b32_e32 v39, s20
	s_add_i32 s20, s19, -8
	s_sub_i32 s19, s19, 24
	v_mov_b32_e32 v21, s20
	s_add_i32 s20, s15, -8
	ds_load_2addr_b64 v[49:52], v39 offset1:1
	v_fma_f64 v[39:40], -v[7:8], v[41:42], v[9:10]
	v_mul_f64 v[9:10], v[23:24], v[37:38]
	ds_load_2addr_b64 v[21:24], v21 offset1:1
	s_waitcnt lgkmcnt(0)
	v_fma_f64 v[19:20], -v[3:4], v[23:24], v[19:20]
	v_fma_f64 v[23:24], -v[7:8], v[51:52], v[35:36]
	v_mov_b32_e32 v35, s20
	s_sub_i32 s20, s15, 24
	s_sub_i32 s15, s15, 40
	ds_load_2addr_b64 v[35:38], v35 offset1:1
	v_fma_f64 v[43:44], -v[9:10], v[47:48], v[39:40]
	v_mov_b32_e32 v39, s20
	s_add_i32 s20, s8, 0xfffffde0
	ds_load_2addr_b64 v[39:42], v39 offset1:1
	s_waitcnt lgkmcnt(1)
	v_fma_f64 v[37:38], -v[3:4], v[37:38], v[17:18]
	v_dual_mov_b32 v17, s14 :: v_dual_mov_b32 v18, s19
	s_add_i32 s19, s8, 0xfffffd58
	v_fma_f64 v[51:52], -v[7:8], v[21:22], v[19:20]
	v_fma_f64 v[53:54], -v[9:10], v[49:50], v[23:24]
	v_mov_b32_e32 v21, s20
	ds_load_b64 v[57:58], v17
	ds_load_2addr_b64 v[17:20], v18 offset1:1
	ds_load_2addr_b64 v[21:24], v21 offset1:1
	s_add_i32 s20, s14, -16
	s_delay_alu instid0(SALU_CYCLE_1)
	v_mov_b32_e32 v47, s20
	s_sub_i32 s20, s12, 32
	v_mul_f64 v[55:56], v[43:44], v[45:46]
	v_mov_b32_e32 v43, s19
	s_add_i32 s19, s13, -8
	ds_load_2addr_b64 v[43:46], v43 offset1:1
	ds_load_2addr_b64 v[47:50], v47 offset1:1
	s_waitcnt lgkmcnt(4)
	v_fma_f64 v[15:16], -v[3:4], v[57:58], v[15:16]
	v_fma_f64 v[57:58], -v[7:8], v[35:36], v[37:38]
	v_mov_b32_e32 v35, s19
	s_sub_i32 s19, s13, 24
	s_sub_i32 s13, s13, 56
	ds_load_2addr_b64 v[35:38], v35 offset1:1
	s_waitcnt lgkmcnt(4)
	v_fma_f64 v[19:20], -v[9:10], v[19:20], v[51:52]
	v_mov_b32_e32 v51, s19
	s_add_i32 s19, s12, -16
	s_waitcnt lgkmcnt(0)
	v_fma_f64 v[37:38], -v[3:4], v[37:38], v[13:14]
	v_mov_b32_e32 v13, s12
	v_fma_f64 v[23:24], -v[55:56], v[23:24], v[53:54]
	ds_load_2addr_b64 v[51:54], v51 offset1:1
	v_fma_f64 v[49:50], -v[7:8], v[49:50], v[15:16]
	v_fma_f64 v[41:42], -v[9:10], v[41:42], v[57:58]
	;; [unrolled: 1-line block ×3, first 2 shown]
	ds_load_b64 v[19:20], v13
	v_mov_b32_e32 v13, s19
	s_sub_i32 s19, s14, 32
	s_sub_i32 s14, s14, 48
	ds_load_2addr_b64 v[13:16], v13 offset1:1
	v_fma_f64 v[59:60], -v[7:8], v[35:36], v[37:38]
	v_mov_b32_e32 v35, s14
	v_mul_f64 v[57:58], v[23:24], v[21:22]
	v_mov_b32_e32 v21, s15
	s_add_i32 s14, s4, -11
	s_add_i32 s15, s9, -16
	s_waitcnt lgkmcnt(1)
	v_fma_f64 v[11:12], -v[3:4], v[19:20], v[11:12]
	s_lshl_b32 s14, s14, 4
	v_fma_f64 v[47:48], -v[9:10], v[47:48], v[49:50]
	v_fma_f64 v[49:50], -v[55:56], v[39:40], v[41:42]
	v_mov_b32_e32 v39, s15
	s_add_i32 s15, s14, s4
	s_delay_alu instid0(SALU_CYCLE_1)
	s_lshl_b32 s15, s15, 3
	v_fma_f64 v[45:46], -v[57:58], v[45:46], v[17:18]
	v_dual_mov_b32 v17, s9 :: v_dual_mov_b32 v18, s19
	s_add_i32 s19, s15, -8
	s_waitcnt lgkmcnt(0)
	v_fma_f64 v[11:12], -v[7:8], v[15:16], v[11:12]
	ds_load_b64 v[61:62], v17
	ds_load_2addr_b64 v[17:20], v18 offset1:1
	ds_load_2addr_b64 v[21:24], v21 offset1:1
	v_fma_f64 v[15:16], -v[9:10], v[53:54], v[59:60]
	ds_load_2addr_b64 v[35:38], v35 offset1:1
	ds_load_2addr_b64 v[39:42], v39 offset1:1
	s_waitcnt lgkmcnt(4)
	v_fma_f64 v[5:6], -v[3:4], v[61:62], v[5:6]
	s_waitcnt lgkmcnt(3)
	v_fma_f64 v[19:20], -v[55:56], v[19:20], v[47:48]
	;; [unrolled: 2-line block ×3, first 2 shown]
	v_mul_f64 v[59:60], v[45:46], v[43:44]
	v_mov_b32_e32 v43, s19
	s_sub_i32 s19, s15, 24
	s_delay_alu instid0(SALU_CYCLE_1)
	v_mov_b32_e32 v47, s19
	s_add_i32 s19, s8, 0xfffffcd0
	ds_load_2addr_b64 v[43:46], v43 offset1:1
	v_fma_f64 v[61:62], -v[55:56], v[51:52], v[15:16]
	v_mov_b32_e32 v15, s21
	ds_load_2addr_b64 v[47:50], v47 offset1:1
	s_waitcnt lgkmcnt(2)
	v_fma_f64 v[5:6], -v[7:8], v[41:42], v[5:6]
	v_fma_f64 v[41:42], -v[9:10], v[13:14], v[11:12]
	v_fma_f64 v[63:64], -v[57:58], v[17:18], v[19:20]
	s_waitcnt lgkmcnt(1)
	v_fma_f64 v[1:2], -v[3:4], v[45:46], v[1:2]
	v_mov_b32_e32 v11, s20
	v_mov_b32_e32 v19, s19
	ds_load_2addr_b64 v[11:14], v11 offset1:1
	ds_load_2addr_b64 v[15:18], v15 offset1:1
	ds_load_b64 v[45:46], v19
	v_mov_b32_e32 v19, s13
	s_sub_i32 s13, s9, 32
	s_sub_i32 s19, s12, 48
	;; [unrolled: 1-line block ×3, first 2 shown]
	v_fma_f64 v[23:24], -v[59:60], v[21:22], v[23:24]
	v_mov_b32_e32 v51, s19
	ds_load_2addr_b64 v[19:22], v19 offset1:1
	ds_load_2addr_b64 v[51:54], v51 offset1:1
	s_waitcnt lgkmcnt(3)
	v_fma_f64 v[17:18], -v[57:58], v[17:18], v[61:62]
	v_fma_f64 v[5:6], -v[9:10], v[39:40], v[5:6]
	;; [unrolled: 1-line block ×5, first 2 shown]
	s_waitcnt lgkmcnt(2)
	v_mul_f64 v[45:46], v[23:24], v[45:46]
	v_mov_b32_e32 v23, s13
	s_sub_i32 s13, s9, 48
	s_sub_i32 s9, s9, 64
	ds_load_2addr_b64 v[37:40], v23 offset1:1
	v_mov_b32_e32 v23, s13
	s_add_i32 s13, s8, 0xfffffc48
	ds_load_2addr_b64 v[41:44], v23 offset1:1
	v_fma_f64 v[11:12], -v[57:58], v[11:12], v[13:14]
	s_waitcnt lgkmcnt(1)
	v_fma_f64 v[5:6], -v[55:56], v[39:40], v[5:6]
	v_fma_f64 v[13:14], -v[59:60], v[15:16], v[17:18]
	v_fma_f64 v[1:2], -v[9:10], v[49:50], v[1:2]
	v_mov_b32_e32 v17, s13
	s_sub_i32 s13, s15, 40
	ds_load_b64 v[17:18], v17
	v_fma_f64 v[15:16], -v[45:46], v[35:36], v[61:62]
	v_fma_f64 v[23:24], -v[59:60], v[53:54], v[11:12]
	;; [unrolled: 1-line block ×5, first 2 shown]
	v_mov_b32_e32 v11, s13
	s_sub_i32 s13, s15, 56
	ds_load_2addr_b64 v[11:14], v11 offset1:1
	s_waitcnt lgkmcnt(1)
	v_mul_f64 v[35:36], v[15:16], v[17:18]
	v_mov_b32_e32 v15, s13
	s_add_i32 s13, s8, 0xfffffbc0
	ds_load_2addr_b64 v[15:18], v15 offset1:1
	v_fma_f64 v[23:24], -v[45:46], v[51:52], v[23:24]
	v_fma_f64 v[5:6], -v[59:60], v[43:44], v[5:6]
	s_waitcnt lgkmcnt(1)
	v_fma_f64 v[1:2], -v[57:58], v[13:14], v[1:2]
	v_dual_mov_b32 v13, s12 :: v_dual_mov_b32 v14, s13
	v_fma_f64 v[37:38], -v[35:36], v[19:20], v[21:22]
	ds_load_2addr_b64 v[19:22], v13 offset1:1
	ds_load_b64 v[13:14], v14
	ds_store_b64 v34, v[3:4]
	v_or_b32_e32 v4, s14, v0
	s_delay_alu instid0(VALU_DEP_1)
	v_lshlrev_b32_e32 v4, 3, v4
	s_waitcnt lgkmcnt(2)
	v_fma_f64 v[39:40], -v[35:36], v[21:22], v[23:24]
	v_fma_f64 v[5:6], -v[45:46], v[41:42], v[5:6]
	;; [unrolled: 1-line block ×3, first 2 shown]
	v_mov_b32_e32 v11, s9
	s_add_i32 s9, s8, 0xfffffab0
	s_delay_alu instid0(SALU_CYCLE_1)
	v_mov_b32_e32 v21, s9
	s_add_i32 s9, s8, 0xfffffb38
	s_addk_i32 s8, 0xfa28
	ds_load_2addr_b64 v[21:24], v21 offset1:1
	s_waitcnt lgkmcnt(2)
	v_mul_f64 v[37:38], v[37:38], v[13:14]
	ds_load_2addr_b64 v[11:14], v11 offset1:1
	s_waitcnt lgkmcnt(0)
	v_fma_f64 v[5:6], -v[35:36], v[13:14], v[5:6]
	v_fma_f64 v[1:2], -v[45:46], v[17:18], v[1:2]
	v_mov_b32_e32 v17, s9
	s_add_i32 s9, s15, 0xffffffb8
	ds_load_b64 v[17:18], v17
	v_fma_f64 v[13:14], -v[37:38], v[19:20], v[39:40]
	v_fma_f64 v[5:6], -v[37:38], v[11:12], v[5:6]
	v_mov_b32_e32 v11, s9
	v_fma_f64 v[1:2], -v[35:36], v[15:16], v[1:2]
	v_mov_b32_e32 v15, s8
	s_lshl_b32 s8, s4, 7
	s_add_i32 s4, s4, -12
	s_addk_i32 s8, 0xff80
	s_delay_alu instid0(SALU_CYCLE_1)
	v_lshl_or_b32 v3, v0, 3, s8
	s_waitcnt lgkmcnt(0)
	v_mul_f64 v[19:20], v[13:14], v[17:18]
	ds_load_2addr_b64 v[11:14], v11 offset1:1
	ds_load_2addr_b64 v[15:18], v15 offset1:1
	ds_store_b64 v25, v[9:10] offset:2048
	ds_store_b64 v26, v[55:56] offset:2048
	;; [unrolled: 1-line block ×4, first 2 shown]
	s_waitcnt lgkmcnt(5)
	v_fma_f64 v[1:2], -v[37:38], v[13:14], v[1:2]
	v_fma_f64 v[5:6], -v[19:20], v[23:24], v[5:6]
	s_delay_alu instid0(VALU_DEP_2) | instskip(NEXT) | instid1(VALU_DEP_2)
	v_fma_f64 v[1:2], -v[19:20], v[11:12], v[1:2]
	v_mul_f64 v[5:6], v[5:6], v[21:22]
	ds_store_b64 v29, v[45:46] offset:2048
	ds_store_b64 v30, v[35:36] offset:2048
	;; [unrolled: 1-line block ×5, first 2 shown]
	s_waitcnt lgkmcnt(9)
	v_fma_f64 v[1:2], -v[5:6], v[17:18], v[1:2]
	s_delay_alu instid0(VALU_DEP_1)
	v_mul_f64 v[1:2], v[1:2], v[15:16]
	ds_store_b64 v3, v[7:8] offset:2048
	ds_store_b64 v4, v[1:2] offset:2048
.LBB84_26:
	s_cmp_lt_i32 s4, 0
	s_cbranch_scc1 .LBB84_39
; %bb.27:
	s_bitcmp1_b32 s4, 0
	s_cselect_b32 s8, -1, 0
	s_delay_alu instid0(SALU_CYCLE_1)
	s_and_b32 vcc_lo, exec_lo, s8
	s_mov_b32 s8, s4
	s_cbranch_vccnz .LBB84_32
; %bb.28:
	v_lshlrev_b32_e32 v4, 3, v0
	s_cmp_le_i32 s29, s4
	s_delay_alu instid0(VALU_DEP_1)
	v_lshl_or_b32 v3, s4, 7, v4
	ds_load_b64 v[1:2], v3 offset:2048
	s_cbranch_scc1 .LBB84_31
; %bb.29:
	v_lshl_or_b32 v4, s28, 7, v4
	s_lshl_b32 s8, s4, 7
	s_lshl_b32 s9, s28, 3
	s_delay_alu instid0(SALU_CYCLE_1) | instskip(NEXT) | instid1(VALU_DEP_1)
	s_add_i32 s8, s8, s9
	v_add_nc_u32_e32 v4, 0x780, v4
	s_add_i32 s8, s8, -8
	s_mov_b32 s9, s29
.LBB84_30:                              ; =>This Inner Loop Header: Depth=1
	v_mov_b32_e32 v7, s8
	s_add_i32 s9, s9, -1
	s_add_i32 s8, s8, -8
	s_cmp_gt_i32 s9, s4
	ds_load_b64 v[5:6], v4
	ds_load_b64 v[7:8], v7
	v_add_nc_u32_e32 v4, 0xffffff80, v4
	s_waitcnt lgkmcnt(0)
	v_fma_f64 v[1:2], -v[5:6], v[7:8], v[1:2]
	s_cbranch_scc1 .LBB84_30
.LBB84_31:
	s_mul_i32 s8, s4, 0x88
	s_delay_alu instid0(SALU_CYCLE_1)
	v_dual_mov_b32 v4, s8 :: v_dual_add_nc_u32 v3, 0x800, v3
	s_add_i32 s8, s4, -1
	ds_load_b64 v[4:5], v4
	s_waitcnt lgkmcnt(0)
	v_mul_f64 v[1:2], v[1:2], v[4:5]
	ds_store_b64 v3, v[1:2]
.LBB84_32:
	s_cmp_eq_u32 s4, 0
	s_cbranch_scc1 .LBB84_39
; %bb.33:
	v_lshlrev_b32_e32 v5, 3, v0
	s_lshl_b32 s4, s8, 7
	s_lshl_b32 s9, s28, 3
	s_delay_alu instid0(SALU_CYCLE_1) | instskip(NEXT) | instid1(VALU_DEP_1)
	s_add_i32 s9, s4, s9
	v_lshl_or_b32 v1, s28, 7, v5
	s_add_i32 s4, s9, -8
	s_addk_i32 s9, 0xff78
	s_delay_alu instid0(VALU_DEP_1)
	v_add_nc_u32_e32 v6, 0x780, v1
	s_branch .LBB84_35
.LBB84_34:                              ;   in Loop: Header=BB84_35 Depth=1
	s_addk_i32 s12, 0xff78
	s_delay_alu instid0(SALU_CYCLE_1)
	v_dual_mov_b32 v2, s12 :: v_dual_add_nc_u32 v1, 0x800, v7
	s_add_i32 s12, s8, -2
	s_addk_i32 s4, 0xff00
	s_addk_i32 s9, 0xff00
	s_cmp_lt_i32 s8, 2
	ds_load_b64 v[7:8], v2
	s_mov_b32 s8, s12
	s_waitcnt lgkmcnt(0)
	v_mul_f64 v[2:3], v[3:4], v[7:8]
	ds_store_b64 v1, v[2:3]
	s_cbranch_scc1 .LBB84_39
.LBB84_35:                              ; =>This Loop Header: Depth=1
                                        ;     Child Loop BB84_36 Depth 2
                                        ;     Child Loop BB84_38 Depth 2
	v_lshl_or_b32 v3, s8, 7, v5
	s_delay_alu instid0(VALU_DEP_2)
	v_mov_b32_e32 v4, v6
	s_cmp_le_i32 s29, s8
	s_mov_b32 s12, s4
	s_mov_b32 s13, s29
	ds_load_b64 v[1:2], v3 offset:2048
	s_cbranch_scc1 .LBB84_37
.LBB84_36:                              ;   Parent Loop BB84_35 Depth=1
                                        ; =>  This Inner Loop Header: Depth=2
	v_mov_b32_e32 v9, s12
	s_add_i32 s13, s13, -1
	s_add_i32 s12, s12, -8
	s_cmp_gt_i32 s13, s8
	ds_load_b64 v[7:8], v4
	ds_load_b64 v[9:10], v9
	v_add_nc_u32_e32 v4, 0xffffff80, v4
	s_waitcnt lgkmcnt(0)
	v_fma_f64 v[1:2], -v[7:8], v[9:10], v[1:2]
	s_cbranch_scc1 .LBB84_36
.LBB84_37:                              ;   in Loop: Header=BB84_35 Depth=1
	s_mul_i32 s12, s8, 0x88
	s_delay_alu instid0(SALU_CYCLE_1)
	v_dual_mov_b32 v3, s12 :: v_dual_add_nc_u32 v8, 0x800, v3
	s_lshl_b32 s13, s8, 7
	s_mov_b32 s14, s28
	s_addk_i32 s13, 0xff80
	s_cmp_lt_i32 s29, s8
	ds_load_b64 v[9:10], v3
	v_lshl_or_b32 v7, v0, 3, s13
	s_mov_b32 s13, s9
	ds_load_b64 v[3:4], v7 offset:2048
	s_waitcnt lgkmcnt(1)
	v_mul_f64 v[9:10], v[1:2], v[9:10]
	v_mov_b32_e32 v1, v6
	ds_store_b64 v8, v[9:10]
	s_cbranch_scc1 .LBB84_34
.LBB84_38:                              ;   Parent Loop BB84_35 Depth=1
                                        ; =>  This Inner Loop Header: Depth=2
	v_mov_b32_e32 v2, s13
	s_add_i32 s14, s14, -1
	s_add_i32 s13, s13, -8
	s_cmp_gt_i32 s14, s8
	ds_load_b64 v[8:9], v1
	ds_load_b64 v[10:11], v2
	v_add_nc_u32_e32 v1, 0xffffff80, v1
	s_waitcnt lgkmcnt(0)
	v_fma_f64 v[3:4], -v[8:9], v[10:11], v[3:4]
	s_cbranch_scc1 .LBB84_38
	s_branch .LBB84_34
.LBB84_39:
	s_mov_b32 s4, 0
.LBB84_40:
	s_delay_alu instid0(SALU_CYCLE_1)
	s_and_b32 vcc_lo, exec_lo, s4
	s_cbranch_vccz .LBB84_65
; %bb.41:
	s_cmp_gt_i32 s6, 15
	s_cselect_b32 s12, -1, 0
	s_delay_alu instid0(SALU_CYCLE_1)
	s_and_b32 vcc_lo, exec_lo, s12
	s_cbranch_vccz .LBB84_43
; %bb.42:
	v_dual_mov_b32 v6, 0 :: v_dual_lshlrev_b32 v1, 3, v0
	s_mov_b32 s4, 16
	s_delay_alu instid0(VALU_DEP_1)
	v_add_nc_u32_e32 v5, 0x800, v1
	ds_load_2addr_b64 v[1:4], v5 offset1:16
	ds_load_b128 v[7:10], v6
	ds_load_b128 v[11:14], v6 offset:16
	s_waitcnt lgkmcnt(1)
	v_mul_f64 v[1:2], v[1:2], v[7:8]
	s_delay_alu instid0(VALU_DEP_1)
	v_fma_f64 v[3:4], -v[1:2], v[9:10], v[3:4]
	ds_load_2addr_b64 v[7:10], v5 offset0:32 offset1:48
	ds_load_2addr_b64 v[15:18], v6 offset0:17 offset1:18
	;; [unrolled: 1-line block ×3, first 2 shown]
	s_waitcnt lgkmcnt(2)
	v_fma_f64 v[7:8], -v[1:2], v[11:12], v[7:8]
	v_fma_f64 v[31:32], -v[1:2], v[13:14], v[9:10]
	s_waitcnt lgkmcnt(1)
	v_mul_f64 v[3:4], v[3:4], v[15:16]
	s_delay_alu instid0(VALU_DEP_1)
	v_fma_f64 v[33:34], -v[3:4], v[17:18], v[7:8]
	ds_load_2addr_b64 v[7:10], v5 offset0:64 offset1:80
	ds_load_b128 v[11:14], v6 offset:32
	ds_load_b128 v[15:18], v6 offset:272
	;; [unrolled: 1-line block ×3, first 2 shown]
	ds_load_2addr_b64 v[27:30], v6 offset0:29 offset1:30
	s_waitcnt lgkmcnt(3)
	v_fma_f64 v[7:8], -v[1:2], v[11:12], v[7:8]
	v_fma_f64 v[11:12], -v[3:4], v[19:20], v[31:32]
	;; [unrolled: 1-line block ×3, first 2 shown]
	s_waitcnt lgkmcnt(2)
	v_mul_f64 v[67:68], v[33:34], v[15:16]
	s_delay_alu instid0(VALU_DEP_4) | instskip(NEXT) | instid1(VALU_DEP_2)
	v_fma_f64 v[45:46], -v[3:4], v[21:22], v[7:8]
	v_fma_f64 v[47:48], -v[67:68], v[17:18], v[11:12]
	ds_load_2addr_b64 v[7:10], v5 offset0:96 offset1:112
	ds_load_2addr_b64 v[11:14], v6 offset0:21 offset1:22
	ds_load_b128 v[15:18], v6 offset:288
	ds_load_2addr_b64 v[19:22], v6 offset0:51 offset1:52
	ds_load_2addr_b64 v[31:34], v6 offset0:53 offset1:54
	ds_load_b128 v[35:38], v6 offset:304
	ds_load_2addr_b64 v[39:42], v6 offset0:23 offset1:24
	s_waitcnt lgkmcnt(6)
	v_fma_f64 v[7:8], -v[1:2], v[23:24], v[7:8]
	s_waitcnt lgkmcnt(5)
	v_fma_f64 v[11:12], -v[3:4], v[11:12], v[43:44]
	v_fma_f64 v[43:44], -v[1:2], v[25:26], v[9:10]
	s_waitcnt lgkmcnt(4)
	v_fma_f64 v[15:16], -v[67:68], v[15:16], v[45:46]
	s_waitcnt lgkmcnt(3)
	v_mul_f64 v[69:70], v[47:48], v[19:20]
	v_fma_f64 v[45:46], -v[3:4], v[13:14], v[7:8]
	v_fma_f64 v[47:48], -v[67:68], v[17:18], v[11:12]
	s_delay_alu instid0(VALU_DEP_3)
	v_fma_f64 v[49:50], -v[69:70], v[21:22], v[15:16]
	ds_load_b128 v[7:10], v6 offset:64
	ds_load_2addr_b64 v[11:14], v5 offset0:128 offset1:144
	ds_load_b128 v[15:18], v6 offset:544
	ds_load_b128 v[19:22], v6 offset:560
	;; [unrolled: 1-line block ×3, first 2 shown]
	s_waitcnt lgkmcnt(6)
	v_fma_f64 v[35:36], -v[67:68], v[35:36], v[45:46]
	v_fma_f64 v[31:32], -v[69:70], v[31:32], v[47:48]
	s_waitcnt lgkmcnt(3)
	v_fma_f64 v[7:8], -v[1:2], v[7:8], v[11:12]
	v_fma_f64 v[11:12], -v[3:4], v[39:40], v[43:44]
	;; [unrolled: 1-line block ×3, first 2 shown]
	s_waitcnt lgkmcnt(2)
	v_mul_f64 v[71:72], v[49:50], v[15:16]
	v_fma_f64 v[61:62], -v[69:70], v[33:34], v[35:36]
	v_fma_f64 v[57:58], -v[3:4], v[41:42], v[7:8]
	v_fma_f64 v[59:60], -v[67:68], v[37:38], v[11:12]
	s_delay_alu instid0(VALU_DEP_4)
	v_fma_f64 v[63:64], -v[71:72], v[17:18], v[31:32]
	ds_load_2addr_b64 v[7:10], v5 offset0:160 offset1:176
	ds_load_2addr_b64 v[11:14], v6 offset0:25 offset1:26
	ds_load_b128 v[15:18], v6 offset:320
	ds_load_2addr_b64 v[31:34], v6 offset0:55 offset1:56
	ds_load_2addr_b64 v[35:38], v6 offset0:85 offset1:86
	;; [unrolled: 1-line block ×4, first 2 shown]
	ds_load_b128 v[47:50], v6 offset:336
	ds_load_2addr_b64 v[51:54], v6 offset0:27 offset1:28
	s_waitcnt lgkmcnt(8)
	v_fma_f64 v[7:8], -v[1:2], v[23:24], v[7:8]
	s_waitcnt lgkmcnt(7)
	v_fma_f64 v[11:12], -v[3:4], v[11:12], v[55:56]
	v_fma_f64 v[19:20], -v[71:72], v[19:20], v[61:62]
	;; [unrolled: 1-line block ×3, first 2 shown]
	s_waitcnt lgkmcnt(6)
	v_fma_f64 v[15:16], -v[67:68], v[15:16], v[57:58]
	s_waitcnt lgkmcnt(5)
	v_fma_f64 v[23:24], -v[69:70], v[31:32], v[59:60]
	s_waitcnt lgkmcnt(4)
	v_mul_f64 v[73:74], v[63:64], v[35:36]
	v_fma_f64 v[57:58], -v[3:4], v[13:14], v[7:8]
	v_fma_f64 v[59:60], -v[67:68], v[17:18], v[11:12]
	v_fma_f64 v[61:62], -v[69:70], v[33:34], v[15:16]
	v_fma_f64 v[63:64], -v[71:72], v[21:22], v[23:24]
	v_fma_f64 v[65:66], -v[73:74], v[37:38], v[19:20]
	ds_load_b128 v[7:10], v6 offset:96
	ds_load_2addr_b64 v[11:14], v5 offset0:192 offset1:208
	ds_load_b128 v[15:18], v6 offset:576
	ds_load_b128 v[19:22], v6 offset:816
	;; [unrolled: 1-line block ×3, first 2 shown]
	ds_load_2addr_b64 v[31:34], v6 offset0:93 offset1:94
	ds_load_b128 v[35:38], v6 offset:112
	s_waitcnt lgkmcnt(8)
	v_fma_f64 v[47:48], -v[67:68], v[47:48], v[57:58]
	v_fma_f64 v[43:44], -v[69:70], v[43:44], v[59:60]
	s_waitcnt lgkmcnt(5)
	v_fma_f64 v[7:8], -v[1:2], v[7:8], v[11:12]
	v_fma_f64 v[11:12], -v[3:4], v[51:52], v[55:56]
	s_waitcnt lgkmcnt(4)
	v_fma_f64 v[15:16], -v[71:72], v[15:16], v[61:62]
	v_fma_f64 v[39:40], -v[73:74], v[39:40], v[63:64]
	v_fma_f64 v[77:78], -v[1:2], v[9:10], v[13:14]
	s_waitcnt lgkmcnt(3)
	v_mul_f64 v[75:76], v[65:66], v[19:20]
	v_fma_f64 v[83:84], -v[69:70], v[45:46], v[47:48]
	v_fma_f64 v[85:86], -v[71:72], v[17:18], v[43:44]
	;; [unrolled: 1-line block ×7, first 2 shown]
	ds_load_2addr_b64 v[7:10], v5 offset0:224 offset1:240
	ds_load_b128 v[11:14], v6 offset:352
	ds_load_2addr_b64 v[15:18], v6 offset0:59 offset1:60
	ds_load_2addr_b64 v[19:22], v6 offset0:89 offset1:90
	ds_load_b128 v[39:42], v6 offset:832
	ds_load_2addr_b64 v[43:46], v6 offset0:119 offset1:120
	ds_load_2addr_b64 v[47:50], v6 offset0:121 offset1:122
	ds_load_b128 v[51:54], v6 offset:848
	ds_load_2addr_b64 v[55:58], v6 offset0:91 offset1:92
	ds_load_2addr_b64 v[59:62], v6 offset0:61 offset1:62
	ds_load_b128 v[63:66], v6 offset:368
	s_waitcnt lgkmcnt(10)
	v_fma_f64 v[7:8], -v[1:2], v[35:36], v[7:8]
	v_fma_f64 v[37:38], -v[1:2], v[37:38], v[9:10]
	;; [unrolled: 1-line block ×3, first 2 shown]
	s_waitcnt lgkmcnt(7)
	v_fma_f64 v[19:20], -v[73:74], v[19:20], v[85:86]
	v_fma_f64 v[11:12], -v[67:68], v[11:12], v[79:80]
	;; [unrolled: 1-line block ×3, first 2 shown]
	s_waitcnt lgkmcnt(6)
	v_fma_f64 v[35:36], -v[75:76], v[39:40], v[87:88]
	v_fma_f64 v[27:28], -v[67:68], v[13:14], v[27:28]
	s_waitcnt lgkmcnt(5)
	v_mul_f64 v[77:78], v[89:90], v[43:44]
	v_fma_f64 v[29:30], -v[3:4], v[29:30], v[7:8]
	v_fma_f64 v[79:80], -v[73:74], v[21:22], v[23:24]
	;; [unrolled: 1-line block ×5, first 2 shown]
	ds_load_b128 v[7:10], v6 offset:608
	ds_load_b128 v[11:14], v6 offset:1088
	ds_load_2addr_b64 v[15:18], v6 offset0:31 offset1:63
	ds_load_b128 v[19:22], v6 offset:1104
	ds_load_b128 v[23:26], v6 offset:624
	s_waitcnt lgkmcnt(6)
	v_fma_f64 v[27:28], -v[69:70], v[59:60], v[27:28]
	v_fma_f64 v[35:36], -v[77:78], v[45:46], v[35:36]
	s_waitcnt lgkmcnt(5)
	v_fma_f64 v[29:30], -v[67:68], v[63:64], v[29:30]
	v_fma_f64 v[41:42], -v[77:78], v[47:48], v[41:42]
	;; [unrolled: 3-line block ×3, first 2 shown]
	v_fma_f64 v[43:44], -v[75:76], v[51:52], v[79:80]
	v_fma_f64 v[51:52], -v[71:72], v[9:10], v[27:28]
	s_waitcnt lgkmcnt(3)
	v_mul_f64 v[47:48], v[35:36], v[11:12]
	s_waitcnt lgkmcnt(2)
	v_fma_f64 v[11:12], -v[3:4], v[15:16], v[37:38]
	v_fma_f64 v[15:16], -v[69:70], v[61:62], v[29:30]
	;; [unrolled: 1-line block ×7, first 2 shown]
	ds_load_b128 v[7:10], v6 offset:864
	ds_load_2addr_b64 v[11:14], v6 offset0:123 offset1:124
	ds_load_2addr_b64 v[27:30], v6 offset0:153 offset1:154
	;; [unrolled: 1-line block ×4, first 2 shown]
	ds_load_b128 v[43:46], v6 offset:880
	s_waitcnt lgkmcnt(6)
	v_fma_f64 v[15:16], -v[71:72], v[23:24], v[15:16]
	v_fma_f64 v[23:24], -v[73:74], v[31:32], v[51:52]
	s_waitcnt lgkmcnt(5)
	v_fma_f64 v[7:8], -v[75:76], v[7:8], v[55:56]
	s_waitcnt lgkmcnt(4)
	v_fma_f64 v[11:12], -v[77:78], v[11:12], v[53:54]
	v_fma_f64 v[19:20], -v[47:48], v[19:20], v[49:50]
	s_waitcnt lgkmcnt(3)
	v_mul_f64 v[49:50], v[57:58], v[27:28]
	v_fma_f64 v[17:18], -v[69:70], v[17:18], v[59:60]
	v_fma_f64 v[27:28], -v[73:74], v[33:34], v[15:16]
	;; [unrolled: 1-line block ×7, first 2 shown]
	ds_load_b128 v[7:10], v6 offset:1120
	ds_load_b128 v[11:14], v6 offset:1360
	ds_load_2addr_b64 v[15:18], v6 offset0:95 offset1:127
	ds_load_2addr_b64 v[19:22], v6 offset0:157 offset1:158
	ds_load_b128 v[23:26], v6 offset:1136
	s_waitcnt lgkmcnt(5)
	v_fma_f64 v[27:28], -v[75:76], v[43:44], v[27:28]
	v_fma_f64 v[31:32], -v[77:78], v[39:40], v[31:32]
	s_waitcnt lgkmcnt(4)
	v_fma_f64 v[7:8], -v[47:48], v[7:8], v[33:34]
	v_fma_f64 v[33:34], -v[49:50], v[35:36], v[51:52]
	s_waitcnt lgkmcnt(3)
	v_mul_f64 v[35:36], v[29:30], v[11:12]
	s_waitcnt lgkmcnt(2)
	v_fma_f64 v[11:12], -v[73:74], v[15:16], v[53:54]
	v_fma_f64 v[15:16], -v[77:78], v[41:42], v[27:28]
	;; [unrolled: 1-line block ×6, first 2 shown]
	ds_load_b128 v[7:10], v6 offset:1376
	ds_load_2addr_b64 v[11:14], v6 offset0:187 offset1:188
	ds_load_2addr_b64 v[27:30], v6 offset0:189 offset1:190
	ds_load_b128 v[31:34], v6 offset:1392
	s_waitcnt lgkmcnt(4)
	v_fma_f64 v[15:16], -v[47:48], v[23:24], v[15:16]
	v_fma_f64 v[19:20], -v[49:50], v[19:20], v[39:40]
	s_waitcnt lgkmcnt(3)
	v_fma_f64 v[7:8], -v[35:36], v[7:8], v[37:38]
	s_waitcnt lgkmcnt(2)
	v_mul_f64 v[23:24], v[41:42], v[11:12]
	v_fma_f64 v[11:12], -v[77:78], v[17:18], v[43:44]
	v_fma_f64 v[21:22], -v[49:50], v[21:22], v[15:16]
	;; [unrolled: 1-line block ×3, first 2 shown]
	s_delay_alu instid0(VALU_DEP_4) | instskip(NEXT) | instid1(VALU_DEP_4)
	v_fma_f64 v[37:38], -v[23:24], v[13:14], v[7:8]
	v_fma_f64 v[25:26], -v[47:48], v[25:26], v[11:12]
	ds_load_b128 v[7:10], v6 offset:1632
	ds_load_2addr_b64 v[11:14], v6 offset0:159 offset1:191
	ds_load_b128 v[15:18], v6 offset:1648
	s_waitcnt lgkmcnt(3)
	v_fma_f64 v[21:22], -v[35:36], v[31:32], v[21:22]
	v_fma_f64 v[19:20], -v[23:24], v[27:28], v[19:20]
	s_waitcnt lgkmcnt(2)
	v_mul_f64 v[27:28], v[37:38], v[7:8]
	s_waitcnt lgkmcnt(1)
	v_fma_f64 v[7:8], -v[49:50], v[11:12], v[25:26]
	s_delay_alu instid0(VALU_DEP_4) | instskip(NEXT) | instid1(VALU_DEP_3)
	v_fma_f64 v[11:12], -v[23:24], v[29:30], v[21:22]
	v_fma_f64 v[25:26], -v[27:28], v[9:10], v[19:20]
	s_delay_alu instid0(VALU_DEP_3)
	v_fma_f64 v[29:30], -v[35:36], v[33:34], v[7:8]
	ds_load_2addr_b64 v[7:10], v6 offset0:221 offset1:222
	ds_load_b128 v[19:22], v6 offset:1904
	s_waitcnt lgkmcnt(2)
	v_fma_f64 v[11:12], -v[27:28], v[15:16], v[11:12]
	s_waitcnt lgkmcnt(1)
	v_mul_f64 v[15:16], v[25:26], v[7:8]
	v_fma_f64 v[7:8], -v[23:24], v[13:14], v[29:30]
	s_delay_alu instid0(VALU_DEP_2) | instskip(NEXT) | instid1(VALU_DEP_2)
	v_fma_f64 v[10:11], -v[15:16], v[9:10], v[11:12]
	v_fma_f64 v[12:13], -v[27:28], v[17:18], v[7:8]
	ds_load_2addr_b64 v[6:9], v6 offset0:223 offset1:255
	ds_store_2addr_b64 v5, v[1:2], v[3:4] offset1:16
	ds_store_2addr_b64 v5, v[67:68], v[69:70] offset0:32 offset1:48
	ds_store_2addr_b64 v5, v[71:72], v[73:74] offset0:64 offset1:80
	ds_store_2addr_b64 v5, v[75:76], v[77:78] offset0:96 offset1:112
	ds_store_2addr_b64 v5, v[47:48], v[49:50] offset0:128 offset1:144
	ds_store_2addr_b64 v5, v[35:36], v[23:24] offset0:160 offset1:176
	ds_store_2addr_b64 v5, v[27:28], v[15:16] offset0:192 offset1:208
	s_waitcnt lgkmcnt(8)
	v_mul_f64 v[10:11], v[10:11], v[19:20]
	s_waitcnt lgkmcnt(7)
	v_fma_f64 v[6:7], -v[15:16], v[6:7], v[12:13]
	s_delay_alu instid0(VALU_DEP_1) | instskip(NEXT) | instid1(VALU_DEP_1)
	v_fma_f64 v[6:7], -v[10:11], v[21:22], v[6:7]
	v_mul_f64 v[6:7], v[6:7], v[8:9]
	ds_store_2addr_b64 v5, v[10:11], v[6:7] offset0:224 offset1:240
	s_cmp_lt_i32 s4, s28
	s_cbranch_scc1 .LBB84_44
	s_branch .LBB84_65
.LBB84_43:
	s_mov_b32 s4, 0
	s_delay_alu instid0(SALU_CYCLE_1)
	s_cmp_lt_i32 s4, s28
	s_cbranch_scc0 .LBB84_65
.LBB84_44:
	s_or_b32 s8, s4, 11
	s_delay_alu instid0(SALU_CYCLE_1)
	s_cmp_ge_u32 s8, s28
	s_cbranch_scc1 .LBB84_54
; %bb.45:
	s_lshl_b32 s9, s4, 4
	v_lshlrev_b32_e32 v25, 3, v0
	v_or_b32_e32 v1, s9, v0
	s_and_not1_b32 vcc_lo, exec_lo, s12
	s_delay_alu instid0(VALU_DEP_2) | instskip(NEXT) | instid1(VALU_DEP_2)
	v_lshl_or_b32 v28, s8, 7, v25
	v_lshlrev_b32_e32 v26, 3, v1
	s_delay_alu instid0(VALU_DEP_1)
	v_add_nc_u32_e32 v1, 0x800, v26
	ds_load_2addr_b64 v[17:20], v1 offset1:16
	ds_load_2addr_b64 v[13:16], v1 offset0:32 offset1:48
	ds_load_2addr_b64 v[9:12], v1 offset0:64 offset1:80
	;; [unrolled: 1-line block ×4, first 2 shown]
	ds_load_b64 v[23:24], v26 offset:3328
	ds_load_b64 v[21:22], v28 offset:2048
	s_cbranch_vccnz .LBB84_53
; %bb.46:
	s_max_u32 s12, s4, 1
	s_delay_alu instid0(SALU_CYCLE_1)
	s_cmp_eq_u32 s12, 1
	s_cbranch_scc1 .LBB84_50
; %bb.47:
	v_lshl_or_b32 v27, v0, 3, 0x800
	s_and_b32 s13, s12, 16
	s_lshl_b32 s14, s4, 3
	s_mov_b32 s15, 0
.LBB84_48:                              ; =>This Inner Loop Header: Depth=1
	v_mov_b32_e32 v57, s14
	s_add_i32 s15, s15, 2
	s_addk_i32 s14, 0x100
	s_cmp_lg_u32 s13, s15
	ds_load_2addr_b64 v[29:32], v27 offset1:16
	ds_load_b128 v[33:36], v57
	ds_load_b128 v[37:40], v57 offset:16
	ds_load_b128 v[41:44], v57 offset:32
	;; [unrolled: 1-line block ×5, first 2 shown]
	v_add_nc_u32_e32 v27, 0x100, v27
	s_waitcnt lgkmcnt(5)
	v_fma_f64 v[17:18], -v[29:30], v[33:34], v[17:18]
	v_fma_f64 v[19:20], -v[29:30], v[35:36], v[19:20]
	s_waitcnt lgkmcnt(4)
	v_fma_f64 v[13:14], -v[29:30], v[37:38], v[13:14]
	v_fma_f64 v[15:16], -v[29:30], v[39:40], v[15:16]
	;; [unrolled: 3-line block ×6, first 2 shown]
	ds_load_b128 v[1:4], v57 offset:128
	ds_load_b128 v[5:8], v57 offset:144
	;; [unrolled: 1-line block ×6, first 2 shown]
	s_waitcnt lgkmcnt(5)
	v_fma_f64 v[17:18], -v[31:32], v[1:2], v[17:18]
	v_fma_f64 v[19:20], -v[31:32], v[3:4], v[19:20]
	s_waitcnt lgkmcnt(4)
	v_fma_f64 v[13:14], -v[31:32], v[5:6], v[13:14]
	v_fma_f64 v[15:16], -v[31:32], v[7:8], v[15:16]
	;; [unrolled: 3-line block ×6, first 2 shown]
	s_cbranch_scc1 .LBB84_48
; %bb.49:
	s_lshl_b32 s13, s13, 4
	s_branch .LBB84_51
.LBB84_50:
	s_mov_b32 s13, 0
.LBB84_51:
	s_bitcmp0_b32 s12, 0
	s_cbranch_scc1 .LBB84_53
; %bb.52:
	s_add_i32 s12, s13, s4
	v_add_lshl_u32 v27, s13, v0, 3
	s_lshl_b32 s12, s12, 3
	s_delay_alu instid0(SALU_CYCLE_1)
	v_mov_b32_e32 v49, s12
	ds_load_b64 v[53:54], v27 offset:2048
	ds_load_b128 v[29:32], v49
	ds_load_b128 v[33:36], v49 offset:16
	ds_load_b128 v[37:40], v49 offset:32
	;; [unrolled: 1-line block ×5, first 2 shown]
	s_waitcnt lgkmcnt(5)
	v_fma_f64 v[17:18], -v[53:54], v[29:30], v[17:18]
	v_fma_f64 v[19:20], -v[53:54], v[31:32], v[19:20]
	s_waitcnt lgkmcnt(4)
	v_fma_f64 v[13:14], -v[53:54], v[33:34], v[13:14]
	v_fma_f64 v[15:16], -v[53:54], v[35:36], v[15:16]
	;; [unrolled: 3-line block ×6, first 2 shown]
.LBB84_53:
	s_mul_i32 s12, s4, 0x88
	v_add_nc_u32_e32 v27, 0x800, v26
	v_add_nc_u32_e32 v26, 0x800, v28
	v_mov_b32_e32 v28, s12
	s_or_b32 s12, s9, 16
	s_or_b32 s19, s9, 64
	s_add_i32 s13, s4, s12
	ds_load_b128 v[29:32], v28
	ds_load_b128 v[33:36], v28 offset:16
	s_lshl_b32 s13, s13, 3
	s_add_i32 s20, s4, s19
	v_mov_b32_e32 v67, s13
	s_or_b32 s13, s9, 32
	s_mulk_i32 s8, 0x88
	s_add_i32 s14, s4, s13
	s_delay_alu instid0(SALU_CYCLE_1) | instskip(NEXT) | instid1(SALU_CYCLE_1)
	s_lshl_b32 s14, s14, 3
	v_mov_b32_e32 v68, s14
	s_or_b32 s14, s9, 48
	s_delay_alu instid0(SALU_CYCLE_1) | instskip(NEXT) | instid1(SALU_CYCLE_1)
	s_add_i32 s15, s4, s14
	s_lshl_b32 s15, s15, 3
	s_delay_alu instid0(SALU_CYCLE_1) | instskip(SKIP_4) | instid1(VALU_DEP_1)
	v_mov_b32_e32 v69, s15
	s_add_i32 s15, s4, s9
	s_waitcnt lgkmcnt(1)
	v_mul_f64 v[17:18], v[17:18], v[29:30]
	s_lshl_b32 s15, s15, 3
	v_fma_f64 v[19:20], -v[17:18], v[31:32], v[19:20]
	ds_load_2addr_b64 v[29:32], v28 offset0:17 offset1:18
	ds_load_b128 v[37:40], v28 offset:64
	s_waitcnt lgkmcnt(2)
	v_fma_f64 v[13:14], -v[17:18], v[33:34], v[13:14]
	s_waitcnt lgkmcnt(0)
	v_fma_f64 v[1:2], -v[17:18], v[37:38], v[1:2]
	v_mul_f64 v[53:54], v[19:20], v[29:30]
	v_fma_f64 v[19:20], -v[17:18], v[35:36], v[15:16]
	s_delay_alu instid0(VALU_DEP_2)
	v_fma_f64 v[55:56], -v[53:54], v[31:32], v[13:14]
	ds_load_b128 v[13:16], v28 offset:32
	ds_load_2addr_b64 v[29:32], v67 offset0:3 offset1:4
	ds_load_b128 v[33:36], v28 offset:272
	ds_load_2addr_b64 v[41:44], v28 offset0:51 offset1:52
	;; [unrolled: 2-line block ×3, first 2 shown]
	s_waitcnt lgkmcnt(5)
	v_fma_f64 v[9:10], -v[17:18], v[13:14], v[9:10]
	s_waitcnt lgkmcnt(4)
	v_fma_f64 v[13:14], -v[53:54], v[29:30], v[19:20]
	v_fma_f64 v[15:16], -v[17:18], v[15:16], v[11:12]
	s_waitcnt lgkmcnt(1)
	v_fma_f64 v[5:6], -v[17:18], v[45:46], v[5:6]
	v_mul_f64 v[55:56], v[55:56], v[33:34]
	v_fma_f64 v[19:20], -v[53:54], v[31:32], v[9:10]
	ds_load_b128 v[9:12], v68 offset:32
	ds_load_b64 v[57:58], v67 offset:88
	s_waitcnt lgkmcnt(2)
	v_fma_f64 v[15:16], -v[53:54], v[49:50], v[15:16]
	v_fma_f64 v[61:62], -v[53:54], v[51:52], v[5:6]
	;; [unrolled: 1-line block ×3, first 2 shown]
	s_waitcnt lgkmcnt(1)
	v_fma_f64 v[9:10], -v[55:56], v[9:10], v[19:20]
	v_fma_f64 v[19:20], -v[17:18], v[47:48], v[7:8]
	;; [unrolled: 1-line block ×3, first 2 shown]
	s_delay_alu instid0(VALU_DEP_4) | instskip(NEXT) | instid1(VALU_DEP_1)
	v_mul_f64 v[59:60], v[13:14], v[41:42]
	v_fma_f64 v[65:66], -v[59:60], v[43:44], v[9:10]
	ds_load_2addr_b64 v[5:8], v67 offset0:7 offset1:8
	ds_load_b128 v[9:12], v68 offset:48
	ds_load_2addr_b64 v[13:16], v69 offset0:5 offset1:6
	ds_load_b128 v[29:32], v28 offset:544
	;; [unrolled: 2-line block ×4, first 2 shown]
	s_waitcnt lgkmcnt(7)
	v_fma_f64 v[5:6], -v[53:54], v[5:6], v[19:20]
	s_waitcnt lgkmcnt(6)
	v_fma_f64 v[9:10], -v[55:56], v[9:10], v[61:62]
	s_waitcnt lgkmcnt(5)
	v_fma_f64 v[13:14], -v[59:60], v[13:14], v[63:64]
	v_fma_f64 v[19:20], -v[17:18], v[39:40], v[3:4]
	s_waitcnt lgkmcnt(4)
	v_mul_f64 v[37:38], v[65:66], v[29:30]
	v_fma_f64 v[29:30], -v[53:54], v[7:8], v[1:2]
	v_mov_b32_e32 v1, s15
	s_lshl_b32 s15, s20, 3
	s_delay_alu instid0(SALU_CYCLE_1) | instskip(SKIP_1) | instid1(SALU_CYCLE_1)
	v_mov_b32_e32 v65, s15
	s_or_b32 s15, s9, 0x50
	s_add_i32 s20, s4, s15
	s_delay_alu instid0(SALU_CYCLE_1)
	s_lshl_b32 s20, s20, 3
	v_fma_f64 v[39:40], -v[55:56], v[11:12], v[5:6]
	v_fma_f64 v[61:62], -v[59:60], v[15:16], v[9:10]
	s_waitcnt lgkmcnt(1)
	v_fma_f64 v[19:20], -v[53:54], v[45:46], v[19:20]
	v_fma_f64 v[31:32], -v[37:38], v[31:32], v[13:14]
	ds_load_b128 v[1:4], v1 offset:80
	ds_load_2addr_b64 v[5:8], v69 offset0:7 offset1:8
	ds_load_b128 v[9:12], v65 offset:48
	ds_load_2addr_b64 v[13:16], v69 offset0:9 offset1:10
	ds_load_b64 v[63:64], v69 offset:88
	s_waitcnt lgkmcnt(4)
	v_fma_f64 v[1:2], -v[17:18], v[1:2], v[23:24]
	v_fma_f64 v[23:24], -v[55:56], v[41:42], v[29:30]
	s_waitcnt lgkmcnt(3)
	v_fma_f64 v[5:6], -v[59:60], v[5:6], v[39:40]
	s_waitcnt lgkmcnt(2)
	v_fma_f64 v[9:10], -v[37:38], v[9:10], v[61:62]
	v_fma_f64 v[41:42], -v[55:56], v[43:44], v[19:20]
	v_fma_f64 v[45:46], -v[17:18], v[3:4], v[21:22]
	v_mov_b32_e32 v61, s20
	s_or_b32 s20, s9, 0x60
	s_delay_alu instid0(SALU_CYCLE_1) | instskip(NEXT) | instid1(SALU_CYCLE_1)
	s_add_i32 s21, s4, s20
	s_lshl_b32 s21, s21, 3
	v_mul_f64 v[39:40], v[31:32], v[33:34]
	v_fma_f64 v[33:34], -v[53:54], v[47:48], v[1:2]
	v_fma_f64 v[23:24], -v[59:60], v[7:8], v[23:24]
	;; [unrolled: 1-line block ×3, first 2 shown]
	s_waitcnt lgkmcnt(1)
	v_fma_f64 v[13:14], -v[59:60], v[13:14], v[41:42]
	v_fma_f64 v[35:36], -v[39:40], v[35:36], v[9:10]
	ds_load_b128 v[1:4], v65 offset:64
	ds_load_2addr_b64 v[5:8], v61 offset0:7 offset1:8
	ds_load_2addr_b64 v[9:12], v28 offset0:102 offset1:119
	;; [unrolled: 1-line block ×3, first 2 shown]
	ds_load_b128 v[29:32], v65 offset:80
	v_fma_f64 v[47:48], -v[55:56], v[49:50], v[33:34]
	s_waitcnt lgkmcnt(4)
	v_fma_f64 v[1:2], -v[37:38], v[1:2], v[23:24]
	s_waitcnt lgkmcnt(3)
	v_fma_f64 v[5:6], -v[39:40], v[5:6], v[43:44]
	v_mov_b32_e32 v43, s21
	v_fma_f64 v[3:4], -v[37:38], v[3:4], v[13:14]
	s_or_b32 s21, s9, 0x70
	s_bitset1_b32 s9, 7
	s_add_i32 s22, s4, s21
	s_delay_alu instid0(SALU_CYCLE_1)
	s_lshl_b32 s22, s22, 3
	s_waitcnt lgkmcnt(2)
	v_mul_f64 v[23:24], v[35:36], v[9:10]
	v_fma_f64 v[9:10], -v[53:54], v[57:58], v[45:46]
	ds_load_2addr_b64 v[33:36], v43 offset0:7 offset1:8
	ds_load_b64 v[41:42], v61 offset:88
	v_fma_f64 v[15:16], -v[59:60], v[15:16], v[47:48]
	v_fma_f64 v[1:2], -v[39:40], v[7:8], v[1:2]
	s_waitcnt lgkmcnt(1)
	v_fma_f64 v[5:6], -v[23:24], v[33:34], v[5:6]
	v_fma_f64 v[7:8], -v[55:56], v[51:52], v[9:10]
	v_mov_b32_e32 v9, s22
	s_add_i32 s22, s4, s9
	s_delay_alu instid0(SALU_CYCLE_1)
	s_lshl_b32 s22, s22, 3
	v_fma_f64 v[13:14], -v[37:38], v[29:30], v[15:16]
	v_fma_f64 v[15:16], -v[39:40], v[19:20], v[3:4]
	;; [unrolled: 1-line block ×3, first 2 shown]
	v_mul_f64 v[29:30], v[5:6], v[11:12]
	v_fma_f64 v[33:34], -v[59:60], v[63:64], v[7:8]
	ds_load_2addr_b64 v[1:4], v43 offset0:9 offset1:10
	ds_load_b128 v[5:8], v9 offset:64
	ds_load_b128 v[9:12], v9 offset:80
	ds_load_b64 v[35:36], v43 offset:88
	v_fma_f64 v[13:14], -v[39:40], v[21:22], v[13:14]
	s_waitcnt lgkmcnt(3)
	v_fma_f64 v[1:2], -v[23:24], v[1:2], v[15:16]
	s_waitcnt lgkmcnt(2)
	v_fma_f64 v[5:6], -v[29:30], v[5:6], v[19:20]
	v_fma_f64 v[15:16], -v[37:38], v[31:32], v[33:34]
	ds_load_b64 v[19:20], v28 offset:1088
	v_fma_f64 v[13:14], -v[23:24], v[3:4], v[13:14]
	v_fma_f64 v[7:8], -v[29:30], v[7:8], v[1:2]
	s_waitcnt lgkmcnt(0)
	v_mul_f64 v[19:20], v[5:6], v[19:20]
	v_fma_f64 v[5:6], -v[39:40], v[41:42], v[15:16]
	v_mov_b32_e32 v15, s22
	s_or_b32 s22, s4, 9
	ds_load_2addr_b64 v[1:4], v15 offset0:9 offset1:10
	ds_load_b64 v[15:16], v15 offset:88
	s_mul_i32 s23, s22, 0x88
	s_lshl_b32 s22, s22, 4
	s_delay_alu instid0(SALU_CYCLE_1) | instskip(NEXT) | instid1(SALU_CYCLE_1)
	s_add_i32 s24, s4, s22
	s_lshl_b32 s24, s24, 3
	v_fma_f64 v[9:10], -v[29:30], v[9:10], v[13:14]
	s_waitcnt lgkmcnt(1)
	v_fma_f64 v[1:2], -v[19:20], v[1:2], v[7:8]
	v_fma_f64 v[13:14], -v[23:24], v[35:36], v[5:6]
	v_mov_b32_e32 v5, s23
	s_or_b32 s23, s4, 10
	s_or_b32 s4, s4, 12
	s_mul_i32 s25, s23, 0x88
	ds_load_2addr_b64 v[5:8], v5 offset1:1
	v_fma_f64 v[3:4], -v[19:20], v[3:4], v[9:10]
	s_waitcnt lgkmcnt(0)
	v_mul_f64 v[5:6], v[1:2], v[5:6]
	v_fma_f64 v[1:2], -v[29:30], v[11:12], v[13:14]
	v_mov_b32_e32 v11, s24
	v_or_b32_e32 v13, s9, v0
	v_or_b32_e32 v14, s22, v0
	s_delay_alu instid0(VALU_DEP_2) | instskip(NEXT) | instid1(VALU_DEP_2)
	v_lshlrev_b32_e32 v13, 3, v13
	v_lshlrev_b32_e32 v14, 3, v14
	v_fma_f64 v[7:8], -v[5:6], v[7:8], v[3:4]
	v_fma_f64 v[9:10], -v[19:20], v[15:16], v[1:2]
	v_mov_b32_e32 v1, s25
	v_lshl_or_b32 v15, s23, 7, v25
	ds_load_b128 v[1:4], v1
	ds_load_b64 v[11:12], v11 offset:88
	s_waitcnt lgkmcnt(1)
	v_mul_f64 v[1:2], v[7:8], v[1:2]
	s_waitcnt lgkmcnt(0)
	v_fma_f64 v[7:8], -v[5:6], v[11:12], v[9:10]
	v_or_b32_e32 v9, s14, v0
	v_or_b32_e32 v10, s19, v0
	;; [unrolled: 1-line block ×4, first 2 shown]
	s_delay_alu instid0(VALU_DEP_2) | instskip(NEXT) | instid1(VALU_DEP_2)
	v_lshlrev_b32_e32 v11, 3, v11
	v_lshlrev_b32_e32 v12, 3, v12
	v_fma_f64 v[3:4], -v[1:2], v[3:4], v[7:8]
	v_mov_b32_e32 v7, s8
	ds_load_b64 v[7:8], v7
	s_waitcnt lgkmcnt(0)
	v_mul_f64 v[3:4], v[3:4], v[7:8]
	v_or_b32_e32 v7, s13, v0
	v_or_b32_e32 v8, s12, v0
	s_delay_alu instid0(VALU_DEP_2)
	v_lshlrev_b32_e32 v7, 3, v7
	ds_store_b64 v27, v[17:18]
	v_lshlrev_b32_e32 v8, 3, v8
	ds_store_b64 v7, v[55:56] offset:2048
	v_lshlrev_b32_e32 v7, 3, v9
	v_lshlrev_b32_e32 v9, 3, v10
	v_or_b32_e32 v10, s15, v0
	s_delay_alu instid0(VALU_DEP_1)
	v_lshlrev_b32_e32 v10, 3, v10
	ds_store_b64 v7, v[59:60] offset:2048
	ds_store_b64 v9, v[37:38] offset:2048
	;; [unrolled: 1-line block ×9, first 2 shown]
	ds_store_b64 v26, v[3:4]
.LBB84_54:
	s_cmp_ge_i32 s4, s28
	s_cbranch_scc1 .LBB84_65
; %bb.55:
	v_lshl_or_b32 v3, v0, 3, 0x800
	v_lshlrev_b32_e32 v4, 3, v0
	s_add_i32 s8, s4, -1
	s_lshl_b32 s9, s4, 3
	s_mov_b32 s12, 0
	s_mov_b32 s13, s4
	s_branch .LBB84_57
.LBB84_56:                              ;   in Loop: Header=BB84_57 Depth=1
	s_mul_i32 s14, s4, 0x88
	s_delay_alu instid0(SALU_CYCLE_1)
	v_dual_mov_b32 v6, s14 :: v_dual_add_nc_u32 v5, 0x800, v5
	s_add_i32 s4, s4, 1
	s_add_i32 s12, s12, 1
	;; [unrolled: 1-line block ×3, first 2 shown]
	s_cmp_ge_i32 s4, s28
	ds_load_b64 v[6:7], v6
	s_waitcnt lgkmcnt(0)
	v_mul_f64 v[1:2], v[1:2], v[6:7]
	v_add_nc_u16 v6, s13, 1
	s_delay_alu instid0(VALU_DEP_1)
	v_readfirstlane_b32 s13, v6
	ds_store_b64 v5, v[1:2]
	s_cbranch_scc1 .LBB84_65
.LBB84_57:                              ; =>This Loop Header: Depth=1
                                        ;     Child Loop BB84_60 Depth 2
                                        ;     Child Loop BB84_64 Depth 2
	v_lshl_or_b32 v5, s4, 7, v4
	s_cmp_eq_u32 s4, 0
	ds_load_b64 v[1:2], v5 offset:2048
	s_cbranch_scc1 .LBB84_56
; %bb.58:                               ;   in Loop: Header=BB84_57 Depth=1
	s_add_i32 s14, s8, s12
	s_delay_alu instid0(SALU_CYCLE_1)
	s_cmp_lt_u32 s14, 7
	s_cbranch_scc1 .LBB84_62
; %bb.59:                               ;   in Loop: Header=BB84_57 Depth=1
	v_mov_b32_e32 v6, v3
	s_and_b32 s14, s4, -8
	s_mov_b32 s15, 0
	s_mov_b32 s19, s9
	s_set_inst_prefetch_distance 0x1
	.p2align	6
.LBB84_60:                              ;   Parent Loop BB84_57 Depth=1
                                        ; =>  This Inner Loop Header: Depth=2
	v_mov_b32_e32 v15, s19
	s_add_i32 s15, s15, 8
	s_addk_i32 s19, 0x400
	s_cmp_lg_u32 s14, s15
	ds_load_2addr_b64 v[7:10], v6 offset1:16
	ds_load_2addr_b64 v[11:14], v15 offset1:16
	s_waitcnt lgkmcnt(0)
	v_fma_f64 v[1:2], -v[7:8], v[11:12], v[1:2]
	s_delay_alu instid0(VALU_DEP_1) | instskip(SKIP_4) | instid1(VALU_DEP_1)
	v_fma_f64 v[1:2], -v[9:10], v[13:14], v[1:2]
	ds_load_2addr_b64 v[7:10], v6 offset0:32 offset1:48
	ds_load_2addr_b64 v[11:14], v15 offset0:32 offset1:48
	s_waitcnt lgkmcnt(0)
	v_fma_f64 v[1:2], -v[7:8], v[11:12], v[1:2]
	v_fma_f64 v[1:2], -v[9:10], v[13:14], v[1:2]
	ds_load_2addr_b64 v[7:10], v6 offset0:64 offset1:80
	ds_load_2addr_b64 v[11:14], v15 offset0:64 offset1:80
	s_waitcnt lgkmcnt(0)
	v_fma_f64 v[1:2], -v[7:8], v[11:12], v[1:2]
	s_delay_alu instid0(VALU_DEP_1)
	v_fma_f64 v[1:2], -v[9:10], v[13:14], v[1:2]
	ds_load_2addr_b64 v[7:10], v6 offset0:96 offset1:112
	ds_load_2addr_b64 v[11:14], v15 offset0:96 offset1:112
	v_add_nc_u32_e32 v6, 0x400, v6
	s_waitcnt lgkmcnt(0)
	v_fma_f64 v[1:2], -v[7:8], v[11:12], v[1:2]
	s_delay_alu instid0(VALU_DEP_1)
	v_fma_f64 v[1:2], -v[9:10], v[13:14], v[1:2]
	s_cbranch_scc1 .LBB84_60
; %bb.61:                               ;   in Loop: Header=BB84_57 Depth=1
	s_set_inst_prefetch_distance 0x2
	s_and_b32 s15, s4, 7
	s_delay_alu instid0(SALU_CYCLE_1)
	s_cmp_eq_u32 s15, 0
	s_cbranch_scc0 .LBB84_63
	s_branch .LBB84_56
.LBB84_62:                              ;   in Loop: Header=BB84_57 Depth=1
	s_mov_b32 s14, 0
	s_and_b32 s15, s4, 7
	s_delay_alu instid0(SALU_CYCLE_1)
	s_cmp_eq_u32 s15, 0
	s_cbranch_scc1 .LBB84_56
.LBB84_63:                              ;   in Loop: Header=BB84_57 Depth=1
	s_and_b32 s15, s13, 7
	s_lshl_b32 s14, s14, 7
.LBB84_64:                              ;   Parent Loop BB84_57 Depth=1
                                        ; =>  This Inner Loop Header: Depth=2
	s_delay_alu instid0(SALU_CYCLE_1)
	s_add_i32 s19, s9, s14
	v_add_nc_u32_e32 v6, s14, v3
	v_mov_b32_e32 v8, s19
	s_add_i32 s15, s15, -1
	s_addk_i32 s14, 0x80
	s_cmp_lg_u32 s15, 0
	ds_load_b64 v[6:7], v6
	ds_load_b64 v[8:9], v8
	s_waitcnt lgkmcnt(0)
	v_fma_f64 v[1:2], -v[6:7], v[8:9], v[1:2]
	s_cbranch_scc1 .LBB84_64
	s_branch .LBB84_56
.LBB84_65:
	s_waitcnt vmcnt(0) lgkmcnt(0)
	s_waitcnt_vscnt null, 0x0
	; wave barrier
	s_waitcnt lgkmcnt(0)
	buffer_gl0_inv
	s_and_saveexec_b32 s4, s18
	s_cbranch_execz .LBB84_72
; %bb.66:
	s_cmp_lt_i32 s6, 8
	s_mov_b32 s4, 0
	s_cbranch_scc1 .LBB84_69
; %bb.67:
	v_mad_i64_i32 v[1:2], null, s16, v0, 0
	v_lshl_or_b32 v3, v0, 3, 0x800
	s_lshl_b32 s4, s28, 3
	s_delay_alu instid0(VALU_DEP_2) | instskip(NEXT) | instid1(VALU_DEP_1)
	v_lshlrev_b64 v[1:2], 3, v[1:2]
	v_add_co_u32 v1, vcc_lo, s5, v1
	s_delay_alu instid0(VALU_DEP_2)
	v_add_co_ci_u32_e32 v2, vcc_lo, s7, v2, vcc_lo
	s_and_b32 s5, s4, 0xc0
	s_mov_b32 s4, 0
	s_mov_b64 s[6:7], 0
	.p2align	6
.LBB84_68:                              ; =>This Inner Loop Header: Depth=1
	ds_load_2addr_b64 v[4:7], v3 offset1:16
	ds_load_2addr_b64 v[8:11], v3 offset0:32 offset1:48
	ds_load_2addr_b64 v[12:15], v3 offset0:64 offset1:80
	;; [unrolled: 1-line block ×3, first 2 shown]
	v_add_co_u32 v20, vcc_lo, v1, s6
	v_add_co_ci_u32_e32 v21, vcc_lo, s7, v2, vcc_lo
	s_add_i32 s4, s4, 8
	v_add_nc_u32_e32 v3, 0x400, v3
	s_add_u32 s6, s6, 64
	s_addc_u32 s7, s7, 0
	s_cmp_lg_u32 s5, s6
	s_waitcnt lgkmcnt(3)
	global_store_b128 v[20:21], v[4:7], off
	s_waitcnt lgkmcnt(2)
	global_store_b128 v[20:21], v[8:11], off offset:16
	s_waitcnt lgkmcnt(1)
	global_store_b128 v[20:21], v[12:15], off offset:32
	;; [unrolled: 2-line block ×3, first 2 shown]
	s_cbranch_scc1 .LBB84_68
.LBB84_69:
	s_and_b32 s6, s28, 7
	s_mov_b32 s5, 0
	s_cmp_eq_u32 s6, 0
	s_cbranch_scc1 .LBB84_72
; %bb.70:
	v_lshlrev_b32_e32 v2, 3, v0
	s_lshl_b64 s[8:9], s[10:11], 3
	s_lshl_b64 s[10:11], s[4:5], 3
	s_delay_alu instid0(SALU_CYCLE_1) | instskip(NEXT) | instid1(VALU_DEP_1)
	s_add_u32 s2, s2, s10
	v_add_co_u32 v3, s5, s8, v2
	s_delay_alu instid0(VALU_DEP_1) | instskip(SKIP_3) | instid1(VALU_DEP_1)
	v_add_co_ci_u32_e64 v4, null, s9, 0, s5
	s_addc_u32 s3, s3, s11
	s_add_u32 s0, s2, s0
	s_addc_u32 s1, s3, s1
	v_mul_lo_u32 v4, v4, s16
	v_mad_u64_u32 v[0:1], null, v3, s16, s[0:1]
	v_mul_lo_u32 v3, v3, s17
	v_lshl_or_b32 v2, s4, 7, v2
	s_delay_alu instid0(VALU_DEP_1) | instskip(NEXT) | instid1(VALU_DEP_3)
	v_add_nc_u32_e32 v2, 0x800, v2
	v_add3_u32 v1, v4, v1, v3
.LBB84_71:                              ; =>This Inner Loop Header: Depth=1
	ds_load_b64 v[3:4], v2
	v_add_nc_u32_e32 v2, 0x80, v2
	s_add_i32 s6, s6, -1
	s_delay_alu instid0(SALU_CYCLE_1)
	s_cmp_lg_u32 s6, 0
	s_waitcnt lgkmcnt(0)
	global_store_b64 v[0:1], v[3:4], off
	v_add_co_u32 v0, vcc_lo, v0, 8
	v_add_co_ci_u32_e32 v1, vcc_lo, 0, v1, vcc_lo
	s_cbranch_scc1 .LBB84_71
.LBB84_72:
	s_nop 0
	s_sendmsg sendmsg(MSG_DEALLOC_VGPRS)
	s_endpgm
	.section	.rodata,"a",@progbits
	.p2align	6, 0x0
	.amdhsa_kernel _ZL38rocblas_trsm_small_left_device_sharedBILi16ELi16ELb1EddPKPKdPKPdEv13rocblas_fill_18rocblas_operation_17rocblas_diagonal_iiT3_T4_lilT5_lili
		.amdhsa_group_segment_fixed_size 4096
		.amdhsa_private_segment_fixed_size 0
		.amdhsa_kernarg_size 360
		.amdhsa_user_sgpr_count 14
		.amdhsa_user_sgpr_dispatch_ptr 0
		.amdhsa_user_sgpr_queue_ptr 0
		.amdhsa_user_sgpr_kernarg_segment_ptr 1
		.amdhsa_user_sgpr_dispatch_id 0
		.amdhsa_user_sgpr_private_segment_size 0
		.amdhsa_wavefront_size32 1
		.amdhsa_uses_dynamic_stack 0
		.amdhsa_enable_private_segment 0
		.amdhsa_system_sgpr_workgroup_id_x 1
		.amdhsa_system_sgpr_workgroup_id_y 0
		.amdhsa_system_sgpr_workgroup_id_z 1
		.amdhsa_system_sgpr_workgroup_info 0
		.amdhsa_system_vgpr_workitem_id 0
		.amdhsa_next_free_vgpr 93
		.amdhsa_next_free_sgpr 32
		.amdhsa_reserve_vcc 1
		.amdhsa_float_round_mode_32 0
		.amdhsa_float_round_mode_16_64 0
		.amdhsa_float_denorm_mode_32 3
		.amdhsa_float_denorm_mode_16_64 3
		.amdhsa_dx10_clamp 1
		.amdhsa_ieee_mode 1
		.amdhsa_fp16_overflow 0
		.amdhsa_workgroup_processor_mode 1
		.amdhsa_memory_ordered 1
		.amdhsa_forward_progress 0
		.amdhsa_shared_vgpr_count 0
		.amdhsa_exception_fp_ieee_invalid_op 0
		.amdhsa_exception_fp_denorm_src 0
		.amdhsa_exception_fp_ieee_div_zero 0
		.amdhsa_exception_fp_ieee_overflow 0
		.amdhsa_exception_fp_ieee_underflow 0
		.amdhsa_exception_fp_ieee_inexact 0
		.amdhsa_exception_int_div_zero 0
	.end_amdhsa_kernel
	.section	.text._ZL38rocblas_trsm_small_left_device_sharedBILi16ELi16ELb1EddPKPKdPKPdEv13rocblas_fill_18rocblas_operation_17rocblas_diagonal_iiT3_T4_lilT5_lili,"axG",@progbits,_ZL38rocblas_trsm_small_left_device_sharedBILi16ELi16ELb1EddPKPKdPKPdEv13rocblas_fill_18rocblas_operation_17rocblas_diagonal_iiT3_T4_lilT5_lili,comdat
.Lfunc_end84:
	.size	_ZL38rocblas_trsm_small_left_device_sharedBILi16ELi16ELb1EddPKPKdPKPdEv13rocblas_fill_18rocblas_operation_17rocblas_diagonal_iiT3_T4_lilT5_lili, .Lfunc_end84-_ZL38rocblas_trsm_small_left_device_sharedBILi16ELi16ELb1EddPKPKdPKPdEv13rocblas_fill_18rocblas_operation_17rocblas_diagonal_iiT3_T4_lilT5_lili
                                        ; -- End function
	.section	.AMDGPU.csdata,"",@progbits
; Kernel info:
; codeLenInByte = 12716
; NumSgprs: 34
; NumVgprs: 93
; ScratchSize: 0
; MemoryBound: 0
; FloatMode: 240
; IeeeMode: 1
; LDSByteSize: 4096 bytes/workgroup (compile time only)
; SGPRBlocks: 4
; VGPRBlocks: 11
; NumSGPRsForWavesPerEU: 34
; NumVGPRsForWavesPerEU: 93
; Occupancy: 8
; WaveLimiterHint : 1
; COMPUTE_PGM_RSRC2:SCRATCH_EN: 0
; COMPUTE_PGM_RSRC2:USER_SGPR: 14
; COMPUTE_PGM_RSRC2:TRAP_HANDLER: 0
; COMPUTE_PGM_RSRC2:TGID_X_EN: 1
; COMPUTE_PGM_RSRC2:TGID_Y_EN: 0
; COMPUTE_PGM_RSRC2:TGID_Z_EN: 1
; COMPUTE_PGM_RSRC2:TIDIG_COMP_CNT: 0
	.section	.text._ZL30rocblas_trsm_small_left_deviceILi16ELi16ELb1EddPKPKdPKPdEv13rocblas_fill_18rocblas_operation_17rocblas_diagonal_iiT3_T4_lilT5_lili,"axG",@progbits,_ZL30rocblas_trsm_small_left_deviceILi16ELi16ELb1EddPKPKdPKPdEv13rocblas_fill_18rocblas_operation_17rocblas_diagonal_iiT3_T4_lilT5_lili,comdat
	.globl	_ZL30rocblas_trsm_small_left_deviceILi16ELi16ELb1EddPKPKdPKPdEv13rocblas_fill_18rocblas_operation_17rocblas_diagonal_iiT3_T4_lilT5_lili ; -- Begin function _ZL30rocblas_trsm_small_left_deviceILi16ELi16ELb1EddPKPKdPKPdEv13rocblas_fill_18rocblas_operation_17rocblas_diagonal_iiT3_T4_lilT5_lili
	.p2align	8
	.type	_ZL30rocblas_trsm_small_left_deviceILi16ELi16ELb1EddPKPKdPKPdEv13rocblas_fill_18rocblas_operation_17rocblas_diagonal_iiT3_T4_lilT5_lili,@function
_ZL30rocblas_trsm_small_left_deviceILi16ELi16ELb1EddPKPKdPKPdEv13rocblas_fill_18rocblas_operation_17rocblas_diagonal_iiT3_T4_lilT5_lili: ; @_ZL30rocblas_trsm_small_left_deviceILi16ELi16ELb1EddPKPKdPKPdEv13rocblas_fill_18rocblas_operation_17rocblas_diagonal_iiT3_T4_lilT5_lili
; %bb.0:
	s_load_b128 s[16:19], s[0:1], 0x40
	s_mov_b32 s2, s15
	s_mov_b32 s3, 0
	s_clause 0x1
	s_load_b128 s[8:11], s[0:1], 0x4
	s_load_b64 s[20:21], s[0:1], 0x28
	s_lshl_b64 s[24:25], s[2:3], 3
	s_mov_b32 s15, exec_lo
	s_waitcnt lgkmcnt(0)
	s_add_u32 s12, s16, s24
	s_addc_u32 s13, s17, s25
	s_load_b128 s[4:7], s[0:1], 0x18
	s_load_b64 s[12:13], s[12:13], 0x0
	s_min_i32 s2, s10, 16
	s_delay_alu instid0(SALU_CYCLE_1)
	s_add_i32 s16, s2, -1
	v_cmpx_gt_i32_e64 s2, v0
	s_cbranch_execz .LBB85_10
; %bb.1:
	s_load_b32 s22, s[0:1], 0x30
	v_lshlrev_b32_e32 v3, 3, v0
	s_waitcnt lgkmcnt(0)
	s_ashr_i32 s23, s22, 31
	s_add_u32 s6, s6, s24
	s_addc_u32 s7, s7, s25
	s_cmp_lt_u32 s16, 3
	s_load_b64 s[6:7], s[6:7], 0x0
	s_cbranch_scc1 .LBB85_4
; %bb.2:
	s_lshl_b64 s[24:25], s[20:21], 3
	v_mov_b32_e32 v4, v3
	s_waitcnt lgkmcnt(0)
	s_add_u32 s3, s6, s24
	s_addc_u32 s17, s7, s25
	v_add_co_u32 v1, s3, s3, v3
	s_delay_alu instid0(VALU_DEP_1)
	v_add_co_ci_u32_e64 v2, null, s17, 0, s3
	s_and_b32 s3, s2, -4
	s_mul_hi_i32 s17, s22, 24
	s_mul_i32 s30, s22, 24
	s_lshl_b64 s[24:25], s[22:23], 5
	s_lshl_b64 s[26:27], s[22:23], 4
	;; [unrolled: 1-line block ×3, first 2 shown]
	s_mov_b32 s31, 0
	.p2align	6
.LBB85_3:                               ; =>This Inner Loop Header: Depth=1
	v_add_co_u32 v5, vcc_lo, v1, s28
	v_add_co_ci_u32_e32 v6, vcc_lo, s29, v2, vcc_lo
	v_add_co_u32 v7, vcc_lo, v1, s26
	v_add_co_ci_u32_e32 v8, vcc_lo, s27, v2, vcc_lo
	;; [unrolled: 2-line block ×3, first 2 shown]
	s_clause 0x3
	global_load_b64 v[11:12], v[1:2], off
	global_load_b64 v[5:6], v[5:6], off
	;; [unrolled: 1-line block ×4, first 2 shown]
	v_add_co_u32 v1, vcc_lo, v1, s24
	v_add_co_ci_u32_e32 v2, vcc_lo, s25, v2, vcc_lo
	s_add_i32 s31, s31, 4
	s_waitcnt vmcnt(2)
	ds_store_2addr_b64 v4, v[11:12], v[5:6] offset1:16
	s_waitcnt vmcnt(0)
	ds_store_2addr_b64 v4, v[7:8], v[9:10] offset0:32 offset1:48
	v_add_nc_u32_e32 v4, 0x200, v4
	s_cmp_eq_u32 s3, s31
	s_cbranch_scc0 .LBB85_3
.LBB85_4:
	s_and_b32 s17, s2, 3
	s_delay_alu instid0(SALU_CYCLE_1)
	s_cmp_eq_u32 s17, 0
	s_cbranch_scc1 .LBB85_7
; %bb.5:
	s_mul_i32 s25, s23, s3
	s_mul_hi_u32 s26, s22, s3
	s_mul_i32 s24, s22, s3
	s_add_i32 s25, s26, s25
	s_lshl_b64 s[20:21], s[20:21], 3
	s_lshl_b64 s[24:25], s[24:25], 3
	v_lshl_or_b32 v4, s3, 7, v3
	s_add_u32 s3, s24, s20
	s_addc_u32 s20, s25, s21
	s_waitcnt lgkmcnt(0)
	s_add_u32 s3, s6, s3
	s_addc_u32 s6, s7, s20
	v_add_co_u32 v1, s3, s3, v3
	s_delay_alu instid0(VALU_DEP_1)
	v_add_co_ci_u32_e64 v2, null, s6, 0, s3
	s_lshl_b64 s[6:7], s[22:23], 3
.LBB85_6:                               ; =>This Inner Loop Header: Depth=1
	global_load_b64 v[5:6], v[1:2], off
	v_add_co_u32 v1, vcc_lo, v1, s6
	v_add_co_ci_u32_e32 v2, vcc_lo, s7, v2, vcc_lo
	s_add_i32 s17, s17, -1
	s_delay_alu instid0(SALU_CYCLE_1)
	s_cmp_lg_u32 s17, 0
	s_waitcnt vmcnt(0)
	ds_store_b64 v4, v[5:6]
	v_add_nc_u32_e32 v4, 0x80, v4
	s_cbranch_scc1 .LBB85_6
.LBB85_7:
	v_mul_u32_u24_e32 v3, 17, v0
	v_mov_b32_e32 v1, 0
	v_mov_b32_e32 v2, 0x3ff00000
	s_cmpk_lg_i32 s9, 0x84
	s_delay_alu instid0(VALU_DEP_3)
	v_lshlrev_b32_e32 v3, 3, v3
	s_cbranch_scc0 .LBB85_9
; %bb.8:
	ds_load_b64 v[1:2], v3
	s_waitcnt lgkmcnt(0)
	v_div_scale_f64 v[4:5], null, v[1:2], v[1:2], 1.0
	s_delay_alu instid0(VALU_DEP_1) | instskip(SKIP_2) | instid1(VALU_DEP_1)
	v_rcp_f64_e32 v[6:7], v[4:5]
	s_waitcnt_depctr 0xfff
	v_fma_f64 v[8:9], -v[4:5], v[6:7], 1.0
	v_fma_f64 v[6:7], v[6:7], v[8:9], v[6:7]
	s_delay_alu instid0(VALU_DEP_1) | instskip(NEXT) | instid1(VALU_DEP_1)
	v_fma_f64 v[8:9], -v[4:5], v[6:7], 1.0
	v_fma_f64 v[6:7], v[6:7], v[8:9], v[6:7]
	v_div_scale_f64 v[8:9], vcc_lo, 1.0, v[1:2], 1.0
	s_delay_alu instid0(VALU_DEP_1) | instskip(NEXT) | instid1(VALU_DEP_1)
	v_mul_f64 v[10:11], v[8:9], v[6:7]
	v_fma_f64 v[4:5], -v[4:5], v[10:11], v[8:9]
	s_delay_alu instid0(VALU_DEP_1) | instskip(NEXT) | instid1(VALU_DEP_1)
	v_div_fmas_f64 v[4:5], v[4:5], v[6:7], v[10:11]
	v_div_fixup_f64 v[1:2], v[4:5], v[1:2], 1.0
.LBB85_9:
	ds_store_b64 v3, v[1:2]
.LBB85_10:
	s_or_b32 exec_lo, exec_lo, s15
	s_load_b32 s3, s[0:1], 0x68
	s_waitcnt lgkmcnt(0)
	s_lshl_b32 s6, s14, 4
	s_delay_alu instid0(SALU_CYCLE_1) | instskip(SKIP_2) | instid1(SALU_CYCLE_1)
	s_sub_i32 s7, s11, s6
	; wave barrier
	buffer_gl0_inv
	s_add_i32 s3, s3, -1
	s_cmp_ge_u32 s14, s3
	s_cselect_b32 s3, s7, 16
	s_delay_alu instid0(SALU_CYCLE_1)
	v_cmp_gt_i32_e32 vcc_lo, s3, v0
	s_mov_b32 s3, -1
	s_and_saveexec_b32 s7, vcc_lo
	s_cbranch_execz .LBB85_57
; %bb.11:
	s_load_b32 s0, s[0:1], 0x50
	v_add_nc_u32_e32 v2, s6, v0
	s_waitcnt lgkmcnt(0)
	s_delay_alu instid0(VALU_DEP_1) | instskip(SKIP_1) | instid1(SALU_CYCLE_1)
	v_mad_i64_i32 v[0:1], null, s0, v2, 0
	s_lshl_b64 s[0:1], s[18:19], 3
	s_add_u32 s6, s12, s0
	s_addc_u32 s7, s13, s1
	s_cmpk_eq_i32 s8, 0x6f
	s_delay_alu instid0(VALU_DEP_1) | instskip(NEXT) | instid1(VALU_DEP_1)
	v_lshlrev_b64 v[34:35], 3, v[0:1]
	v_add_co_u32 v32, vcc_lo, s6, v34
	s_delay_alu instid0(VALU_DEP_2)
	v_add_co_ci_u32_e32 v33, vcc_lo, s7, v35, vcc_lo
	s_cbranch_scc1 .LBB85_34
; %bb.12:
	s_cmp_gt_i32 s10, 15
	s_cbranch_scc0 .LBB85_14
; %bb.13:
	s_ashr_i32 s17, s16, 31
	s_mov_b32 s3, 0
	s_lshl_b64 s[6:7], s[16:17], 3
	s_delay_alu instid0(SALU_CYCLE_1) | instskip(SKIP_2) | instid1(SALU_CYCLE_1)
	v_add_co_u32 v20, vcc_lo, v32, s6
	v_add_co_ci_u32_e32 v21, vcc_lo, s7, v33, vcc_lo
	s_lshl_b64 s[6:7], s[2:3], 3
	v_add_co_u32 v30, vcc_lo, v32, s6
	global_load_b64 v[12:13], v[20:21], off
	v_add_co_ci_u32_e32 v31, vcc_lo, s7, v33, vcc_lo
	s_clause 0x4
	global_load_b64 v[16:17], v[30:31], off offset:-16
	global_load_b128 v[0:3], v[30:31], off offset:-32
	global_load_b128 v[8:11], v[30:31], off offset:-48
	;; [unrolled: 1-line block ×4, first 2 shown]
	s_mul_i32 s6, s16, 0x88
	global_load_b128 v[36:39], v[30:31], off offset:-80
	s_add_i32 s3, s6, 0xffffff78
	s_add_i32 s8, s6, 0xfffffde0
	s_waitcnt vmcnt(6)
	v_mul_f64 v[18:19], v[12:13], s[4:5]
	v_mov_b32_e32 v12, s6
	ds_load_b64 v[22:23], v12
	v_mov_b32_e32 v12, s3
	s_lshl_b32 s3, s2, 4
	s_delay_alu instid0(SALU_CYCLE_1) | instskip(SKIP_2) | instid1(SALU_CYCLE_1)
	s_add_i32 s3, s3, s16
	ds_load_2addr_b64 v[12:15], v12 offset1:1
	s_lshl_b32 s3, s3, 3
	s_add_i32 s7, s3, 0xfffffe80
	s_add_i32 s9, s3, 0xfffffae0
	;; [unrolled: 1-line block ×3, first 2 shown]
	s_waitcnt lgkmcnt(1)
	v_mul_f64 v[22:23], v[18:19], v[22:23]
	v_mov_b32_e32 v18, s7
	s_add_i32 s7, s6, 0xfffffef0
	s_delay_alu instid0(SALU_CYCLE_1)
	v_mov_b32_e32 v24, s7
	s_add_i32 s7, s3, 0xfffffdf8
	ds_load_b64 v[18:19], v18
	ds_load_2addr_b64 v[40:43], v24 offset1:1
	s_waitcnt lgkmcnt(2)
	v_mul_f64 v[14:15], v[22:23], v[14:15]
	s_waitcnt vmcnt(5)
	s_delay_alu instid0(VALU_DEP_1) | instskip(SKIP_2) | instid1(SALU_CYCLE_1)
	v_fma_f64 v[14:15], v[16:17], s[4:5], -v[14:15]
	v_mov_b32_e32 v16, s7
	s_add_i32 s7, s6, 0xfffffe68
	v_mov_b32_e32 v48, s7
	s_add_i32 s7, s3, 0xfffffd80
	ds_load_2addr_b64 v[44:47], v16 offset1:1
	ds_load_2addr_b64 v[48:51], v48 offset1:1
	s_waitcnt lgkmcnt(3)
	v_mul_f64 v[24:25], v[22:23], v[18:19]
	s_waitcnt vmcnt(4)
	s_delay_alu instid0(VALU_DEP_1) | instskip(SKIP_3) | instid1(SALU_CYCLE_1)
	v_fma_f64 v[2:3], v[2:3], s[4:5], -v[24:25]
	v_mul_f64 v[24:25], v[14:15], v[12:13]
	v_mov_b32_e32 v12, s7
	s_add_i32 s7, s3, 0xfffffd70
	v_mov_b32_e32 v14, s7
	s_add_i32 s7, s3, 0xfffffcf8
	ds_load_b64 v[12:13], v12
	ds_load_2addr_b64 v[52:55], v14 offset1:1
	global_load_b128 v[16:19], v[30:31], off offset:-96
	s_waitcnt lgkmcnt(3)
	v_mul_f64 v[46:47], v[22:23], v[46:47]
	v_fma_f64 v[42:43], -v[24:25], v[42:43], v[2:3]
	s_delay_alu instid0(VALU_DEP_2)
	v_fma_f64 v[46:47], v[0:1], s[4:5], -v[46:47]
	v_mov_b32_e32 v0, s7
	s_add_i32 s7, s3, 0xfffffc78
	ds_load_2addr_b64 v[0:3], v0 offset1:1
	s_waitcnt lgkmcnt(2)
	v_mul_f64 v[56:57], v[22:23], v[12:13]
	global_load_b128 v[12:15], v[30:31], off offset:-112
	s_waitcnt lgkmcnt(0)
	v_mul_f64 v[30:31], v[22:23], v[2:3]
	v_mul_f64 v[2:3], v[42:43], v[40:41]
	v_mov_b32_e32 v40, s7
	s_add_i32 s7, s3, 0xfffffc68
	ds_load_2addr_b64 v[40:43], v40 offset1:1
	s_waitcnt vmcnt(5)
	v_fma_f64 v[10:11], v[10:11], s[4:5], -v[56:57]
	v_fma_f64 v[56:57], -v[24:25], v[44:45], v[46:47]
	v_mov_b32_e32 v44, s7
	s_add_i32 s7, s3, 0xfffffc00
	ds_load_2addr_b64 v[44:47], v44 offset1:1
	v_fma_f64 v[30:31], v[8:9], s[4:5], -v[30:31]
	v_mov_b32_e32 v8, s7
	s_add_i32 s7, s3, 0xfffffbf0
	v_fma_f64 v[54:55], -v[24:25], v[54:55], v[10:11]
	v_fma_f64 v[50:51], -v[2:3], v[50:51], v[56:57]
	ds_load_b64 v[56:57], v8
	s_waitcnt lgkmcnt(2)
	v_mul_f64 v[42:43], v[22:23], v[42:43]
	v_mov_b32_e32 v8, s7
	s_add_i32 s7, s3, 0xfffffb78
	ds_load_2addr_b64 v[8:11], v8 offset1:1
	v_fma_f64 v[66:67], -v[24:25], v[0:1], v[30:31]
	s_waitcnt lgkmcnt(1)
	v_mul_f64 v[64:65], v[22:23], v[56:57]
	v_fma_f64 v[68:69], -v[2:3], v[52:53], v[54:55]
	v_mul_f64 v[0:1], v[50:51], v[48:49]
	v_mov_b32_e32 v52, s8
	s_waitcnt vmcnt(4)
	v_fma_f64 v[42:43], v[28:29], s[4:5], -v[42:43]
	v_mov_b32_e32 v28, s7
	s_add_i32 s7, s3, 0xfffffce8
	s_add_i32 s8, s3, 0xfffffb68
	v_mov_b32_e32 v48, s7
	ds_load_2addr_b64 v[28:31], v28 offset1:1
	ds_load_2addr_b64 v[48:51], v48 offset1:1
	;; [unrolled: 1-line block ×3, first 2 shown]
	s_add_i32 s7, s6, 0xfffffd58
	v_mov_b32_e32 v60, s8
	v_mov_b32_e32 v56, s7
	s_add_i32 s7, s3, 0xfffffb00
	ds_load_2addr_b64 v[56:59], v56 offset1:1
	ds_load_2addr_b64 v[60:63], v60 offset1:1
	s_add_i32 s8, s3, 0xfffffbe0
	v_fma_f64 v[26:27], v[26:27], s[4:5], -v[64:65]
	s_waitcnt lgkmcnt(4)
	v_mul_f64 v[30:31], v[22:23], v[30:31]
	s_waitcnt lgkmcnt(3)
	v_fma_f64 v[50:51], -v[2:3], v[50:51], v[66:67]
	s_waitcnt lgkmcnt(2)
	v_fma_f64 v[54:55], -v[0:1], v[54:55], v[68:69]
	v_fma_f64 v[64:65], -v[24:25], v[40:41], v[42:43]
	v_mov_b32_e32 v40, s7
	s_add_i32 s7, s3, 0xfffffaf0
	ds_load_b64 v[66:67], v40
	v_mov_b32_e32 v40, s7
	s_add_i32 s7, s3, 0xfffffa78
	ds_load_2addr_b64 v[40:43], v40 offset1:1
	v_fma_f64 v[26:27], -v[24:25], v[10:11], v[26:27]
	s_waitcnt lgkmcnt(1)
	v_mul_f64 v[66:67], v[22:23], v[66:67]
	s_waitcnt vmcnt(2)
	v_fma_f64 v[30:31], v[38:39], s[4:5], -v[30:31]
	v_mul_f64 v[10:11], v[54:55], v[52:53]
	v_fma_f64 v[38:39], -v[2:3], v[46:47], v[64:65]
	v_fma_f64 v[64:65], -v[0:1], v[48:49], v[50:51]
	v_mov_b32_e32 v46, s7
	s_add_i32 s7, s3, 0xfffffa68
	s_delay_alu instid0(SALU_CYCLE_1)
	v_mov_b32_e32 v50, s7
	s_add_i32 s7, s3, 0xfffff9f8
	ds_load_2addr_b64 v[46:49], v46 offset1:1
	ds_load_2addr_b64 v[50:53], v50 offset1:1
	v_fma_f64 v[8:9], -v[2:3], v[8:9], v[26:27]
	v_mov_b32_e32 v26, s7
	s_add_i32 s7, s3, 0xfffffc58
	v_fma_f64 v[54:55], v[36:37], s[4:5], -v[66:67]
	s_waitcnt lgkmcnt(1)
	v_mul_f64 v[48:49], v[22:23], v[48:49]
	v_fma_f64 v[30:31], -v[24:25], v[28:29], v[30:31]
	v_mov_b32_e32 v36, s8
	s_add_i32 s8, s3, 0xfffff9e8
	s_delay_alu instid0(SALU_CYCLE_1)
	v_mov_b32_e32 v72, s8
	s_add_i32 s8, s6, 0xfffffcd0
	v_fma_f64 v[44:45], -v[0:1], v[44:45], v[38:39]
	v_fma_f64 v[58:59], -v[10:11], v[58:59], v[64:65]
	v_mov_b32_e32 v64, s7
	ds_load_2addr_b64 v[26:29], v26 offset1:1
	ds_load_2addr_b64 v[36:39], v36 offset1:1
	;; [unrolled: 1-line block ×3, first 2 shown]
	s_add_i32 s7, s3, 0xfffffbd0
	s_delay_alu instid0(SALU_CYCLE_1)
	v_mov_b32_e32 v68, s7
	s_add_i32 s7, s3, 0xfffff980
	ds_load_2addr_b64 v[68:71], v68 offset1:1
	ds_load_2addr_b64 v[72:75], v72 offset1:1
	s_waitcnt lgkmcnt(4)
	v_mul_f64 v[76:77], v[22:23], v[28:29]
	s_waitcnt lgkmcnt(3)
	v_fma_f64 v[38:39], -v[0:1], v[38:39], v[8:9]
	v_mov_b32_e32 v28, s7
	v_fma_f64 v[42:43], -v[24:25], v[42:43], v[54:55]
	s_add_i32 s7, s3, 0xfffff970
	ds_load_b64 v[54:55], v28
	v_mov_b32_e32 v28, s7
	s_add_i32 s7, s3, 0xfffff8f8
	s_waitcnt lgkmcnt(3)
	v_fma_f64 v[44:45], -v[10:11], v[66:67], v[44:45]
	v_mul_f64 v[8:9], v[58:59], v[56:57]
	s_waitcnt vmcnt(1)
	v_fma_f64 v[18:19], v[18:19], s[4:5], -v[48:49]
	v_fma_f64 v[48:49], -v[2:3], v[62:63], v[30:31]
	ds_load_2addr_b64 v[28:31], v28 offset1:1
	s_waitcnt lgkmcnt(1)
	v_mul_f64 v[58:59], v[22:23], v[54:55]
	v_fma_f64 v[62:63], v[16:17], s[4:5], -v[76:77]
	v_mov_b32_e32 v16, s7
	s_add_i32 s7, s3, 0xfffffb58
	v_fma_f64 v[76:77], -v[2:3], v[40:41], v[42:43]
	v_mov_b32_e32 v40, s7
	s_add_i32 s7, s3, 0xfffffb48
	v_fma_f64 v[64:65], -v[8:9], v[64:65], v[44:45]
	;; [unrolled: 3-line block ×3, first 2 shown]
	ds_load_2addr_b64 v[16:19], v16 offset1:1
	v_fma_f64 v[48:49], -v[0:1], v[60:61], v[48:49]
	v_fma_f64 v[60:61], -v[10:11], v[36:37], v[38:39]
	v_mov_b32_e32 v36, s9
	ds_load_2addr_b64 v[36:39], v36 offset1:1
	ds_load_2addr_b64 v[40:43], v40 offset1:1
	ds_load_b64 v[78:79], v44
	s_waitcnt vmcnt(0)
	v_fma_f64 v[80:81], v[14:15], s[4:5], -v[58:59]
	v_mov_b32_e32 v44, s7
	s_add_i32 s7, s3, 0xfffff880
	v_mov_b32_e32 v54, s8
	v_mov_b32_e32 v58, s7
	ds_load_2addr_b64 v[44:47], v44 offset1:1
	ds_load_2addr_b64 v[54:57], v54 offset1:1
	v_fma_f64 v[26:27], -v[24:25], v[26:27], v[62:63]
	ds_load_b64 v[62:63], v58
	s_add_i32 s7, s3, 0xfffff870
	s_waitcnt lgkmcnt(6)
	v_mul_f64 v[18:19], v[22:23], v[18:19]
	v_mov_b32_e32 v58, s7
	s_add_i32 s7, s3, 0xfffffa58
	s_add_i32 s8, s3, 0xfffff7f8
	;; [unrolled: 1-line block ×3, first 2 shown]
	s_waitcnt lgkmcnt(5)
	v_fma_f64 v[38:39], -v[0:1], v[38:39], v[76:77]
	s_waitcnt lgkmcnt(3)
	v_mul_f64 v[14:15], v[64:65], v[78:79]
	v_fma_f64 v[52:53], -v[2:3], v[52:53], v[66:67]
	s_waitcnt lgkmcnt(0)
	v_mul_f64 v[66:67], v[22:23], v[62:63]
	v_fma_f64 v[42:43], -v[10:11], v[42:43], v[48:49]
	v_fma_f64 v[48:49], -v[8:9], v[70:71], v[60:61]
	ds_load_2addr_b64 v[58:61], v58 offset1:1
	v_fma_f64 v[26:27], -v[2:3], v[74:75], v[26:27]
	v_fma_f64 v[12:13], v[12:13], s[4:5], -v[18:19]
	v_fma_f64 v[18:19], -v[24:25], v[30:31], v[80:81]
	v_fma_f64 v[30:31], -v[0:1], v[50:51], v[52:53]
	;; [unrolled: 1-line block ×5, first 2 shown]
	v_mov_b32_e32 v36, s7
	s_add_i32 s7, s6, 0xfffffc48
	s_delay_alu instid0(SALU_CYCLE_1)
	v_dual_mov_b32 v41, s8 :: v_dual_mov_b32 v40, s7
	ds_load_2addr_b64 v[36:39], v36 offset1:1
	ds_load_b64 v[74:75], v40
	ds_load_2addr_b64 v[40:43], v41 offset1:1
	v_fma_f64 v[6:7], v[6:7], s[4:5], -v[66:67]
	s_add_i32 s8, s3, 0xfffff7e8
	s_add_i32 s7, s3, 0xfffffa48
	v_mov_b32_e32 v62, s8
	s_add_i32 s8, s3, 0xfffff8e8
	v_mov_b32_e32 v48, s7
	v_fma_f64 v[86:87], -v[0:1], v[72:73], v[26:27]
	s_add_i32 s7, s3, 0xfffff9d8
	v_mov_b32_e32 v26, s9
	v_fma_f64 v[82:83], -v[24:25], v[16:17], v[12:13]
	v_fma_f64 v[84:85], -v[2:3], v[28:29], v[18:19]
	v_mov_b32_e32 v16, s8
	ds_load_2addr_b64 v[48:51], v48 offset1:1
	ds_load_2addr_b64 v[62:65], v62 offset1:1
	s_add_i32 s8, s3, 0xfffff950
	s_add_i32 s9, s3, 0xfffff8d8
	s_waitcnt lgkmcnt(2)
	v_mul_f64 v[42:43], v[22:23], v[42:43]
	v_fma_f64 v[30:31], -v[10:11], v[38:39], v[30:31]
	v_fma_f64 v[38:39], -v[8:9], v[56:57], v[52:53]
	;; [unrolled: 1-line block ×3, first 2 shown]
	v_mul_f64 v[12:13], v[68:69], v[74:75]
	v_mov_b32_e32 v52, s7
	ds_load_2addr_b64 v[16:19], v16 offset1:1
	ds_load_2addr_b64 v[26:29], v26 offset1:1
	;; [unrolled: 1-line block ×3, first 2 shown]
	s_add_i32 s7, s3, 0xfffff9c8
	s_delay_alu instid0(SALU_CYCLE_1)
	v_dual_mov_b32 v53, s8 :: v_dual_mov_b32 v52, s7
	v_mov_b32_e32 v56, s9
	ds_load_2addr_b64 v[70:73], v52 offset1:1
	ds_load_2addr_b64 v[74:77], v53 offset1:1
	;; [unrolled: 1-line block ×3, first 2 shown]
	v_fma_f64 v[52:53], -v[24:25], v[60:61], v[6:7]
	s_add_i32 s7, s3, 0xfffffac0
	s_add_i32 s8, s6, 0xfffffbc0
	;; [unrolled: 1-line block ×3, first 2 shown]
	s_waitcnt lgkmcnt(5)
	v_fma_f64 v[18:19], -v[2:3], v[18:19], v[82:83]
	s_waitcnt lgkmcnt(4)
	v_fma_f64 v[28:29], -v[0:1], v[28:29], v[84:85]
	;; [unrolled: 2-line block ×3, first 2 shown]
	v_fma_f64 v[42:43], v[4:5], s[4:5], -v[42:43]
	v_mov_b32_e32 v4, s7
	s_add_i32 s7, s3, 0xfffff860
	v_fma_f64 v[30:31], -v[8:9], v[36:37], v[30:31]
	v_fma_f64 v[36:37], -v[14:15], v[54:55], v[38:39]
	;; [unrolled: 1-line block ×3, first 2 shown]
	v_mov_b32_e32 v44, s8
	ds_load_2addr_b64 v[4:7], v4 offset1:1
	ds_load_b64 v[44:45], v44
	s_add_i32 s8, s6, 0xfffffb38
	s_addk_i32 s6, 0xfab0
	v_fma_f64 v[46:47], -v[2:3], v[58:59], v[52:53]
	v_fma_f64 v[52:53], -v[0:1], v[16:17], v[18:19]
	;; [unrolled: 1-line block ×4, first 2 shown]
	v_mov_b32_e32 v16, s7
	s_add_i32 s7, s3, 0xfffff850
	s_delay_alu instid0(SALU_CYCLE_1)
	v_mov_b32_e32 v26, s7
	s_add_i32 s7, s3, 0xfffffa38
	ds_load_2addr_b64 v[16:19], v16 offset1:1
	ds_load_2addr_b64 v[26:29], v26 offset1:1
	v_fma_f64 v[30:31], -v[14:15], v[50:51], v[30:31]
	s_waitcnt lgkmcnt(3)
	v_fma_f64 v[36:37], -v[12:13], v[6:7], v[36:37]
	s_waitcnt lgkmcnt(2)
	v_mul_f64 v[6:7], v[38:39], v[44:45]
	v_fma_f64 v[38:39], -v[24:25], v[40:41], v[42:43]
	s_waitcnt lgkmcnt(1)
	v_fma_f64 v[18:19], -v[0:1], v[18:19], v[46:47]
	v_fma_f64 v[40:41], -v[10:11], v[80:81], v[52:53]
	;; [unrolled: 1-line block ×5, first 2 shown]
	v_mov_b32_e32 v48, s8
	s_add_i32 s8, s3, 0xfffff940
	v_fma_f64 v[4:5], -v[6:7], v[4:5], v[36:37]
	v_fma_f64 v[46:47], -v[2:3], v[64:65], v[38:39]
	v_mov_b32_e32 v36, s7
	ds_load_2addr_b64 v[36:39], v36 offset1:1
	ds_load_b64 v[48:49], v48
	s_add_i32 s7, s3, 0xfffff9b8
	v_fma_f64 v[66:67], -v[10:11], v[16:17], v[18:19]
	v_mov_b32_e32 v16, s9
	s_add_i32 s9, s3, 0xfffff8b8
	s_delay_alu instid0(SALU_CYCLE_1)
	v_mov_b32_e32 v58, s9
	s_add_i32 s9, s3, 0xfffff7b8
	v_fma_f64 v[68:69], -v[8:9], v[78:79], v[40:41]
	v_fma_f64 v[72:73], -v[14:15], v[74:75], v[42:43]
	;; [unrolled: 1-line block ×3, first 2 shown]
	v_mov_b32_e32 v42, s7
	s_mul_i32 s7, s2, 0x88
	s_waitcnt lgkmcnt(1)
	v_fma_f64 v[30:31], -v[6:7], v[38:39], v[30:31]
	v_mov_b32_e32 v38, s8
	ds_load_2addr_b64 v[16:19], v16 offset1:1
	ds_load_2addr_b64 v[38:41], v38 offset1:1
	;; [unrolled: 1-line block ×3, first 2 shown]
	s_waitcnt lgkmcnt(3)
	v_mul_f64 v[4:5], v[4:5], v[48:49]
	v_fma_f64 v[74:75], -v[0:1], v[62:63], v[46:47]
	v_mov_b32_e32 v46, s11
	s_add_i32 s8, s7, 0xfffff9a0
	s_add_i32 s11, s3, 0xfffff7c8
	v_mov_b32_e32 v50, s8
	s_add_i32 s8, s3, 0xfffff930
	ds_load_2addr_b64 v[46:49], v46 offset1:1
	v_mov_b32_e32 v54, s8
	v_mov_b32_e32 v62, s11
	v_fma_f64 v[28:29], -v[8:9], v[28:29], v[66:67]
	ds_load_2addr_b64 v[50:53], v50 offset1:1
	ds_load_2addr_b64 v[54:57], v54 offset1:1
	;; [unrolled: 1-line block ×4, first 2 shown]
	s_add_i32 s8, s3, 0xfffff8a8
	s_waitcnt lgkmcnt(7)
	v_fma_f64 v[18:19], -v[14:15], v[18:19], v[68:69]
	s_waitcnt lgkmcnt(6)
	v_fma_f64 v[40:41], -v[12:13], v[40:41], v[72:73]
	s_waitcnt lgkmcnt(5)
	v_fma_f64 v[44:45], -v[6:7], v[44:45], v[70:71]
	v_fma_f64 v[30:31], -v[4:5], v[36:37], v[30:31]
	s_waitcnt lgkmcnt(4)
	v_fma_f64 v[36:37], -v[10:11], v[48:49], v[74:75]
	v_mov_b32_e32 v48, s6
	s_add_i32 s6, s3, 0xfffff840
	ds_load_b64 v[48:49], v48
	v_fma_f64 v[66:67], -v[14:15], v[26:27], v[28:29]
	v_mov_b32_e32 v26, s6
	s_add_i32 s6, s3, 0xfffff830
	ds_load_2addr_b64 v[26:29], v26 offset1:1
	v_fma_f64 v[16:17], -v[12:13], v[16:17], v[18:19]
	v_fma_f64 v[40:41], -v[6:7], v[38:39], v[40:41]
	;; [unrolled: 1-line block ×3, first 2 shown]
	v_mov_b32_e32 v44, s9
	s_waitcnt lgkmcnt(1)
	v_mul_f64 v[18:19], v[30:31], v[48:49]
	v_fma_f64 v[30:31], -v[8:9], v[46:47], v[36:37]
	v_mov_b32_e32 v36, s6
	s_add_i32 s6, s7, 0xfffff918
	ds_load_2addr_b64 v[36:39], v36 offset1:1
	s_waitcnt lgkmcnt(1)
	v_fma_f64 v[28:29], -v[12:13], v[28:29], v[66:67]
	v_fma_f64 v[16:17], -v[6:7], v[60:61], v[16:17]
	;; [unrolled: 1-line block ×6, first 2 shown]
	v_mov_b32_e32 v26, s8
	s_add_i32 s8, s3, 0xfffff7a8
	s_delay_alu instid0(SALU_CYCLE_1) | instskip(SKIP_4) | instid1(SALU_CYCLE_1)
	v_mov_b32_e32 v52, s8
	v_fma_f64 v[58:59], -v[4:5], v[58:59], v[16:17]
	v_fma_f64 v[60:61], -v[18:19], v[54:55], v[40:41]
	v_mov_b32_e32 v40, s6
	s_add_i32 s6, s7, 0xfffff890
	v_mov_b32_e32 v48, s6
	s_add_i32 s6, s3, 0xfffff820
	s_addk_i32 s3, 0xf798
	v_mul_f64 v[16:17], v[42:43], v[50:51]
	v_fma_f64 v[30:31], -v[12:13], v[62:63], v[30:31]
	ds_load_2addr_b64 v[26:29], v26 offset1:1
	ds_load_2addr_b64 v[40:43], v40 offset1:1
	;; [unrolled: 1-line block ×5, first 2 shown]
	s_waitcnt lgkmcnt(5)
	v_fma_f64 v[38:39], -v[4:5], v[38:39], v[56:57]
	s_waitcnt lgkmcnt(4)
	v_fma_f64 v[28:29], -v[18:19], v[28:29], v[58:59]
	;; [unrolled: 2-line block ×4, first 2 shown]
	s_delay_alu instid0(VALU_DEP_4)
	v_fma_f64 v[46:47], -v[18:19], v[36:37], v[38:39]
	v_mov_b32_e32 v36, s6
	s_add_i32 s6, s7, 0xfffff808
	ds_load_2addr_b64 v[36:39], v36 offset1:1
	v_fma_f64 v[26:27], -v[16:17], v[26:27], v[28:29]
	v_mul_f64 v[28:29], v[42:43], v[40:41]
	v_fma_f64 v[30:31], -v[4:5], v[44:45], v[30:31]
	v_mov_b32_e32 v40, s6
	ds_load_2addr_b64 v[40:43], v40 offset1:1
	s_waitcnt lgkmcnt(1)
	v_fma_f64 v[38:39], -v[16:17], v[38:39], v[46:47]
	v_fma_f64 v[26:27], -v[28:29], v[50:51], v[26:27]
	;; [unrolled: 1-line block ×3, first 2 shown]
	s_delay_alu instid0(VALU_DEP_3) | instskip(SKIP_2) | instid1(SALU_CYCLE_1)
	v_fma_f64 v[50:51], -v[28:29], v[36:37], v[38:39]
	v_mov_b32_e32 v36, s3
	s_add_i32 s3, s7, 0xfffff780
	v_mov_b32_e32 v44, s3
	s_ashr_i32 s3, s2, 31
	ds_load_2addr_b64 v[36:39], v36 offset1:1
	s_lshl_b64 s[6:7], s[2:3], 3
	ds_load_2addr_b64 v[44:47], v44 offset1:1
	v_mul_f64 v[26:27], v[26:27], v[48:49]
	v_fma_f64 v[30:31], -v[16:17], v[52:53], v[30:31]
	s_waitcnt lgkmcnt(2)
	s_delay_alu instid0(VALU_DEP_2) | instskip(SKIP_1) | instid1(VALU_DEP_2)
	v_fma_f64 v[42:43], -v[26:27], v[42:43], v[50:51]
	s_waitcnt lgkmcnt(1)
	v_fma_f64 v[30:31], -v[28:29], v[38:39], v[30:31]
	s_delay_alu instid0(VALU_DEP_2) | instskip(NEXT) | instid1(VALU_DEP_2)
	v_mul_f64 v[38:39], v[42:43], v[40:41]
	v_fma_f64 v[30:31], -v[26:27], v[36:37], v[30:31]
	s_waitcnt lgkmcnt(0)
	s_delay_alu instid0(VALU_DEP_1) | instskip(NEXT) | instid1(VALU_DEP_1)
	v_fma_f64 v[30:31], -v[38:39], v[46:47], v[30:31]
	v_mul_f64 v[36:37], v[30:31], v[44:45]
	v_add_co_u32 v30, vcc_lo, v32, s6
	v_add_co_ci_u32_e32 v31, vcc_lo, s7, v33, vcc_lo
	s_sub_i32 s6, s2, 17
	s_clause 0x8
	global_store_b64 v[20:21], v[22:23], off
	global_store_b64 v[30:31], v[24:25], off offset:-16
	global_store_b128 v[30:31], v[0:3], off offset:-32
	global_store_b128 v[30:31], v[8:11], off offset:-48
	;; [unrolled: 1-line block ×7, first 2 shown]
	s_cmp_gt_i32 s6, -1
	s_cbranch_scc1 .LBB85_15
	s_branch .LBB85_33
.LBB85_14:
	s_mov_b32 s6, s16
	s_delay_alu instid0(SALU_CYCLE_1)
	s_cmp_gt_i32 s6, -1
	s_cbranch_scc0 .LBB85_33
.LBB85_15:
	s_cmp_lt_u32 s6, 11
	s_cbranch_scc1 .LBB85_20
; %bb.16:
	s_mov_b32 s7, 0
	s_delay_alu instid0(SALU_CYCLE_1)
	s_lshl_b64 s[8:9], s[6:7], 3
	s_cmp_le_i32 s16, s6
	v_add_co_u32 v4, vcc_lo, v32, s8
	v_add_co_ci_u32_e32 v5, vcc_lo, s9, v33, vcc_lo
	s_clause 0x5
	global_load_b128 v[0:3], v[4:5], off offset:-8
	global_load_b128 v[10:13], v[4:5], off offset:-24
	;; [unrolled: 1-line block ×6, first 2 shown]
	s_waitcnt vmcnt(5)
	v_mul_f64 v[8:9], v[2:3], s[4:5]
	v_mul_f64 v[24:25], v[0:1], s[4:5]
	s_waitcnt vmcnt(4)
	v_mul_f64 v[12:13], v[12:13], s[4:5]
	v_mul_f64 v[22:23], v[10:11], s[4:5]
	;; [unrolled: 3-line block ×6, first 2 shown]
	s_cbranch_scc1 .LBB85_19
; %bb.17:
	s_lshl_b32 s3, s6, 7
	s_lshl_b32 s7, s2, 3
	s_ashr_i32 s17, s16, 31
	s_add_i32 s3, s3, s7
	s_lshl_b64 s[8:9], s[16:17], 3
	s_addk_i32 s3, 0xfa78
	s_add_u32 s7, s12, s8
	s_addc_u32 s8, s13, s9
	s_add_u32 s7, s7, s0
	s_addc_u32 s8, s8, s1
	v_add_co_u32 v26, vcc_lo, s7, v34
	v_add_co_ci_u32_e32 v27, vcc_lo, s8, v35, vcc_lo
	s_mov_b32 s7, s16
	s_set_inst_prefetch_distance 0x1
	.p2align	6
.LBB85_18:                              ; =>This Inner Loop Header: Depth=1
	global_load_b64 v[56:57], v[26:27], off
	v_mov_b32_e32 v52, s3
	v_add_co_u32 v26, vcc_lo, v26, -8
	v_add_co_ci_u32_e32 v27, vcc_lo, -1, v27, vcc_lo
	ds_load_2addr_b64 v[28:31], v52 offset0:160 offset1:176
	ds_load_2addr_b64 v[36:39], v52 offset0:128 offset1:144
	;; [unrolled: 1-line block ×5, first 2 shown]
	ds_load_2addr_b64 v[52:55], v52 offset1:16
	s_add_i32 s7, s7, -1
	s_add_i32 s3, s3, -8
	s_cmp_gt_i32 s7, s6
	s_waitcnt vmcnt(0) lgkmcnt(5)
	v_fma_f64 v[8:9], -v[56:57], v[30:31], v[8:9]
	v_fma_f64 v[24:25], -v[56:57], v[28:29], v[24:25]
	s_waitcnt lgkmcnt(4)
	v_fma_f64 v[12:13], -v[56:57], v[38:39], v[12:13]
	v_fma_f64 v[22:23], -v[56:57], v[36:37], v[22:23]
	s_waitcnt lgkmcnt(3)
	;; [unrolled: 3-line block ×5, first 2 shown]
	v_fma_f64 v[10:11], -v[56:57], v[54:55], v[10:11]
	v_fma_f64 v[6:7], -v[56:57], v[52:53], v[6:7]
	s_cbranch_scc1 .LBB85_18
.LBB85_19:
	s_set_inst_prefetch_distance 0x2
	s_mul_i32 s3, s6, 0x88
	s_delay_alu instid0(SALU_CYCLE_1) | instskip(SKIP_4) | instid1(SALU_CYCLE_1)
	v_mov_b32_e32 v26, s3
	s_add_i32 s7, s3, 0xffffff78
	ds_load_b64 v[30:31], v26
	v_mov_b32_e32 v26, s7
	s_lshl_b32 s7, s6, 4
	s_add_i32 s7, s7, s6
	ds_load_2addr_b64 v[26:29], v26 offset1:1
	s_lshl_b32 s7, s7, 3
	s_delay_alu instid0(SALU_CYCLE_1)
	s_add_i32 s8, s7, 0xffffff00
	s_add_i32 s9, s7, 0xfffffd68
	;; [unrolled: 1-line block ×4, first 2 shown]
	s_waitcnt lgkmcnt(1)
	v_mul_f64 v[8:9], v[8:9], v[30:31]
	s_waitcnt lgkmcnt(0)
	s_delay_alu instid0(VALU_DEP_1)
	v_fma_f64 v[24:25], -v[8:9], v[28:29], v[24:25]
	v_mov_b32_e32 v28, s8
	s_add_i32 s8, s3, 0xfffffef0
	ds_load_b64 v[36:37], v28
	v_mov_b32_e32 v28, s8
	s_add_i32 s8, s7, 0xfffffe78
	ds_load_2addr_b64 v[28:31], v28 offset1:1
	s_waitcnt lgkmcnt(1)
	v_fma_f64 v[40:41], -v[8:9], v[36:37], v[12:13]
	v_mul_f64 v[12:13], v[24:25], v[26:27]
	v_mov_b32_e32 v24, s8
	s_add_i32 s8, s3, 0xfffffe68
	s_delay_alu instid0(SALU_CYCLE_1)
	v_mov_b32_e32 v36, s8
	s_add_i32 s8, s7, 0xfffffe00
	ds_load_2addr_b64 v[24:27], v24 offset1:1
	ds_load_2addr_b64 v[36:39], v36 offset1:1
	s_waitcnt lgkmcnt(1)
	v_fma_f64 v[22:23], -v[8:9], v[26:27], v[22:23]
	v_fma_f64 v[26:27], -v[12:13], v[30:31], v[40:41]
	v_mov_b32_e32 v30, s8
	s_add_i32 s8, s7, 0xfffffdf0
	s_delay_alu instid0(SALU_CYCLE_1)
	v_mov_b32_e32 v40, s8
	s_add_i32 s8, s7, 0xfffffd78
	ds_load_b64 v[30:31], v30
	ds_load_2addr_b64 v[40:43], v40 offset1:1
	v_fma_f64 v[44:45], -v[12:13], v[24:25], v[22:23]
	v_mov_b32_e32 v22, s8
	s_add_i32 s8, s7, 0xfffffcf8
	ds_load_2addr_b64 v[22:25], v22 offset1:1
	s_waitcnt lgkmcnt(2)
	v_fma_f64 v[30:31], -v[8:9], v[30:31], v[2:3]
	v_mul_f64 v[2:3], v[26:27], v[28:29]
	s_waitcnt lgkmcnt(0)
	v_fma_f64 v[20:21], -v[8:9], v[24:25], v[20:21]
	v_mov_b32_e32 v24, s8
	s_add_i32 s8, s7, 0xfffffce8
	s_delay_alu instid0(SALU_CYCLE_1)
	v_mov_b32_e32 v28, s8
	s_add_i32 s8, s7, 0xfffffc80
	ds_load_2addr_b64 v[24:27], v24 offset1:1
	v_fma_f64 v[42:43], -v[12:13], v[42:43], v[30:31]
	ds_load_2addr_b64 v[28:31], v28 offset1:1
	v_fma_f64 v[38:39], -v[2:3], v[38:39], v[44:45]
	s_waitcnt lgkmcnt(1)
	v_fma_f64 v[26:27], -v[8:9], v[26:27], v[0:1]
	v_fma_f64 v[48:49], -v[12:13], v[22:23], v[20:21]
	v_mov_b32_e32 v20, s8
	s_add_i32 s8, s3, 0xfffffde0
	v_mov_b32_e32 v21, s9
	s_add_i32 s9, s7, 0xfffffc70
	s_delay_alu instid0(SALU_CYCLE_1)
	v_mov_b32_e32 v44, s9
	s_add_i32 s9, s7, 0xfffffcd8
	v_fma_f64 v[50:51], -v[2:3], v[40:41], v[42:43]
	v_mul_f64 v[0:1], v[38:39], v[36:37]
	v_mov_b32_e32 v36, s8
	v_fma_f64 v[26:27], -v[12:13], v[24:25], v[26:27]
	ds_load_b64 v[52:53], v20
	ds_load_2addr_b64 v[20:23], v21 offset1:1
	ds_load_2addr_b64 v[36:39], v36 offset1:1
	s_add_i32 s8, s3, 0xfffffd58
	s_delay_alu instid0(SALU_CYCLE_1)
	v_mov_b32_e32 v40, s8
	s_add_i32 s8, s7, 0xfffffbf8
	ds_load_2addr_b64 v[40:43], v40 offset1:1
	ds_load_2addr_b64 v[44:47], v44 offset1:1
	s_waitcnt lgkmcnt(4)
	v_fma_f64 v[18:19], -v[8:9], v[52:53], v[18:19]
	s_waitcnt lgkmcnt(3)
	v_fma_f64 v[52:53], -v[2:3], v[22:23], v[48:49]
	v_mov_b32_e32 v22, s8
	s_add_i32 s8, s7, 0xfffffbe8
	s_delay_alu instid0(SALU_CYCLE_1)
	v_mov_b32_e32 v48, s8
	s_add_i32 s8, s7, 0xfffffb80
	ds_load_2addr_b64 v[22:25], v22 offset1:1
	s_waitcnt lgkmcnt(3)
	v_fma_f64 v[38:39], -v[0:1], v[38:39], v[50:51]
	ds_load_2addr_b64 v[48:51], v48 offset1:1
	v_fma_f64 v[26:27], -v[2:3], v[30:31], v[26:27]
	s_waitcnt lgkmcnt(1)
	v_fma_f64 v[24:25], -v[8:9], v[24:25], v[16:17]
	v_fma_f64 v[46:47], -v[12:13], v[46:47], v[18:19]
	;; [unrolled: 1-line block ×3, first 2 shown]
	v_mov_b32_e32 v18, s8
	s_add_i32 s8, s7, 0xfffffb70
	v_mul_f64 v[16:17], v[38:39], v[36:37]
	ds_load_b64 v[36:37], v18
	v_fma_f64 v[58:59], -v[0:1], v[28:29], v[26:27]
	v_mov_b32_e32 v18, s8
	s_add_i32 s8, s7, 0xfffffaf8
	ds_load_2addr_b64 v[18:21], v18 offset1:1
	v_fma_f64 v[56:57], -v[12:13], v[22:23], v[24:25]
	v_mov_b32_e32 v22, s8
	s_add_i32 s8, s7, 0xfffffc60
	s_delay_alu instid0(SALU_CYCLE_1)
	v_mov_b32_e32 v26, s8
	s_add_i32 s8, s7, 0xfffffc50
	s_waitcnt lgkmcnt(1)
	v_fma_f64 v[14:15], -v[8:9], v[36:37], v[14:15]
	v_fma_f64 v[46:47], -v[2:3], v[44:45], v[46:47]
	v_mov_b32_e32 v36, s9
	ds_load_2addr_b64 v[22:25], v22 offset1:1
	ds_load_2addr_b64 v[26:29], v26 offset1:1
	;; [unrolled: 1-line block ×3, first 2 shown]
	s_add_i32 s9, s7, 0xfffffae8
	s_delay_alu instid0(SALU_CYCLE_1)
	v_mov_b32_e32 v52, s9
	v_fma_f64 v[30:31], -v[16:17], v[42:43], v[30:31]
	v_mov_b32_e32 v42, s8
	s_add_i32 s8, s6, -11
	ds_load_2addr_b64 v[42:45], v42 offset1:1
	ds_load_2addr_b64 v[52:55], v52 offset1:1
	s_waitcnt lgkmcnt(4)
	v_fma_f64 v[10:11], -v[8:9], v[24:25], v[10:11]
	s_lshl_b32 s8, s8, 4
	s_delay_alu instid0(SALU_CYCLE_1) | instskip(SKIP_4) | instid1(SALU_CYCLE_1)
	s_add_i32 s8, s8, s6
	v_fma_f64 v[24:25], -v[2:3], v[50:51], v[56:57]
	s_waitcnt lgkmcnt(2)
	v_fma_f64 v[50:51], -v[16:17], v[38:39], v[58:59]
	s_lshl_b32 s8, s8, 3
	s_add_i32 s9, s8, -8
	v_fma_f64 v[20:21], -v[12:13], v[20:21], v[14:15]
	v_fma_f64 v[46:47], -v[0:1], v[28:29], v[46:47]
	v_mov_b32_e32 v28, s9
	s_sub_i32 s9, s8, 24
	s_delay_alu instid0(SALU_CYCLE_1)
	v_mov_b32_e32 v38, s9
	s_add_i32 s9, s3, 0xfffffcd0
	v_mul_f64 v[14:15], v[30:31], v[40:41]
	ds_load_2addr_b64 v[28:31], v28 offset1:1
	ds_load_2addr_b64 v[38:41], v38 offset1:1
	v_fma_f64 v[10:11], -v[12:13], v[22:23], v[10:11]
	v_mov_b32_e32 v22, s14
	v_fma_f64 v[62:63], -v[0:1], v[48:49], v[24:25]
	v_fma_f64 v[60:61], -v[2:3], v[18:19], v[20:21]
	;; [unrolled: 1-line block ×3, first 2 shown]
	s_waitcnt lgkmcnt(1)
	v_fma_f64 v[6:7], -v[8:9], v[30:31], v[6:7]
	v_mov_b32_e32 v18, s11
	v_mov_b32_e32 v30, s9
	ds_load_2addr_b64 v[18:21], v18 offset1:1
	ds_load_2addr_b64 v[22:25], v22 offset1:1
	ds_load_b64 v[30:31], v30
	s_add_i32 s9, s7, 0xfffffbc8
	s_add_i32 s11, s7, 0xfffffb50
	v_mov_b32_e32 v46, s9
	s_add_i32 s9, s7, 0xfffffad8
	v_fma_f64 v[36:37], -v[14:15], v[36:37], v[50:51]
	v_mov_b32_e32 v50, s11
	s_add_i32 s11, s3, 0xfffffbc0
	ds_load_2addr_b64 v[46:49], v46 offset1:1
	ds_load_2addr_b64 v[56:59], v50 offset1:1
	v_fma_f64 v[10:11], -v[2:3], v[54:55], v[10:11]
	s_waitcnt lgkmcnt(3)
	v_fma_f64 v[24:25], -v[16:17], v[24:25], v[62:63]
	v_fma_f64 v[50:51], -v[0:1], v[20:21], v[60:61]
	;; [unrolled: 1-line block ×4, first 2 shown]
	s_waitcnt lgkmcnt(2)
	v_mul_f64 v[20:21], v[36:37], v[30:31]
	v_fma_f64 v[10:11], -v[0:1], v[52:53], v[10:11]
	v_fma_f64 v[30:31], -v[14:15], v[22:23], v[24:25]
	v_mov_b32_e32 v22, s9
	s_add_i32 s9, s3, 0xfffffc48
	v_fma_f64 v[18:19], -v[16:17], v[18:19], v[50:51]
	v_fma_f64 v[6:7], -v[2:3], v[40:41], v[6:7]
	;; [unrolled: 1-line block ×3, first 2 shown]
	v_mov_b32_e32 v26, s9
	s_add_i32 s9, s7, 0xfffffac8
	ds_load_2addr_b64 v[22:25], v22 offset1:1
	ds_load_b64 v[40:41], v26
	v_mov_b32_e32 v26, s9
	s_sub_i32 s9, s8, 40
	s_waitcnt lgkmcnt(3)
	v_fma_f64 v[30:31], -v[20:21], v[48:49], v[30:31]
	ds_load_2addr_b64 v[26:29], v26 offset1:1
	v_fma_f64 v[6:7], -v[0:1], v[38:39], v[6:7]
	s_waitcnt lgkmcnt(2)
	v_fma_f64 v[10:11], -v[16:17], v[24:25], v[10:11]
	v_fma_f64 v[24:25], -v[14:15], v[58:59], v[18:19]
	s_waitcnt lgkmcnt(1)
	v_mul_f64 v[18:19], v[36:37], v[40:41]
	v_mov_b32_e32 v36, s9
	s_sub_i32 s9, s8, 56
	s_delay_alu instid0(SALU_CYCLE_1)
	v_mov_b32_e32 v40, s9
	s_add_i32 s9, s7, 0xfffffb40
	ds_load_2addr_b64 v[36:39], v36 offset1:1
	s_addk_i32 s7, 0xfab8
	ds_load_2addr_b64 v[40:43], v40 offset1:1
	v_fma_f64 v[10:11], -v[14:15], v[22:23], v[10:11]
	v_fma_f64 v[44:45], -v[20:21], v[56:57], v[24:25]
	s_waitcnt lgkmcnt(1)
	v_fma_f64 v[6:7], -v[16:17], v[38:39], v[6:7]
	v_mov_b32_e32 v22, s9
	v_mov_b32_e32 v38, s11
	ds_load_2addr_b64 v[22:25], v22 offset1:1
	ds_load_b64 v[38:39], v38
	s_add_i32 s9, s3, 0xfffffb38
	v_fma_f64 v[30:31], -v[18:19], v[46:47], v[30:31]
	v_fma_f64 v[10:11], -v[20:21], v[28:29], v[10:11]
	s_waitcnt lgkmcnt(1)
	v_fma_f64 v[28:29], -v[18:19], v[24:25], v[44:45]
	v_fma_f64 v[6:7], -v[14:15], v[36:37], v[6:7]
	s_waitcnt lgkmcnt(0)
	s_delay_alu instid0(VALU_DEP_4)
	v_mul_f64 v[24:25], v[30:31], v[38:39]
	v_mov_b32_e32 v30, s9
	v_fma_f64 v[10:11], -v[18:19], v[26:27], v[10:11]
	v_mov_b32_e32 v26, s7
	v_fma_f64 v[6:7], -v[20:21], v[42:43], v[6:7]
	s_add_i32 s7, s8, 0xffffffb8
	v_fma_f64 v[22:23], -v[24:25], v[22:23], v[28:29]
	ds_load_2addr_b64 v[26:29], v26 offset1:1
	ds_load_b64 v[30:31], v30
	s_waitcnt lgkmcnt(1)
	v_fma_f64 v[10:11], -v[24:25], v[28:29], v[10:11]
	v_mov_b32_e32 v28, s7
	v_fma_f64 v[6:7], -v[18:19], v[40:41], v[6:7]
	s_add_i32 s7, s3, 0xfffffa28
	s_addk_i32 s3, 0xfab0
	v_mov_b32_e32 v36, s7
	s_ashr_i32 s7, s6, 31
	s_delay_alu instid0(SALU_CYCLE_1)
	s_lshl_b64 s[8:9], s[6:7], 3
	s_add_i32 s6, s6, -12
	ds_load_2addr_b64 v[36:39], v36 offset1:1
	s_waitcnt lgkmcnt(1)
	v_mul_f64 v[22:23], v[22:23], v[30:31]
	ds_load_2addr_b64 v[28:31], v28 offset1:1
	s_waitcnt lgkmcnt(0)
	v_fma_f64 v[6:7], -v[24:25], v[30:31], v[6:7]
	v_fma_f64 v[10:11], -v[22:23], v[26:27], v[10:11]
	v_mov_b32_e32 v26, s3
	ds_load_b64 v[26:27], v26
	v_fma_f64 v[6:7], -v[22:23], v[28:29], v[6:7]
	s_waitcnt lgkmcnt(0)
	v_mul_f64 v[30:31], v[10:11], v[26:27]
	s_delay_alu instid0(VALU_DEP_1) | instskip(NEXT) | instid1(VALU_DEP_1)
	v_fma_f64 v[6:7], -v[30:31], v[38:39], v[6:7]
	v_mul_f64 v[28:29], v[6:7], v[36:37]
	v_add_co_u32 v6, vcc_lo, v32, s8
	v_add_co_ci_u32_e32 v7, vcc_lo, s9, v33, vcc_lo
	s_clause 0x6
	global_store_b64 v[6:7], v[12:13], off offset:-8
	global_store_b128 v[6:7], v[0:3], off offset:-24
	global_store_b128 v[6:7], v[14:17], off offset:-40
	;; [unrolled: 1-line block ×4, first 2 shown]
	global_store_b64 v[4:5], v[8:9], off
	global_store_b128 v[6:7], v[28:31], off offset:-88
.LBB85_20:
	s_cmp_lt_i32 s6, 0
	s_cbranch_scc1 .LBB85_33
; %bb.21:
	s_bitcmp1_b32 s6, 0
	s_mov_b32 s8, s6
	s_cselect_b32 s3, -1, 0
	s_delay_alu instid0(SALU_CYCLE_1)
	s_and_b32 vcc_lo, exec_lo, s3
	s_cbranch_vccnz .LBB85_26
; %bb.22:
	s_mov_b32 s7, 0
	s_delay_alu instid0(SALU_CYCLE_1)
	s_lshl_b64 s[8:9], s[6:7], 3
	s_cmp_le_i32 s16, s6
	v_add_co_u32 v0, vcc_lo, v32, s8
	v_add_co_ci_u32_e32 v1, vcc_lo, s9, v33, vcc_lo
	global_load_b64 v[2:3], v[0:1], off
	s_waitcnt vmcnt(0)
	v_mul_f64 v[2:3], v[2:3], s[4:5]
	s_cbranch_scc1 .LBB85_25
; %bb.23:
	s_lshl_b32 s3, s6, 7
	s_lshl_b32 s7, s2, 3
	s_ashr_i32 s17, s16, 31
	s_add_i32 s3, s3, s7
	s_lshl_b64 s[8:9], s[16:17], 3
	s_add_i32 s3, s3, -8
	s_add_u32 s7, s12, s8
	s_addc_u32 s8, s13, s9
	s_add_u32 s7, s7, s0
	s_addc_u32 s8, s8, s1
	v_add_co_u32 v4, vcc_lo, s7, v34
	v_add_co_ci_u32_e32 v5, vcc_lo, s8, v35, vcc_lo
	s_mov_b32 s7, s16
.LBB85_24:                              ; =>This Inner Loop Header: Depth=1
	global_load_b64 v[6:7], v[4:5], off
	v_mov_b32_e32 v8, s3
	v_add_co_u32 v4, vcc_lo, v4, -8
	v_add_co_ci_u32_e32 v5, vcc_lo, -1, v5, vcc_lo
	ds_load_b64 v[8:9], v8
	s_add_i32 s7, s7, -1
	s_add_i32 s3, s3, -8
	s_cmp_gt_i32 s7, s6
	s_waitcnt vmcnt(0) lgkmcnt(0)
	v_fma_f64 v[2:3], -v[6:7], v[8:9], v[2:3]
	s_cbranch_scc1 .LBB85_24
.LBB85_25:
	s_mul_i32 s3, s6, 0x88
	s_add_i32 s8, s6, -1
	v_mov_b32_e32 v4, s3
	ds_load_b64 v[4:5], v4
	s_waitcnt lgkmcnt(0)
	v_mul_f64 v[2:3], v[2:3], v[4:5]
	global_store_b64 v[0:1], v[2:3], off
.LBB85_26:
	s_cmp_eq_u32 s6, 0
	s_mov_b32 s9, 0
	s_cbranch_scc1 .LBB85_33
; %bb.27:
	s_lshl_b32 s3, s8, 7
	s_lshl_b32 s6, s2, 3
	s_ashr_i32 s17, s16, 31
	s_add_i32 s11, s3, s6
	s_lshl_b64 s[6:7], s[16:17], 3
	s_add_i32 s3, s11, -8
	s_add_u32 s6, s12, s6
	s_addc_u32 s7, s13, s7
	s_add_u32 s6, s6, s0
	s_addc_u32 s7, s7, s1
	v_add_co_u32 v0, vcc_lo, s6, v34
	v_add_co_ci_u32_e32 v1, vcc_lo, s7, v35, vcc_lo
	s_add_i32 s6, s11, 0xffffff78
	s_branch .LBB85_29
.LBB85_28:                              ;   in Loop: Header=BB85_29 Depth=1
	s_addk_i32 s7, 0xff78
	s_addk_i32 s3, 0xff00
	v_mov_b32_e32 v6, s7
	s_add_i32 s7, s8, -2
	s_addk_i32 s6, 0xff00
	s_cmp_lt_i32 s8, 2
	s_mov_b32 s8, s7
	ds_load_b64 v[6:7], v6
	s_waitcnt lgkmcnt(0)
	v_mul_f64 v[4:5], v[4:5], v[6:7]
	global_store_b64 v[2:3], v[4:5], off offset:-8
	s_cbranch_scc1 .LBB85_33
.LBB85_29:                              ; =>This Loop Header: Depth=1
                                        ;     Child Loop BB85_30 Depth 2
                                        ;     Child Loop BB85_32 Depth 2
	s_lshl_b64 s[14:15], s[8:9], 3
	s_delay_alu instid0(VALU_DEP_1)
	v_dual_mov_b32 v5, v1 :: v_dual_mov_b32 v4, v0
	v_add_co_u32 v2, vcc_lo, v32, s14
	v_add_co_ci_u32_e32 v3, vcc_lo, s15, v33, vcc_lo
	s_cmp_le_i32 s16, s8
	s_mov_b32 s7, s3
	s_mov_b32 s11, s16
	global_load_b64 v[2:3], v[2:3], off
	s_waitcnt vmcnt(0)
	v_mul_f64 v[2:3], v[2:3], s[4:5]
	s_cbranch_scc1 .LBB85_31
.LBB85_30:                              ;   Parent Loop BB85_29 Depth=1
                                        ; =>  This Inner Loop Header: Depth=2
	global_load_b64 v[6:7], v[4:5], off
	v_mov_b32_e32 v8, s7
	v_add_co_u32 v4, vcc_lo, v4, -8
	v_add_co_ci_u32_e32 v5, vcc_lo, -1, v5, vcc_lo
	ds_load_b64 v[8:9], v8
	s_add_i32 s11, s11, -1
	s_add_i32 s7, s7, -8
	s_cmp_gt_i32 s11, s8
	s_waitcnt vmcnt(0) lgkmcnt(0)
	v_fma_f64 v[2:3], -v[6:7], v[8:9], v[2:3]
	s_cbranch_scc1 .LBB85_30
.LBB85_31:                              ;   in Loop: Header=BB85_29 Depth=1
	s_add_i32 s14, s8, -1
	s_mov_b32 s15, s9
	s_mul_i32 s7, s8, 0x88
	s_lshl_b64 s[14:15], s[14:15], 3
	v_mov_b32_e32 v6, s7
	v_add_co_u32 v4, vcc_lo, v32, s14
	v_add_co_ci_u32_e32 v5, vcc_lo, s15, v33, vcc_lo
	ds_load_b64 v[6:7], v6
	s_ashr_i32 s15, s8, 31
	s_mov_b32 s14, s8
	global_load_b64 v[4:5], v[4:5], off
	s_lshl_b64 s[14:15], s[14:15], 3
	s_cmp_lt_i32 s16, s8
	s_mov_b32 s11, s6
	s_waitcnt lgkmcnt(0)
	v_mul_f64 v[8:9], v[2:3], v[6:7]
	v_add_co_u32 v2, vcc_lo, v32, s14
	v_add_co_ci_u32_e32 v3, vcc_lo, s15, v33, vcc_lo
	v_dual_mov_b32 v7, v1 :: v_dual_mov_b32 v6, v0
	s_mov_b32 s14, s2
	global_store_b64 v[2:3], v[8:9], off
	s_waitcnt vmcnt(0)
	v_mul_f64 v[4:5], v[4:5], s[4:5]
	s_cbranch_scc1 .LBB85_28
.LBB85_32:                              ;   Parent Loop BB85_29 Depth=1
                                        ; =>  This Inner Loop Header: Depth=2
	global_load_b64 v[8:9], v[6:7], off
	v_mov_b32_e32 v10, s11
	v_add_co_u32 v6, vcc_lo, v6, -8
	v_add_co_ci_u32_e32 v7, vcc_lo, -1, v7, vcc_lo
	ds_load_b64 v[10:11], v10
	s_add_i32 s14, s14, -1
	s_add_i32 s11, s11, -8
	s_cmp_gt_i32 s14, s8
	s_waitcnt vmcnt(0) lgkmcnt(0)
	v_fma_f64 v[4:5], -v[8:9], v[10:11], v[4:5]
	s_cbranch_scc1 .LBB85_32
	s_branch .LBB85_28
.LBB85_33:
	s_mov_b32 s3, 0
.LBB85_34:
	s_delay_alu instid0(SALU_CYCLE_1)
	s_and_b32 vcc_lo, exec_lo, s3
	s_cbranch_vccz .LBB85_57
; %bb.35:
	s_cmp_gt_i32 s10, 15
	s_cselect_b32 s7, -1, 0
	s_delay_alu instid0(SALU_CYCLE_1)
	s_and_b32 vcc_lo, exec_lo, s7
	s_cbranch_vccz .LBB85_37
; %bb.36:
	s_clause 0x3
	global_load_b128 v[0:3], v[32:33], off
	global_load_b128 v[20:23], v[32:33], off offset:16
	global_load_b128 v[12:15], v[32:33], off offset:32
	;; [unrolled: 1-line block ×3, first 2 shown]
	v_mov_b32_e32 v36, 0
	s_mov_b32 s6, 16
	ds_load_b128 v[4:7], v36
	ds_load_b128 v[26:29], v36 offset:16
	global_load_b128 v[16:19], v[32:33], off offset:64
	ds_load_2addr_b64 v[37:40], v36 offset0:17 offset1:18
	s_waitcnt vmcnt(4)
	v_mul_f64 v[0:1], v[0:1], s[4:5]
	s_waitcnt lgkmcnt(2)
	s_delay_alu instid0(VALU_DEP_1) | instskip(NEXT) | instid1(VALU_DEP_1)
	v_mul_f64 v[0:1], v[0:1], v[4:5]
	v_mul_f64 v[4:5], v[0:1], v[6:7]
	s_waitcnt lgkmcnt(1)
	v_mul_f64 v[30:31], v[0:1], v[26:27]
	ds_load_2addr_b64 v[24:27], v36 offset0:19 offset1:20
	v_mul_f64 v[45:46], v[0:1], v[28:29]
	v_fma_f64 v[2:3], v[2:3], s[4:5], -v[4:5]
	global_load_b128 v[4:7], v[32:33], off offset:80
	s_waitcnt vmcnt(4)
	v_fma_f64 v[20:21], v[20:21], s[4:5], -v[30:31]
	ds_load_b128 v[28:31], v36 offset:32
	ds_load_b128 v[41:44], v36 offset:48
	v_fma_f64 v[49:50], v[22:23], s[4:5], -v[45:46]
	ds_load_2addr_b64 v[45:48], v36 offset0:29 offset1:30
	s_waitcnt lgkmcnt(2)
	v_mul_f64 v[28:29], v[0:1], v[28:29]
	v_mul_f64 v[30:31], v[0:1], v[30:31]
	s_waitcnt lgkmcnt(1)
	v_mul_f64 v[41:42], v[0:1], v[41:42]
	v_mul_f64 v[69:70], v[0:1], v[43:44]
	;; [unrolled: 1-line block ×3, first 2 shown]
	s_waitcnt vmcnt(3)
	v_fma_f64 v[28:29], v[12:13], s[4:5], -v[28:29]
	v_fma_f64 v[14:15], v[14:15], s[4:5], -v[30:31]
	s_waitcnt vmcnt(2)
	v_fma_f64 v[8:9], v[8:9], s[4:5], -v[41:42]
	s_delay_alu instid0(VALU_DEP_4)
	v_fma_f64 v[51:52], -v[2:3], v[39:40], v[20:21]
	ds_load_b128 v[37:40], v36 offset:272
	global_load_b128 v[20:23], v[32:33], off offset:96
	v_fma_f64 v[24:25], -v[2:3], v[24:25], v[49:50]
	v_fma_f64 v[65:66], -v[2:3], v[26:27], v[28:29]
	s_waitcnt lgkmcnt(0)
	v_mul_f64 v[12:13], v[51:52], v[37:38]
	s_delay_alu instid0(VALU_DEP_1)
	v_fma_f64 v[67:68], -v[12:13], v[39:40], v[24:25]
	ds_load_2addr_b64 v[24:27], v36 offset0:21 offset1:22
	ds_load_b128 v[28:31], v36 offset:288
	ds_load_2addr_b64 v[37:40], v36 offset0:51 offset1:52
	global_load_b128 v[49:52], v[32:33], off offset:112
	ds_load_2addr_b64 v[53:56], v36 offset0:53 offset1:54
	ds_load_b128 v[57:60], v36 offset:304
	ds_load_2addr_b64 v[61:64], v36 offset0:23 offset1:24
	ds_load_b128 v[41:44], v36 offset:64
	s_waitcnt lgkmcnt(6)
	v_fma_f64 v[24:25], -v[2:3], v[24:25], v[14:15]
	s_waitcnt lgkmcnt(5)
	v_fma_f64 v[28:29], -v[12:13], v[28:29], v[65:66]
	v_fma_f64 v[65:66], -v[2:3], v[26:27], v[8:9]
	s_waitcnt lgkmcnt(4)
	v_mul_f64 v[14:15], v[67:68], v[37:38]
	v_fma_f64 v[37:38], v[10:11], s[4:5], -v[69:70]
	ds_load_b128 v[8:11], v36 offset:80
	s_waitcnt lgkmcnt(1)
	v_mul_f64 v[41:42], v[0:1], v[41:42]
	v_fma_f64 v[67:68], -v[12:13], v[30:31], v[24:25]
	v_fma_f64 v[57:58], -v[12:13], v[57:58], v[65:66]
	s_waitcnt lgkmcnt(0)
	v_mul_f64 v[8:9], v[0:1], v[8:9]
	v_fma_f64 v[39:40], -v[14:15], v[39:40], v[28:29]
	ds_load_b128 v[24:27], v36 offset:544
	ds_load_b128 v[28:31], v36 offset:560
	v_fma_f64 v[37:38], -v[2:3], v[61:62], v[37:38]
	s_waitcnt vmcnt(3)
	v_fma_f64 v[16:17], v[16:17], s[4:5], -v[41:42]
	v_fma_f64 v[53:54], -v[14:15], v[53:54], v[67:68]
	v_fma_f64 v[67:68], -v[14:15], v[55:56], v[57:58]
	s_waitcnt lgkmcnt(1)
	v_mul_f64 v[24:25], v[39:40], v[24:25]
	v_mul_f64 v[39:40], v[0:1], v[43:44]
	v_fma_f64 v[65:66], -v[12:13], v[59:60], v[37:38]
	v_fma_f64 v[75:76], -v[2:3], v[63:64], v[16:17]
	s_delay_alu instid0(VALU_DEP_4) | instskip(NEXT) | instid1(VALU_DEP_4)
	v_fma_f64 v[26:27], -v[24:25], v[26:27], v[53:54]
	v_fma_f64 v[73:74], v[18:19], s[4:5], -v[39:40]
	ds_load_2addr_b64 v[16:19], v36 offset0:55 offset1:56
	ds_load_2addr_b64 v[37:40], v36 offset0:85 offset1:86
	;; [unrolled: 1-line block ×3, first 2 shown]
	ds_load_b128 v[53:56], v36 offset:320
	ds_load_2addr_b64 v[57:60], v36 offset0:87 offset1:88
	ds_load_2addr_b64 v[61:64], v36 offset0:57 offset1:58
	s_waitcnt lgkmcnt(6)
	v_fma_f64 v[28:29], -v[24:25], v[28:29], v[67:68]
	s_waitcnt lgkmcnt(5)
	v_fma_f64 v[16:17], -v[14:15], v[16:17], v[65:66]
	s_waitcnt vmcnt(2)
	v_fma_f64 v[4:5], v[4:5], s[4:5], -v[8:9]
	ds_load_b128 v[65:68], v36 offset:336
	ds_load_2addr_b64 v[69:72], v36 offset0:27 offset1:28
	s_waitcnt lgkmcnt(4)
	v_fma_f64 v[53:54], -v[12:13], v[53:54], v[75:76]
	v_mul_f64 v[26:27], v[26:27], v[37:38]
	v_mul_f64 v[37:38], v[0:1], v[10:11]
	v_fma_f64 v[41:42], -v[2:3], v[41:42], v[73:74]
	ds_load_b128 v[8:11], v36 offset:96
	v_fma_f64 v[73:74], -v[24:25], v[30:31], v[16:17]
	v_fma_f64 v[79:80], -v[2:3], v[43:44], v[4:5]
	v_fma_f64 v[53:54], -v[14:15], v[18:19], v[53:54]
	v_fma_f64 v[75:76], -v[26:27], v[39:40], v[28:29]
	ds_load_b128 v[28:31], v36 offset:112
	s_waitcnt lgkmcnt(1)
	v_mul_f64 v[8:9], v[0:1], v[8:9]
	v_fma_f64 v[77:78], v[6:7], s[4:5], -v[37:38]
	v_fma_f64 v[55:56], -v[12:13], v[55:56], v[41:42]
	ds_load_b128 v[4:7], v36 offset:816
	ds_load_b128 v[16:19], v36 offset:576
	ds_load_2addr_b64 v[37:40], v36 offset0:93 offset1:94
	v_mul_f64 v[10:11], v[0:1], v[10:11]
	ds_load_b128 v[41:44], v36 offset:592
	v_fma_f64 v[57:58], -v[26:27], v[57:58], v[73:74]
	v_fma_f64 v[65:66], -v[12:13], v[65:66], v[79:80]
	s_waitcnt lgkmcnt(4)
	v_mul_f64 v[79:80], v[0:1], v[28:29]
	v_mul_f64 v[91:92], v[0:1], v[30:31]
	s_waitcnt lgkmcnt(2)
	v_fma_f64 v[16:17], -v[24:25], v[16:17], v[53:54]
	v_mul_f64 v[4:5], v[75:76], v[4:5]
	s_waitcnt vmcnt(1)
	v_fma_f64 v[8:9], v[20:21], s[4:5], -v[8:9]
	v_fma_f64 v[20:21], -v[2:3], v[69:70], v[77:78]
	v_fma_f64 v[55:56], -v[14:15], v[61:62], v[55:56]
	v_fma_f64 v[10:11], v[22:23], s[4:5], -v[10:11]
	v_fma_f64 v[85:86], -v[14:15], v[63:64], v[65:66]
	v_fma_f64 v[89:90], -v[26:27], v[59:60], v[16:17]
	;; [unrolled: 1-line block ×6, first 2 shown]
	ds_load_2addr_b64 v[6:9], v36 offset0:119 offset1:120
	ds_load_b128 v[16:19], v36 offset:352
	ds_load_2addr_b64 v[20:23], v36 offset0:59 offset1:60
	ds_load_2addr_b64 v[53:56], v36 offset0:89 offset1:90
	ds_load_b128 v[57:60], v36 offset:832
	ds_load_2addr_b64 v[61:64], v36 offset0:121 offset1:122
	ds_load_b128 v[65:68], v36 offset:848
	ds_load_2addr_b64 v[69:72], v36 offset0:91 offset1:92
	ds_load_2addr_b64 v[73:76], v36 offset0:61 offset1:62
	v_fma_f64 v[10:11], -v[2:3], v[45:46], v[10:11]
	ds_load_b128 v[28:31], v36 offset:368
	s_waitcnt vmcnt(0)
	v_fma_f64 v[49:50], v[49:50], s[4:5], -v[79:80]
	s_waitcnt lgkmcnt(10)
	v_fma_f64 v[41:42], -v[24:25], v[41:42], v[85:86]
	v_fma_f64 v[51:52], v[51:52], s[4:5], -v[91:92]
	s_waitcnt lgkmcnt(9)
	v_mul_f64 v[6:7], v[77:78], v[6:7]
	s_waitcnt lgkmcnt(8)
	v_fma_f64 v[16:17], -v[12:13], v[16:17], v[81:82]
	s_waitcnt lgkmcnt(7)
	v_fma_f64 v[20:21], -v[14:15], v[20:21], v[83:84]
	s_waitcnt lgkmcnt(6)
	v_fma_f64 v[45:46], -v[26:27], v[53:54], v[87:88]
	s_waitcnt lgkmcnt(5)
	v_fma_f64 v[53:54], -v[4:5], v[57:58], v[89:90]
	v_fma_f64 v[57:58], -v[12:13], v[18:19], v[10:11]
	v_fma_f64 v[49:50], -v[2:3], v[47:48], v[49:50]
	;; [unrolled: 1-line block ×7, first 2 shown]
	ds_load_b128 v[8:11], v36 offset:608
	ds_load_b128 v[16:19], v36 offset:1088
	ds_load_2addr_b64 v[20:23], v36 offset0:31 offset1:63
	ds_load_b128 v[41:44], v36 offset:1104
	ds_load_b128 v[45:48], v36 offset:624
	s_waitcnt lgkmcnt(5)
	v_fma_f64 v[28:29], -v[12:13], v[28:29], v[49:50]
	v_fma_f64 v[49:50], -v[14:15], v[73:74], v[57:58]
	;; [unrolled: 1-line block ×3, first 2 shown]
	s_waitcnt lgkmcnt(4)
	v_fma_f64 v[57:58], -v[24:25], v[8:9], v[77:78]
	v_fma_f64 v[69:70], -v[26:27], v[69:70], v[79:80]
	;; [unrolled: 1-line block ×3, first 2 shown]
	s_waitcnt lgkmcnt(3)
	v_mul_f64 v[8:9], v[53:54], v[16:17]
	s_waitcnt lgkmcnt(2)
	v_fma_f64 v[16:17], -v[2:3], v[20:21], v[51:52]
	v_fma_f64 v[20:21], -v[14:15], v[75:76], v[28:29]
	;; [unrolled: 1-line block ×8, first 2 shown]
	ds_load_b128 v[16:19], v36 offset:864
	ds_load_2addr_b64 v[28:31], v36 offset0:123 offset1:124
	ds_load_2addr_b64 v[49:52], v36 offset0:153 offset1:154
	;; [unrolled: 1-line block ×4, first 2 shown]
	ds_load_b128 v[61:64], v36 offset:880
	s_waitcnt lgkmcnt(6)
	v_fma_f64 v[20:21], -v[24:25], v[45:46], v[20:21]
	v_fma_f64 v[37:38], -v[26:27], v[37:38], v[10:11]
	s_waitcnt lgkmcnt(5)
	v_fma_f64 v[16:17], -v[4:5], v[16:17], v[65:66]
	s_waitcnt lgkmcnt(4)
	v_fma_f64 v[28:29], -v[6:7], v[28:29], v[67:68]
	v_fma_f64 v[41:42], -v[8:9], v[41:42], v[69:70]
	s_waitcnt lgkmcnt(3)
	v_mul_f64 v[10:11], v[71:72], v[49:50]
	v_fma_f64 v[22:23], -v[14:15], v[22:23], v[73:74]
	v_fma_f64 v[45:46], -v[26:27], v[39:40], v[20:21]
	;; [unrolled: 1-line block ×7, first 2 shown]
	ds_load_b128 v[16:19], v36 offset:1120
	ds_load_b128 v[20:23], v36 offset:1360
	ds_load_2addr_b64 v[28:31], v36 offset0:95 offset1:127
	ds_load_2addr_b64 v[37:40], v36 offset0:157 offset1:158
	ds_load_b128 v[41:44], v36 offset:1136
	s_waitcnt lgkmcnt(5)
	v_fma_f64 v[45:46], -v[4:5], v[61:62], v[45:46]
	v_fma_f64 v[49:50], -v[6:7], v[57:58], v[49:50]
	s_waitcnt lgkmcnt(4)
	v_fma_f64 v[57:58], -v[8:9], v[16:17], v[65:66]
	v_fma_f64 v[53:54], -v[10:11], v[53:54], v[67:68]
	s_waitcnt lgkmcnt(3)
	v_mul_f64 v[16:17], v[51:52], v[20:21]
	s_waitcnt lgkmcnt(2)
	v_fma_f64 v[20:21], -v[26:27], v[28:29], v[47:48]
	v_fma_f64 v[28:29], -v[6:7], v[59:60], v[45:46]
	v_fma_f64 v[59:60], -v[8:9], v[18:19], v[49:50]
	v_fma_f64 v[57:58], -v[10:11], v[55:56], v[57:58]
	v_fma_f64 v[22:23], -v[16:17], v[22:23], v[53:54]
	v_fma_f64 v[61:62], -v[4:5], v[63:64], v[20:21]
	ds_load_b128 v[18:21], v36 offset:1376
	ds_load_2addr_b64 v[45:48], v36 offset0:187 offset1:188
	ds_load_2addr_b64 v[49:52], v36 offset0:189 offset1:190
	ds_load_b128 v[53:56], v36 offset:1392
	s_waitcnt lgkmcnt(4)
	v_fma_f64 v[28:29], -v[8:9], v[41:42], v[28:29]
	v_fma_f64 v[37:38], -v[10:11], v[37:38], v[59:60]
	s_waitcnt lgkmcnt(3)
	v_fma_f64 v[41:42], -v[16:17], v[18:19], v[57:58]
	s_waitcnt lgkmcnt(2)
	v_mul_f64 v[18:19], v[22:23], v[45:46]
	v_fma_f64 v[22:23], -v[6:7], v[30:31], v[61:62]
	v_fma_f64 v[45:46], -v[10:11], v[39:40], v[28:29]
	v_fma_f64 v[57:58], -v[16:17], v[20:21], v[37:38]
	s_delay_alu instid0(VALU_DEP_4) | instskip(NEXT) | instid1(VALU_DEP_4)
	v_fma_f64 v[41:42], -v[18:19], v[47:48], v[41:42]
	v_fma_f64 v[43:44], -v[8:9], v[43:44], v[22:23]
	ds_load_b128 v[20:23], v36 offset:1632
	ds_load_2addr_b64 v[28:31], v36 offset0:159 offset1:191
	ds_load_b128 v[37:40], v36 offset:1648
	s_waitcnt lgkmcnt(3)
	v_fma_f64 v[45:46], -v[16:17], v[53:54], v[45:46]
	v_fma_f64 v[47:48], -v[18:19], v[49:50], v[57:58]
	s_waitcnt lgkmcnt(2)
	v_mul_f64 v[20:21], v[41:42], v[20:21]
	s_waitcnt lgkmcnt(1)
	v_fma_f64 v[28:29], -v[10:11], v[28:29], v[43:44]
	s_delay_alu instid0(VALU_DEP_4) | instskip(NEXT) | instid1(VALU_DEP_3)
	v_fma_f64 v[49:50], -v[18:19], v[51:52], v[45:46]
	v_fma_f64 v[22:23], -v[20:21], v[22:23], v[47:48]
	s_delay_alu instid0(VALU_DEP_3)
	v_fma_f64 v[28:29], -v[16:17], v[55:56], v[28:29]
	ds_load_2addr_b64 v[41:44], v36 offset0:221 offset1:222
	ds_load_b128 v[45:48], v36 offset:1904
	s_waitcnt lgkmcnt(2)
	v_fma_f64 v[37:38], -v[20:21], v[37:38], v[49:50]
	s_waitcnt lgkmcnt(1)
	v_mul_f64 v[22:23], v[22:23], v[41:42]
	v_fma_f64 v[28:29], -v[18:19], v[30:31], v[28:29]
	s_delay_alu instid0(VALU_DEP_2) | instskip(NEXT) | instid1(VALU_DEP_2)
	v_fma_f64 v[37:38], -v[22:23], v[43:44], v[37:38]
	v_fma_f64 v[39:40], -v[20:21], v[39:40], v[28:29]
	ds_load_2addr_b64 v[28:31], v36 offset0:223 offset1:255
	s_clause 0x5
	global_store_b128 v[32:33], v[0:3], off
	global_store_b128 v[32:33], v[12:15], off offset:16
	global_store_b128 v[32:33], v[24:27], off offset:32
	;; [unrolled: 1-line block ×5, first 2 shown]
	s_waitcnt lgkmcnt(1)
	v_mul_f64 v[36:37], v[37:38], v[45:46]
	s_waitcnt lgkmcnt(0)
	v_fma_f64 v[28:29], -v[22:23], v[28:29], v[39:40]
	s_delay_alu instid0(VALU_DEP_1) | instskip(NEXT) | instid1(VALU_DEP_1)
	v_fma_f64 v[28:29], -v[36:37], v[47:48], v[28:29]
	v_mul_f64 v[38:39], v[28:29], v[30:31]
	s_clause 0x1
	global_store_b128 v[32:33], v[20:23], off offset:96
	global_store_b128 v[32:33], v[36:39], off offset:112
	s_cmp_lt_i32 s6, s2
	s_cbranch_scc1 .LBB85_38
	s_branch .LBB85_57
.LBB85_37:
	s_mov_b32 s6, 0
	s_delay_alu instid0(SALU_CYCLE_1)
	s_cmp_lt_i32 s6, s2
	s_cbranch_scc0 .LBB85_57
.LBB85_38:
	s_or_b32 s3, s6, 11
	s_delay_alu instid0(SALU_CYCLE_1)
	s_cmp_ge_u32 s3, s2
	s_cbranch_scc1 .LBB85_46
; %bb.39:
	s_lshl_b32 s8, s6, 3
	s_delay_alu instid0(SALU_CYCLE_1)
	v_add_co_u32 v4, vcc_lo, v32, s8
	v_add_co_ci_u32_e32 v5, vcc_lo, 0, v33, vcc_lo
	s_and_not1_b32 vcc_lo, exec_lo, s7
	s_mov_b32 s7, 0
	s_clause 0x5
	global_load_b128 v[0:3], v[4:5], off
	global_load_b128 v[6:9], v[4:5], off offset:16
	global_load_b128 v[10:13], v[4:5], off offset:32
	;; [unrolled: 1-line block ×5, first 2 shown]
	s_waitcnt vmcnt(5)
	v_mul_f64 v[0:1], v[0:1], s[4:5]
	v_mul_f64 v[24:25], v[2:3], s[4:5]
	s_waitcnt vmcnt(4)
	v_mul_f64 v[2:3], v[6:7], s[4:5]
	v_mul_f64 v[22:23], v[8:9], s[4:5]
	;; [unrolled: 3-line block ×6, first 2 shown]
	s_cbranch_vccnz .LBB85_45
; %bb.40:
	s_max_u32 s9, s6, 1
	s_delay_alu instid0(SALU_CYCLE_1)
	s_cmp_eq_u32 s9, 1
	s_cbranch_scc1 .LBB85_43
; %bb.41:
	s_and_b32 s7, s9, 16
	s_add_u32 s10, s12, s0
	s_addc_u32 s11, s13, s1
	v_add_co_u32 v26, vcc_lo, s10, v34
	v_add_co_ci_u32_e32 v27, vcc_lo, s11, v35, vcc_lo
	s_mov_b32 s10, 0
	s_delay_alu instid0(VALU_DEP_2) | instskip(NEXT) | instid1(VALU_DEP_2)
	v_add_co_u32 v26, vcc_lo, v26, 8
	v_add_co_ci_u32_e32 v27, vcc_lo, 0, v27, vcc_lo
.LBB85_42:                              ; =>This Inner Loop Header: Depth=1
	global_load_b128 v[28:31], v[26:27], off offset:-8
	v_mov_b32_e32 v64, s8
	v_add_co_u32 v26, vcc_lo, v26, 16
	v_add_co_ci_u32_e32 v27, vcc_lo, 0, v27, vcc_lo
	ds_load_b128 v[36:39], v64
	ds_load_b128 v[40:43], v64 offset:16
	ds_load_b128 v[44:47], v64 offset:32
	;; [unrolled: 1-line block ×5, first 2 shown]
	s_add_i32 s10, s10, 2
	s_addk_i32 s8, 0x100
	s_cmp_lg_u32 s7, s10
	s_waitcnt vmcnt(0) lgkmcnt(5)
	v_fma_f64 v[60:61], -v[28:29], v[36:37], v[0:1]
	v_fma_f64 v[24:25], -v[28:29], v[38:39], v[24:25]
	s_waitcnt lgkmcnt(4)
	v_fma_f64 v[62:63], -v[28:29], v[40:41], v[2:3]
	v_fma_f64 v[22:23], -v[28:29], v[42:43], v[22:23]
	s_waitcnt lgkmcnt(3)
	;; [unrolled: 3-line block ×5, first 2 shown]
	v_fma_f64 v[52:53], -v[28:29], v[56:57], v[8:9]
	v_fma_f64 v[28:29], -v[28:29], v[58:59], v[6:7]
	ds_load_b128 v[0:3], v64 offset:128
	ds_load_b128 v[6:9], v64 offset:144
	;; [unrolled: 1-line block ×6, first 2 shown]
	s_waitcnt lgkmcnt(5)
	v_fma_f64 v[0:1], -v[30:31], v[0:1], v[60:61]
	v_fma_f64 v[24:25], -v[30:31], v[2:3], v[24:25]
	s_waitcnt lgkmcnt(4)
	v_fma_f64 v[2:3], -v[30:31], v[6:7], v[62:63]
	v_fma_f64 v[22:23], -v[30:31], v[8:9], v[22:23]
	;; [unrolled: 3-line block ×6, first 2 shown]
	s_cbranch_scc1 .LBB85_42
.LBB85_43:
	s_bitcmp0_b32 s9, 0
	s_cbranch_scc1 .LBB85_45
; %bb.44:
	s_lshl_b32 s8, s7, 3
	s_lshl_b32 s7, s7, 4
	v_add_co_u32 v26, vcc_lo, v32, s8
	v_add_co_ci_u32_e32 v27, vcc_lo, 0, v33, vcc_lo
	s_add_i32 s7, s7, s6
	s_delay_alu instid0(SALU_CYCLE_1)
	s_lshl_b32 s7, s7, 3
	global_load_b64 v[30:31], v[26:27], off
	v_mov_b32_e32 v52, s7
	ds_load_b128 v[26:29], v52
	ds_load_b128 v[36:39], v52 offset:16
	ds_load_b128 v[40:43], v52 offset:32
	;; [unrolled: 1-line block ×5, first 2 shown]
	s_waitcnt vmcnt(0) lgkmcnt(5)
	v_fma_f64 v[0:1], -v[30:31], v[26:27], v[0:1]
	v_fma_f64 v[24:25], -v[30:31], v[28:29], v[24:25]
	s_waitcnt lgkmcnt(4)
	v_fma_f64 v[2:3], -v[30:31], v[36:37], v[2:3]
	v_fma_f64 v[22:23], -v[30:31], v[38:39], v[22:23]
	s_waitcnt lgkmcnt(3)
	;; [unrolled: 3-line block ×5, first 2 shown]
	v_fma_f64 v[8:9], -v[30:31], v[52:53], v[8:9]
	v_fma_f64 v[6:7], -v[30:31], v[54:55], v[6:7]
.LBB85_45:
	s_mul_i32 s7, s6, 0x88
	s_mulk_i32 s3, 0x88
	v_mov_b32_e32 v26, s7
	s_lshl_b32 s7, s6, 4
	ds_load_b128 v[27:30], v26
	ds_load_b128 v[36:39], v26 offset:16
	s_add_i32 s7, s6, s7
	s_delay_alu instid0(SALU_CYCLE_1) | instskip(NEXT) | instid1(SALU_CYCLE_1)
	s_lshl_b32 s7, s7, 3
	v_mov_b32_e32 v72, s7
	s_or_b32 s7, s6, 9
	s_delay_alu instid0(SALU_CYCLE_1) | instskip(SKIP_1) | instid1(SALU_CYCLE_1)
	s_mul_i32 s8, s7, 0x88
	s_lshl_b32 s7, s7, 4
	s_add_i32 s7, s6, s7
	s_delay_alu instid0(SALU_CYCLE_1) | instskip(SKIP_2) | instid1(VALU_DEP_1)
	s_lshl_b32 s7, s7, 3
	s_waitcnt lgkmcnt(1)
	v_mul_f64 v[0:1], v[0:1], v[27:28]
	v_fma_f64 v[24:25], -v[0:1], v[29:30], v[24:25]
	ds_load_2addr_b64 v[27:30], v26 offset0:17 offset1:18
	ds_load_b128 v[40:43], v26 offset:64
	s_waitcnt lgkmcnt(2)
	v_fma_f64 v[36:37], -v[0:1], v[36:37], v[2:3]
	v_fma_f64 v[56:57], -v[0:1], v[38:39], v[22:23]
	s_waitcnt lgkmcnt(0)
	v_fma_f64 v[40:41], -v[0:1], v[40:41], v[10:11]
	v_mul_f64 v[2:3], v[24:25], v[27:28]
	s_delay_alu instid0(VALU_DEP_1)
	v_fma_f64 v[58:59], -v[2:3], v[29:30], v[36:37]
	ds_load_b128 v[22:25], v26 offset:32
	ds_load_2addr_b64 v[27:30], v72 offset0:19 offset1:20
	ds_load_b128 v[36:39], v26 offset:272
	ds_load_b128 v[44:47], v26 offset:48
	ds_load_2addr_b64 v[48:51], v26 offset0:51 offset1:52
	ds_load_b128 v[52:55], v72 offset:80
	s_waitcnt lgkmcnt(5)
	v_fma_f64 v[22:23], -v[0:1], v[22:23], v[20:21]
	s_waitcnt lgkmcnt(4)
	v_fma_f64 v[27:28], -v[2:3], v[27:28], v[56:57]
	v_fma_f64 v[18:19], -v[0:1], v[24:25], v[18:19]
	s_waitcnt lgkmcnt(2)
	v_fma_f64 v[16:17], -v[0:1], v[44:45], v[16:17]
	v_fma_f64 v[68:69], -v[0:1], v[46:47], v[14:15]
	s_waitcnt lgkmcnt(0)
	v_fma_f64 v[8:9], -v[0:1], v[52:53], v[8:9]
	v_fma_f64 v[54:55], -v[0:1], v[54:55], v[6:7]
	v_mul_f64 v[20:21], v[58:59], v[36:37]
	v_fma_f64 v[60:61], -v[2:3], v[29:30], v[22:23]
	s_delay_alu instid0(VALU_DEP_2)
	v_fma_f64 v[62:63], -v[20:21], v[38:39], v[27:28]
	ds_load_2addr_b64 v[22:25], v72 offset0:21 offset1:22
	ds_load_b128 v[27:30], v72 offset:288
	ds_load_2addr_b64 v[36:39], v72 offset0:23 offset1:24
	ds_load_2addr_b64 v[56:59], v72 offset0:25 offset1:26
	s_waitcnt lgkmcnt(3)
	v_fma_f64 v[18:19], -v[2:3], v[22:23], v[18:19]
	s_waitcnt lgkmcnt(2)
	v_fma_f64 v[27:28], -v[20:21], v[27:28], v[60:61]
	v_fma_f64 v[24:25], -v[2:3], v[24:25], v[16:17]
	s_waitcnt lgkmcnt(1)
	v_fma_f64 v[36:37], -v[2:3], v[36:37], v[68:69]
	v_fma_f64 v[40:41], -v[2:3], v[38:39], v[40:41]
	v_mul_f64 v[22:23], v[62:63], v[48:49]
	v_fma_f64 v[18:19], -v[20:21], v[29:30], v[18:19]
	s_delay_alu instid0(VALU_DEP_2)
	v_fma_f64 v[70:71], -v[22:23], v[50:51], v[27:28]
	ds_load_b128 v[14:17], v72 offset:304
	ds_load_2addr_b64 v[27:30], v72 offset0:53 offset1:54
	ds_load_b128 v[44:47], v26 offset:544
	ds_load_2addr_b64 v[48:51], v26 offset0:85 offset1:86
	ds_load_b128 v[60:63], v72 offset:320
	ds_load_b128 v[64:67], v72 offset:336
	s_waitcnt lgkmcnt(5)
	v_fma_f64 v[14:15], -v[20:21], v[14:15], v[24:25]
	v_fma_f64 v[24:25], -v[0:1], v[42:43], v[12:13]
	s_waitcnt lgkmcnt(4)
	v_fma_f64 v[18:19], -v[22:23], v[27:28], v[18:19]
	v_fma_f64 v[42:43], -v[20:21], v[16:17], v[36:37]
	s_waitcnt lgkmcnt(1)
	v_fma_f64 v[40:41], -v[20:21], v[60:61], v[40:41]
	v_mul_f64 v[10:11], v[70:71], v[44:45]
	v_fma_f64 v[44:45], -v[22:23], v[29:30], v[14:15]
	v_fma_f64 v[24:25], -v[2:3], v[56:57], v[24:25]
	s_delay_alu instid0(VALU_DEP_3)
	v_fma_f64 v[46:47], -v[10:11], v[46:47], v[18:19]
	ds_load_2addr_b64 v[12:15], v72 offset0:55 offset1:56
	ds_load_b128 v[16:19], v72 offset:560
	ds_load_b128 v[27:30], v72 offset:576
	ds_load_2addr_b64 v[36:39], v72 offset0:57 offset1:58
	v_fma_f64 v[24:25], -v[20:21], v[62:63], v[24:25]
	s_waitcnt lgkmcnt(3)
	v_fma_f64 v[42:43], -v[22:23], v[12:13], v[42:43]
	s_waitcnt lgkmcnt(2)
	v_fma_f64 v[16:17], -v[10:11], v[16:17], v[44:45]
	v_fma_f64 v[52:53], -v[22:23], v[14:15], v[40:41]
	v_mul_f64 v[12:13], v[46:47], v[48:49]
	v_fma_f64 v[48:49], -v[2:3], v[58:59], v[8:9]
	s_waitcnt lgkmcnt(0)
	v_fma_f64 v[24:25], -v[22:23], v[36:37], v[24:25]
	v_fma_f64 v[18:19], -v[10:11], v[18:19], v[42:43]
	;; [unrolled: 1-line block ×4, first 2 shown]
	ds_load_2addr_b64 v[6:9], v72 offset0:87 offset1:88
	ds_load_2addr_b64 v[14:17], v26 offset0:102 offset1:119
	;; [unrolled: 1-line block ×3, first 2 shown]
	ds_load_b128 v[44:47], v72 offset:592
	v_fma_f64 v[56:57], -v[20:21], v[64:65], v[48:49]
	v_fma_f64 v[24:25], -v[10:11], v[29:30], v[24:25]
	s_waitcnt lgkmcnt(3)
	v_fma_f64 v[18:19], -v[12:13], v[6:7], v[18:19]
	v_fma_f64 v[8:9], -v[12:13], v[8:9], v[27:28]
	s_waitcnt lgkmcnt(2)
	v_mul_f64 v[6:7], v[50:51], v[14:15]
	s_waitcnt lgkmcnt(1)
	v_fma_f64 v[14:15], -v[2:3], v[40:41], v[54:55]
	ds_load_2addr_b64 v[48:51], v72 offset0:103 offset1:104
	ds_load_2addr_b64 v[52:55], v72 offset0:89 offset1:90
	v_fma_f64 v[36:37], -v[22:23], v[38:39], v[56:57]
	s_waitcnt lgkmcnt(0)
	v_fma_f64 v[24:25], -v[12:13], v[52:53], v[24:25]
	v_fma_f64 v[18:19], -v[6:7], v[48:49], v[18:19]
	;; [unrolled: 1-line block ×5, first 2 shown]
	s_delay_alu instid0(VALU_DEP_4) | instskip(NEXT) | instid1(VALU_DEP_4)
	v_mul_f64 v[8:9], v[18:19], v[16:17]
	v_fma_f64 v[18:19], -v[22:23], v[42:43], v[14:15]
	ds_load_2addr_b64 v[14:17], v72 offset0:105 offset1:106
	ds_load_b128 v[27:30], v72 offset:960
	v_fma_f64 v[36:37], -v[12:13], v[54:55], v[36:37]
	s_waitcnt lgkmcnt(1)
	v_fma_f64 v[14:15], -v[6:7], v[14:15], v[24:25]
	s_waitcnt lgkmcnt(0)
	v_fma_f64 v[38:39], -v[8:9], v[27:28], v[38:39]
	v_fma_f64 v[18:19], -v[10:11], v[46:47], v[18:19]
	ds_load_b64 v[40:41], v26 offset:1088
	ds_load_2addr_b64 v[24:27], v72 offset0:91 offset1:107
	v_fma_f64 v[36:37], -v[6:7], v[16:17], v[36:37]
	v_fma_f64 v[42:43], -v[8:9], v[29:30], v[14:15]
	s_waitcnt lgkmcnt(1)
	v_mul_f64 v[14:15], v[38:39], v[40:41]
	s_waitcnt lgkmcnt(0)
	v_fma_f64 v[24:25], -v[12:13], v[24:25], v[18:19]
	ds_load_b128 v[16:19], v72 offset:976
	ds_load_2addr_b64 v[28:31], v72 offset0:137 offset1:138
	s_waitcnt lgkmcnt(1)
	v_fma_f64 v[16:17], -v[8:9], v[16:17], v[36:37]
	s_waitcnt lgkmcnt(0)
	v_fma_f64 v[28:29], -v[14:15], v[28:29], v[42:43]
	v_fma_f64 v[36:37], -v[6:7], v[26:27], v[24:25]
	v_mov_b32_e32 v24, s8
	s_or_b32 s8, s6, 10
	s_or_b32 s6, s6, 12
	ds_load_2addr_b64 v[24:27], v24 offset1:1
	ds_load_b64 v[38:39], v72 offset:1112
	s_mulk_i32 s8, 0x88
	v_fma_f64 v[30:31], -v[14:15], v[30:31], v[16:17]
	s_waitcnt lgkmcnt(1)
	v_mul_f64 v[16:17], v[28:29], v[24:25]
	v_fma_f64 v[18:19], -v[8:9], v[18:19], v[36:37]
	v_mov_b32_e32 v24, s8
	s_delay_alu instid0(VALU_DEP_3) | instskip(SKIP_1) | instid1(VALU_DEP_3)
	v_fma_f64 v[28:29], -v[16:17], v[26:27], v[30:31]
	s_waitcnt lgkmcnt(0)
	v_fma_f64 v[18:19], -v[14:15], v[38:39], v[18:19]
	v_mov_b32_e32 v30, s7
	ds_load_b128 v[24:27], v24
	ds_load_b64 v[30:31], v30 offset:88
	s_waitcnt lgkmcnt(1)
	v_mul_f64 v[24:25], v[28:29], v[24:25]
	s_waitcnt lgkmcnt(0)
	v_fma_f64 v[18:19], -v[16:17], v[30:31], v[18:19]
	s_delay_alu instid0(VALU_DEP_1)
	v_fma_f64 v[18:19], -v[24:25], v[26:27], v[18:19]
	v_mov_b32_e32 v26, s3
	ds_load_b64 v[26:27], v26
	s_clause 0x3
	global_store_b128 v[4:5], v[0:3], off
	global_store_b128 v[4:5], v[20:23], off offset:16
	global_store_b128 v[4:5], v[10:13], off offset:32
	;; [unrolled: 1-line block ×3, first 2 shown]
	s_waitcnt lgkmcnt(0)
	v_mul_f64 v[26:27], v[18:19], v[26:27]
	s_clause 0x1
	global_store_b128 v[4:5], v[14:17], off offset:64
	global_store_b128 v[4:5], v[24:27], off offset:80
.LBB85_46:
	s_cmp_ge_i32 s6, s2
	s_cbranch_scc1 .LBB85_57
; %bb.47:
	s_add_i32 s3, s6, -1
	s_lshl_b32 s8, s6, 3
	s_add_u32 s0, s12, s0
	s_addc_u32 s1, s13, s1
	v_add_co_u32 v8, vcc_lo, s0, v34
	v_add_co_ci_u32_e32 v9, vcc_lo, s1, v35, vcc_lo
	s_mov_b32 s1, 0
	s_delay_alu instid0(VALU_DEP_2) | instskip(NEXT) | instid1(VALU_DEP_2)
	v_add_co_u32 v0, vcc_lo, v8, 56
	v_add_co_ci_u32_e32 v1, vcc_lo, 0, v9, vcc_lo
	s_mov_b32 s10, s6
	s_mov_b32 s9, 0
	s_branch .LBB85_49
.LBB85_48:                              ;   in Loop: Header=BB85_49 Depth=1
	s_mul_i32 s0, s6, 0x88
	s_add_i32 s6, s6, 1
	v_mov_b32_e32 v6, s0
	s_add_i32 s9, s9, 1
	s_add_i32 s8, s8, 8
	s_cmp_ge_i32 s6, s2
	ds_load_b64 v[6:7], v6
	s_waitcnt lgkmcnt(0)
	v_mul_f64 v[4:5], v[4:5], v[6:7]
	v_add_nc_u16 v6, s10, 1
	s_delay_alu instid0(VALU_DEP_1)
	v_readfirstlane_b32 s10, v6
	global_store_b64 v[2:3], v[4:5], off
	s_cbranch_scc1 .LBB85_57
.LBB85_49:                              ; =>This Loop Header: Depth=1
                                        ;     Child Loop BB85_52 Depth 2
                                        ;     Child Loop BB85_56 Depth 2
	s_ashr_i32 s7, s6, 31
	s_delay_alu instid0(SALU_CYCLE_1)
	s_lshl_b64 s[12:13], s[6:7], 3
	s_cmp_eq_u32 s6, 0
	v_add_co_u32 v2, vcc_lo, v32, s12
	v_add_co_ci_u32_e32 v3, vcc_lo, s13, v33, vcc_lo
	global_load_b64 v[4:5], v[2:3], off
	s_waitcnt vmcnt(0)
	v_mul_f64 v[4:5], v[4:5], s[4:5]
	s_cbranch_scc1 .LBB85_48
; %bb.50:                               ;   in Loop: Header=BB85_49 Depth=1
	s_add_i32 s0, s3, s9
	s_delay_alu instid0(SALU_CYCLE_1)
	s_cmp_lt_u32 s0, 7
	s_cbranch_scc1 .LBB85_54
; %bb.51:                               ;   in Loop: Header=BB85_49 Depth=1
	v_dual_mov_b32 v7, v1 :: v_dual_mov_b32 v6, v0
	s_and_b32 s0, s6, -8
	s_mov_b32 s7, 0
	s_mov_b32 s11, s8
	s_set_inst_prefetch_distance 0x1
	.p2align	6
.LBB85_52:                              ;   Parent Loop BB85_49 Depth=1
                                        ; =>  This Inner Loop Header: Depth=2
	s_clause 0x3
	global_load_b128 v[10:13], v[6:7], off offset:-56
	global_load_b128 v[14:17], v[6:7], off offset:-40
	;; [unrolled: 1-line block ×4, first 2 shown]
	v_mov_b32_e32 v30, s11
	v_add_co_u32 v6, vcc_lo, v6, 64
	v_add_co_ci_u32_e32 v7, vcc_lo, 0, v7, vcc_lo
	ds_load_2addr_b64 v[26:29], v30 offset1:16
	s_add_i32 s7, s7, 8
	s_addk_i32 s11, 0x400
	s_cmp_lg_u32 s0, s7
	s_waitcnt vmcnt(3) lgkmcnt(0)
	v_fma_f64 v[4:5], -v[10:11], v[26:27], v[4:5]
	s_delay_alu instid0(VALU_DEP_1) | instskip(SKIP_3) | instid1(VALU_DEP_1)
	v_fma_f64 v[4:5], -v[12:13], v[28:29], v[4:5]
	ds_load_2addr_b64 v[10:13], v30 offset0:32 offset1:48
	s_waitcnt vmcnt(2) lgkmcnt(0)
	v_fma_f64 v[4:5], -v[14:15], v[10:11], v[4:5]
	v_fma_f64 v[4:5], -v[16:17], v[12:13], v[4:5]
	ds_load_2addr_b64 v[10:13], v30 offset0:64 offset1:80
	s_waitcnt vmcnt(1) lgkmcnt(0)
	v_fma_f64 v[4:5], -v[18:19], v[10:11], v[4:5]
	s_delay_alu instid0(VALU_DEP_1) | instskip(SKIP_3) | instid1(VALU_DEP_1)
	v_fma_f64 v[4:5], -v[20:21], v[12:13], v[4:5]
	ds_load_2addr_b64 v[10:13], v30 offset0:96 offset1:112
	s_waitcnt vmcnt(0) lgkmcnt(0)
	v_fma_f64 v[4:5], -v[22:23], v[10:11], v[4:5]
	v_fma_f64 v[4:5], -v[24:25], v[12:13], v[4:5]
	s_cbranch_scc1 .LBB85_52
; %bb.53:                               ;   in Loop: Header=BB85_49 Depth=1
	s_set_inst_prefetch_distance 0x2
	s_and_b32 s7, s6, 7
	s_delay_alu instid0(SALU_CYCLE_1)
	s_cmp_eq_u32 s7, 0
	s_cbranch_scc0 .LBB85_55
	s_branch .LBB85_48
.LBB85_54:                              ;   in Loop: Header=BB85_49 Depth=1
	s_mov_b32 s0, 0
	s_and_b32 s7, s6, 7
	s_delay_alu instid0(SALU_CYCLE_1)
	s_cmp_eq_u32 s7, 0
	s_cbranch_scc1 .LBB85_48
.LBB85_55:                              ;   in Loop: Header=BB85_49 Depth=1
	s_lshl_b64 s[12:13], s[0:1], 3
	s_and_b32 s7, s10, 7
	v_add_co_u32 v6, vcc_lo, v8, s12
	v_add_co_ci_u32_e32 v7, vcc_lo, s13, v9, vcc_lo
	s_lshl_b32 s0, s0, 7
.LBB85_56:                              ;   Parent Loop BB85_49 Depth=1
                                        ; =>  This Inner Loop Header: Depth=2
	global_load_b64 v[10:11], v[6:7], off
	s_add_i32 s11, s8, s0
	v_add_co_u32 v6, vcc_lo, v6, 8
	v_mov_b32_e32 v12, s11
	v_add_co_ci_u32_e32 v7, vcc_lo, 0, v7, vcc_lo
	s_add_i32 s7, s7, -1
	s_addk_i32 s0, 0x80
	ds_load_b64 v[12:13], v12
	s_cmp_lg_u32 s7, 0
	s_waitcnt vmcnt(0) lgkmcnt(0)
	v_fma_f64 v[4:5], -v[10:11], v[12:13], v[4:5]
	s_cbranch_scc1 .LBB85_56
	s_branch .LBB85_48
.LBB85_57:
	s_nop 0
	s_sendmsg sendmsg(MSG_DEALLOC_VGPRS)
	s_endpgm
	.section	.rodata,"a",@progbits
	.p2align	6, 0x0
	.amdhsa_kernel _ZL30rocblas_trsm_small_left_deviceILi16ELi16ELb1EddPKPKdPKPdEv13rocblas_fill_18rocblas_operation_17rocblas_diagonal_iiT3_T4_lilT5_lili
		.amdhsa_group_segment_fixed_size 2048
		.amdhsa_private_segment_fixed_size 0
		.amdhsa_kernarg_size 360
		.amdhsa_user_sgpr_count 14
		.amdhsa_user_sgpr_dispatch_ptr 0
		.amdhsa_user_sgpr_queue_ptr 0
		.amdhsa_user_sgpr_kernarg_segment_ptr 1
		.amdhsa_user_sgpr_dispatch_id 0
		.amdhsa_user_sgpr_private_segment_size 0
		.amdhsa_wavefront_size32 1
		.amdhsa_uses_dynamic_stack 0
		.amdhsa_enable_private_segment 0
		.amdhsa_system_sgpr_workgroup_id_x 1
		.amdhsa_system_sgpr_workgroup_id_y 0
		.amdhsa_system_sgpr_workgroup_id_z 1
		.amdhsa_system_sgpr_workgroup_info 0
		.amdhsa_system_vgpr_workitem_id 0
		.amdhsa_next_free_vgpr 93
		.amdhsa_next_free_sgpr 32
		.amdhsa_reserve_vcc 1
		.amdhsa_float_round_mode_32 0
		.amdhsa_float_round_mode_16_64 0
		.amdhsa_float_denorm_mode_32 3
		.amdhsa_float_denorm_mode_16_64 3
		.amdhsa_dx10_clamp 1
		.amdhsa_ieee_mode 1
		.amdhsa_fp16_overflow 0
		.amdhsa_workgroup_processor_mode 1
		.amdhsa_memory_ordered 1
		.amdhsa_forward_progress 0
		.amdhsa_shared_vgpr_count 0
		.amdhsa_exception_fp_ieee_invalid_op 0
		.amdhsa_exception_fp_denorm_src 0
		.amdhsa_exception_fp_ieee_div_zero 0
		.amdhsa_exception_fp_ieee_overflow 0
		.amdhsa_exception_fp_ieee_underflow 0
		.amdhsa_exception_fp_ieee_inexact 0
		.amdhsa_exception_int_div_zero 0
	.end_amdhsa_kernel
	.section	.text._ZL30rocblas_trsm_small_left_deviceILi16ELi16ELb1EddPKPKdPKPdEv13rocblas_fill_18rocblas_operation_17rocblas_diagonal_iiT3_T4_lilT5_lili,"axG",@progbits,_ZL30rocblas_trsm_small_left_deviceILi16ELi16ELb1EddPKPKdPKPdEv13rocblas_fill_18rocblas_operation_17rocblas_diagonal_iiT3_T4_lilT5_lili,comdat
.Lfunc_end85:
	.size	_ZL30rocblas_trsm_small_left_deviceILi16ELi16ELb1EddPKPKdPKPdEv13rocblas_fill_18rocblas_operation_17rocblas_diagonal_iiT3_T4_lilT5_lili, .Lfunc_end85-_ZL30rocblas_trsm_small_left_deviceILi16ELi16ELb1EddPKPKdPKPdEv13rocblas_fill_18rocblas_operation_17rocblas_diagonal_iiT3_T4_lilT5_lili
                                        ; -- End function
	.section	.AMDGPU.csdata,"",@progbits
; Kernel info:
; codeLenInByte = 11904
; NumSgprs: 34
; NumVgprs: 93
; ScratchSize: 0
; MemoryBound: 1
; FloatMode: 240
; IeeeMode: 1
; LDSByteSize: 2048 bytes/workgroup (compile time only)
; SGPRBlocks: 4
; VGPRBlocks: 11
; NumSGPRsForWavesPerEU: 34
; NumVGPRsForWavesPerEU: 93
; Occupancy: 16
; WaveLimiterHint : 1
; COMPUTE_PGM_RSRC2:SCRATCH_EN: 0
; COMPUTE_PGM_RSRC2:USER_SGPR: 14
; COMPUTE_PGM_RSRC2:TRAP_HANDLER: 0
; COMPUTE_PGM_RSRC2:TGID_X_EN: 1
; COMPUTE_PGM_RSRC2:TGID_Y_EN: 0
; COMPUTE_PGM_RSRC2:TGID_Z_EN: 1
; COMPUTE_PGM_RSRC2:TIDIG_COMP_CNT: 0
	.section	.text._ZL31rocblas_trsm_small_right_deviceIddPKPKdPKPdLi16EEv13rocblas_fill_18rocblas_operation_17rocblas_diagonal_iiT0_T1_lilT2_lili,"axG",@progbits,_ZL31rocblas_trsm_small_right_deviceIddPKPKdPKPdLi16EEv13rocblas_fill_18rocblas_operation_17rocblas_diagonal_iiT0_T1_lilT2_lili,comdat
	.globl	_ZL31rocblas_trsm_small_right_deviceIddPKPKdPKPdLi16EEv13rocblas_fill_18rocblas_operation_17rocblas_diagonal_iiT0_T1_lilT2_lili ; -- Begin function _ZL31rocblas_trsm_small_right_deviceIddPKPKdPKPdLi16EEv13rocblas_fill_18rocblas_operation_17rocblas_diagonal_iiT0_T1_lilT2_lili
	.p2align	8
	.type	_ZL31rocblas_trsm_small_right_deviceIddPKPKdPKPdLi16EEv13rocblas_fill_18rocblas_operation_17rocblas_diagonal_iiT0_T1_lilT2_lili,@function
_ZL31rocblas_trsm_small_right_deviceIddPKPKdPKPdLi16EEv13rocblas_fill_18rocblas_operation_17rocblas_diagonal_iiT0_T1_lilT2_lili: ; @_ZL31rocblas_trsm_small_right_deviceIddPKPKdPKPdLi16EEv13rocblas_fill_18rocblas_operation_17rocblas_diagonal_iiT0_T1_lilT2_lili
; %bb.0:
	s_load_b128 s[16:19], s[0:1], 0x40
	s_mov_b32 s12, s15
	s_mov_b32 s13, 0
	s_clause 0x1
	s_load_b32 s28, s[0:1], 0x10
	s_load_b128 s[4:7], s[0:1], 0x0
	s_lshl_b64 s[22:23], s[12:13], 3
	s_mov_b32 s12, exec_lo
	s_waitcnt lgkmcnt(0)
	s_add_u32 s2, s16, s22
	s_addc_u32 s3, s17, s23
	s_clause 0x1
	s_load_b128 s[8:11], s[0:1], 0x18
	s_load_b64 s[16:17], s[0:1], 0x28
	s_load_b64 s[2:3], s[2:3], 0x0
	s_min_i32 s29, s28, 16
	s_delay_alu instid0(SALU_CYCLE_1)
	s_add_i32 s30, s29, -1
	v_cmpx_gt_i32_e64 s29, v0
	s_cbranch_execz .LBB86_9
; %bb.1:
	s_load_b32 s20, s[0:1], 0x30
	s_waitcnt lgkmcnt(0)
	s_ashr_i32 s21, s20, 31
	s_add_u32 s10, s10, s22
	s_addc_u32 s11, s11, s23
	s_cmp_lt_u32 s30, 3
	s_load_b64 s[10:11], s[10:11], 0x0
	s_cbranch_scc1 .LBB86_4
; %bb.2:
	v_lshlrev_b32_e32 v3, 3, v0
	s_lshl_b64 s[22:23], s[16:17], 3
	s_mul_i32 s31, s20, 24
	s_waitcnt lgkmcnt(0)
	s_add_u32 s13, s10, s22
	s_addc_u32 s15, s11, s23
	v_add_co_u32 v1, s13, s13, v3
	s_delay_alu instid0(VALU_DEP_1)
	v_add_co_ci_u32_e64 v2, null, s15, 0, s13
	s_and_b32 s13, s29, -4
	s_mul_hi_i32 s15, s20, 24
	s_lshl_b64 s[22:23], s[20:21], 5
	s_lshl_b64 s[24:25], s[20:21], 4
	;; [unrolled: 1-line block ×3, first 2 shown]
	s_mov_b32 s33, 0
	.p2align	6
.LBB86_3:                               ; =>This Inner Loop Header: Depth=1
	v_add_co_u32 v4, vcc_lo, v1, s26
	v_add_co_ci_u32_e32 v5, vcc_lo, s27, v2, vcc_lo
	v_add_co_u32 v6, vcc_lo, v1, s24
	v_add_co_ci_u32_e32 v7, vcc_lo, s25, v2, vcc_lo
	;; [unrolled: 2-line block ×3, first 2 shown]
	s_clause 0x3
	global_load_b64 v[10:11], v[1:2], off
	global_load_b64 v[4:5], v[4:5], off
	;; [unrolled: 1-line block ×4, first 2 shown]
	v_add_co_u32 v1, vcc_lo, v1, s22
	v_add_co_ci_u32_e32 v2, vcc_lo, s23, v2, vcc_lo
	s_add_i32 s33, s33, 4
	s_waitcnt vmcnt(2)
	ds_store_2addr_b64 v3, v[10:11], v[4:5] offset1:16
	s_waitcnt vmcnt(0)
	ds_store_2addr_b64 v3, v[6:7], v[8:9] offset0:32 offset1:48
	v_add_nc_u32_e32 v3, 0x200, v3
	s_cmp_eq_u32 s13, s33
	s_cbranch_scc0 .LBB86_3
.LBB86_4:
	s_and_b32 s15, s29, 3
	s_delay_alu instid0(SALU_CYCLE_1)
	s_cmp_eq_u32 s15, 0
	s_cbranch_scc1 .LBB86_7
; %bb.5:
	s_mul_i32 s22, s21, s13
	s_mul_hi_u32 s23, s20, s13
	v_lshlrev_b32_e32 v1, 3, v0
	s_add_i32 s23, s23, s22
	s_mul_i32 s22, s20, s13
	s_lshl_b64 s[16:17], s[16:17], 3
	s_lshl_b64 s[22:23], s[22:23], 3
	v_lshl_or_b32 v3, s13, 7, v1
	s_add_u32 s13, s22, s16
	s_addc_u32 s16, s23, s17
	s_waitcnt lgkmcnt(0)
	s_add_u32 s10, s10, s13
	s_addc_u32 s11, s11, s16
	v_add_co_u32 v1, s10, s10, v1
	s_delay_alu instid0(VALU_DEP_1)
	v_add_co_ci_u32_e64 v2, null, s11, 0, s10
	s_lshl_b64 s[10:11], s[20:21], 3
.LBB86_6:                               ; =>This Inner Loop Header: Depth=1
	global_load_b64 v[4:5], v[1:2], off
	v_add_co_u32 v1, vcc_lo, v1, s10
	v_add_co_ci_u32_e32 v2, vcc_lo, s11, v2, vcc_lo
	s_add_i32 s15, s15, -1
	s_delay_alu instid0(SALU_CYCLE_1)
	s_cmp_lg_u32 s15, 0
	s_waitcnt vmcnt(0)
	ds_store_b64 v3, v[4:5]
	v_add_nc_u32_e32 v3, 0x80, v3
	s_cbranch_scc1 .LBB86_6
.LBB86_7:
	s_cmpk_eq_i32 s6, 0x84
	s_cbranch_scc0 .LBB86_9
; %bb.8:
	v_mul_u32_u24_e32 v2, 17, v0
	v_mov_b32_e32 v1, 0
	s_delay_alu instid0(VALU_DEP_2)
	v_dual_mov_b32 v2, 0x3ff00000 :: v_dual_lshlrev_b32 v3, 3, v2
	ds_store_b64 v3, v[1:2]
.LBB86_9:
	s_or_b32 exec_lo, exec_lo, s12
	s_load_b32 s6, s[0:1], 0x68
	s_waitcnt lgkmcnt(0)
	s_lshl_b64 s[10:11], s[18:19], 3
	s_load_b32 s0, s[0:1], 0x50
	s_add_u32 s1, s2, s10
	s_addc_u32 s12, s3, s11
	s_lshl_b32 s13, s14, 4
	s_mov_b32 s22, 0
	s_sub_i32 s7, s7, s13
	s_add_i32 s6, s6, -1
	s_delay_alu instid0(SALU_CYCLE_1) | instskip(SKIP_4) | instid1(SALU_CYCLE_1)
	s_cmp_ge_u32 s14, s6
	s_cselect_b32 s13, s7, 16
	s_ashr_i32 s15, s14, 31
	v_cmp_gt_i32_e32 vcc_lo, s13, v0
	s_lshl_b64 s[6:7], s[14:15], 7
	s_add_u32 s18, s1, s6
	s_addc_u32 s19, s12, s7
	s_cmp_gt_i32 s28, 0
	s_cselect_b32 s1, -1, 0
	s_delay_alu instid0(SALU_CYCLE_1) | instskip(NEXT) | instid1(SALU_CYCLE_1)
	s_and_b32 s20, vcc_lo, s1
	s_and_saveexec_b32 s21, s20
	s_cbranch_execz .LBB86_16
; %bb.10:
	s_waitcnt lgkmcnt(0)
	s_ashr_i32 s1, s0, 31
	s_cmp_lt_u32 s28, 4
	s_cbranch_scc1 .LBB86_13
; %bb.11:
	v_lshlrev_b32_e32 v1, 3, v0
	v_lshl_or_b32 v3, v0, 3, 0x800
	s_and_b32 s22, s28, 0x7ffffffc
	s_mul_hi_i32 s23, s0, 24
	s_mul_i32 s24, s0, 24
	v_add_co_u32 v1, s12, s18, v1
	s_delay_alu instid0(VALU_DEP_1)
	v_add_co_ci_u32_e64 v2, null, s19, 0, s12
	s_lshl_b64 s[12:13], s[0:1], 5
	s_lshl_b64 s[14:15], s[0:1], 4
	;; [unrolled: 1-line block ×3, first 2 shown]
	s_mov_b32 s25, 0
	s_set_inst_prefetch_distance 0x1
	.p2align	6
.LBB86_12:                              ; =>This Inner Loop Header: Depth=1
	v_add_co_u32 v4, vcc_lo, v1, s16
	v_add_co_ci_u32_e32 v5, vcc_lo, s17, v2, vcc_lo
	v_add_co_u32 v6, vcc_lo, v1, s14
	v_add_co_ci_u32_e32 v7, vcc_lo, s15, v2, vcc_lo
	;; [unrolled: 2-line block ×3, first 2 shown]
	s_clause 0x3
	global_load_b64 v[10:11], v[1:2], off
	global_load_b64 v[4:5], v[4:5], off
	;; [unrolled: 1-line block ×4, first 2 shown]
	v_add_co_u32 v1, vcc_lo, v1, s12
	v_add_co_ci_u32_e32 v2, vcc_lo, s13, v2, vcc_lo
	s_add_i32 s25, s25, 4
	s_delay_alu instid0(SALU_CYCLE_1)
	s_cmp_lg_u32 s22, s25
	s_waitcnt vmcnt(3)
	v_mul_f64 v[10:11], v[10:11], s[8:9]
	s_waitcnt vmcnt(2)
	v_mul_f64 v[4:5], v[4:5], s[8:9]
	;; [unrolled: 2-line block ×4, first 2 shown]
	ds_store_2addr_b64 v3, v[10:11], v[4:5] offset1:16
	ds_store_2addr_b64 v3, v[6:7], v[8:9] offset0:32 offset1:48
	v_add_nc_u32_e32 v3, 0x200, v3
	s_cbranch_scc1 .LBB86_12
.LBB86_13:
	s_set_inst_prefetch_distance 0x2
	s_and_b32 s14, s28, 3
	s_delay_alu instid0(SALU_CYCLE_1)
	s_cmp_eq_u32 s14, 0
	s_cbranch_scc1 .LBB86_16
; %bb.14:
	s_mul_hi_i32 s13, s0, s22
	s_mul_i32 s12, s0, s22
	v_lshlrev_b32_e32 v1, 3, v0
	s_lshl_b64 s[12:13], s[12:13], 3
	s_delay_alu instid0(SALU_CYCLE_1)
	s_add_u32 s12, s12, s6
	s_addc_u32 s13, s13, s7
	s_add_u32 s12, s12, s10
	v_lshl_or_b32 v2, s22, 7, v1
	s_addc_u32 s13, s13, s11
	s_add_u32 s12, s2, s12
	s_addc_u32 s13, s3, s13
	v_add_co_u32 v1, s12, s12, v1
	v_add_nc_u32_e32 v3, 0x800, v2
	v_add_co_ci_u32_e64 v2, null, s13, 0, s12
	s_lshl_b64 s[12:13], s[0:1], 3
.LBB86_15:                              ; =>This Inner Loop Header: Depth=1
	global_load_b64 v[4:5], v[1:2], off
	v_add_co_u32 v1, vcc_lo, v1, s12
	v_add_co_ci_u32_e32 v2, vcc_lo, s13, v2, vcc_lo
	s_add_i32 s14, s14, -1
	s_delay_alu instid0(SALU_CYCLE_1)
	s_cmp_lg_u32 s14, 0
	s_waitcnt vmcnt(0)
	v_mul_f64 v[4:5], v[4:5], s[8:9]
	ds_store_b64 v3, v[4:5]
	v_add_nc_u32_e32 v3, 0x80, v3
	s_cbranch_scc1 .LBB86_15
.LBB86_16:
	s_or_b32 exec_lo, exec_lo, s21
	s_cmpk_eq_i32 s5, 0x6f
	s_waitcnt lgkmcnt(0)
	s_cselect_b32 s1, -1, 0
	s_cmpk_eq_i32 s4, 0x79
	; wave barrier
	buffer_gl0_inv
	s_cselect_b32 s8, -1, 0
	s_cmpk_lg_i32 s4, 0x79
	s_cselect_b32 s5, -1, 0
	s_and_b32 s8, s8, s1
	s_delay_alu instid0(SALU_CYCLE_1)
	s_and_not1_b32 vcc_lo, exec_lo, s8
	s_mov_b32 s8, -1
	s_cbranch_vccz .LBB86_80
; %bb.17:
	s_cmpk_lg_i32 s4, 0x7a
	s_cselect_b32 s4, -1, 0
	s_xor_b32 s1, s1, -1
	s_delay_alu instid0(SALU_CYCLE_1)
	s_or_b32 s4, s4, s1
	s_cmp_gt_i32 s28, 3
	s_cselect_b32 s1, -1, 0
	s_and_b32 vcc_lo, exec_lo, s4
	s_mov_b32 s4, -1
	s_cbranch_vccz .LBB86_59
; %bb.18:
	s_and_not1_b32 vcc_lo, exec_lo, s5
	s_cbranch_vccnz .LBB86_38
; %bb.19:
	s_and_not1_b32 vcc_lo, exec_lo, s1
	s_mov_b32 s8, 0
	s_cbranch_vccnz .LBB86_26
; %bb.20:
	v_lshl_or_b32 v9, v0, 3, 0x800
	s_mov_b32 s4, 0
	s_mov_b32 s5, 0
.LBB86_21:                              ; =>This Loop Header: Depth=1
                                        ;     Child Loop BB86_23 Depth 2
	s_delay_alu instid0(SALU_CYCLE_1)
	s_lshl_b32 s9, s5, 4
	s_lshl_b32 s12, s5, 7
	s_or_b32 s8, s9, 16
	v_or_b32_e32 v1, s9, v0
	v_or_b32_e32 v2, s8, v0
	v_lshl_or_b32 v10, v0, 3, s12
	s_cmp_eq_u32 s5, 0
	s_delay_alu instid0(VALU_DEP_3) | instskip(NEXT) | instid1(VALU_DEP_3)
	v_lshlrev_b32_e32 v11, 3, v1
	v_lshlrev_b32_e32 v12, 3, v2
	s_delay_alu instid0(VALU_DEP_3)
	v_add_nc_u32_e32 v1, 0x800, v10
	ds_load_b64 v[7:8], v11 offset:2048
	ds_load_b64 v[5:6], v12 offset:2048
	ds_load_2addr_b64 v[1:4], v1 offset0:32 offset1:48
	s_cbranch_scc1 .LBB86_24
; %bb.22:                               ;   in Loop: Header=BB86_21 Depth=1
	v_mov_b32_e32 v13, v9
	s_mov_b32 s9, 0
	s_mov_b32 s12, s4
.LBB86_23:                              ;   Parent Loop BB86_21 Depth=1
                                        ; =>  This Inner Loop Header: Depth=2
	s_delay_alu instid0(SALU_CYCLE_1)
	v_mov_b32_e32 v28, s12
	s_add_i32 s9, s9, 4
	s_addk_i32 s12, 0x200
	s_cmp_ge_u32 s9, s5
	ds_load_2addr_b64 v[14:17], v13 offset1:16
	ds_load_b128 v[18:21], v28
	ds_load_b128 v[22:25], v28 offset:16
	s_waitcnt lgkmcnt(1)
	v_fma_f64 v[18:19], -v[14:15], v[18:19], v[7:8]
	v_fma_f64 v[20:21], -v[14:15], v[20:21], v[5:6]
	s_waitcnt lgkmcnt(0)
	v_fma_f64 v[22:23], -v[14:15], v[22:23], v[1:2]
	v_fma_f64 v[14:15], -v[14:15], v[24:25], v[3:4]
	ds_load_b128 v[1:4], v28 offset:128
	ds_load_b128 v[5:8], v28 offset:144
	s_waitcnt lgkmcnt(1)
	v_fma_f64 v[18:19], -v[16:17], v[1:2], v[18:19]
	v_fma_f64 v[20:21], -v[16:17], v[3:4], v[20:21]
	s_waitcnt lgkmcnt(0)
	v_fma_f64 v[22:23], -v[16:17], v[5:6], v[22:23]
	v_fma_f64 v[24:25], -v[16:17], v[7:8], v[14:15]
	ds_load_2addr_b64 v[1:4], v13 offset0:32 offset1:48
	ds_load_b128 v[5:8], v28 offset:256
	ds_load_b128 v[14:17], v28 offset:272
	v_add_nc_u32_e32 v13, 0x200, v13
	s_waitcnt lgkmcnt(1)
	v_fma_f64 v[5:6], -v[1:2], v[5:6], v[18:19]
	v_fma_f64 v[26:27], -v[1:2], v[7:8], v[20:21]
	s_waitcnt lgkmcnt(0)
	v_fma_f64 v[22:23], -v[1:2], v[14:15], v[22:23]
	v_fma_f64 v[24:25], -v[1:2], v[16:17], v[24:25]
	ds_load_b128 v[14:17], v28 offset:384
	ds_load_b128 v[18:21], v28 offset:400
	s_waitcnt lgkmcnt(1)
	v_fma_f64 v[7:8], -v[3:4], v[14:15], v[5:6]
	v_fma_f64 v[5:6], -v[3:4], v[16:17], v[26:27]
	s_waitcnt lgkmcnt(0)
	v_fma_f64 v[1:2], -v[3:4], v[18:19], v[22:23]
	v_fma_f64 v[3:4], -v[3:4], v[20:21], v[24:25]
	s_cbranch_scc0 .LBB86_23
.LBB86_24:                              ;   in Loop: Header=BB86_21 Depth=1
	s_mul_i32 s9, s5, 0x88
	s_delay_alu instid0(SALU_CYCLE_1)
	v_dual_mov_b32 v34, s9 :: v_dual_add_nc_u32 v11, 0x800, v11
	s_add_i32 s8, s8, s5
	v_add_nc_u32_e32 v12, 0x800, v12
	s_lshl_b32 s8, s8, 3
	v_add_nc_u32_e32 v13, 0x900, v10
	ds_load_b128 v[14:17], v34
	ds_load_b128 v[18:21], v34 offset:16
	s_add_i32 s4, s4, 32
	v_add_nc_u32_e32 v10, 0x980, v10
	s_waitcnt lgkmcnt(1)
	v_div_scale_f64 v[22:23], null, v[14:15], v[14:15], v[7:8]
	v_div_scale_f64 v[28:29], vcc_lo, v[7:8], v[14:15], v[7:8]
	s_delay_alu instid0(VALU_DEP_2) | instskip(SKIP_2) | instid1(VALU_DEP_1)
	v_rcp_f64_e32 v[24:25], v[22:23]
	s_waitcnt_depctr 0xfff
	v_fma_f64 v[26:27], -v[22:23], v[24:25], 1.0
	v_fma_f64 v[24:25], v[24:25], v[26:27], v[24:25]
	s_delay_alu instid0(VALU_DEP_1) | instskip(NEXT) | instid1(VALU_DEP_1)
	v_fma_f64 v[26:27], -v[22:23], v[24:25], 1.0
	v_fma_f64 v[24:25], v[24:25], v[26:27], v[24:25]
	s_delay_alu instid0(VALU_DEP_1) | instskip(NEXT) | instid1(VALU_DEP_1)
	v_mul_f64 v[26:27], v[28:29], v[24:25]
	v_fma_f64 v[22:23], -v[22:23], v[26:27], v[28:29]
	s_delay_alu instid0(VALU_DEP_1) | instskip(NEXT) | instid1(VALU_DEP_1)
	v_div_fmas_f64 v[22:23], v[22:23], v[24:25], v[26:27]
	v_div_fixup_f64 v[22:23], v[22:23], v[14:15], v[7:8]
	s_delay_alu instid0(VALU_DEP_1)
	v_fma_f64 v[24:25], -v[22:23], v[16:17], v[5:6]
	ds_load_2addr_b64 v[5:8], v34 offset0:17 offset1:18
	ds_load_b128 v[14:17], v34 offset:272
	s_waitcnt lgkmcnt(2)
	v_fma_f64 v[1:2], -v[22:23], v[18:19], v[1:2]
	v_fma_f64 v[3:4], -v[22:23], v[20:21], v[3:4]
	s_waitcnt lgkmcnt(1)
	v_div_scale_f64 v[26:27], null, v[5:6], v[5:6], v[24:25]
	v_div_scale_f64 v[32:33], vcc_lo, v[24:25], v[5:6], v[24:25]
	s_delay_alu instid0(VALU_DEP_2) | instskip(SKIP_2) | instid1(VALU_DEP_1)
	v_rcp_f64_e32 v[28:29], v[26:27]
	s_waitcnt_depctr 0xfff
	v_fma_f64 v[30:31], -v[26:27], v[28:29], 1.0
	v_fma_f64 v[28:29], v[28:29], v[30:31], v[28:29]
	s_delay_alu instid0(VALU_DEP_1) | instskip(NEXT) | instid1(VALU_DEP_1)
	v_fma_f64 v[30:31], -v[26:27], v[28:29], 1.0
	v_fma_f64 v[28:29], v[28:29], v[30:31], v[28:29]
	s_delay_alu instid0(VALU_DEP_1) | instskip(NEXT) | instid1(VALU_DEP_1)
	v_mul_f64 v[30:31], v[32:33], v[28:29]
	v_fma_f64 v[26:27], -v[26:27], v[30:31], v[32:33]
	s_delay_alu instid0(VALU_DEP_1) | instskip(NEXT) | instid1(VALU_DEP_1)
	v_div_fmas_f64 v[26:27], v[26:27], v[28:29], v[30:31]
	v_div_fixup_f64 v[5:6], v[26:27], v[5:6], v[24:25]
	s_delay_alu instid0(VALU_DEP_1) | instskip(SKIP_1) | instid1(VALU_DEP_1)
	v_fma_f64 v[1:2], -v[5:6], v[7:8], v[1:2]
	s_waitcnt lgkmcnt(0)
	v_div_scale_f64 v[7:8], null, v[14:15], v[14:15], v[1:2]
	v_div_scale_f64 v[26:27], vcc_lo, v[1:2], v[14:15], v[1:2]
	s_delay_alu instid0(VALU_DEP_2) | instskip(SKIP_2) | instid1(VALU_DEP_1)
	v_rcp_f64_e32 v[18:19], v[7:8]
	s_waitcnt_depctr 0xfff
	v_fma_f64 v[24:25], -v[7:8], v[18:19], 1.0
	v_fma_f64 v[18:19], v[18:19], v[24:25], v[18:19]
	s_delay_alu instid0(VALU_DEP_1) | instskip(NEXT) | instid1(VALU_DEP_1)
	v_fma_f64 v[24:25], -v[7:8], v[18:19], 1.0
	v_fma_f64 v[18:19], v[18:19], v[24:25], v[18:19]
	s_delay_alu instid0(VALU_DEP_1) | instskip(NEXT) | instid1(VALU_DEP_1)
	v_mul_f64 v[24:25], v[26:27], v[18:19]
	v_fma_f64 v[7:8], -v[7:8], v[24:25], v[26:27]
	s_delay_alu instid0(VALU_DEP_1)
	v_div_fmas_f64 v[7:8], v[7:8], v[18:19], v[24:25]
	v_mov_b32_e32 v18, s8
	s_add_i32 s8, s5, 4
	s_add_i32 s5, s5, 7
	ds_load_b64 v[18:19], v18 offset:24
	ds_load_b64 v[20:21], v34 offset:408
	s_cmp_ge_i32 s5, s29
	s_waitcnt lgkmcnt(1)
	v_fma_f64 v[3:4], -v[5:6], v[18:19], v[3:4]
	v_div_fixup_f64 v[1:2], v[7:8], v[14:15], v[1:2]
	s_delay_alu instid0(VALU_DEP_1) | instskip(SKIP_1) | instid1(VALU_DEP_1)
	v_fma_f64 v[3:4], -v[1:2], v[16:17], v[3:4]
	s_waitcnt lgkmcnt(0)
	v_div_scale_f64 v[7:8], null, v[20:21], v[20:21], v[3:4]
	s_delay_alu instid0(VALU_DEP_1) | instskip(SKIP_2) | instid1(VALU_DEP_1)
	v_rcp_f64_e32 v[14:15], v[7:8]
	s_waitcnt_depctr 0xfff
	v_fma_f64 v[16:17], -v[7:8], v[14:15], 1.0
	v_fma_f64 v[14:15], v[14:15], v[16:17], v[14:15]
	s_delay_alu instid0(VALU_DEP_1) | instskip(NEXT) | instid1(VALU_DEP_1)
	v_fma_f64 v[16:17], -v[7:8], v[14:15], 1.0
	v_fma_f64 v[14:15], v[14:15], v[16:17], v[14:15]
	v_div_scale_f64 v[16:17], vcc_lo, v[3:4], v[20:21], v[3:4]
	s_delay_alu instid0(VALU_DEP_1) | instskip(NEXT) | instid1(VALU_DEP_1)
	v_mul_f64 v[18:19], v[16:17], v[14:15]
	v_fma_f64 v[7:8], -v[7:8], v[18:19], v[16:17]
	s_delay_alu instid0(VALU_DEP_1) | instskip(NEXT) | instid1(VALU_DEP_1)
	v_div_fmas_f64 v[7:8], v[7:8], v[14:15], v[18:19]
	v_div_fixup_f64 v[3:4], v[7:8], v[20:21], v[3:4]
	ds_store_b64 v11, v[22:23]
	ds_store_b64 v12, v[5:6]
	ds_store_b64 v13, v[1:2]
	ds_store_b64 v10, v[3:4]
	s_cbranch_scc1 .LBB86_26
; %bb.25:                               ;   in Loop: Header=BB86_21 Depth=1
	s_mov_b32 s5, s8
	s_branch .LBB86_21
.LBB86_26:
	s_cmp_ge_i32 s8, s29
	s_cbranch_scc1 .LBB86_37
; %bb.27:
	v_lshl_or_b32 v3, v0, 3, 0x800
	v_lshlrev_b32_e32 v4, 3, v0
	s_add_i32 s4, s8, -1
	s_lshl_b32 s5, s8, 3
	s_mov_b32 s9, 0
	s_mov_b32 s12, s8
	s_branch .LBB86_29
.LBB86_28:                              ;   in Loop: Header=BB86_29 Depth=1
	s_mul_i32 s13, s8, 0x88
	s_delay_alu instid0(SALU_CYCLE_1)
	v_dual_mov_b32 v6, s13 :: v_dual_add_nc_u32 v5, 0x800, v5
	s_add_i32 s8, s8, 1
	s_add_i32 s9, s9, 1
	;; [unrolled: 1-line block ×3, first 2 shown]
	s_cmp_ge_i32 s8, s29
	ds_load_b64 v[6:7], v6
	s_waitcnt lgkmcnt(0)
	v_div_scale_f64 v[8:9], null, v[6:7], v[6:7], v[1:2]
	s_delay_alu instid0(VALU_DEP_1) | instskip(SKIP_2) | instid1(VALU_DEP_1)
	v_rcp_f64_e32 v[10:11], v[8:9]
	s_waitcnt_depctr 0xfff
	v_fma_f64 v[12:13], -v[8:9], v[10:11], 1.0
	v_fma_f64 v[10:11], v[10:11], v[12:13], v[10:11]
	s_delay_alu instid0(VALU_DEP_1) | instskip(NEXT) | instid1(VALU_DEP_1)
	v_fma_f64 v[12:13], -v[8:9], v[10:11], 1.0
	v_fma_f64 v[10:11], v[10:11], v[12:13], v[10:11]
	v_div_scale_f64 v[12:13], vcc_lo, v[1:2], v[6:7], v[1:2]
	s_delay_alu instid0(VALU_DEP_1) | instskip(NEXT) | instid1(VALU_DEP_1)
	v_mul_f64 v[14:15], v[12:13], v[10:11]
	v_fma_f64 v[8:9], -v[8:9], v[14:15], v[12:13]
	s_delay_alu instid0(VALU_DEP_1) | instskip(NEXT) | instid1(VALU_DEP_1)
	v_div_fmas_f64 v[8:9], v[8:9], v[10:11], v[14:15]
	v_div_fixup_f64 v[1:2], v[8:9], v[6:7], v[1:2]
	v_add_nc_u16 v6, s12, 1
	s_delay_alu instid0(VALU_DEP_1)
	v_readfirstlane_b32 s12, v6
	ds_store_b64 v5, v[1:2]
	s_cbranch_scc1 .LBB86_37
.LBB86_29:                              ; =>This Loop Header: Depth=1
                                        ;     Child Loop BB86_32 Depth 2
                                        ;     Child Loop BB86_36 Depth 2
	v_lshl_or_b32 v5, s8, 7, v4
	s_cmp_eq_u32 s8, 0
	ds_load_b64 v[1:2], v5 offset:2048
	s_cbranch_scc1 .LBB86_28
; %bb.30:                               ;   in Loop: Header=BB86_29 Depth=1
	s_add_i32 s13, s4, s9
	s_delay_alu instid0(SALU_CYCLE_1)
	s_cmp_lt_u32 s13, 7
	s_cbranch_scc1 .LBB86_34
; %bb.31:                               ;   in Loop: Header=BB86_29 Depth=1
	v_mov_b32_e32 v6, v3
	s_and_b32 s13, s8, -8
	s_mov_b32 s14, 0
	s_mov_b32 s15, s5
	s_set_inst_prefetch_distance 0x1
	.p2align	6
.LBB86_32:                              ;   Parent Loop BB86_29 Depth=1
                                        ; =>  This Inner Loop Header: Depth=2
	v_mov_b32_e32 v15, s15
	s_add_i32 s14, s14, 8
	s_addk_i32 s15, 0x400
	s_cmp_eq_u32 s13, s14
	ds_load_2addr_b64 v[7:10], v6 offset1:16
	ds_load_2addr_b64 v[11:14], v15 offset1:16
	s_waitcnt lgkmcnt(0)
	v_fma_f64 v[1:2], -v[7:8], v[11:12], v[1:2]
	s_delay_alu instid0(VALU_DEP_1) | instskip(SKIP_4) | instid1(VALU_DEP_1)
	v_fma_f64 v[1:2], -v[9:10], v[13:14], v[1:2]
	ds_load_2addr_b64 v[7:10], v6 offset0:32 offset1:48
	ds_load_2addr_b64 v[11:14], v15 offset0:32 offset1:48
	s_waitcnt lgkmcnt(0)
	v_fma_f64 v[1:2], -v[7:8], v[11:12], v[1:2]
	v_fma_f64 v[1:2], -v[9:10], v[13:14], v[1:2]
	ds_load_2addr_b64 v[7:10], v6 offset0:64 offset1:80
	ds_load_2addr_b64 v[11:14], v15 offset0:64 offset1:80
	s_waitcnt lgkmcnt(0)
	v_fma_f64 v[1:2], -v[7:8], v[11:12], v[1:2]
	s_delay_alu instid0(VALU_DEP_1)
	v_fma_f64 v[1:2], -v[9:10], v[13:14], v[1:2]
	ds_load_2addr_b64 v[7:10], v6 offset0:96 offset1:112
	ds_load_2addr_b64 v[11:14], v15 offset0:96 offset1:112
	v_add_nc_u32_e32 v6, 0x400, v6
	s_waitcnt lgkmcnt(0)
	v_fma_f64 v[1:2], -v[7:8], v[11:12], v[1:2]
	s_delay_alu instid0(VALU_DEP_1)
	v_fma_f64 v[1:2], -v[9:10], v[13:14], v[1:2]
	s_cbranch_scc0 .LBB86_32
; %bb.33:                               ;   in Loop: Header=BB86_29 Depth=1
	s_set_inst_prefetch_distance 0x2
	s_and_b32 s14, s8, 7
	s_delay_alu instid0(SALU_CYCLE_1)
	s_cmp_eq_u32 s14, 0
	s_cbranch_scc0 .LBB86_35
	s_branch .LBB86_28
.LBB86_34:                              ;   in Loop: Header=BB86_29 Depth=1
	s_mov_b32 s13, 0
	s_and_b32 s14, s8, 7
	s_delay_alu instid0(SALU_CYCLE_1)
	s_cmp_eq_u32 s14, 0
	s_cbranch_scc1 .LBB86_28
.LBB86_35:                              ;   in Loop: Header=BB86_29 Depth=1
	s_and_b32 s14, s12, 7
	s_lshl_b32 s13, s13, 7
.LBB86_36:                              ;   Parent Loop BB86_29 Depth=1
                                        ; =>  This Inner Loop Header: Depth=2
	s_delay_alu instid0(SALU_CYCLE_1)
	s_add_i32 s15, s5, s13
	v_add_nc_u32_e32 v6, s13, v3
	v_mov_b32_e32 v8, s15
	s_add_i32 s14, s14, -1
	s_addk_i32 s13, 0x80
	s_cmp_lg_u32 s14, 0
	ds_load_b64 v[6:7], v6
	ds_load_b64 v[8:9], v8
	s_waitcnt lgkmcnt(0)
	v_fma_f64 v[1:2], -v[6:7], v[8:9], v[1:2]
	s_cbranch_scc1 .LBB86_36
	s_branch .LBB86_28
.LBB86_37:
	s_mov_b32 s4, 0
.LBB86_38:
	s_delay_alu instid0(SALU_CYCLE_1)
	s_and_b32 vcc_lo, exec_lo, s4
	s_cbranch_vccz .LBB86_58
; %bb.39:
	s_and_not1_b32 vcc_lo, exec_lo, s1
	s_mov_b32 s8, s30
	s_cbranch_vccnz .LBB86_45
; %bb.40:
	v_lshlrev_b32_e32 v9, 3, v0
	s_mul_i32 s4, s29, 0x88
	s_mov_b32 s5, s30
	s_addk_i32 s4, 0xfde0
	s_delay_alu instid0(VALU_DEP_1) | instskip(NEXT) | instid1(VALU_DEP_1)
	v_lshl_or_b32 v1, s29, 7, v9
	v_add_nc_u32_e32 v10, 0x600, v1
.LBB86_41:                              ; =>This Loop Header: Depth=1
                                        ;     Child Loop BB86_42 Depth 2
	s_add_i32 s14, s5, -1
	s_lshl_b32 s13, s5, 4
	s_lshl_b32 s12, s14, 4
	v_or_b32_e32 v1, s13, v0
	s_sub_i32 s8, s13, 32
	v_or_b32_e32 v2, s12, v0
	v_or_b32_e32 v3, s8, v0
	s_add_i32 s9, s5, -3
	v_lshlrev_b32_e32 v11, 3, v1
	v_lshl_or_b32 v14, s9, 7, v9
	v_dual_mov_b32 v15, v10 :: v_dual_lshlrev_b32 v12, 3, v2
	v_lshlrev_b32_e32 v13, 3, v3
	ds_load_b64 v[7:8], v11 offset:2048
	ds_load_b64 v[5:6], v12 offset:2048
	;; [unrolled: 1-line block ×4, first 2 shown]
	s_cmp_le_i32 s30, s5
	s_mov_b32 s15, s4
	s_mov_b32 s16, s30
	s_cbranch_scc1 .LBB86_43
.LBB86_42:                              ;   Parent Loop BB86_41 Depth=1
                                        ; =>  This Inner Loop Header: Depth=2
	v_mov_b32_e32 v28, s15
	s_add_i32 s16, s16, -4
	s_addk_i32 s15, 0xfe00
	s_cmp_le_i32 s16, s5
	ds_load_2addr_b64 v[16:19], v15 offset0:32 offset1:48
	ds_load_2addr_b64 v[20:23], v28 offset0:50 offset1:51
	;; [unrolled: 1-line block ×3, first 2 shown]
	s_waitcnt lgkmcnt(1)
	v_fma_f64 v[22:23], -v[18:19], v[22:23], v[7:8]
	v_fma_f64 v[20:21], -v[18:19], v[20:21], v[5:6]
	s_waitcnt lgkmcnt(0)
	v_fma_f64 v[26:27], -v[18:19], v[26:27], v[3:4]
	v_fma_f64 v[18:19], -v[18:19], v[24:25], v[1:2]
	ds_load_2addr_b64 v[1:4], v28 offset0:34 offset1:35
	ds_load_2addr_b64 v[5:8], v28 offset0:32 offset1:33
	s_waitcnt lgkmcnt(1)
	v_fma_f64 v[22:23], -v[16:17], v[3:4], v[22:23]
	v_fma_f64 v[20:21], -v[16:17], v[1:2], v[20:21]
	s_waitcnt lgkmcnt(0)
	v_fma_f64 v[24:25], -v[16:17], v[7:8], v[26:27]
	v_fma_f64 v[26:27], -v[16:17], v[5:6], v[18:19]
	ds_load_2addr_b64 v[1:4], v15 offset1:16
	ds_load_2addr_b64 v[5:8], v28 offset0:18 offset1:19
	ds_load_2addr_b64 v[16:19], v28 offset0:16 offset1:17
	v_add_nc_u32_e32 v15, 0xfffffe00, v15
	s_waitcnt lgkmcnt(1)
	v_fma_f64 v[7:8], -v[3:4], v[7:8], v[22:23]
	v_fma_f64 v[20:21], -v[3:4], v[5:6], v[20:21]
	s_waitcnt lgkmcnt(0)
	v_fma_f64 v[22:23], -v[3:4], v[18:19], v[24:25]
	v_fma_f64 v[24:25], -v[3:4], v[16:17], v[26:27]
	ds_load_2addr_b64 v[3:6], v28 offset0:2 offset1:3
	ds_load_2addr_b64 v[16:19], v28 offset1:1
	s_waitcnt lgkmcnt(1)
	v_fma_f64 v[7:8], -v[1:2], v[5:6], v[7:8]
	v_fma_f64 v[5:6], -v[1:2], v[3:4], v[20:21]
	s_waitcnt lgkmcnt(0)
	v_fma_f64 v[3:4], -v[1:2], v[18:19], v[22:23]
	v_fma_f64 v[1:2], -v[1:2], v[16:17], v[24:25]
	s_cbranch_scc0 .LBB86_42
.LBB86_43:                              ;   in Loop: Header=BB86_41 Depth=1
	s_add_i32 s14, s13, s14
	s_add_i32 s13, s13, s9
	s_lshl_b32 s14, s14, 3
	s_delay_alu instid0(SALU_CYCLE_1) | instskip(SKIP_3) | instid1(SALU_CYCLE_1)
	v_dual_mov_b32 v15, s14 :: v_dual_add_nc_u32 v12, 0x800, v12
	s_mul_i32 s14, s5, 0x88
	s_lshl_b32 s13, s13, 3
	s_add_i32 s15, s14, 0xffffff78
	v_dual_mov_b32 v19, s15 :: v_dual_add_nc_u32 v14, 0x800, v14
	ds_load_2addr_b64 v[15:18], v15 offset1:1
	s_add_i32 s12, s12, s9
	s_add_i32 s8, s8, s9
	s_lshl_b32 s12, s12, 3
	ds_load_b64 v[19:20], v19
	s_lshl_b32 s8, s8, 3
	v_add_nc_u32_e32 v11, 0x800, v11
	v_add_nc_u32_e32 v13, 0x800, v13
	s_sub_i32 s4, s4, 32
	s_waitcnt lgkmcnt(1)
	v_div_scale_f64 v[21:22], null, v[17:18], v[17:18], v[7:8]
	v_div_scale_f64 v[27:28], vcc_lo, v[7:8], v[17:18], v[7:8]
	s_delay_alu instid0(VALU_DEP_2) | instskip(SKIP_2) | instid1(VALU_DEP_1)
	v_rcp_f64_e32 v[23:24], v[21:22]
	s_waitcnt_depctr 0xfff
	v_fma_f64 v[25:26], -v[21:22], v[23:24], 1.0
	v_fma_f64 v[23:24], v[23:24], v[25:26], v[23:24]
	s_delay_alu instid0(VALU_DEP_1) | instskip(NEXT) | instid1(VALU_DEP_1)
	v_fma_f64 v[25:26], -v[21:22], v[23:24], 1.0
	v_fma_f64 v[23:24], v[23:24], v[25:26], v[23:24]
	s_delay_alu instid0(VALU_DEP_1) | instskip(NEXT) | instid1(VALU_DEP_1)
	v_mul_f64 v[25:26], v[27:28], v[23:24]
	v_fma_f64 v[21:22], -v[21:22], v[25:26], v[27:28]
	s_delay_alu instid0(VALU_DEP_1) | instskip(NEXT) | instid1(VALU_DEP_1)
	v_div_fmas_f64 v[21:22], v[21:22], v[23:24], v[25:26]
	v_div_fixup_f64 v[21:22], v[21:22], v[17:18], v[7:8]
	s_delay_alu instid0(VALU_DEP_1) | instskip(SKIP_1) | instid1(VALU_DEP_1)
	v_fma_f64 v[23:24], -v[21:22], v[15:16], v[5:6]
	s_waitcnt lgkmcnt(0)
	v_div_scale_f64 v[5:6], null, v[19:20], v[19:20], v[23:24]
	v_div_scale_f64 v[17:18], vcc_lo, v[23:24], v[19:20], v[23:24]
	s_delay_alu instid0(VALU_DEP_2) | instskip(SKIP_2) | instid1(VALU_DEP_1)
	v_rcp_f64_e32 v[7:8], v[5:6]
	s_waitcnt_depctr 0xfff
	v_fma_f64 v[15:16], -v[5:6], v[7:8], 1.0
	v_fma_f64 v[7:8], v[7:8], v[15:16], v[7:8]
	s_delay_alu instid0(VALU_DEP_1) | instskip(NEXT) | instid1(VALU_DEP_1)
	v_fma_f64 v[15:16], -v[5:6], v[7:8], 1.0
	v_fma_f64 v[7:8], v[7:8], v[15:16], v[7:8]
	s_delay_alu instid0(VALU_DEP_1) | instskip(NEXT) | instid1(VALU_DEP_1)
	v_mul_f64 v[15:16], v[17:18], v[7:8]
	v_fma_f64 v[5:6], -v[5:6], v[15:16], v[17:18]
	s_delay_alu instid0(VALU_DEP_1)
	v_div_fmas_f64 v[25:26], v[5:6], v[7:8], v[15:16]
	v_mov_b32_e32 v5, s13
	v_mov_b32_e32 v15, s12
	ds_load_2addr_b64 v[5:8], v5 offset1:1
	ds_load_2addr_b64 v[15:18], v15 offset1:1
	s_waitcnt lgkmcnt(1)
	v_fma_f64 v[3:4], -v[21:22], v[7:8], v[3:4]
	v_fma_f64 v[1:2], -v[21:22], v[5:6], v[1:2]
	v_div_fixup_f64 v[7:8], v[25:26], v[19:20], v[23:24]
	s_waitcnt lgkmcnt(0)
	s_delay_alu instid0(VALU_DEP_1) | instskip(SKIP_2) | instid1(VALU_DEP_4)
	v_fma_f64 v[3:4], -v[7:8], v[17:18], v[3:4]
	v_mov_b32_e32 v17, s8
	s_add_i32 s8, s14, 0xfffffe68
	v_fma_f64 v[1:2], -v[7:8], v[15:16], v[1:2]
	v_mov_b32_e32 v23, s8
	s_add_i32 s8, s5, -4
	ds_load_2addr_b64 v[17:20], v17 offset1:1
	s_cmp_lt_i32 s5, 7
	ds_load_b64 v[23:24], v23
	s_waitcnt lgkmcnt(1)
	v_div_scale_f64 v[25:26], null, v[19:20], v[19:20], v[3:4]
	v_div_scale_f64 v[31:32], vcc_lo, v[3:4], v[19:20], v[3:4]
	s_delay_alu instid0(VALU_DEP_2) | instskip(SKIP_2) | instid1(VALU_DEP_1)
	v_rcp_f64_e32 v[27:28], v[25:26]
	s_waitcnt_depctr 0xfff
	v_fma_f64 v[29:30], -v[25:26], v[27:28], 1.0
	v_fma_f64 v[27:28], v[27:28], v[29:30], v[27:28]
	s_delay_alu instid0(VALU_DEP_1) | instskip(NEXT) | instid1(VALU_DEP_1)
	v_fma_f64 v[29:30], -v[25:26], v[27:28], 1.0
	v_fma_f64 v[27:28], v[27:28], v[29:30], v[27:28]
	s_delay_alu instid0(VALU_DEP_1) | instskip(NEXT) | instid1(VALU_DEP_1)
	v_mul_f64 v[29:30], v[31:32], v[27:28]
	v_fma_f64 v[25:26], -v[25:26], v[29:30], v[31:32]
	s_delay_alu instid0(VALU_DEP_1) | instskip(NEXT) | instid1(VALU_DEP_1)
	v_div_fmas_f64 v[5:6], v[25:26], v[27:28], v[29:30]
	v_div_fixup_f64 v[3:4], v[5:6], v[19:20], v[3:4]
	s_delay_alu instid0(VALU_DEP_1) | instskip(SKIP_1) | instid1(VALU_DEP_1)
	v_fma_f64 v[1:2], -v[3:4], v[17:18], v[1:2]
	s_waitcnt lgkmcnt(0)
	v_div_scale_f64 v[5:6], null, v[23:24], v[23:24], v[1:2]
	s_delay_alu instid0(VALU_DEP_1) | instskip(SKIP_2) | instid1(VALU_DEP_1)
	v_rcp_f64_e32 v[15:16], v[5:6]
	s_waitcnt_depctr 0xfff
	v_fma_f64 v[17:18], -v[5:6], v[15:16], 1.0
	v_fma_f64 v[15:16], v[15:16], v[17:18], v[15:16]
	s_delay_alu instid0(VALU_DEP_1) | instskip(NEXT) | instid1(VALU_DEP_1)
	v_fma_f64 v[17:18], -v[5:6], v[15:16], 1.0
	v_fma_f64 v[15:16], v[15:16], v[17:18], v[15:16]
	v_div_scale_f64 v[17:18], vcc_lo, v[1:2], v[23:24], v[1:2]
	s_delay_alu instid0(VALU_DEP_1) | instskip(NEXT) | instid1(VALU_DEP_1)
	v_mul_f64 v[19:20], v[17:18], v[15:16]
	v_fma_f64 v[5:6], -v[5:6], v[19:20], v[17:18]
	s_delay_alu instid0(VALU_DEP_1) | instskip(NEXT) | instid1(VALU_DEP_1)
	v_div_fmas_f64 v[5:6], v[5:6], v[15:16], v[19:20]
	v_div_fixup_f64 v[1:2], v[5:6], v[23:24], v[1:2]
	ds_store_b64 v11, v[21:22]
	ds_store_b64 v12, v[7:8]
	;; [unrolled: 1-line block ×4, first 2 shown]
	s_cbranch_scc1 .LBB86_45
; %bb.44:                               ;   in Loop: Header=BB86_41 Depth=1
	s_mov_b32 s5, s8
	s_branch .LBB86_41
.LBB86_45:
	s_cmp_lt_i32 s8, 0
	s_cbranch_scc1 .LBB86_58
; %bb.46:
	s_bitcmp1_b32 s8, 0
	s_cselect_b32 s4, -1, 0
	s_delay_alu instid0(SALU_CYCLE_1)
	s_and_b32 vcc_lo, exec_lo, s4
	s_mov_b32 s4, s8
	s_cbranch_vccnz .LBB86_51
; %bb.47:
	v_lshlrev_b32_e32 v1, 3, v0
	s_cmp_le_i32 s30, s8
	s_delay_alu instid0(VALU_DEP_1)
	v_lshl_or_b32 v3, s8, 7, v1
	ds_load_b64 v[1:2], v3 offset:2048
	s_cbranch_scc1 .LBB86_50
; %bb.48:
	s_lshl_b32 s4, s29, 7
	s_lshl_b32 s5, s8, 3
	v_lshl_or_b32 v4, v0, 3, s4
	s_add_i32 s4, s4, s5
	s_mov_b32 s5, s30
	s_addk_i32 s4, 0xff80
	s_delay_alu instid0(VALU_DEP_1)
	v_add_nc_u32_e32 v4, 0x780, v4
.LBB86_49:                              ; =>This Inner Loop Header: Depth=1
	v_mov_b32_e32 v7, s4
	s_add_i32 s5, s5, -1
	s_addk_i32 s4, 0xff80
	s_cmp_gt_i32 s5, s8
	ds_load_b64 v[5:6], v4
	ds_load_b64 v[7:8], v7
	v_add_nc_u32_e32 v4, 0xffffff80, v4
	s_waitcnt lgkmcnt(0)
	v_fma_f64 v[1:2], -v[5:6], v[7:8], v[1:2]
	s_cbranch_scc1 .LBB86_49
.LBB86_50:
	s_mul_i32 s4, s8, 0x88
	s_delay_alu instid0(SALU_CYCLE_1) | instskip(SKIP_4) | instid1(VALU_DEP_1)
	v_dual_mov_b32 v4, s4 :: v_dual_add_nc_u32 v3, 0x800, v3
	s_add_i32 s4, s8, -1
	ds_load_b64 v[4:5], v4
	s_waitcnt lgkmcnt(0)
	v_div_scale_f64 v[6:7], null, v[4:5], v[4:5], v[1:2]
	v_rcp_f64_e32 v[8:9], v[6:7]
	s_waitcnt_depctr 0xfff
	v_fma_f64 v[10:11], -v[6:7], v[8:9], 1.0
	s_delay_alu instid0(VALU_DEP_1) | instskip(NEXT) | instid1(VALU_DEP_1)
	v_fma_f64 v[8:9], v[8:9], v[10:11], v[8:9]
	v_fma_f64 v[10:11], -v[6:7], v[8:9], 1.0
	s_delay_alu instid0(VALU_DEP_1) | instskip(SKIP_1) | instid1(VALU_DEP_1)
	v_fma_f64 v[8:9], v[8:9], v[10:11], v[8:9]
	v_div_scale_f64 v[10:11], vcc_lo, v[1:2], v[4:5], v[1:2]
	v_mul_f64 v[12:13], v[10:11], v[8:9]
	s_delay_alu instid0(VALU_DEP_1) | instskip(NEXT) | instid1(VALU_DEP_1)
	v_fma_f64 v[6:7], -v[6:7], v[12:13], v[10:11]
	v_div_fmas_f64 v[6:7], v[6:7], v[8:9], v[12:13]
	s_delay_alu instid0(VALU_DEP_1)
	v_div_fixup_f64 v[1:2], v[6:7], v[4:5], v[1:2]
	ds_store_b64 v3, v[1:2]
.LBB86_51:
	s_cmp_eq_u32 s8, 0
	s_cbranch_scc1 .LBB86_58
; %bb.52:
	s_lshl_b32 s5, s29, 7
	s_lshl_b32 s8, s4, 3
	v_lshl_or_b32 v1, v0, 3, s5
	v_lshlrev_b32_e32 v6, 3, v0
	s_add_i32 s8, s5, s8
	s_delay_alu instid0(SALU_CYCLE_1) | instskip(NEXT) | instid1(VALU_DEP_2)
	s_add_i32 s5, s8, 0xffffff80
	v_add_nc_u32_e32 v5, 0x780, v1
	s_addk_i32 s8, 0xff78
	s_branch .LBB86_54
.LBB86_53:                              ;   in Loop: Header=BB86_54 Depth=1
	s_addk_i32 s9, 0xff78
	s_delay_alu instid0(SALU_CYCLE_1)
	v_dual_mov_b32 v2, s9 :: v_dual_add_nc_u32 v1, 0x800, v7
	s_add_i32 s9, s4, -2
	s_add_i32 s5, s5, -16
	;; [unrolled: 1-line block ×3, first 2 shown]
	s_cmp_lt_i32 s4, 2
	ds_load_b64 v[7:8], v2
	s_mov_b32 s4, s9
	s_waitcnt lgkmcnt(0)
	v_div_scale_f64 v[9:10], null, v[7:8], v[7:8], v[3:4]
	s_delay_alu instid0(VALU_DEP_1) | instskip(SKIP_2) | instid1(VALU_DEP_1)
	v_rcp_f64_e32 v[11:12], v[9:10]
	s_waitcnt_depctr 0xfff
	v_fma_f64 v[13:14], -v[9:10], v[11:12], 1.0
	v_fma_f64 v[11:12], v[11:12], v[13:14], v[11:12]
	s_delay_alu instid0(VALU_DEP_1) | instskip(NEXT) | instid1(VALU_DEP_1)
	v_fma_f64 v[13:14], -v[9:10], v[11:12], 1.0
	v_fma_f64 v[11:12], v[11:12], v[13:14], v[11:12]
	v_div_scale_f64 v[13:14], vcc_lo, v[3:4], v[7:8], v[3:4]
	s_delay_alu instid0(VALU_DEP_1) | instskip(NEXT) | instid1(VALU_DEP_1)
	v_mul_f64 v[15:16], v[13:14], v[11:12]
	v_fma_f64 v[9:10], -v[9:10], v[15:16], v[13:14]
	s_delay_alu instid0(VALU_DEP_1) | instskip(NEXT) | instid1(VALU_DEP_1)
	v_div_fmas_f64 v[9:10], v[9:10], v[11:12], v[15:16]
	v_div_fixup_f64 v[2:3], v[9:10], v[7:8], v[3:4]
	ds_store_b64 v1, v[2:3]
	s_cbranch_scc1 .LBB86_58
.LBB86_54:                              ; =>This Loop Header: Depth=1
                                        ;     Child Loop BB86_55 Depth 2
                                        ;     Child Loop BB86_57 Depth 2
	v_lshl_or_b32 v3, s4, 7, v6
	s_delay_alu instid0(VALU_DEP_2)
	v_mov_b32_e32 v4, v5
	s_cmp_le_i32 s30, s4
	s_mov_b32 s9, s5
	s_mov_b32 s12, s30
	ds_load_b64 v[1:2], v3 offset:2048
	s_cbranch_scc1 .LBB86_56
.LBB86_55:                              ;   Parent Loop BB86_54 Depth=1
                                        ; =>  This Inner Loop Header: Depth=2
	v_mov_b32_e32 v9, s9
	s_add_i32 s12, s12, -1
	s_addk_i32 s9, 0xff80
	s_cmp_le_i32 s12, s4
	ds_load_b64 v[7:8], v4
	ds_load_b64 v[9:10], v9
	v_add_nc_u32_e32 v4, 0xffffff80, v4
	s_waitcnt lgkmcnt(0)
	v_fma_f64 v[1:2], -v[7:8], v[9:10], v[1:2]
	s_cbranch_scc0 .LBB86_55
.LBB86_56:                              ;   in Loop: Header=BB86_54 Depth=1
	s_mul_i32 s9, s4, 0x88
	s_delay_alu instid0(SALU_CYCLE_1)
	v_dual_mov_b32 v3, s9 :: v_dual_add_nc_u32 v8, 0x800, v3
	s_lshl_b32 s12, s4, 7
	s_mov_b32 s13, s29
	s_addk_i32 s12, 0xff80
	s_cmp_lt_i32 s30, s4
	ds_load_b64 v[9:10], v3
	v_lshl_or_b32 v7, v0, 3, s12
	s_mov_b32 s12, s8
	ds_load_b64 v[3:4], v7 offset:2048
	s_waitcnt lgkmcnt(1)
	v_div_scale_f64 v[11:12], null, v[9:10], v[9:10], v[1:2]
	s_delay_alu instid0(VALU_DEP_1) | instskip(SKIP_2) | instid1(VALU_DEP_1)
	v_rcp_f64_e32 v[13:14], v[11:12]
	s_waitcnt_depctr 0xfff
	v_fma_f64 v[15:16], -v[11:12], v[13:14], 1.0
	v_fma_f64 v[13:14], v[13:14], v[15:16], v[13:14]
	s_delay_alu instid0(VALU_DEP_1) | instskip(NEXT) | instid1(VALU_DEP_1)
	v_fma_f64 v[15:16], -v[11:12], v[13:14], 1.0
	v_fma_f64 v[13:14], v[13:14], v[15:16], v[13:14]
	v_div_scale_f64 v[15:16], vcc_lo, v[1:2], v[9:10], v[1:2]
	s_delay_alu instid0(VALU_DEP_1) | instskip(NEXT) | instid1(VALU_DEP_1)
	v_mul_f64 v[17:18], v[15:16], v[13:14]
	v_fma_f64 v[11:12], -v[11:12], v[17:18], v[15:16]
	s_delay_alu instid0(VALU_DEP_1) | instskip(NEXT) | instid1(VALU_DEP_1)
	v_div_fmas_f64 v[11:12], v[11:12], v[13:14], v[17:18]
	v_div_fixup_f64 v[9:10], v[11:12], v[9:10], v[1:2]
	v_mov_b32_e32 v1, v5
	ds_store_b64 v8, v[9:10]
	s_cbranch_scc1 .LBB86_53
.LBB86_57:                              ;   Parent Loop BB86_54 Depth=1
                                        ; =>  This Inner Loop Header: Depth=2
	v_mov_b32_e32 v2, s12
	s_add_i32 s13, s13, -1
	s_addk_i32 s12, 0xff80
	s_cmp_gt_i32 s13, s4
	ds_load_b64 v[8:9], v1
	ds_load_b64 v[10:11], v2
	v_add_nc_u32_e32 v1, 0xffffff80, v1
	s_waitcnt lgkmcnt(0)
	v_fma_f64 v[3:4], -v[8:9], v[10:11], v[3:4]
	s_cbranch_scc1 .LBB86_57
	s_branch .LBB86_53
.LBB86_58:
	s_mov_b32 s4, 0
.LBB86_59:
	s_delay_alu instid0(SALU_CYCLE_1)
	s_and_not1_b32 vcc_lo, exec_lo, s4
	s_cbranch_vccnz .LBB86_79
; %bb.60:
	s_and_not1_b32 vcc_lo, exec_lo, s1
	s_mov_b32 s5, s30
	s_cbranch_vccnz .LBB86_66
; %bb.61:
	v_lshlrev_b32_e32 v9, 3, v0
	s_mul_i32 s1, s29, 0x88
	s_mov_b32 s4, s30
	s_addk_i32 s1, 0xfde0
	s_delay_alu instid0(VALU_DEP_1) | instskip(NEXT) | instid1(VALU_DEP_1)
	v_lshl_or_b32 v1, s29, 7, v9
	v_add_nc_u32_e32 v10, 0x600, v1
.LBB86_62:                              ; =>This Loop Header: Depth=1
                                        ;     Child Loop BB86_63 Depth 2
	s_lshl_b32 s5, s4, 4
	s_add_i32 s8, s4, -1
	v_or_b32_e32 v1, s5, v0
	s_sub_i32 s9, s5, 32
	s_sub_i32 s5, s5, 48
	v_or_b32_e32 v2, s9, v0
	v_or_b32_e32 v3, s5, v0
	v_lshlrev_b32_e32 v11, 3, v1
	v_lshl_or_b32 v12, s8, 7, v9
	v_mov_b32_e32 v15, v10
	v_lshlrev_b32_e32 v13, 3, v2
	v_lshlrev_b32_e32 v14, 3, v3
	ds_load_b64 v[7:8], v11 offset:2048
	ds_load_b64 v[5:6], v12 offset:2048
	;; [unrolled: 1-line block ×4, first 2 shown]
	s_cmp_le_i32 s30, s4
	s_mov_b32 s12, s1
	s_mov_b32 s13, s30
	s_cbranch_scc1 .LBB86_64
.LBB86_63:                              ;   Parent Loop BB86_62 Depth=1
                                        ; =>  This Inner Loop Header: Depth=2
	v_mov_b32_e32 v48, s12
	s_add_i32 s13, s13, -4
	s_sub_i32 s12, s12, 32
	s_cmp_le_i32 s13, s4
	ds_load_2addr_b64 v[16:19], v15 offset0:32 offset1:48
	ds_load_2addr_b64 v[20:23], v48 offset0:50 offset1:51
	;; [unrolled: 1-line block ×8, first 2 shown]
	ds_load_2addr_b64 v[48:51], v48 offset1:1
	s_waitcnt lgkmcnt(7)
	v_fma_f64 v[7:8], -v[18:19], v[22:23], v[7:8]
	s_waitcnt lgkmcnt(6)
	v_fma_f64 v[5:6], -v[18:19], v[26:27], v[5:6]
	;; [unrolled: 2-line block ×4, first 2 shown]
	s_delay_alu instid0(VALU_DEP_4) | instskip(NEXT) | instid1(VALU_DEP_4)
	v_fma_f64 v[7:8], -v[16:17], v[20:21], v[7:8]
	v_fma_f64 v[5:6], -v[16:17], v[24:25], v[5:6]
	s_delay_alu instid0(VALU_DEP_4) | instskip(NEXT) | instid1(VALU_DEP_4)
	v_fma_f64 v[18:19], -v[16:17], v[28:29], v[3:4]
	v_fma_f64 v[16:17], -v[16:17], v[32:33], v[1:2]
	ds_load_2addr_b64 v[1:4], v15 offset1:16
	v_add_nc_u32_e32 v15, 0xfffffe00, v15
	s_waitcnt lgkmcnt(0)
	v_fma_f64 v[7:8], -v[3:4], v[38:39], v[7:8]
	v_fma_f64 v[5:6], -v[3:4], v[42:43], v[5:6]
	;; [unrolled: 1-line block ×4, first 2 shown]
	s_delay_alu instid0(VALU_DEP_4) | instskip(NEXT) | instid1(VALU_DEP_4)
	v_fma_f64 v[7:8], -v[1:2], v[36:37], v[7:8]
	v_fma_f64 v[5:6], -v[1:2], v[40:41], v[5:6]
	s_delay_alu instid0(VALU_DEP_4) | instskip(NEXT) | instid1(VALU_DEP_4)
	v_fma_f64 v[3:4], -v[1:2], v[44:45], v[18:19]
	v_fma_f64 v[1:2], -v[1:2], v[48:49], v[16:17]
	s_cbranch_scc0 .LBB86_63
.LBB86_64:                              ;   in Loop: Header=BB86_62 Depth=1
	s_mul_i32 s12, s4, 0x88
	s_delay_alu instid0(SALU_CYCLE_1)
	v_dual_mov_b32 v15, s12 :: v_dual_add_nc_u32 v12, 0x800, v12
	s_add_i32 s13, s12, 0xffffff78
	v_add_nc_u32_e32 v14, 0x800, v14
	s_add_i32 s9, s9, s4
	s_add_i32 s5, s5, s8
	ds_load_b64 v[19:20], v15
	v_mov_b32_e32 v15, s13
	s_lshl_b32 s9, s9, 3
	s_lshl_b32 s5, s5, 3
	v_add_nc_u32_e32 v11, 0x800, v11
	v_add_nc_u32_e32 v13, 0x800, v13
	ds_load_2addr_b64 v[15:18], v15 offset1:1
	s_addk_i32 s1, 0xfe00
	s_waitcnt lgkmcnt(1)
	v_div_scale_f64 v[21:22], null, v[19:20], v[19:20], v[7:8]
	v_div_scale_f64 v[27:28], vcc_lo, v[7:8], v[19:20], v[7:8]
	s_delay_alu instid0(VALU_DEP_2) | instskip(SKIP_2) | instid1(VALU_DEP_1)
	v_rcp_f64_e32 v[23:24], v[21:22]
	s_waitcnt_depctr 0xfff
	v_fma_f64 v[25:26], -v[21:22], v[23:24], 1.0
	v_fma_f64 v[23:24], v[23:24], v[25:26], v[23:24]
	s_delay_alu instid0(VALU_DEP_1) | instskip(NEXT) | instid1(VALU_DEP_1)
	v_fma_f64 v[25:26], -v[21:22], v[23:24], 1.0
	v_fma_f64 v[23:24], v[23:24], v[25:26], v[23:24]
	s_delay_alu instid0(VALU_DEP_1) | instskip(NEXT) | instid1(VALU_DEP_1)
	v_mul_f64 v[25:26], v[27:28], v[23:24]
	v_fma_f64 v[21:22], -v[21:22], v[25:26], v[27:28]
	s_delay_alu instid0(VALU_DEP_1) | instskip(NEXT) | instid1(VALU_DEP_1)
	v_div_fmas_f64 v[21:22], v[21:22], v[23:24], v[25:26]
	v_div_fixup_f64 v[23:24], v[21:22], v[19:20], v[7:8]
	s_waitcnt lgkmcnt(0)
	s_delay_alu instid0(VALU_DEP_1) | instskip(NEXT) | instid1(VALU_DEP_1)
	v_fma_f64 v[17:18], -v[23:24], v[17:18], v[5:6]
	v_div_scale_f64 v[5:6], null, v[15:16], v[15:16], v[17:18]
	v_div_scale_f64 v[21:22], vcc_lo, v[17:18], v[15:16], v[17:18]
	s_delay_alu instid0(VALU_DEP_2) | instskip(SKIP_2) | instid1(VALU_DEP_1)
	v_rcp_f64_e32 v[7:8], v[5:6]
	s_waitcnt_depctr 0xfff
	v_fma_f64 v[19:20], -v[5:6], v[7:8], 1.0
	v_fma_f64 v[7:8], v[7:8], v[19:20], v[7:8]
	s_delay_alu instid0(VALU_DEP_1) | instskip(NEXT) | instid1(VALU_DEP_1)
	v_fma_f64 v[19:20], -v[5:6], v[7:8], 1.0
	v_fma_f64 v[7:8], v[7:8], v[19:20], v[7:8]
	s_delay_alu instid0(VALU_DEP_1) | instskip(NEXT) | instid1(VALU_DEP_1)
	v_mul_f64 v[19:20], v[21:22], v[7:8]
	v_fma_f64 v[5:6], -v[5:6], v[19:20], v[21:22]
	s_delay_alu instid0(VALU_DEP_1)
	v_div_fmas_f64 v[19:20], v[5:6], v[7:8], v[19:20]
	v_mov_b32_e32 v5, s9
	s_add_i32 s9, s12, 0xfffffef0
	ds_load_b64 v[21:22], v5
	v_mov_b32_e32 v5, s9
	ds_load_2addr_b64 v[5:8], v5 offset1:1
	s_waitcnt lgkmcnt(1)
	v_fma_f64 v[3:4], -v[23:24], v[21:22], v[3:4]
	v_div_fixup_f64 v[25:26], v[19:20], v[15:16], v[17:18]
	s_waitcnt lgkmcnt(0)
	s_delay_alu instid0(VALU_DEP_1) | instskip(NEXT) | instid1(VALU_DEP_1)
	v_fma_f64 v[3:4], -v[25:26], v[7:8], v[3:4]
	v_div_scale_f64 v[7:8], null, v[5:6], v[5:6], v[3:4]
	v_div_scale_f64 v[19:20], vcc_lo, v[3:4], v[5:6], v[3:4]
	s_delay_alu instid0(VALU_DEP_2) | instskip(SKIP_2) | instid1(VALU_DEP_1)
	v_rcp_f64_e32 v[15:16], v[7:8]
	s_waitcnt_depctr 0xfff
	v_fma_f64 v[17:18], -v[7:8], v[15:16], 1.0
	v_fma_f64 v[15:16], v[15:16], v[17:18], v[15:16]
	s_delay_alu instid0(VALU_DEP_1) | instskip(NEXT) | instid1(VALU_DEP_1)
	v_fma_f64 v[17:18], -v[7:8], v[15:16], 1.0
	v_fma_f64 v[27:28], v[15:16], v[17:18], v[15:16]
	v_mov_b32_e32 v15, s5
	s_add_i32 s5, s12, 0xfffffe68
	ds_load_2addr_b64 v[15:18], v15 offset1:1
	v_mul_f64 v[29:30], v[19:20], v[27:28]
	s_delay_alu instid0(VALU_DEP_1)
	v_fma_f64 v[7:8], -v[7:8], v[29:30], v[19:20]
	v_mov_b32_e32 v19, s5
	s_add_i32 s5, s4, -4
	s_cmp_lt_i32 s4, 7
	ds_load_2addr_b64 v[19:22], v19 offset1:1
	s_waitcnt lgkmcnt(1)
	v_fma_f64 v[1:2], -v[23:24], v[17:18], v[1:2]
	v_div_fmas_f64 v[7:8], v[7:8], v[27:28], v[29:30]
	s_delay_alu instid0(VALU_DEP_2) | instskip(NEXT) | instid1(VALU_DEP_2)
	v_fma_f64 v[1:2], -v[25:26], v[15:16], v[1:2]
	v_div_fixup_f64 v[3:4], v[7:8], v[5:6], v[3:4]
	s_waitcnt lgkmcnt(0)
	s_delay_alu instid0(VALU_DEP_1) | instskip(NEXT) | instid1(VALU_DEP_1)
	v_fma_f64 v[1:2], -v[3:4], v[21:22], v[1:2]
	v_div_scale_f64 v[5:6], null, v[19:20], v[19:20], v[1:2]
	s_delay_alu instid0(VALU_DEP_1) | instskip(SKIP_2) | instid1(VALU_DEP_1)
	v_rcp_f64_e32 v[7:8], v[5:6]
	s_waitcnt_depctr 0xfff
	v_fma_f64 v[15:16], -v[5:6], v[7:8], 1.0
	v_fma_f64 v[7:8], v[7:8], v[15:16], v[7:8]
	s_delay_alu instid0(VALU_DEP_1) | instskip(NEXT) | instid1(VALU_DEP_1)
	v_fma_f64 v[15:16], -v[5:6], v[7:8], 1.0
	v_fma_f64 v[7:8], v[7:8], v[15:16], v[7:8]
	v_div_scale_f64 v[15:16], vcc_lo, v[1:2], v[19:20], v[1:2]
	s_delay_alu instid0(VALU_DEP_1) | instskip(NEXT) | instid1(VALU_DEP_1)
	v_mul_f64 v[17:18], v[15:16], v[7:8]
	v_fma_f64 v[5:6], -v[5:6], v[17:18], v[15:16]
	s_delay_alu instid0(VALU_DEP_1) | instskip(NEXT) | instid1(VALU_DEP_1)
	v_div_fmas_f64 v[5:6], v[5:6], v[7:8], v[17:18]
	v_div_fixup_f64 v[1:2], v[5:6], v[19:20], v[1:2]
	ds_store_b64 v11, v[23:24]
	ds_store_b64 v12, v[25:26]
	;; [unrolled: 1-line block ×4, first 2 shown]
	s_cbranch_scc1 .LBB86_66
; %bb.65:                               ;   in Loop: Header=BB86_62 Depth=1
	s_mov_b32 s4, s5
	s_branch .LBB86_62
.LBB86_66:
	s_cmp_lt_i32 s5, 0
	s_cbranch_scc1 .LBB86_79
; %bb.67:
	s_bitcmp1_b32 s5, 0
	s_cselect_b32 s1, -1, 0
	s_delay_alu instid0(SALU_CYCLE_1)
	s_and_b32 vcc_lo, exec_lo, s1
	s_mov_b32 s1, s5
	s_cbranch_vccnz .LBB86_72
; %bb.68:
	v_lshlrev_b32_e32 v4, 3, v0
	s_cmp_le_i32 s30, s5
	s_delay_alu instid0(VALU_DEP_1)
	v_lshl_or_b32 v3, s5, 7, v4
	ds_load_b64 v[1:2], v3 offset:2048
	s_cbranch_scc1 .LBB86_71
; %bb.69:
	v_lshl_or_b32 v4, s29, 7, v4
	s_lshl_b32 s1, s5, 7
	s_lshl_b32 s4, s29, 3
	s_delay_alu instid0(SALU_CYCLE_1) | instskip(NEXT) | instid1(VALU_DEP_1)
	s_add_i32 s1, s1, s4
	v_add_nc_u32_e32 v4, 0x780, v4
	s_add_i32 s1, s1, -8
	s_mov_b32 s4, s30
.LBB86_70:                              ; =>This Inner Loop Header: Depth=1
	v_mov_b32_e32 v7, s1
	s_add_i32 s4, s4, -1
	s_add_i32 s1, s1, -8
	s_cmp_gt_i32 s4, s5
	ds_load_b64 v[5:6], v4
	ds_load_b64 v[7:8], v7
	v_add_nc_u32_e32 v4, 0xffffff80, v4
	s_waitcnt lgkmcnt(0)
	v_fma_f64 v[1:2], -v[5:6], v[7:8], v[1:2]
	s_cbranch_scc1 .LBB86_70
.LBB86_71:
	s_mul_i32 s1, s5, 0x88
	s_delay_alu instid0(SALU_CYCLE_1) | instskip(SKIP_4) | instid1(VALU_DEP_1)
	v_dual_mov_b32 v4, s1 :: v_dual_add_nc_u32 v3, 0x800, v3
	s_add_i32 s1, s5, -1
	ds_load_b64 v[4:5], v4
	s_waitcnt lgkmcnt(0)
	v_div_scale_f64 v[6:7], null, v[4:5], v[4:5], v[1:2]
	v_rcp_f64_e32 v[8:9], v[6:7]
	s_waitcnt_depctr 0xfff
	v_fma_f64 v[10:11], -v[6:7], v[8:9], 1.0
	s_delay_alu instid0(VALU_DEP_1) | instskip(NEXT) | instid1(VALU_DEP_1)
	v_fma_f64 v[8:9], v[8:9], v[10:11], v[8:9]
	v_fma_f64 v[10:11], -v[6:7], v[8:9], 1.0
	s_delay_alu instid0(VALU_DEP_1) | instskip(SKIP_1) | instid1(VALU_DEP_1)
	v_fma_f64 v[8:9], v[8:9], v[10:11], v[8:9]
	v_div_scale_f64 v[10:11], vcc_lo, v[1:2], v[4:5], v[1:2]
	v_mul_f64 v[12:13], v[10:11], v[8:9]
	s_delay_alu instid0(VALU_DEP_1) | instskip(NEXT) | instid1(VALU_DEP_1)
	v_fma_f64 v[6:7], -v[6:7], v[12:13], v[10:11]
	v_div_fmas_f64 v[6:7], v[6:7], v[8:9], v[12:13]
	s_delay_alu instid0(VALU_DEP_1)
	v_div_fixup_f64 v[1:2], v[6:7], v[4:5], v[1:2]
	ds_store_b64 v3, v[1:2]
.LBB86_72:
	s_cmp_eq_u32 s5, 0
	s_cbranch_scc1 .LBB86_79
; %bb.73:
	v_lshlrev_b32_e32 v5, 3, v0
	s_lshl_b32 s4, s1, 7
	s_lshl_b32 s5, s29, 3
	s_delay_alu instid0(SALU_CYCLE_1) | instskip(NEXT) | instid1(VALU_DEP_1)
	s_add_i32 s5, s4, s5
	v_lshl_or_b32 v1, s29, 7, v5
	s_add_i32 s4, s5, -8
	s_addk_i32 s5, 0xff78
	s_delay_alu instid0(VALU_DEP_1)
	v_add_nc_u32_e32 v6, 0x780, v1
	s_branch .LBB86_75
.LBB86_74:                              ;   in Loop: Header=BB86_75 Depth=1
	s_addk_i32 s8, 0xff78
	s_delay_alu instid0(SALU_CYCLE_1)
	v_dual_mov_b32 v2, s8 :: v_dual_add_nc_u32 v1, 0x800, v7
	s_add_i32 s8, s1, -2
	s_addk_i32 s4, 0xff00
	s_addk_i32 s5, 0xff00
	s_cmp_lt_i32 s1, 2
	ds_load_b64 v[7:8], v2
	s_mov_b32 s1, s8
	s_waitcnt lgkmcnt(0)
	v_div_scale_f64 v[9:10], null, v[7:8], v[7:8], v[3:4]
	s_delay_alu instid0(VALU_DEP_1) | instskip(SKIP_2) | instid1(VALU_DEP_1)
	v_rcp_f64_e32 v[11:12], v[9:10]
	s_waitcnt_depctr 0xfff
	v_fma_f64 v[13:14], -v[9:10], v[11:12], 1.0
	v_fma_f64 v[11:12], v[11:12], v[13:14], v[11:12]
	s_delay_alu instid0(VALU_DEP_1) | instskip(NEXT) | instid1(VALU_DEP_1)
	v_fma_f64 v[13:14], -v[9:10], v[11:12], 1.0
	v_fma_f64 v[11:12], v[11:12], v[13:14], v[11:12]
	v_div_scale_f64 v[13:14], vcc_lo, v[3:4], v[7:8], v[3:4]
	s_delay_alu instid0(VALU_DEP_1) | instskip(NEXT) | instid1(VALU_DEP_1)
	v_mul_f64 v[15:16], v[13:14], v[11:12]
	v_fma_f64 v[9:10], -v[9:10], v[15:16], v[13:14]
	s_delay_alu instid0(VALU_DEP_1) | instskip(NEXT) | instid1(VALU_DEP_1)
	v_div_fmas_f64 v[9:10], v[9:10], v[11:12], v[15:16]
	v_div_fixup_f64 v[2:3], v[9:10], v[7:8], v[3:4]
	ds_store_b64 v1, v[2:3]
	s_cbranch_scc1 .LBB86_79
.LBB86_75:                              ; =>This Loop Header: Depth=1
                                        ;     Child Loop BB86_76 Depth 2
                                        ;     Child Loop BB86_78 Depth 2
	v_lshl_or_b32 v3, s1, 7, v5
	s_delay_alu instid0(VALU_DEP_2)
	v_mov_b32_e32 v4, v6
	s_cmp_le_i32 s30, s1
	s_mov_b32 s8, s4
	s_mov_b32 s9, s30
	ds_load_b64 v[1:2], v3 offset:2048
	s_cbranch_scc1 .LBB86_77
.LBB86_76:                              ;   Parent Loop BB86_75 Depth=1
                                        ; =>  This Inner Loop Header: Depth=2
	v_mov_b32_e32 v9, s8
	s_add_i32 s9, s9, -1
	s_add_i32 s8, s8, -8
	s_cmp_le_i32 s9, s1
	ds_load_b64 v[7:8], v4
	ds_load_b64 v[9:10], v9
	v_add_nc_u32_e32 v4, 0xffffff80, v4
	s_waitcnt lgkmcnt(0)
	v_fma_f64 v[1:2], -v[7:8], v[9:10], v[1:2]
	s_cbranch_scc0 .LBB86_76
.LBB86_77:                              ;   in Loop: Header=BB86_75 Depth=1
	s_mul_i32 s8, s1, 0x88
	s_delay_alu instid0(SALU_CYCLE_1)
	v_dual_mov_b32 v3, s8 :: v_dual_add_nc_u32 v8, 0x800, v3
	s_lshl_b32 s9, s1, 7
	s_mov_b32 s12, s29
	s_addk_i32 s9, 0xff80
	s_cmp_lt_i32 s30, s1
	ds_load_b64 v[9:10], v3
	v_lshl_or_b32 v7, v0, 3, s9
	s_mov_b32 s9, s5
	ds_load_b64 v[3:4], v7 offset:2048
	s_waitcnt lgkmcnt(1)
	v_div_scale_f64 v[11:12], null, v[9:10], v[9:10], v[1:2]
	s_delay_alu instid0(VALU_DEP_1) | instskip(SKIP_2) | instid1(VALU_DEP_1)
	v_rcp_f64_e32 v[13:14], v[11:12]
	s_waitcnt_depctr 0xfff
	v_fma_f64 v[15:16], -v[11:12], v[13:14], 1.0
	v_fma_f64 v[13:14], v[13:14], v[15:16], v[13:14]
	s_delay_alu instid0(VALU_DEP_1) | instskip(NEXT) | instid1(VALU_DEP_1)
	v_fma_f64 v[15:16], -v[11:12], v[13:14], 1.0
	v_fma_f64 v[13:14], v[13:14], v[15:16], v[13:14]
	v_div_scale_f64 v[15:16], vcc_lo, v[1:2], v[9:10], v[1:2]
	s_delay_alu instid0(VALU_DEP_1) | instskip(NEXT) | instid1(VALU_DEP_1)
	v_mul_f64 v[17:18], v[15:16], v[13:14]
	v_fma_f64 v[11:12], -v[11:12], v[17:18], v[15:16]
	s_delay_alu instid0(VALU_DEP_1) | instskip(NEXT) | instid1(VALU_DEP_1)
	v_div_fmas_f64 v[11:12], v[11:12], v[13:14], v[17:18]
	v_div_fixup_f64 v[9:10], v[11:12], v[9:10], v[1:2]
	v_mov_b32_e32 v1, v6
	ds_store_b64 v8, v[9:10]
	s_cbranch_scc1 .LBB86_74
.LBB86_78:                              ;   Parent Loop BB86_75 Depth=1
                                        ; =>  This Inner Loop Header: Depth=2
	v_mov_b32_e32 v2, s9
	s_add_i32 s12, s12, -1
	s_add_i32 s9, s9, -8
	s_cmp_gt_i32 s12, s1
	ds_load_b64 v[8:9], v1
	ds_load_b64 v[10:11], v2
	v_add_nc_u32_e32 v1, 0xffffff80, v1
	s_waitcnt lgkmcnt(0)
	v_fma_f64 v[3:4], -v[8:9], v[10:11], v[3:4]
	s_cbranch_scc1 .LBB86_78
	s_branch .LBB86_74
.LBB86_79:
	s_mov_b32 s8, 0
.LBB86_80:
	s_delay_alu instid0(SALU_CYCLE_1)
	s_and_not1_b32 vcc_lo, exec_lo, s8
	s_cbranch_vccnz .LBB86_99
; %bb.81:
	s_cmp_lt_i32 s28, 4
	s_mov_b32 s5, 0
	s_cbranch_scc1 .LBB86_88
; %bb.82:
	v_lshl_or_b32 v9, v0, 3, 0x800
	s_mov_b32 s1, 0
	s_mov_b32 s4, 0
.LBB86_83:                              ; =>This Loop Header: Depth=1
                                        ;     Child Loop BB86_85 Depth 2
	s_delay_alu instid0(SALU_CYCLE_1) | instskip(NEXT) | instid1(SALU_CYCLE_1)
	s_lshl_b32 s5, s4, 4
	s_or_b32 s9, s5, 16
	v_or_b32_e32 v1, s5, v0
	s_or_b32 s8, s5, 32
	v_or_b32_e32 v2, s9, v0
	;; [unrolled: 2-line block ×3, first 2 shown]
	v_or_b32_e32 v4, s5, v0
	v_lshlrev_b32_e32 v10, 3, v1
	v_lshlrev_b32_e32 v11, 3, v2
	s_cmp_eq_u32 s4, 0
	v_lshlrev_b32_e32 v12, 3, v3
	v_lshlrev_b32_e32 v13, 3, v4
	ds_load_b64 v[7:8], v10 offset:2048
	ds_load_b64 v[5:6], v11 offset:2048
	;; [unrolled: 1-line block ×4, first 2 shown]
	s_cbranch_scc1 .LBB86_86
; %bb.84:                               ;   in Loop: Header=BB86_83 Depth=1
	v_mov_b32_e32 v14, v9
	s_mov_b32 s12, 0
	s_mov_b32 s13, s1
.LBB86_85:                              ;   Parent Loop BB86_83 Depth=1
                                        ; =>  This Inner Loop Header: Depth=2
	s_delay_alu instid0(SALU_CYCLE_1)
	v_mov_b32_e32 v47, s13
	s_add_i32 s12, s12, 4
	s_add_i32 s13, s13, 32
	s_cmp_ge_u32 s12, s4
	ds_load_2addr_b64 v[15:18], v14 offset1:16
	ds_load_b128 v[19:22], v47
	ds_load_b128 v[23:26], v47 offset:128
	ds_load_b128 v[27:30], v47 offset:256
	;; [unrolled: 1-line block ×7, first 2 shown]
	s_waitcnt lgkmcnt(7)
	v_fma_f64 v[7:8], -v[15:16], v[19:20], v[7:8]
	s_waitcnt lgkmcnt(6)
	v_fma_f64 v[5:6], -v[15:16], v[23:24], v[5:6]
	;; [unrolled: 2-line block ×4, first 2 shown]
	s_delay_alu instid0(VALU_DEP_4) | instskip(NEXT) | instid1(VALU_DEP_4)
	v_fma_f64 v[7:8], -v[17:18], v[21:22], v[7:8]
	v_fma_f64 v[5:6], -v[17:18], v[25:26], v[5:6]
	s_delay_alu instid0(VALU_DEP_4) | instskip(NEXT) | instid1(VALU_DEP_4)
	v_fma_f64 v[3:4], -v[17:18], v[29:30], v[3:4]
	v_fma_f64 v[1:2], -v[17:18], v[33:34], v[1:2]
	ds_load_2addr_b64 v[15:18], v14 offset0:32 offset1:48
	v_add_nc_u32_e32 v14, 0x200, v14
	s_waitcnt lgkmcnt(0)
	v_fma_f64 v[7:8], -v[15:16], v[35:36], v[7:8]
	v_fma_f64 v[5:6], -v[15:16], v[39:40], v[5:6]
	;; [unrolled: 1-line block ×4, first 2 shown]
	s_delay_alu instid0(VALU_DEP_4) | instskip(NEXT) | instid1(VALU_DEP_4)
	v_fma_f64 v[7:8], -v[17:18], v[37:38], v[7:8]
	v_fma_f64 v[5:6], -v[17:18], v[41:42], v[5:6]
	s_delay_alu instid0(VALU_DEP_4) | instskip(NEXT) | instid1(VALU_DEP_4)
	v_fma_f64 v[3:4], -v[17:18], v[45:46], v[3:4]
	v_fma_f64 v[1:2], -v[17:18], v[49:50], v[1:2]
	s_cbranch_scc0 .LBB86_85
.LBB86_86:                              ;   in Loop: Header=BB86_83 Depth=1
	s_mul_i32 s12, s4, 0x88
	s_delay_alu instid0(SALU_CYCLE_1)
	v_dual_mov_b32 v14, s12 :: v_dual_add_nc_u32 v11, 0x800, v11
	s_add_i32 s9, s9, s4
	s_add_i32 s8, s8, s4
	s_lshl_b32 s9, s9, 3
	v_add_nc_u32_e32 v13, 0x800, v13
	ds_load_2addr_b64 v[14:17], v14 offset1:34
	s_lshl_b32 s8, s8, 3
	s_add_i32 s5, s5, s4
	v_add_nc_u32_e32 v10, 0x800, v10
	s_lshl_b32 s5, s5, 3
	v_add_nc_u32_e32 v12, 0x800, v12
	s_addk_i32 s1, 0x200
	s_waitcnt lgkmcnt(0)
	v_div_scale_f64 v[18:19], null, v[14:15], v[14:15], v[7:8]
	v_div_scale_f64 v[24:25], vcc_lo, v[7:8], v[14:15], v[7:8]
	s_delay_alu instid0(VALU_DEP_2) | instskip(SKIP_2) | instid1(VALU_DEP_1)
	v_rcp_f64_e32 v[20:21], v[18:19]
	s_waitcnt_depctr 0xfff
	v_fma_f64 v[22:23], -v[18:19], v[20:21], 1.0
	v_fma_f64 v[20:21], v[20:21], v[22:23], v[20:21]
	s_delay_alu instid0(VALU_DEP_1) | instskip(NEXT) | instid1(VALU_DEP_1)
	v_fma_f64 v[22:23], -v[18:19], v[20:21], 1.0
	v_fma_f64 v[20:21], v[20:21], v[22:23], v[20:21]
	s_delay_alu instid0(VALU_DEP_1) | instskip(NEXT) | instid1(VALU_DEP_1)
	v_mul_f64 v[22:23], v[24:25], v[20:21]
	v_fma_f64 v[18:19], -v[18:19], v[22:23], v[24:25]
	s_delay_alu instid0(VALU_DEP_1) | instskip(NEXT) | instid1(VALU_DEP_1)
	v_div_fmas_f64 v[18:19], v[18:19], v[20:21], v[22:23]
	v_div_fixup_f64 v[7:8], v[18:19], v[14:15], v[7:8]
	v_mov_b32_e32 v14, s9
	ds_load_b128 v[18:21], v14
	v_mov_b32_e32 v14, s8
	ds_load_b128 v[22:25], v14
	s_waitcnt lgkmcnt(1)
	v_fma_f64 v[5:6], -v[7:8], v[18:19], v[5:6]
	s_waitcnt lgkmcnt(0)
	v_fma_f64 v[3:4], -v[7:8], v[22:23], v[3:4]
	s_delay_alu instid0(VALU_DEP_2) | instskip(SKIP_1) | instid1(VALU_DEP_2)
	v_div_scale_f64 v[14:15], null, v[20:21], v[20:21], v[5:6]
	v_div_scale_f64 v[28:29], vcc_lo, v[5:6], v[20:21], v[5:6]
	v_rcp_f64_e32 v[18:19], v[14:15]
	s_waitcnt_depctr 0xfff
	v_fma_f64 v[26:27], -v[14:15], v[18:19], 1.0
	s_delay_alu instid0(VALU_DEP_1) | instskip(NEXT) | instid1(VALU_DEP_1)
	v_fma_f64 v[18:19], v[18:19], v[26:27], v[18:19]
	v_fma_f64 v[26:27], -v[14:15], v[18:19], 1.0
	s_delay_alu instid0(VALU_DEP_1) | instskip(NEXT) | instid1(VALU_DEP_1)
	v_fma_f64 v[18:19], v[18:19], v[26:27], v[18:19]
	v_mul_f64 v[26:27], v[28:29], v[18:19]
	s_delay_alu instid0(VALU_DEP_1) | instskip(NEXT) | instid1(VALU_DEP_1)
	v_fma_f64 v[14:15], -v[14:15], v[26:27], v[28:29]
	v_div_fmas_f64 v[14:15], v[14:15], v[18:19], v[26:27]
	s_delay_alu instid0(VALU_DEP_1) | instskip(NEXT) | instid1(VALU_DEP_1)
	v_div_fixup_f64 v[14:15], v[14:15], v[20:21], v[5:6]
	v_fma_f64 v[22:23], -v[14:15], v[24:25], v[3:4]
	s_delay_alu instid0(VALU_DEP_1) | instskip(SKIP_1) | instid1(VALU_DEP_2)
	v_div_scale_f64 v[3:4], null, v[16:17], v[16:17], v[22:23]
	v_div_scale_f64 v[20:21], vcc_lo, v[22:23], v[16:17], v[22:23]
	v_rcp_f64_e32 v[5:6], v[3:4]
	s_waitcnt_depctr 0xfff
	v_fma_f64 v[18:19], -v[3:4], v[5:6], 1.0
	s_delay_alu instid0(VALU_DEP_1) | instskip(NEXT) | instid1(VALU_DEP_1)
	v_fma_f64 v[5:6], v[5:6], v[18:19], v[5:6]
	v_fma_f64 v[18:19], -v[3:4], v[5:6], 1.0
	s_delay_alu instid0(VALU_DEP_1) | instskip(SKIP_3) | instid1(SALU_CYCLE_1)
	v_fma_f64 v[24:25], v[5:6], v[18:19], v[5:6]
	v_mov_b32_e32 v18, s5
	s_add_i32 s5, s4, 4
	s_add_i32 s4, s4, 7
	s_cmp_ge_i32 s4, s29
	s_delay_alu instid0(VALU_DEP_2) | instskip(NEXT) | instid1(VALU_DEP_1)
	v_mul_f64 v[26:27], v[20:21], v[24:25]
	v_fma_f64 v[28:29], -v[3:4], v[26:27], v[20:21]
	ds_load_b128 v[3:6], v18
	ds_load_b128 v[18:21], v18 offset:16
	s_waitcnt lgkmcnt(1)
	v_fma_f64 v[1:2], -v[7:8], v[3:4], v[1:2]
	v_div_fmas_f64 v[3:4], v[28:29], v[24:25], v[26:27]
	s_delay_alu instid0(VALU_DEP_2) | instskip(NEXT) | instid1(VALU_DEP_2)
	v_fma_f64 v[1:2], -v[14:15], v[5:6], v[1:2]
	v_div_fixup_f64 v[3:4], v[3:4], v[16:17], v[22:23]
	s_waitcnt lgkmcnt(0)
	s_delay_alu instid0(VALU_DEP_1) | instskip(NEXT) | instid1(VALU_DEP_1)
	v_fma_f64 v[1:2], -v[3:4], v[18:19], v[1:2]
	v_div_scale_f64 v[5:6], null, v[20:21], v[20:21], v[1:2]
	s_delay_alu instid0(VALU_DEP_1) | instskip(SKIP_2) | instid1(VALU_DEP_1)
	v_rcp_f64_e32 v[16:17], v[5:6]
	s_waitcnt_depctr 0xfff
	v_fma_f64 v[18:19], -v[5:6], v[16:17], 1.0
	v_fma_f64 v[16:17], v[16:17], v[18:19], v[16:17]
	s_delay_alu instid0(VALU_DEP_1) | instskip(NEXT) | instid1(VALU_DEP_1)
	v_fma_f64 v[18:19], -v[5:6], v[16:17], 1.0
	v_fma_f64 v[16:17], v[16:17], v[18:19], v[16:17]
	v_div_scale_f64 v[18:19], vcc_lo, v[1:2], v[20:21], v[1:2]
	s_delay_alu instid0(VALU_DEP_1) | instskip(NEXT) | instid1(VALU_DEP_1)
	v_mul_f64 v[22:23], v[18:19], v[16:17]
	v_fma_f64 v[5:6], -v[5:6], v[22:23], v[18:19]
	s_delay_alu instid0(VALU_DEP_1) | instskip(NEXT) | instid1(VALU_DEP_1)
	v_div_fmas_f64 v[5:6], v[5:6], v[16:17], v[22:23]
	v_div_fixup_f64 v[1:2], v[5:6], v[20:21], v[1:2]
	ds_store_b64 v10, v[7:8]
	ds_store_b64 v11, v[14:15]
	;; [unrolled: 1-line block ×4, first 2 shown]
	s_cbranch_scc1 .LBB86_88
; %bb.87:                               ;   in Loop: Header=BB86_83 Depth=1
	s_mov_b32 s4, s5
	s_branch .LBB86_83
.LBB86_88:
	s_cmp_ge_i32 s5, s29
	s_cbranch_scc1 .LBB86_99
; %bb.89:
	v_lshl_or_b32 v3, v0, 3, 0x800
	v_lshlrev_b32_e32 v4, 3, v0
	s_add_i32 s1, s5, -1
	s_lshl_b32 s4, s5, 7
	s_mov_b32 s8, 0
	s_mov_b32 s9, s5
	s_branch .LBB86_91
.LBB86_90:                              ;   in Loop: Header=BB86_91 Depth=1
	s_mul_i32 s12, s5, 0x88
	s_delay_alu instid0(SALU_CYCLE_1)
	v_dual_mov_b32 v6, s12 :: v_dual_add_nc_u32 v5, 0x800, v5
	s_add_i32 s5, s5, 1
	s_add_i32 s8, s8, 1
	s_addk_i32 s4, 0x80
	s_cmp_ge_i32 s5, s29
	ds_load_b64 v[6:7], v6
	s_waitcnt lgkmcnt(0)
	v_div_scale_f64 v[8:9], null, v[6:7], v[6:7], v[1:2]
	s_delay_alu instid0(VALU_DEP_1) | instskip(SKIP_2) | instid1(VALU_DEP_1)
	v_rcp_f64_e32 v[10:11], v[8:9]
	s_waitcnt_depctr 0xfff
	v_fma_f64 v[12:13], -v[8:9], v[10:11], 1.0
	v_fma_f64 v[10:11], v[10:11], v[12:13], v[10:11]
	s_delay_alu instid0(VALU_DEP_1) | instskip(NEXT) | instid1(VALU_DEP_1)
	v_fma_f64 v[12:13], -v[8:9], v[10:11], 1.0
	v_fma_f64 v[10:11], v[10:11], v[12:13], v[10:11]
	v_div_scale_f64 v[12:13], vcc_lo, v[1:2], v[6:7], v[1:2]
	s_delay_alu instid0(VALU_DEP_1) | instskip(NEXT) | instid1(VALU_DEP_1)
	v_mul_f64 v[14:15], v[12:13], v[10:11]
	v_fma_f64 v[8:9], -v[8:9], v[14:15], v[12:13]
	s_delay_alu instid0(VALU_DEP_1) | instskip(NEXT) | instid1(VALU_DEP_1)
	v_div_fmas_f64 v[8:9], v[8:9], v[10:11], v[14:15]
	v_div_fixup_f64 v[1:2], v[8:9], v[6:7], v[1:2]
	v_add_nc_u16 v6, s9, 1
	s_delay_alu instid0(VALU_DEP_1)
	v_readfirstlane_b32 s9, v6
	ds_store_b64 v5, v[1:2]
	s_cbranch_scc1 .LBB86_99
.LBB86_91:                              ; =>This Loop Header: Depth=1
                                        ;     Child Loop BB86_94 Depth 2
                                        ;     Child Loop BB86_98 Depth 2
	v_lshl_or_b32 v5, s5, 7, v4
	s_cmp_eq_u32 s5, 0
	ds_load_b64 v[1:2], v5 offset:2048
	s_cbranch_scc1 .LBB86_90
; %bb.92:                               ;   in Loop: Header=BB86_91 Depth=1
	s_add_i32 s12, s1, s8
	s_delay_alu instid0(SALU_CYCLE_1)
	s_cmp_lt_u32 s12, 7
	s_cbranch_scc1 .LBB86_96
; %bb.93:                               ;   in Loop: Header=BB86_91 Depth=1
	v_mov_b32_e32 v6, v3
	s_and_b32 s12, s5, -8
	s_mov_b32 s13, 0
	s_mov_b32 s14, s4
	s_set_inst_prefetch_distance 0x1
	.p2align	6
.LBB86_94:                              ;   Parent Loop BB86_91 Depth=1
                                        ; =>  This Inner Loop Header: Depth=2
	v_mov_b32_e32 v19, s14
	s_add_i32 s13, s13, 8
	s_add_i32 s14, s14, 64
	s_cmp_eq_u32 s12, s13
	ds_load_2addr_b64 v[7:10], v6 offset1:16
	ds_load_b128 v[11:14], v19
	ds_load_b128 v[15:18], v19 offset:16
	s_waitcnt lgkmcnt(1)
	v_fma_f64 v[1:2], -v[7:8], v[11:12], v[1:2]
	s_delay_alu instid0(VALU_DEP_1) | instskip(SKIP_3) | instid1(VALU_DEP_1)
	v_fma_f64 v[1:2], -v[9:10], v[13:14], v[1:2]
	ds_load_2addr_b64 v[7:10], v6 offset0:32 offset1:48
	s_waitcnt lgkmcnt(0)
	v_fma_f64 v[1:2], -v[7:8], v[15:16], v[1:2]
	v_fma_f64 v[1:2], -v[9:10], v[17:18], v[1:2]
	ds_load_2addr_b64 v[7:10], v6 offset0:64 offset1:80
	ds_load_b128 v[11:14], v19 offset:32
	ds_load_b128 v[15:18], v19 offset:48
	s_waitcnt lgkmcnt(1)
	v_fma_f64 v[1:2], -v[7:8], v[11:12], v[1:2]
	s_delay_alu instid0(VALU_DEP_1) | instskip(SKIP_4) | instid1(VALU_DEP_1)
	v_fma_f64 v[1:2], -v[9:10], v[13:14], v[1:2]
	ds_load_2addr_b64 v[7:10], v6 offset0:96 offset1:112
	v_add_nc_u32_e32 v6, 0x400, v6
	s_waitcnt lgkmcnt(0)
	v_fma_f64 v[1:2], -v[7:8], v[15:16], v[1:2]
	v_fma_f64 v[1:2], -v[9:10], v[17:18], v[1:2]
	s_cbranch_scc0 .LBB86_94
; %bb.95:                               ;   in Loop: Header=BB86_91 Depth=1
	s_set_inst_prefetch_distance 0x2
	s_and_b32 s13, s5, 7
	s_delay_alu instid0(SALU_CYCLE_1)
	s_cmp_eq_u32 s13, 0
	s_cbranch_scc0 .LBB86_97
	s_branch .LBB86_90
.LBB86_96:                              ;   in Loop: Header=BB86_91 Depth=1
	s_mov_b32 s12, 0
	s_and_b32 s13, s5, 7
	s_delay_alu instid0(SALU_CYCLE_1)
	s_cmp_eq_u32 s13, 0
	s_cbranch_scc1 .LBB86_90
.LBB86_97:                              ;   in Loop: Header=BB86_91 Depth=1
	v_lshl_add_u32 v6, s12, 7, v3
	s_and_b32 s13, s9, 7
	s_lshl_b32 s12, s12, 3
.LBB86_98:                              ;   Parent Loop BB86_91 Depth=1
                                        ; =>  This Inner Loop Header: Depth=2
	s_delay_alu instid0(SALU_CYCLE_1)
	s_add_i32 s14, s4, s12
	s_add_i32 s13, s13, -1
	v_mov_b32_e32 v9, s14
	s_add_i32 s12, s12, 8
	s_cmp_lg_u32 s13, 0
	ds_load_b64 v[7:8], v6
	ds_load_b64 v[9:10], v9
	v_add_nc_u32_e32 v6, 0x80, v6
	s_waitcnt lgkmcnt(0)
	v_fma_f64 v[1:2], -v[7:8], v[9:10], v[1:2]
	s_cbranch_scc1 .LBB86_98
	s_branch .LBB86_90
.LBB86_99:
	s_and_saveexec_b32 s1, s20
	s_cbranch_execz .LBB86_106
; %bb.100:
	v_lshlrev_b32_e32 v3, 3, v0
	s_ashr_i32 s1, s0, 31
	s_cmp_lt_u32 s28, 4
	s_mov_b32 s14, 0
	s_cbranch_scc1 .LBB86_103
; %bb.101:
	v_add_co_u32 v1, s4, s18, v3
	s_delay_alu instid0(VALU_DEP_1)
	v_add_co_ci_u32_e64 v2, null, s19, 0, s4
	v_lshl_or_b32 v0, v0, 3, 0x800
	s_and_b32 s14, s28, 0x7ffffffc
	s_mul_hi_i32 s15, s0, 24
	s_mul_i32 s16, s0, 24
	s_lshl_b64 s[4:5], s[0:1], 5
	s_lshl_b64 s[8:9], s[0:1], 4
	;; [unrolled: 1-line block ×3, first 2 shown]
	s_mov_b32 s17, 0
	.p2align	6
.LBB86_102:                             ; =>This Inner Loop Header: Depth=1
	ds_load_2addr_b64 v[4:7], v0 offset1:16
	ds_load_2addr_b64 v[8:11], v0 offset0:32 offset1:48
	v_add_co_u32 v12, vcc_lo, v1, s12
	v_add_co_ci_u32_e32 v13, vcc_lo, s13, v2, vcc_lo
	v_add_co_u32 v14, vcc_lo, v1, s8
	v_add_co_ci_u32_e32 v15, vcc_lo, s9, v2, vcc_lo
	;; [unrolled: 2-line block ×3, first 2 shown]
	v_add_nc_u32_e32 v0, 0x200, v0
	s_add_i32 s17, s17, 4
	s_delay_alu instid0(SALU_CYCLE_1)
	s_cmp_lg_u32 s14, s17
	s_waitcnt lgkmcnt(1)
	global_store_b64 v[1:2], v[4:5], off
	v_add_co_u32 v1, vcc_lo, v1, s4
	v_add_co_ci_u32_e32 v2, vcc_lo, s5, v2, vcc_lo
	global_store_b64 v[12:13], v[6:7], off
	s_waitcnt lgkmcnt(0)
	s_clause 0x1
	global_store_b64 v[14:15], v[8:9], off
	global_store_b64 v[16:17], v[10:11], off
	s_cbranch_scc1 .LBB86_102
.LBB86_103:
	s_and_b32 s4, s28, 3
	s_delay_alu instid0(SALU_CYCLE_1)
	s_cmp_eq_u32 s4, 0
	s_cbranch_scc1 .LBB86_106
; %bb.104:
	s_mul_hi_i32 s9, s0, s14
	s_mul_i32 s8, s0, s14
	v_lshl_or_b32 v2, s14, 7, v3
	s_lshl_b64 s[8:9], s[8:9], 3
	s_delay_alu instid0(SALU_CYCLE_1)
	s_add_u32 s5, s8, s6
	s_addc_u32 s6, s9, s7
	s_add_u32 s5, s5, s10
	s_addc_u32 s6, s6, s11
	;; [unrolled: 2-line block ×3, first 2 shown]
	v_add_co_u32 v0, s2, s2, v3
	s_delay_alu instid0(VALU_DEP_1)
	v_add_co_ci_u32_e64 v1, null, s3, 0, s2
	v_add_nc_u32_e32 v2, 0x800, v2
	s_lshl_b64 s[0:1], s[0:1], 3
.LBB86_105:                             ; =>This Inner Loop Header: Depth=1
	ds_load_b64 v[3:4], v2
	v_add_nc_u32_e32 v2, 0x80, v2
	s_add_i32 s4, s4, -1
	s_delay_alu instid0(SALU_CYCLE_1)
	s_cmp_lg_u32 s4, 0
	s_waitcnt lgkmcnt(0)
	global_store_b64 v[0:1], v[3:4], off
	v_add_co_u32 v0, vcc_lo, v0, s0
	v_add_co_ci_u32_e32 v1, vcc_lo, s1, v1, vcc_lo
	s_cbranch_scc1 .LBB86_105
.LBB86_106:
	s_nop 0
	s_sendmsg sendmsg(MSG_DEALLOC_VGPRS)
	s_endpgm
	.section	.rodata,"a",@progbits
	.p2align	6, 0x0
	.amdhsa_kernel _ZL31rocblas_trsm_small_right_deviceIddPKPKdPKPdLi16EEv13rocblas_fill_18rocblas_operation_17rocblas_diagonal_iiT0_T1_lilT2_lili
		.amdhsa_group_segment_fixed_size 4096
		.amdhsa_private_segment_fixed_size 0
		.amdhsa_kernarg_size 360
		.amdhsa_user_sgpr_count 14
		.amdhsa_user_sgpr_dispatch_ptr 0
		.amdhsa_user_sgpr_queue_ptr 0
		.amdhsa_user_sgpr_kernarg_segment_ptr 1
		.amdhsa_user_sgpr_dispatch_id 0
		.amdhsa_user_sgpr_private_segment_size 0
		.amdhsa_wavefront_size32 1
		.amdhsa_uses_dynamic_stack 0
		.amdhsa_enable_private_segment 0
		.amdhsa_system_sgpr_workgroup_id_x 1
		.amdhsa_system_sgpr_workgroup_id_y 0
		.amdhsa_system_sgpr_workgroup_id_z 1
		.amdhsa_system_sgpr_workgroup_info 0
		.amdhsa_system_vgpr_workitem_id 0
		.amdhsa_next_free_vgpr 52
		.amdhsa_next_free_sgpr 34
		.amdhsa_reserve_vcc 1
		.amdhsa_float_round_mode_32 0
		.amdhsa_float_round_mode_16_64 0
		.amdhsa_float_denorm_mode_32 3
		.amdhsa_float_denorm_mode_16_64 3
		.amdhsa_dx10_clamp 1
		.amdhsa_ieee_mode 1
		.amdhsa_fp16_overflow 0
		.amdhsa_workgroup_processor_mode 1
		.amdhsa_memory_ordered 1
		.amdhsa_forward_progress 0
		.amdhsa_shared_vgpr_count 0
		.amdhsa_exception_fp_ieee_invalid_op 0
		.amdhsa_exception_fp_denorm_src 0
		.amdhsa_exception_fp_ieee_div_zero 0
		.amdhsa_exception_fp_ieee_overflow 0
		.amdhsa_exception_fp_ieee_underflow 0
		.amdhsa_exception_fp_ieee_inexact 0
		.amdhsa_exception_int_div_zero 0
	.end_amdhsa_kernel
	.section	.text._ZL31rocblas_trsm_small_right_deviceIddPKPKdPKPdLi16EEv13rocblas_fill_18rocblas_operation_17rocblas_diagonal_iiT0_T1_lilT2_lili,"axG",@progbits,_ZL31rocblas_trsm_small_right_deviceIddPKPKdPKPdLi16EEv13rocblas_fill_18rocblas_operation_17rocblas_diagonal_iiT0_T1_lilT2_lili,comdat
.Lfunc_end86:
	.size	_ZL31rocblas_trsm_small_right_deviceIddPKPKdPKPdLi16EEv13rocblas_fill_18rocblas_operation_17rocblas_diagonal_iiT0_T1_lilT2_lili, .Lfunc_end86-_ZL31rocblas_trsm_small_right_deviceIddPKPKdPKPdLi16EEv13rocblas_fill_18rocblas_operation_17rocblas_diagonal_iiT0_T1_lilT2_lili
                                        ; -- End function
	.section	.AMDGPU.csdata,"",@progbits
; Kernel info:
; codeLenInByte = 9016
; NumSgprs: 36
; NumVgprs: 52
; ScratchSize: 0
; MemoryBound: 0
; FloatMode: 240
; IeeeMode: 1
; LDSByteSize: 4096 bytes/workgroup (compile time only)
; SGPRBlocks: 4
; VGPRBlocks: 6
; NumSGPRsForWavesPerEU: 36
; NumVGPRsForWavesPerEU: 52
; Occupancy: 8
; WaveLimiterHint : 0
; COMPUTE_PGM_RSRC2:SCRATCH_EN: 0
; COMPUTE_PGM_RSRC2:USER_SGPR: 14
; COMPUTE_PGM_RSRC2:TRAP_HANDLER: 0
; COMPUTE_PGM_RSRC2:TGID_X_EN: 1
; COMPUTE_PGM_RSRC2:TGID_Y_EN: 0
; COMPUTE_PGM_RSRC2:TGID_Z_EN: 1
; COMPUTE_PGM_RSRC2:TIDIG_COMP_CNT: 0
	.section	.text._ZL38rocblas_trsm_small_left_device_sharedBILi20ELi20ELb0EddPKPKdPKPdEv13rocblas_fill_18rocblas_operation_17rocblas_diagonal_iiT3_T4_lilT5_lili,"axG",@progbits,_ZL38rocblas_trsm_small_left_device_sharedBILi20ELi20ELb0EddPKPKdPKPdEv13rocblas_fill_18rocblas_operation_17rocblas_diagonal_iiT3_T4_lilT5_lili,comdat
	.globl	_ZL38rocblas_trsm_small_left_device_sharedBILi20ELi20ELb0EddPKPKdPKPdEv13rocblas_fill_18rocblas_operation_17rocblas_diagonal_iiT3_T4_lilT5_lili ; -- Begin function _ZL38rocblas_trsm_small_left_device_sharedBILi20ELi20ELb0EddPKPKdPKPdEv13rocblas_fill_18rocblas_operation_17rocblas_diagonal_iiT3_T4_lilT5_lili
	.p2align	8
	.type	_ZL38rocblas_trsm_small_left_device_sharedBILi20ELi20ELb0EddPKPKdPKPdEv13rocblas_fill_18rocblas_operation_17rocblas_diagonal_iiT3_T4_lilT5_lili,@function
_ZL38rocblas_trsm_small_left_device_sharedBILi20ELi20ELb0EddPKPKdPKPdEv13rocblas_fill_18rocblas_operation_17rocblas_diagonal_iiT3_T4_lilT5_lili: ; @_ZL38rocblas_trsm_small_left_device_sharedBILi20ELi20ELb0EddPKPKdPKPdEv13rocblas_fill_18rocblas_operation_17rocblas_diagonal_iiT3_T4_lilT5_lili
; %bb.0:
	s_load_b128 s[16:19], s[0:1], 0x40
	s_mov_b32 s20, s15
	s_mov_b32 s21, 0
	s_clause 0x1
	s_load_b128 s[4:7], s[0:1], 0x4
	s_load_b64 s[12:13], s[0:1], 0x28
	s_lshl_b64 s[22:23], s[20:21], 3
	s_mov_b32 s15, exec_lo
	s_waitcnt lgkmcnt(0)
	s_add_u32 s2, s16, s22
	s_addc_u32 s3, s17, s23
	s_load_b128 s[8:11], s[0:1], 0x18
	s_load_b64 s[2:3], s[2:3], 0x0
	s_min_i32 s20, s6, 20
	s_delay_alu instid0(SALU_CYCLE_1)
	s_add_i32 s28, s20, -1
	v_cmpx_gt_i32_e64 s20, v0
	s_cbranch_execz .LBB87_10
; %bb.1:
	s_load_b32 s16, s[0:1], 0x30
	s_waitcnt lgkmcnt(0)
	s_ashr_i32 s17, s16, 31
	s_add_u32 s10, s10, s22
	s_addc_u32 s11, s11, s23
	s_cmp_lt_u32 s28, 3
	s_load_b64 s[10:11], s[10:11], 0x0
	s_cbranch_scc1 .LBB87_4
; %bb.2:
	v_lshlrev_b32_e32 v3, 3, v0
	s_lshl_b64 s[22:23], s[12:13], 3
	s_mul_hi_i32 s29, s16, 24
	s_waitcnt lgkmcnt(0)
	s_add_u32 s21, s10, s22
	s_addc_u32 s22, s11, s23
	v_add_co_u32 v1, s21, s21, v3
	s_delay_alu instid0(VALU_DEP_1)
	v_add_co_ci_u32_e64 v2, null, s22, 0, s21
	s_and_b32 s21, s20, -4
	s_mul_i32 s30, s16, 24
	s_lshl_b64 s[22:23], s[16:17], 5
	s_lshl_b64 s[24:25], s[16:17], 4
	s_lshl_b64 s[26:27], s[16:17], 3
	s_mov_b32 s31, 0
	.p2align	6
.LBB87_3:                               ; =>This Inner Loop Header: Depth=1
	v_add_co_u32 v4, vcc_lo, v1, s26
	v_add_co_ci_u32_e32 v5, vcc_lo, s27, v2, vcc_lo
	v_add_co_u32 v6, vcc_lo, v1, s24
	v_add_co_ci_u32_e32 v7, vcc_lo, s25, v2, vcc_lo
	;; [unrolled: 2-line block ×3, first 2 shown]
	s_clause 0x3
	global_load_b64 v[10:11], v[1:2], off
	global_load_b64 v[4:5], v[4:5], off
	;; [unrolled: 1-line block ×4, first 2 shown]
	v_add_co_u32 v1, vcc_lo, v1, s22
	v_add_co_ci_u32_e32 v2, vcc_lo, s23, v2, vcc_lo
	s_add_i32 s31, s31, 4
	s_waitcnt vmcnt(2)
	ds_store_2addr_b64 v3, v[10:11], v[4:5] offset1:20
	s_waitcnt vmcnt(0)
	ds_store_2addr_b64 v3, v[6:7], v[8:9] offset0:40 offset1:60
	v_add_nc_u32_e32 v3, 0x280, v3
	s_cmp_eq_u32 s21, s31
	s_cbranch_scc0 .LBB87_3
.LBB87_4:
	s_and_b32 s22, s20, 3
	s_delay_alu instid0(SALU_CYCLE_1)
	s_cmp_eq_u32 s22, 0
	s_cbranch_scc1 .LBB87_7
; %bb.5:
	s_mul_i32 s23, s17, s21
	s_mul_hi_u32 s24, s16, s21
	s_lshl_b64 s[12:13], s[12:13], 3
	s_add_i32 s25, s24, s23
	s_mul_i32 s24, s16, s21
	v_lshlrev_b32_e32 v1, 3, v0
	s_lshl_b64 s[24:25], s[24:25], 3
	s_mulk_i32 s21, 0xa0
	s_add_u32 s12, s24, s12
	s_addc_u32 s13, s25, s13
	s_waitcnt lgkmcnt(0)
	s_add_u32 s10, s10, s12
	s_addc_u32 s11, s11, s13
	v_add_co_u32 v1, s10, s10, v1
	v_lshl_add_u32 v3, v0, 3, s21
	v_add_co_ci_u32_e64 v2, null, s11, 0, s10
	s_lshl_b64 s[10:11], s[16:17], 3
.LBB87_6:                               ; =>This Inner Loop Header: Depth=1
	global_load_b64 v[4:5], v[1:2], off
	v_add_co_u32 v1, vcc_lo, v1, s10
	v_add_co_ci_u32_e32 v2, vcc_lo, s11, v2, vcc_lo
	s_add_i32 s22, s22, -1
	s_delay_alu instid0(SALU_CYCLE_1)
	s_cmp_lg_u32 s22, 0
	s_waitcnt vmcnt(0)
	ds_store_b64 v3, v[4:5]
	v_add_nc_u32_e32 v3, 0xa0, v3
	s_cbranch_scc1 .LBB87_6
.LBB87_7:
	v_mul_u32_u24_e32 v3, 21, v0
	v_mov_b32_e32 v1, 0
	v_mov_b32_e32 v2, 0x3ff00000
	s_cmpk_lg_i32 s5, 0x84
	s_delay_alu instid0(VALU_DEP_3)
	v_lshlrev_b32_e32 v3, 3, v3
	s_cbranch_scc0 .LBB87_9
; %bb.8:
	ds_load_b64 v[1:2], v3
	s_waitcnt lgkmcnt(0)
	v_div_scale_f64 v[4:5], null, v[1:2], v[1:2], 1.0
	s_delay_alu instid0(VALU_DEP_1) | instskip(SKIP_2) | instid1(VALU_DEP_1)
	v_rcp_f64_e32 v[6:7], v[4:5]
	s_waitcnt_depctr 0xfff
	v_fma_f64 v[8:9], -v[4:5], v[6:7], 1.0
	v_fma_f64 v[6:7], v[6:7], v[8:9], v[6:7]
	s_delay_alu instid0(VALU_DEP_1) | instskip(NEXT) | instid1(VALU_DEP_1)
	v_fma_f64 v[8:9], -v[4:5], v[6:7], 1.0
	v_fma_f64 v[6:7], v[6:7], v[8:9], v[6:7]
	v_div_scale_f64 v[8:9], vcc_lo, 1.0, v[1:2], 1.0
	s_delay_alu instid0(VALU_DEP_1) | instskip(NEXT) | instid1(VALU_DEP_1)
	v_mul_f64 v[10:11], v[8:9], v[6:7]
	v_fma_f64 v[4:5], -v[4:5], v[10:11], v[8:9]
	s_delay_alu instid0(VALU_DEP_1) | instskip(NEXT) | instid1(VALU_DEP_1)
	v_div_fmas_f64 v[4:5], v[4:5], v[6:7], v[10:11]
	v_div_fixup_f64 v[1:2], v[4:5], v[1:2], 1.0
.LBB87_9:
	ds_store_b64 v3, v[1:2]
.LBB87_10:
	s_or_b32 exec_lo, exec_lo, s15
	s_clause 0x1
	s_load_b32 s5, s[0:1], 0x68
	s_load_b32 s16, s[0:1], 0x50
	s_lshl_b64 s[0:1], s[18:19], 3
	s_waitcnt lgkmcnt(0)
	s_mul_i32 s11, s14, 0xffffffec
	s_mul_i32 s10, s14, 20
	s_ashr_i32 s17, s16, 31
	s_add_u32 s15, s2, s0
	s_addc_u32 s18, s3, s1
	s_add_i32 s5, s5, -1
	s_add_i32 s11, s11, s7
	s_mul_hi_i32 s13, s16, s10
	s_cmp_ge_u32 s14, s5
	s_mul_i32 s12, s16, s10
	s_cselect_b32 s14, s11, 20
	s_lshl_b64 s[12:13], s[12:13], 3
	s_ashr_i32 s11, s10, 31
	s_add_u32 s5, s15, s12
	s_addc_u32 s7, s18, s13
	v_cmp_gt_i32_e32 vcc_lo, s14, v0
	s_cmp_gt_i32 s6, 0
	s_mov_b32 s12, 0
	s_cselect_b32 s13, -1, 0
	s_delay_alu instid0(SALU_CYCLE_1) | instskip(NEXT) | instid1(SALU_CYCLE_1)
	s_and_b32 s18, vcc_lo, s13
	s_and_saveexec_b32 s19, s18
	s_cbranch_execz .LBB87_17
; %bb.11:
	s_cmp_lt_i32 s6, 8
	s_cbranch_scc1 .LBB87_14
; %bb.12:
	v_mad_i64_i32 v[1:2], null, s16, v0, 0
	v_lshl_add_u32 v3, v0, 3, 0xc80
	s_lshl_b32 s12, s20, 3
	s_mov_b64 s[14:15], 0
	s_and_b32 s13, s12, 0xc0
	s_mov_b32 s12, 0
	s_delay_alu instid0(VALU_DEP_2) | instskip(NEXT) | instid1(VALU_DEP_1)
	v_lshlrev_b64 v[1:2], 3, v[1:2]
	v_add_co_u32 v1, vcc_lo, s5, v1
	s_delay_alu instid0(VALU_DEP_2)
	v_add_co_ci_u32_e32 v2, vcc_lo, s7, v2, vcc_lo
	s_set_inst_prefetch_distance 0x1
	.p2align	6
.LBB87_13:                              ; =>This Inner Loop Header: Depth=1
	s_delay_alu instid0(VALU_DEP_2) | instskip(NEXT) | instid1(VALU_DEP_2)
	v_add_co_u32 v16, vcc_lo, v1, s14
	v_add_co_ci_u32_e32 v17, vcc_lo, s15, v2, vcc_lo
	s_add_i32 s12, s12, 8
	s_add_u32 s14, s14, 64
	s_addc_u32 s15, s15, 0
	s_clause 0x3
	global_load_b128 v[4:7], v[16:17], off
	global_load_b128 v[8:11], v[16:17], off offset:16
	global_load_b128 v[12:15], v[16:17], off offset:32
	;; [unrolled: 1-line block ×3, first 2 shown]
	s_cmp_lg_u32 s13, s14
	s_waitcnt vmcnt(3)
	v_mul_f64 v[4:5], v[4:5], s[8:9]
	v_mul_f64 v[6:7], v[6:7], s[8:9]
	s_waitcnt vmcnt(2)
	v_mul_f64 v[8:9], v[8:9], s[8:9]
	v_mul_f64 v[10:11], v[10:11], s[8:9]
	;; [unrolled: 3-line block ×4, first 2 shown]
	ds_store_2addr_b64 v3, v[4:5], v[6:7] offset1:20
	ds_store_2addr_b64 v3, v[8:9], v[10:11] offset0:40 offset1:60
	ds_store_2addr_b64 v3, v[12:13], v[14:15] offset0:80 offset1:100
	;; [unrolled: 1-line block ×3, first 2 shown]
	v_add_nc_u32_e32 v3, 0x500, v3
	s_cbranch_scc1 .LBB87_13
.LBB87_14:
	s_set_inst_prefetch_distance 0x2
	s_and_b32 s14, s20, 7
	s_mov_b32 s13, 0
	s_cmp_eq_u32 s14, 0
	s_cbranch_scc1 .LBB87_17
; %bb.15:
	v_lshlrev_b32_e32 v3, 3, v0
	s_lshl_b64 s[22:23], s[10:11], 3
	s_lshl_b64 s[24:25], s[12:13], 3
	s_mulk_i32 s12, 0xa0
	s_delay_alu instid0(VALU_DEP_1) | instskip(NEXT) | instid1(VALU_DEP_1)
	v_add_co_u32 v4, s13, s22, v3
	v_add_co_ci_u32_e64 v5, null, s23, 0, s13
	s_add_u32 s13, s2, s24
	s_addc_u32 s15, s3, s25
	s_add_u32 s22, s13, s0
	s_addc_u32 s23, s15, s1
	v_mul_lo_u32 v5, v5, s16
	v_mad_u64_u32 v[1:2], null, v4, s16, s[22:23]
	v_mul_lo_u32 v4, v4, s17
	v_add3_u32 v3, s12, v3, 0xc80
	s_delay_alu instid0(VALU_DEP_2)
	v_add3_u32 v2, v5, v2, v4
.LBB87_16:                              ; =>This Inner Loop Header: Depth=1
	global_load_b64 v[4:5], v[1:2], off
	v_add_co_u32 v1, vcc_lo, v1, 8
	v_add_co_ci_u32_e32 v2, vcc_lo, 0, v2, vcc_lo
	s_add_i32 s14, s14, -1
	s_delay_alu instid0(SALU_CYCLE_1)
	s_cmp_lg_u32 s14, 0
	s_waitcnt vmcnt(0)
	v_mul_f64 v[4:5], v[4:5], s[8:9]
	ds_store_b64 v3, v[4:5]
	v_add_nc_u32_e32 v3, 0xa0, v3
	s_cbranch_scc1 .LBB87_16
.LBB87_17:
	s_or_b32 exec_lo, exec_lo, s19
	s_cmpk_eq_i32 s4, 0x6f
	s_mov_b32 s4, -1
	s_waitcnt vmcnt(0) lgkmcnt(0)
	s_waitcnt_vscnt null, 0x0
	; wave barrier
	s_waitcnt lgkmcnt(0)
	buffer_gl0_inv
	s_cbranch_scc1 .LBB87_38
; %bb.18:
	s_cmp_gt_i32 s6, 19
	s_mov_b32 s8, 0
	s_cselect_b32 s4, -1, 0
	s_delay_alu instid0(SALU_CYCLE_1)
	s_and_b32 vcc_lo, exec_lo, s4
	s_cbranch_vccz .LBB87_20
; %bb.19:
	v_lshlrev_b32_e32 v22, 3, v0
	v_mov_b32_e32 v20, 0
	s_mov_b32 s8, 20
	s_delay_alu instid0(VALU_DEP_2)
	v_add_nc_u32_e32 v19, 0x800, v22
	v_add_nc_u32_e32 v21, 0x1000, v22
	;; [unrolled: 1-line block ×3, first 2 shown]
	ds_load_2addr_b64 v[3:6], v20 offset1:42
	ds_load_2addr_b64 v[7:10], v19 offset0:144 offset1:164
	ds_load_b128 v[11:14], v20 offset:160
	ds_load_b128 v[15:18], v20 offset:320
	s_waitcnt lgkmcnt(2)
	v_mul_f64 v[1:2], v[3:4], v[7:8]
	s_waitcnt lgkmcnt(1)
	s_delay_alu instid0(VALU_DEP_1)
	v_fma_f64 v[3:4], -v[1:2], v[11:12], v[9:10]
	ds_load_2addr_b64 v[7:10], v19 offset0:184 offset1:204
	s_waitcnt lgkmcnt(0)
	v_fma_f64 v[7:8], -v[1:2], v[15:16], v[7:8]
	v_mul_f64 v[3:4], v[13:14], v[3:4]
	ds_load_b128 v[11:14], v20 offset:480
	ds_load_b128 v[23:26], v20 offset:496
	s_waitcnt lgkmcnt(1)
	v_fma_f64 v[11:12], -v[1:2], v[11:12], v[9:10]
	v_fma_f64 v[31:32], -v[3:4], v[17:18], v[7:8]
	ds_load_2addr_b64 v[7:10], v19 offset0:224 offset1:244
	ds_load_b128 v[15:18], v20 offset:640
	ds_load_b128 v[27:30], v20 offset:656
	s_waitcnt lgkmcnt(1)
	v_fma_f64 v[7:8], -v[1:2], v[15:16], v[7:8]
	v_fma_f64 v[15:16], -v[3:4], v[13:14], v[11:12]
	v_mul_f64 v[5:6], v[5:6], v[31:32]
	ds_load_b128 v[11:14], v20 offset:800
	ds_load_b128 v[31:34], v20 offset:816
	s_waitcnt lgkmcnt(1)
	v_fma_f64 v[11:12], -v[1:2], v[11:12], v[9:10]
	v_fma_f64 v[35:36], -v[3:4], v[17:18], v[7:8]
	;; [unrolled: 1-line block ×3, first 2 shown]
	ds_load_b128 v[7:10], v20 offset:960
	ds_load_2addr_b64 v[15:18], v21 offset0:8 offset1:28
	v_fma_f64 v[37:38], -v[3:4], v[13:14], v[11:12]
	s_waitcnt lgkmcnt(0)
	v_fma_f64 v[15:16], -v[1:2], v[7:8], v[15:16]
	v_fma_f64 v[27:28], -v[5:6], v[27:28], v[35:36]
	v_mul_f64 v[7:8], v[25:26], v[23:24]
	ds_load_b128 v[11:14], v20 offset:1120
	ds_load_b128 v[23:26], v20 offset:1136
	s_waitcnt lgkmcnt(1)
	v_fma_f64 v[47:48], -v[1:2], v[11:12], v[17:18]
	v_fma_f64 v[49:50], -v[3:4], v[9:10], v[15:16]
	;; [unrolled: 1-line block ×4, first 2 shown]
	ds_load_b128 v[9:12], v20 offset:1280
	ds_load_2addr_b64 v[15:18], v21 offset0:48 offset1:68
	ds_load_b128 v[27:30], v20 offset:976
	ds_load_2addr_b64 v[35:38], v20 offset0:84 offset1:126
	ds_load_b128 v[39:42], v20 offset:992
	ds_load_b128 v[43:46], v20 offset:1296
	s_waitcnt lgkmcnt(4)
	v_fma_f64 v[53:54], -v[1:2], v[9:10], v[15:16]
	v_fma_f64 v[55:56], -v[3:4], v[13:14], v[47:48]
	s_waitcnt lgkmcnt(3)
	v_fma_f64 v[27:28], -v[5:6], v[27:28], v[49:50]
	v_fma_f64 v[57:58], -v[7:8], v[33:34], v[31:32]
	ds_load_b128 v[13:16], v20 offset:1440
	ds_load_b128 v[31:34], v20 offset:832
	;; [unrolled: 1-line block ×3, first 2 shown]
	s_waitcnt lgkmcnt(5)
	v_mul_f64 v[9:10], v[35:36], v[51:52]
	s_waitcnt lgkmcnt(2)
	v_fma_f64 v[17:18], -v[1:2], v[13:14], v[17:18]
	v_fma_f64 v[35:36], -v[3:4], v[11:12], v[53:54]
	v_fma_f64 v[23:24], -v[5:6], v[23:24], v[55:56]
	v_fma_f64 v[51:52], -v[7:8], v[29:30], v[27:28]
	ds_load_b128 v[11:14], v20 offset:1600
	ds_load_2addr_b64 v[27:30], v21 offset0:88 offset1:108
	s_waitcnt lgkmcnt(3)
	v_fma_f64 v[31:32], -v[9:10], v[31:32], v[57:58]
	v_fma_f64 v[55:56], -v[3:4], v[15:16], v[17:18]
	s_waitcnt lgkmcnt(0)
	v_fma_f64 v[27:28], -v[1:2], v[11:12], v[27:28]
	v_fma_f64 v[35:36], -v[5:6], v[43:44], v[35:36]
	;; [unrolled: 1-line block ×4, first 2 shown]
	v_mul_f64 v[11:12], v[33:34], v[31:32]
	ds_load_b128 v[15:18], v20 offset:1760
	ds_load_b128 v[23:26], v20 offset:1152
	;; [unrolled: 1-line block ×4, first 2 shown]
	v_fma_f64 v[47:48], -v[5:6], v[47:48], v[55:56]
	v_fma_f64 v[69:70], -v[3:4], v[13:14], v[27:28]
	;; [unrolled: 1-line block ×3, first 2 shown]
	s_waitcnt lgkmcnt(3)
	v_fma_f64 v[67:68], -v[1:2], v[15:16], v[29:30]
	s_waitcnt lgkmcnt(2)
	v_fma_f64 v[23:24], -v[9:10], v[23:24], v[43:44]
	v_fma_f64 v[71:72], -v[11:12], v[41:42], v[39:40]
	ds_load_b128 v[13:16], v20 offset:1920
	ds_load_2addr_b64 v[27:30], v21 offset0:128 offset1:148
	ds_load_b128 v[39:42], v20 offset:1616
	ds_load_b128 v[43:46], v20 offset:1312
	;; [unrolled: 1-line block ×5, first 2 shown]
	v_fma_f64 v[73:74], -v[7:8], v[49:50], v[47:48]
	s_waitcnt lgkmcnt(5)
	v_fma_f64 v[27:28], -v[1:2], v[13:14], v[27:28]
	s_waitcnt lgkmcnt(4)
	v_fma_f64 v[39:40], -v[5:6], v[39:40], v[69:70]
	v_fma_f64 v[17:18], -v[3:4], v[17:18], v[67:68]
	s_waitcnt lgkmcnt(3)
	v_fma_f64 v[43:44], -v[9:10], v[43:44], v[35:36]
	v_fma_f64 v[75:76], -v[11:12], v[25:26], v[23:24]
	v_mul_f64 v[13:14], v[37:38], v[71:72]
	ds_load_b128 v[23:26], v20 offset:2080
	ds_load_b128 v[35:38], v20 offset:1472
	;; [unrolled: 1-line block ×4, first 2 shown]
	v_fma_f64 v[71:72], -v[3:4], v[15:16], v[27:28]
	v_fma_f64 v[39:40], -v[7:8], v[41:42], v[39:40]
	s_waitcnt lgkmcnt(3)
	v_fma_f64 v[23:24], -v[1:2], v[23:24], v[29:30]
	v_fma_f64 v[51:52], -v[5:6], v[51:52], v[17:18]
	s_waitcnt lgkmcnt(2)
	v_fma_f64 v[35:36], -v[9:10], v[35:36], v[73:74]
	v_fma_f64 v[41:42], -v[11:12], v[45:46], v[43:44]
	ds_load_b128 v[15:18], v20 offset:2240
	ds_load_2addr_b64 v[27:30], v21 offset0:168 offset1:188
	v_fma_f64 v[31:32], -v[13:14], v[31:32], v[75:76]
	s_waitcnt lgkmcnt(0)
	v_fma_f64 v[27:28], -v[1:2], v[15:16], v[27:28]
	v_fma_f64 v[45:46], -v[5:6], v[63:64], v[71:72]
	v_fma_f64 v[43:44], -v[3:4], v[25:26], v[23:24]
	v_fma_f64 v[51:52], -v[7:8], v[53:54], v[51:52]
	v_fma_f64 v[53:54], -v[9:10], v[59:60], v[39:40]
	v_fma_f64 v[59:60], -v[11:12], v[37:38], v[35:36]
	v_fma_f64 v[55:56], -v[13:14], v[55:56], v[41:42]
	v_mul_f64 v[15:16], v[33:34], v[31:32]
	ds_load_b128 v[23:26], v20 offset:2400
	ds_load_b128 v[31:34], v20 offset:1792
	;; [unrolled: 1-line block ×4, first 2 shown]
	v_fma_f64 v[17:18], -v[3:4], v[17:18], v[27:28]
	v_fma_f64 v[87:88], -v[7:8], v[65:66], v[45:46]
	s_waitcnt lgkmcnt(3)
	v_fma_f64 v[23:24], -v[1:2], v[23:24], v[29:30]
	v_fma_f64 v[67:68], -v[5:6], v[67:68], v[43:44]
	s_waitcnt lgkmcnt(2)
	v_fma_f64 v[31:32], -v[9:10], v[31:32], v[51:52]
	v_fma_f64 v[89:90], -v[11:12], v[61:62], v[53:54]
	;; [unrolled: 1-line block ×4, first 2 shown]
	ds_load_b128 v[27:30], v20 offset:2560
	ds_load_2addr_b64 v[43:46], v21 offset0:208 offset1:228
	ds_load_b128 v[51:54], v20 offset:2256
	ds_load_b128 v[55:58], v20 offset:1952
	;; [unrolled: 1-line block ×3, first 2 shown]
	ds_load_2addr_b64 v[63:66], v20 offset0:168 offset1:210
	ds_load_b128 v[71:74], v20 offset:1664
	ds_load_b128 v[75:78], v20 offset:1968
	;; [unrolled: 1-line block ×4, first 2 shown]
	s_waitcnt lgkmcnt(8)
	v_fma_f64 v[27:28], -v[1:2], v[27:28], v[43:44]
	s_waitcnt lgkmcnt(7)
	v_fma_f64 v[51:52], -v[5:6], v[51:52], v[17:18]
	;; [unrolled: 2-line block ×3, first 2 shown]
	v_fma_f64 v[43:44], -v[3:4], v[25:26], v[23:24]
	v_fma_f64 v[93:94], -v[7:8], v[69:70], v[67:68]
	v_fma_f64 v[95:96], -v[11:12], v[33:34], v[31:32]
	s_waitcnt lgkmcnt(5)
	v_fma_f64 v[59:60], -v[13:14], v[59:60], v[89:90]
	v_fma_f64 v[97:98], -v[15:16], v[49:50], v[47:48]
	ds_load_b128 v[23:26], v20 offset:2720
	ds_load_b128 v[31:34], v20 offset:2112
	;; [unrolled: 1-line block ×5, first 2 shown]
	s_waitcnt lgkmcnt(9)
	v_mul_f64 v[17:18], v[63:64], v[91:92]
	s_waitcnt lgkmcnt(4)
	v_fma_f64 v[23:24], -v[1:2], v[23:24], v[45:46]
	v_fma_f64 v[63:64], -v[3:4], v[29:30], v[27:28]
	;; [unrolled: 1-line block ×5, first 2 shown]
	s_waitcnt lgkmcnt(3)
	v_fma_f64 v[31:32], -v[9:10], v[31:32], v[93:94]
	v_fma_f64 v[35:36], -v[13:14], v[35:36], v[95:96]
	;; [unrolled: 1-line block ×3, first 2 shown]
	ds_load_b128 v[27:30], v20 offset:2880
	ds_load_2addr_b64 v[43:46], v101 offset0:120 offset1:140
	s_waitcnt lgkmcnt(4)
	v_fma_f64 v[47:48], -v[17:18], v[47:48], v[97:98]
	s_waitcnt lgkmcnt(0)
	v_fma_f64 v[27:28], -v[1:2], v[27:28], v[43:44]
	v_fma_f64 v[43:44], -v[3:4], v[25:26], v[23:24]
	;; [unrolled: 1-line block ×9, first 2 shown]
	v_mul_f64 v[91:92], v[49:50], v[47:48]
	ds_load_b128 v[22:25], v20 offset:2432
	ds_load_b128 v[31:34], v20 offset:1824
	ds_load_b128 v[35:38], v20 offset:3040
	ds_load_b128 v[39:42], v20 offset:1840
	ds_load_b128 v[47:50], v20 offset:2448
	ds_load_b128 v[51:54], v20 offset:3056
	v_fma_f64 v[93:94], -v[3:4], v[29:30], v[27:28]
	v_fma_f64 v[87:88], -v[5:6], v[87:88], v[43:44]
	;; [unrolled: 1-line block ×4, first 2 shown]
	s_waitcnt lgkmcnt(5)
	v_fma_f64 v[22:23], -v[9:10], v[22:23], v[59:60]
	v_fma_f64 v[63:64], -v[13:14], v[67:68], v[63:64]
	;; [unrolled: 1-line block ×3, first 2 shown]
	s_waitcnt lgkmcnt(4)
	v_fma_f64 v[30:31], -v[17:18], v[31:32], v[79:80]
	s_waitcnt lgkmcnt(3)
	v_fma_f64 v[35:36], -v[1:2], v[35:36], v[45:46]
	v_fma_f64 v[99:100], -v[91:92], v[73:74], v[55:56]
	ds_load_b128 v[26:29], v20 offset:2896
	ds_load_b128 v[43:46], v20 offset:2592
	;; [unrolled: 1-line block ×8, first 2 shown]
	v_fma_f64 v[87:88], -v[7:8], v[89:90], v[87:88]
	s_waitcnt lgkmcnt(7)
	v_fma_f64 v[26:27], -v[5:6], v[26:27], v[93:94]
	s_waitcnt lgkmcnt(6)
	;; [unrolled: 2-line block ×3, first 2 shown]
	v_fma_f64 v[55:56], -v[13:14], v[55:56], v[97:98]
	v_fma_f64 v[89:90], -v[11:12], v[24:25], v[22:23]
	;; [unrolled: 1-line block ×3, first 2 shown]
	s_waitcnt lgkmcnt(4)
	v_fma_f64 v[59:60], -v[17:18], v[59:60], v[67:68]
	v_fma_f64 v[67:68], -v[91:92], v[33:34], v[30:31]
	;; [unrolled: 1-line block ×3, first 2 shown]
	v_mul_f64 v[93:94], v[65:66], v[99:100]
	ds_load_b128 v[22:25], v20 offset:2752
	ds_load_b128 v[30:33], v20 offset:2144
	;; [unrolled: 1-line block ×4, first 2 shown]
	v_fma_f64 v[26:27], -v[7:8], v[28:29], v[26:27]
	v_fma_f64 v[28:29], -v[11:12], v[45:46], v[43:44]
	;; [unrolled: 1-line block ×3, first 2 shown]
	s_waitcnt lgkmcnt(3)
	v_fma_f64 v[22:23], -v[9:10], v[22:23], v[87:88]
	v_fma_f64 v[43:44], -v[13:14], v[47:48], v[89:90]
	s_waitcnt lgkmcnt(2)
	v_fma_f64 v[30:31], -v[17:18], v[30:31], v[69:70]
	v_fma_f64 v[47:48], -v[91:92], v[61:62], v[59:60]
	;; [unrolled: 1-line block ×12, first 2 shown]
	v_add_nc_u32_e64 v54, 0x400, 0
	v_mul_f64 v[75:76], v[41:42], v[38:39]
	ds_load_b128 v[22:25], v20 offset:2464
	ds_load_b128 v[26:29], v20 offset:3072
	;; [unrolled: 1-line block ×4, first 2 shown]
	v_fma_f64 v[79:80], -v[11:12], v[85:86], v[55:56]
	v_fma_f64 v[81:82], -v[15:16], v[81:82], v[59:60]
	;; [unrolled: 1-line block ×3, first 2 shown]
	s_waitcnt lgkmcnt(4)
	v_fma_f64 v[62:63], -v[13:14], v[63:64], v[57:58]
	s_waitcnt lgkmcnt(3)
	v_fma_f64 v[22:23], -v[17:18], v[22:23], v[43:44]
	v_fma_f64 v[34:35], -v[93:94], v[34:35], v[49:50]
	ds_load_b128 v[42:45], v20 offset:2928
	s_waitcnt lgkmcnt(3)
	v_fma_f64 v[26:27], -v[9:10], v[26:27], v[51:52]
	v_fma_f64 v[83:84], -v[75:76], v[73:74], v[47:48]
	ds_load_b128 v[46:49], v20 offset:2624
	ds_load_b128 v[50:53], v20 offset:2320
	ds_load_2addr_b64 v[54:57], v54 offset0:124 offset1:166
	ds_load_b128 v[58:61], v20 offset:2336
	ds_load_b128 v[67:70], v20 offset:2640
	;; [unrolled: 1-line block ×3, first 2 shown]
	s_waitcnt lgkmcnt(6)
	v_fma_f64 v[42:43], -v[13:14], v[42:43], v[79:80]
	s_waitcnt lgkmcnt(5)
	v_fma_f64 v[46:47], -v[17:18], v[46:47], v[81:82]
	;; [unrolled: 2-line block ×3, first 2 shown]
	v_fma_f64 v[62:63], -v[15:16], v[65:66], v[62:63]
	v_fma_f64 v[64:65], -v[91:92], v[24:25], v[22:23]
	;; [unrolled: 1-line block ×4, first 2 shown]
	ds_load_b128 v[22:25], v20 offset:2784
	ds_load_b128 v[26:29], v20 offset:2176
	;; [unrolled: 1-line block ×3, first 2 shown]
	s_waitcnt lgkmcnt(6)
	v_mul_f64 v[54:55], v[54:55], v[83:84]
	v_fma_f64 v[42:43], -v[15:16], v[44:45], v[42:43]
	v_fma_f64 v[44:45], -v[91:92], v[48:49], v[46:47]
	;; [unrolled: 1-line block ×3, first 2 shown]
	s_waitcnt lgkmcnt(2)
	v_fma_f64 v[22:23], -v[17:18], v[22:23], v[62:63]
	v_fma_f64 v[30:31], -v[93:94], v[30:31], v[64:65]
	;; [unrolled: 1-line block ×3, first 2 shown]
	s_waitcnt lgkmcnt(1)
	v_fma_f64 v[26:27], -v[54:55], v[26:27], v[77:78]
	v_fma_f64 v[42:43], -v[17:18], v[71:72], v[42:43]
	;; [unrolled: 1-line block ×7, first 2 shown]
	v_mul_f64 v[62:63], v[28:29], v[26:27]
	ds_load_b128 v[22:25], v20 offset:2496
	ds_load_b128 v[26:29], v20 offset:3104
	ds_load_b128 v[30:33], v20 offset:2512
	ds_load_b128 v[38:41], v20 offset:3120
	v_fma_f64 v[64:65], -v[91:92], v[73:74], v[42:43]
	v_fma_f64 v[66:67], -v[75:76], v[69:70], v[44:45]
	s_waitcnt lgkmcnt(4)
	v_fma_f64 v[34:35], -v[93:94], v[34:35], v[48:49]
	s_waitcnt lgkmcnt(3)
	;; [unrolled: 2-line block ×3, first 2 shown]
	v_fma_f64 v[26:27], -v[17:18], v[26:27], v[52:53]
	v_fma_f64 v[68:69], -v[62:63], v[60:61], v[46:47]
	ds_load_b128 v[42:45], v20 offset:2960
	ds_load_b128 v[46:49], v20 offset:2656
	;; [unrolled: 1-line block ×4, first 2 shown]
	s_waitcnt lgkmcnt(3)
	v_fma_f64 v[42:43], -v[93:94], v[42:43], v[64:65]
	v_fma_f64 v[34:35], -v[75:76], v[36:37], v[34:35]
	s_waitcnt lgkmcnt(2)
	v_fma_f64 v[36:37], -v[54:55], v[46:47], v[66:67]
	v_fma_f64 v[46:47], -v[62:63], v[24:25], v[22:23]
	;; [unrolled: 1-line block ×3, first 2 shown]
	ds_load_b128 v[22:25], v20 offset:2816
	ds_load_b128 v[26:29], v20 offset:2832
	v_mul_f64 v[56:57], v[56:57], v[68:69]
	v_fma_f64 v[42:43], -v[75:76], v[44:45], v[42:43]
	s_waitcnt lgkmcnt(1)
	v_fma_f64 v[22:23], -v[54:55], v[22:23], v[34:35]
	v_fma_f64 v[34:35], -v[62:63], v[48:49], v[36:37]
	;; [unrolled: 1-line block ×8, first 2 shown]
	v_mul_f64 v[46:47], v[32:33], v[30:31]
	ds_load_b128 v[22:25], v20 offset:3136
	ds_load_b128 v[30:33], v20 offset:3152
	v_fma_f64 v[48:49], -v[62:63], v[60:61], v[38:39]
	s_waitcnt lgkmcnt(2)
	v_fma_f64 v[26:27], -v[56:57], v[26:27], v[42:43]
	v_add_nc_u32_e64 v38, 0x800, 0
	s_waitcnt lgkmcnt(1)
	v_fma_f64 v[22:23], -v[54:55], v[22:23], v[36:37]
	v_fma_f64 v[50:51], -v[46:47], v[52:53], v[34:35]
	ds_load_b128 v[34:37], v20 offset:2992
	ds_load_2addr_b64 v[38:41], v38 offset0:80 offset1:122
	ds_load_b128 v[42:45], v20 offset:3008
	v_fma_f64 v[26:27], -v[46:47], v[28:29], v[26:27]
	s_waitcnt lgkmcnt(2)
	v_fma_f64 v[34:35], -v[56:57], v[34:35], v[48:49]
	v_fma_f64 v[28:29], -v[62:63], v[24:25], v[22:23]
	ds_load_b128 v[22:25], v20 offset:2848
	s_waitcnt lgkmcnt(2)
	v_mul_f64 v[38:39], v[38:39], v[50:51]
	v_fma_f64 v[34:35], -v[46:47], v[36:37], v[34:35]
	s_waitcnt lgkmcnt(0)
	s_delay_alu instid0(VALU_DEP_2) | instskip(SKIP_1) | instid1(VALU_DEP_3)
	v_fma_f64 v[22:23], -v[38:39], v[22:23], v[26:27]
	v_fma_f64 v[26:27], -v[56:57], v[30:31], v[28:29]
	;; [unrolled: 1-line block ×3, first 2 shown]
	s_delay_alu instid0(VALU_DEP_3) | instskip(NEXT) | instid1(VALU_DEP_3)
	v_mul_f64 v[34:35], v[24:25], v[22:23]
	v_fma_f64 v[32:33], -v[46:47], v[32:33], v[26:27]
	ds_load_b128 v[22:25], v20 offset:3168
	ds_load_b128 v[26:29], v20 offset:3184
	ds_store_2addr_b64 v19, v[1:2], v[3:4] offset0:144 offset1:164
	ds_store_2addr_b64 v19, v[5:6], v[7:8] offset0:184 offset1:204
	;; [unrolled: 1-line block ×9, first 2 shown]
	v_fma_f64 v[30:31], -v[34:35], v[44:45], v[30:31]
	s_waitcnt lgkmcnt(10)
	v_fma_f64 v[22:23], -v[38:39], v[22:23], v[32:33]
	s_delay_alu instid0(VALU_DEP_2) | instskip(NEXT) | instid1(VALU_DEP_2)
	v_mul_f64 v[30:31], v[40:41], v[30:31]
	v_fma_f64 v[22:23], -v[34:35], v[24:25], v[22:23]
	s_waitcnt lgkmcnt(9)
	s_delay_alu instid0(VALU_DEP_1) | instskip(NEXT) | instid1(VALU_DEP_1)
	v_fma_f64 v[22:23], -v[30:31], v[26:27], v[22:23]
	v_mul_f64 v[22:23], v[28:29], v[22:23]
	ds_store_2addr_b64 v101, v[30:31], v[22:23] offset0:120 offset1:140
.LBB87_20:
	s_cmp_lt_i32 s8, s20
	s_cbranch_scc0 .LBB87_37
; %bb.21:
	s_add_i32 s9, s8, 15
	s_delay_alu instid0(SALU_CYCLE_1)
	s_cmp_ge_u32 s9, s20
	s_cbranch_scc1 .LBB87_26
; %bb.22:
	s_mul_i32 s12, s8, 20
	s_and_not1_b32 vcc_lo, exec_lo, s4
	v_add_lshl_u32 v29, s12, v0, 3
	s_add_i32 s13, s12, 0x12c
	s_delay_alu instid0(SALU_CYCLE_1) | instskip(NEXT) | instid1(VALU_DEP_2)
	v_add_lshl_u32 v30, s13, v0, 3
	v_add_nc_u32_e32 v1, 0x800, v29
	v_add_nc_u32_e32 v2, 0x1000, v29
	ds_load_2addr_b64 v[25:28], v1 offset0:144 offset1:164
	ds_load_2addr_b64 v[21:24], v1 offset0:184 offset1:204
	;; [unrolled: 1-line block ×7, first 2 shown]
	ds_load_b64 v[39:40], v29 offset:5440
	ds_load_b64 v[37:38], v30 offset:3200
	s_cbranch_vccnz .LBB87_25
; %bb.23:
	v_lshl_add_u32 v30, v0, 3, 0xc80
	s_mul_i32 s4, s8, 0xa0
	s_mov_b32 s13, 0
.LBB87_24:                              ; =>This Inner Loop Header: Depth=1
	v_mov_b32_e32 v57, s4
	v_add_nc_u32_e64 v61, 0x400, s4
	v_add_nc_u32_e64 v65, 0x800, s4
	ds_load_b64 v[35:36], v30
	v_add_nc_u32_e32 v30, 0xa0, v30
	ds_load_2addr_b64 v[31:34], v57 offset1:20
	ds_load_2addr_b64 v[41:44], v57 offset0:40 offset1:60
	ds_load_2addr_b64 v[45:48], v57 offset0:80 offset1:100
	;; [unrolled: 1-line block ×7, first 2 shown]
	s_add_i32 s13, s13, 1
	s_add_i32 s4, s4, 8
	s_cmp_lt_u32 s13, s8
	s_waitcnt lgkmcnt(7)
	v_fma_f64 v[25:26], -v[35:36], v[31:32], v[25:26]
	v_fma_f64 v[27:28], -v[35:36], v[33:34], v[27:28]
	s_waitcnt lgkmcnt(6)
	v_fma_f64 v[21:22], -v[35:36], v[41:42], v[21:22]
	v_fma_f64 v[23:24], -v[35:36], v[43:44], v[23:24]
	;; [unrolled: 3-line block ×8, first 2 shown]
	s_cbranch_scc1 .LBB87_24
.LBB87_25:
	s_mul_i32 s4, s8, 0xa8
	s_delay_alu instid0(SALU_CYCLE_1) | instskip(SKIP_3) | instid1(SALU_CYCLE_1)
	v_dual_mov_b32 v42, s4 :: v_dual_add_nc_u32 v41, 0xc80, v29
	s_add_i32 s4, s12, 20
	s_mul_i32 s9, s9, 20
	s_add_i32 s13, s4, s8
	s_lshl_b32 s13, s13, 3
	ds_load_2addr_b64 v[29:32], v42 offset1:42
	s_waitcnt lgkmcnt(0)
	v_mul_f64 v[25:26], v[29:30], v[25:26]
	v_mov_b32_e32 v29, s13
	s_add_i32 s13, s12, 40
	ds_load_b128 v[33:36], v29
	ds_load_b64 v[63:64], v42 offset:2352
	s_add_i32 s14, s13, s8
	s_delay_alu instid0(SALU_CYCLE_1) | instskip(SKIP_4) | instid1(SALU_CYCLE_1)
	s_lshl_b32 s14, s14, 3
	s_waitcnt lgkmcnt(1)
	v_fma_f64 v[33:34], -v[25:26], v[33:34], v[27:28]
	v_mov_b32_e32 v27, s14
	s_add_i32 s14, s12, 60
	s_add_i32 s15, s14, s8
	s_delay_alu instid0(SALU_CYCLE_1) | instskip(SKIP_3) | instid1(SALU_CYCLE_1)
	s_lshl_b32 s15, s15, 3
	ds_load_b128 v[27:30], v27
	v_mov_b32_e32 v47, s15
	s_add_i32 s15, s12, 0x50
	s_add_i32 s19, s15, s8
	ds_load_b128 v[43:46], v47
	s_lshl_b32 s19, s19, 3
	s_waitcnt lgkmcnt(1)
	v_fma_f64 v[21:22], -v[25:26], v[27:28], v[21:22]
	s_waitcnt lgkmcnt(0)
	v_fma_f64 v[27:28], -v[25:26], v[43:44], v[23:24]
	v_mov_b32_e32 v43, s19
	s_add_i32 s19, s12, 0x64
	s_delay_alu instid0(SALU_CYCLE_1) | instskip(SKIP_2) | instid1(SALU_CYCLE_1)
	s_add_i32 s21, s19, s8
	v_mul_f64 v[65:66], v[35:36], v[33:34]
	s_lshl_b32 s21, s21, 3
	v_mov_b32_e32 v48, s21
	s_add_i32 s21, s12, 0x78
	s_delay_alu instid0(SALU_CYCLE_1) | instskip(NEXT) | instid1(SALU_CYCLE_1)
	s_add_i32 s22, s21, s8
	s_lshl_b32 s22, s22, 3
	s_delay_alu instid0(SALU_CYCLE_1) | instskip(SKIP_1) | instid1(SALU_CYCLE_1)
	v_mov_b32_e32 v51, s22
	s_add_i32 s22, s12, 0x8c
	s_add_i32 s23, s22, s8
	s_delay_alu instid0(SALU_CYCLE_1) | instskip(NEXT) | instid1(SALU_CYCLE_1)
	s_lshl_b32 s23, s23, 3
	v_mov_b32_e32 v59, s23
	s_add_i32 s23, s12, 0xa0
	s_delay_alu instid0(SALU_CYCLE_1) | instskip(NEXT) | instid1(SALU_CYCLE_1)
	s_add_i32 s24, s23, s8
	s_lshl_b32 s24, s24, 3
	s_delay_alu instid0(SALU_CYCLE_1) | instskip(SKIP_1) | instid1(SALU_CYCLE_1)
	v_mov_b32_e32 v79, s24
	s_add_i32 s24, s12, 0xb4
	s_add_i32 s25, s24, s8
	s_delay_alu instid0(SALU_CYCLE_1) | instskip(NEXT) | instid1(SALU_CYCLE_1)
	s_lshl_b32 s25, s25, 3
	v_mov_b32_e32 v81, s25
	s_add_i32 s25, s12, 0xc8
	s_delay_alu instid0(SALU_CYCLE_1) | instskip(NEXT) | instid1(SALU_CYCLE_1)
	s_add_i32 s26, s25, s8
	s_lshl_b32 s26, s26, 3
	s_delay_alu instid0(SALU_CYCLE_1) | instskip(SKIP_3) | instid1(SALU_CYCLE_1)
	v_mov_b32_e32 v82, s26
	s_add_i32 s26, s12, 0xdc
	v_fma_f64 v[29:30], -v[65:66], v[29:30], v[21:22]
	s_add_i32 s27, s26, s8
	s_lshl_b32 s27, s27, 3
	s_delay_alu instid0(SALU_CYCLE_1) | instskip(SKIP_3) | instid1(SALU_CYCLE_1)
	v_mov_b32_e32 v83, s27
	s_add_i32 s27, s12, 0xf0
	s_addk_i32 s12, 0x104
	s_add_i32 s29, s27, s8
	s_lshl_b32 s29, s29, 3
	s_delay_alu instid0(SALU_CYCLE_1) | instskip(SKIP_1) | instid1(SALU_CYCLE_1)
	v_mov_b32_e32 v84, s29
	s_add_i32 s29, s12, s8
	s_lshl_b32 s29, s29, 3
	s_delay_alu instid0(SALU_CYCLE_1) | instskip(SKIP_1) | instid1(SALU_CYCLE_1)
	v_mov_b32_e32 v85, s29
	s_add_i32 s29, s8, 14
	s_mul_i32 s29, s29, 20
	s_delay_alu instid0(SALU_CYCLE_1) | instskip(NEXT) | instid1(SALU_CYCLE_1)
	s_add_i32 s30, s29, s8
	s_lshl_b32 s30, s30, 3
	s_delay_alu instid0(SALU_CYCLE_1) | instskip(SKIP_4) | instid1(SALU_CYCLE_1)
	v_mov_b32_e32 v86, s30
	ds_load_b128 v[21:24], v43
	s_add_i32 s30, s9, s8
	s_add_i32 s8, s8, 16
	s_lshl_b32 s30, s30, 3
	v_mov_b32_e32 v87, s30
	v_mul_f64 v[67:68], v[31:32], v[29:30]
	s_waitcnt lgkmcnt(0)
	v_fma_f64 v[17:18], -v[25:26], v[21:22], v[17:18]
	v_fma_f64 v[21:22], -v[65:66], v[45:46], v[27:28]
	ds_load_b128 v[27:30], v48
	ds_load_b128 v[31:34], v47 offset:16
	s_waitcnt lgkmcnt(1)
	v_fma_f64 v[27:28], -v[25:26], v[27:28], v[19:20]
	v_fma_f64 v[35:36], -v[65:66], v[23:24], v[17:18]
	s_waitcnt lgkmcnt(0)
	v_fma_f64 v[31:32], -v[67:68], v[31:32], v[21:22]
	ds_load_b128 v[17:20], v51
	ds_load_b128 v[21:24], v43 offset:16
	ds_load_b128 v[43:46], v51 offset:16
	s_waitcnt lgkmcnt(2)
	v_fma_f64 v[13:14], -v[25:26], v[17:18], v[13:14]
	v_fma_f64 v[17:18], -v[65:66], v[29:30], v[27:28]
	s_waitcnt lgkmcnt(1)
	v_fma_f64 v[21:22], -v[67:68], v[21:22], v[35:36]
	v_mul_f64 v[69:70], v[33:34], v[31:32]
	ds_load_b128 v[27:30], v59
	ds_load_b128 v[31:34], v48 offset:16
	ds_load_b128 v[47:50], v48 offset:32
	s_waitcnt lgkmcnt(2)
	v_fma_f64 v[27:28], -v[25:26], v[27:28], v[15:16]
	v_fma_f64 v[35:36], -v[65:66], v[19:20], v[13:14]
	s_waitcnt lgkmcnt(1)
	v_fma_f64 v[31:32], -v[67:68], v[31:32], v[17:18]
	ds_load_b128 v[13:16], v79
	ds_load_2addr_b64 v[17:20], v42 offset0:84 offset1:126
	v_fma_f64 v[21:22], -v[69:70], v[23:24], v[21:22]
	s_waitcnt lgkmcnt(1)
	v_fma_f64 v[9:10], -v[25:26], v[13:14], v[9:10]
	v_fma_f64 v[13:14], -v[65:66], v[29:30], v[27:28]
	;; [unrolled: 1-line block ×4, first 2 shown]
	s_waitcnt lgkmcnt(0)
	v_mul_f64 v[71:72], v[17:18], v[21:22]
	ds_load_b128 v[21:24], v81
	ds_load_b128 v[27:30], v59 offset:16
	ds_load_b128 v[31:34], v59 offset:32
	s_waitcnt lgkmcnt(2)
	v_fma_f64 v[17:18], -v[25:26], v[21:22], v[11:12]
	v_fma_f64 v[21:22], -v[65:66], v[15:16], v[9:10]
	s_waitcnt lgkmcnt(1)
	v_fma_f64 v[27:28], -v[67:68], v[27:28], v[13:14]
	v_fma_f64 v[35:36], -v[69:70], v[45:46], v[35:36]
	;; [unrolled: 1-line block ×3, first 2 shown]
	ds_load_b128 v[9:12], v82
	ds_load_b128 v[13:16], v79 offset:16
	ds_load_b128 v[43:46], v51 offset:32
	ds_load_b128 v[51:54], v79 offset:32
	ds_load_b128 v[55:58], v82 offset:16
	s_waitcnt lgkmcnt(4)
	v_fma_f64 v[5:6], -v[25:26], v[9:10], v[5:6]
	v_fma_f64 v[9:10], -v[65:66], v[23:24], v[17:18]
	s_waitcnt lgkmcnt(3)
	v_fma_f64 v[13:14], -v[67:68], v[13:14], v[21:22]
	v_fma_f64 v[17:18], -v[69:70], v[29:30], v[27:28]
	s_waitcnt lgkmcnt(2)
	v_fma_f64 v[35:36], -v[71:72], v[43:44], v[35:36]
	v_mul_f64 v[73:74], v[49:50], v[47:48]
	ds_load_b128 v[21:24], v83
	ds_load_b128 v[27:30], v81 offset:16
	ds_load_b128 v[47:50], v81 offset:32
	v_fma_f64 v[11:12], -v[65:66], v[11:12], v[5:6]
	s_waitcnt lgkmcnt(2)
	v_fma_f64 v[21:22], -v[25:26], v[21:22], v[7:8]
	s_waitcnt lgkmcnt(1)
	v_fma_f64 v[9:10], -v[67:68], v[27:28], v[9:10]
	v_fma_f64 v[13:14], -v[69:70], v[15:16], v[13:14]
	;; [unrolled: 1-line block ×3, first 2 shown]
	ds_load_b128 v[5:8], v84
	v_fma_f64 v[17:18], -v[73:74], v[45:46], v[35:36]
	s_waitcnt lgkmcnt(0)
	v_fma_f64 v[1:2], -v[25:26], v[5:6], v[1:2]
	v_fma_f64 v[5:6], -v[65:66], v[23:24], v[21:22]
	;; [unrolled: 1-line block ×6, first 2 shown]
	ds_load_b128 v[9:12], v85
	ds_load_b128 v[13:16], v83 offset:16
	ds_load_b64 v[31:32], v59 offset:48
	v_mul_f64 v[75:76], v[19:20], v[17:18]
	ds_load_b128 v[17:20], v83 offset:32
	s_waitcnt lgkmcnt(3)
	v_fma_f64 v[9:10], -v[25:26], v[9:10], v[3:4]
	v_fma_f64 v[35:36], -v[65:66], v[7:8], v[1:2]
	s_waitcnt lgkmcnt(2)
	v_fma_f64 v[13:14], -v[67:68], v[13:14], v[5:6]
	v_fma_f64 v[59:60], -v[69:70], v[57:58], v[21:22]
	;; [unrolled: 1-line block ×4, first 2 shown]
	s_waitcnt lgkmcnt(1)
	v_fma_f64 v[77:78], -v[75:76], v[31:32], v[29:30]
	ds_load_b128 v[1:4], v86
	ds_load_b128 v[5:8], v84 offset:16
	ds_load_b128 v[21:24], v82 offset:32
	;; [unrolled: 1-line block ×3, first 2 shown]
	ds_load_2addr_b64 v[31:34], v42 offset0:147 offset1:168
	ds_load_b128 v[43:46], v82 offset:48
	ds_load_b128 v[51:54], v84 offset:32
	;; [unrolled: 1-line block ×3, first 2 shown]
	s_waitcnt lgkmcnt(7)
	v_fma_f64 v[1:2], -v[25:26], v[1:2], v[39:40]
	v_fma_f64 v[39:40], -v[65:66], v[11:12], v[9:10]
	s_waitcnt lgkmcnt(6)
	v_fma_f64 v[5:6], -v[67:68], v[5:6], v[35:36]
	ds_load_b128 v[9:12], v85 offset:16
	v_fma_f64 v[35:36], -v[69:70], v[15:16], v[13:14]
	s_waitcnt lgkmcnt(6)
	v_fma_f64 v[21:22], -v[71:72], v[21:22], v[59:60]
	v_fma_f64 v[79:80], -v[73:74], v[49:50], v[47:48]
	s_waitcnt lgkmcnt(5)
	v_fma_f64 v[27:28], -v[75:76], v[27:28], v[61:62]
	s_waitcnt lgkmcnt(4)
	v_mul_f64 v[77:78], v[31:32], v[77:78]
	ds_load_b128 v[13:16], v81 offset:48
	ds_load_b128 v[47:50], v87
	ds_load_b64 v[31:32], v81 offset:64
	ds_load_b128 v[59:62], v85 offset:32
	v_fma_f64 v[1:2], -v[65:66], v[3:4], v[1:2]
	s_waitcnt lgkmcnt(4)
	v_fma_f64 v[3:4], -v[67:68], v[9:10], v[39:40]
	v_fma_f64 v[5:6], -v[69:70], v[7:8], v[5:6]
	v_fma_f64 v[7:8], -v[71:72], v[17:18], v[35:36]
	v_fma_f64 v[9:10], -v[73:74], v[23:24], v[21:22]
	s_waitcnt lgkmcnt(3)
	v_fma_f64 v[13:14], -v[75:76], v[13:14], v[79:80]
	s_waitcnt lgkmcnt(2)
	v_fma_f64 v[21:22], -v[25:26], v[47:48], v[37:38]
	v_fma_f64 v[17:18], -v[77:78], v[29:30], v[27:28]
	;; [unrolled: 1-line block ×8, first 2 shown]
	ds_load_b128 v[1:4], v83 offset:48
	ds_load_b128 v[5:8], v87 offset:16
	ds_load_b128 v[9:12], v83 offset:64
	ds_load_b128 v[13:16], v87 offset:32
	v_mul_f64 v[39:40], v[33:34], v[17:18]
	v_fma_f64 v[17:18], -v[65:66], v[49:50], v[21:22]
	v_fma_f64 v[47:48], -v[69:70], v[57:58], v[23:24]
	s_waitcnt lgkmcnt(4)
	v_fma_f64 v[49:50], -v[71:72], v[59:60], v[27:28]
	v_fma_f64 v[51:52], -v[73:74], v[53:54], v[29:30]
	s_waitcnt lgkmcnt(3)
	v_fma_f64 v[1:2], -v[75:76], v[1:2], v[19:20]
	v_fma_f64 v[53:54], -v[77:78], v[45:46], v[35:36]
	;; [unrolled: 1-line block ×3, first 2 shown]
	s_waitcnt lgkmcnt(2)
	v_fma_f64 v[5:6], -v[67:68], v[5:6], v[17:18]
	ds_load_b128 v[17:20], v86 offset:32
	ds_load_b128 v[21:24], v84 offset:48
	;; [unrolled: 1-line block ×3, first 2 shown]
	ds_load_2addr_b64 v[31:34], v42 offset0:189 offset1:210
	ds_load_b128 v[35:38], v84 offset:64
	ds_load_b128 v[43:46], v86 offset:48
	s_waitcnt lgkmcnt(5)
	v_fma_f64 v[17:18], -v[71:72], v[17:18], v[47:48]
	v_fma_f64 v[47:48], -v[73:74], v[61:62], v[49:50]
	s_waitcnt lgkmcnt(4)
	v_fma_f64 v[21:22], -v[75:76], v[21:22], v[51:52]
	v_fma_f64 v[49:50], -v[77:78], v[3:4], v[1:2]
	s_waitcnt lgkmcnt(3)
	v_fma_f64 v[27:28], -v[39:40], v[27:28], v[53:54]
	s_waitcnt lgkmcnt(2)
	v_mul_f64 v[31:32], v[31:32], v[55:56]
	v_fma_f64 v[51:52], -v[69:70], v[7:8], v[5:6]
	ds_load_b128 v[1:4], v85 offset:48
	ds_load_b128 v[5:8], v85 offset:64
	v_fma_f64 v[17:18], -v[73:74], v[19:20], v[17:18]
	v_fma_f64 v[19:20], -v[77:78], v[23:24], v[21:22]
	;; [unrolled: 1-line block ×3, first 2 shown]
	s_waitcnt lgkmcnt(1)
	v_fma_f64 v[1:2], -v[75:76], v[1:2], v[47:48]
	v_fma_f64 v[21:22], -v[31:32], v[29:30], v[27:28]
	;; [unrolled: 1-line block ×7, first 2 shown]
	v_mul_f64 v[33:34], v[33:34], v[21:22]
	v_fma_f64 v[13:14], -v[73:74], v[15:16], v[13:14]
	ds_load_b64 v[15:16], v83 offset:80
	ds_load_b128 v[1:4], v87 offset:48
	ds_load_b128 v[9:12], v87 offset:64
	v_fma_f64 v[35:36], -v[77:78], v[45:46], v[17:18]
	v_fma_f64 v[37:38], -v[31:32], v[37:38], v[19:20]
	s_waitcnt lgkmcnt(3)
	v_fma_f64 v[5:6], -v[39:40], v[5:6], v[23:24]
	s_waitcnt lgkmcnt(2)
	;; [unrolled: 2-line block ×3, first 2 shown]
	v_fma_f64 v[1:2], -v[75:76], v[1:2], v[13:14]
	ds_load_b128 v[13:16], v86 offset:64
	ds_load_b128 v[17:20], v84 offset:80
	ds_load_2addr_b64 v[21:24], v42 offset0:231 offset1:252
	ds_load_b128 v[27:30], v86 offset:80
	s_waitcnt lgkmcnt(3)
	v_fma_f64 v[13:14], -v[39:40], v[13:14], v[35:36]
	s_waitcnt lgkmcnt(2)
	v_fma_f64 v[17:18], -v[33:34], v[17:18], v[37:38]
	v_fma_f64 v[35:36], -v[31:32], v[7:8], v[5:6]
	s_waitcnt lgkmcnt(1)
	v_mul_f64 v[21:22], v[21:22], v[43:44]
	v_fma_f64 v[37:38], -v[77:78], v[3:4], v[1:2]
	ds_load_b128 v[1:4], v85 offset:80
	ds_load_b128 v[5:8], v85 offset:96
	v_fma_f64 v[13:14], -v[31:32], v[15:16], v[13:14]
	s_waitcnt lgkmcnt(1)
	v_fma_f64 v[1:2], -v[33:34], v[1:2], v[35:36]
	v_fma_f64 v[15:16], -v[21:22], v[19:20], v[17:18]
	;; [unrolled: 1-line block ×3, first 2 shown]
	s_delay_alu instid0(VALU_DEP_4) | instskip(NEXT) | instid1(VALU_DEP_4)
	v_fma_f64 v[13:14], -v[33:34], v[27:28], v[13:14]
	v_fma_f64 v[17:18], -v[21:22], v[3:4], v[1:2]
	s_delay_alu instid0(VALU_DEP_4) | instskip(NEXT) | instid1(VALU_DEP_4)
	v_mul_f64 v[19:20], v[23:24], v[15:16]
	v_fma_f64 v[15:16], -v[31:32], v[11:12], v[9:10]
	ds_load_b128 v[1:4], v87 offset:80
	ds_load_b128 v[9:12], v87 offset:96
	v_fma_f64 v[23:24], -v[21:22], v[29:30], v[13:14]
	s_waitcnt lgkmcnt(2)
	v_fma_f64 v[5:6], -v[19:20], v[5:6], v[17:18]
	s_waitcnt lgkmcnt(1)
	v_fma_f64 v[1:2], -v[33:34], v[1:2], v[15:16]
	ds_load_b128 v[13:16], v86 offset:96
	s_waitcnt lgkmcnt(0)
	v_fma_f64 v[13:14], -v[19:20], v[13:14], v[23:24]
	v_mul_f64 v[5:6], v[7:8], v[5:6]
	v_fma_f64 v[1:2], -v[21:22], v[3:4], v[1:2]
	s_delay_alu instid0(VALU_DEP_2) | instskip(NEXT) | instid1(VALU_DEP_2)
	v_fma_f64 v[3:4], -v[5:6], v[15:16], v[13:14]
	v_fma_f64 v[1:2], -v[19:20], v[9:10], v[1:2]
	s_delay_alu instid0(VALU_DEP_2) | instskip(NEXT) | instid1(VALU_DEP_2)
	v_mul_f64 v[7:8], v[63:64], v[3:4]
	v_fma_f64 v[9:10], -v[5:6], v[11:12], v[1:2]
	ds_load_b128 v[1:4], v87 offset:112
	v_add_lshl_u32 v11, s19, v0, 3
	s_waitcnt lgkmcnt(0)
	v_fma_f64 v[1:2], -v[7:8], v[1:2], v[9:10]
	v_add_lshl_u32 v9, s14, v0, 3
	v_add_lshl_u32 v10, s15, v0, 3
	s_delay_alu instid0(VALU_DEP_3)
	v_mul_f64 v[1:2], v[3:4], v[1:2]
	v_add_lshl_u32 v3, s4, v0, 3
	v_add_lshl_u32 v4, s13, v0, 3
	ds_store_b64 v41, v[25:26]
	ds_store_b64 v3, v[65:66] offset:3200
	ds_store_b64 v4, v[67:68] offset:3200
	;; [unrolled: 1-line block ×3, first 2 shown]
	v_add_lshl_u32 v3, s21, v0, 3
	v_add_lshl_u32 v4, s22, v0, 3
	;; [unrolled: 1-line block ×3, first 2 shown]
	ds_store_b64 v10, v[71:72] offset:3200
	ds_store_b64 v11, v[73:74] offset:3200
	v_add_lshl_u32 v10, s25, v0, 3
	ds_store_b64 v3, v[75:76] offset:3200
	v_add_lshl_u32 v3, s24, v0, 3
	ds_store_b64 v4, v[77:78] offset:3200
	ds_store_b64 v9, v[39:40] offset:3200
	v_add_lshl_u32 v4, s26, v0, 3
	ds_store_b64 v3, v[31:32] offset:3200
	ds_store_b64 v10, v[33:34] offset:3200
	v_add_lshl_u32 v3, s27, v0, 3
	v_add_lshl_u32 v9, s12, v0, 3
	ds_store_b64 v4, v[21:22] offset:3200
	v_add_lshl_u32 v4, s29, v0, 3
	v_add_lshl_u32 v10, s9, v0, 3
	ds_store_b64 v3, v[19:20] offset:3200
	ds_store_b64 v9, v[5:6] offset:3200
	;; [unrolled: 1-line block ×4, first 2 shown]
.LBB87_26:
	s_cmp_ge_i32 s8, s20
	s_cbranch_scc1 .LBB87_37
; %bb.27:
	v_lshl_add_u32 v1, v0, 3, 0xc80
	s_add_i32 s4, s8, -1
	s_mul_i32 s9, s8, 0xa0
	s_mov_b32 s12, 0
	s_mov_b32 s13, s8
	s_branch .LBB87_29
.LBB87_28:                              ;   in Loop: Header=BB87_29 Depth=1
	s_mul_i32 s14, s8, 0xa8
	s_delay_alu instid0(SALU_CYCLE_1)
	v_dual_mov_b32 v5, s14 :: v_dual_add_nc_u32 v4, 0xc80, v6
	s_add_i32 s8, s8, 1
	s_add_i32 s12, s12, 1
	s_addk_i32 s9, 0xa0
	s_cmp_ge_i32 s8, s20
	ds_load_b64 v[5:6], v5
	s_waitcnt lgkmcnt(0)
	v_mul_f64 v[2:3], v[5:6], v[2:3]
	v_add_nc_u16 v5, s13, 1
	s_delay_alu instid0(VALU_DEP_1)
	v_readfirstlane_b32 s13, v5
	ds_store_b64 v4, v[2:3]
	s_cbranch_scc1 .LBB87_37
.LBB87_29:                              ; =>This Loop Header: Depth=1
                                        ;     Child Loop BB87_32 Depth 2
                                        ;     Child Loop BB87_36 Depth 2
	s_mul_i32 s14, s8, 20
	s_cmp_eq_u32 s8, 0
	v_add_lshl_u32 v6, s14, v0, 3
	ds_load_b64 v[2:3], v6 offset:3200
	s_cbranch_scc1 .LBB87_28
; %bb.30:                               ;   in Loop: Header=BB87_29 Depth=1
	s_add_i32 s14, s4, s12
	s_delay_alu instid0(SALU_CYCLE_1)
	s_cmp_lt_u32 s14, 7
	s_cbranch_scc1 .LBB87_34
; %bb.31:                               ;   in Loop: Header=BB87_29 Depth=1
	v_mov_b32_e32 v4, v1
	s_and_b32 s14, s8, -8
	s_mov_b32 s15, 0
	s_mov_b32 s19, s9
	s_set_inst_prefetch_distance 0x1
	.p2align	6
.LBB87_32:                              ;   Parent Loop BB87_29 Depth=1
                                        ; =>  This Inner Loop Header: Depth=2
	v_mov_b32_e32 v5, s19
	s_add_i32 s15, s15, 8
	s_add_i32 s19, s19, 64
	s_cmp_lg_u32 s14, s15
	ds_load_2addr_b64 v[7:10], v4 offset1:20
	ds_load_b128 v[11:14], v5
	ds_load_b128 v[15:18], v5 offset:16
	s_waitcnt lgkmcnt(1)
	v_fma_f64 v[2:3], -v[7:8], v[11:12], v[2:3]
	s_delay_alu instid0(VALU_DEP_1) | instskip(SKIP_3) | instid1(VALU_DEP_1)
	v_fma_f64 v[2:3], -v[9:10], v[13:14], v[2:3]
	ds_load_2addr_b64 v[7:10], v4 offset0:40 offset1:60
	s_waitcnt lgkmcnt(0)
	v_fma_f64 v[2:3], -v[7:8], v[15:16], v[2:3]
	v_fma_f64 v[2:3], -v[9:10], v[17:18], v[2:3]
	ds_load_2addr_b64 v[7:10], v4 offset0:80 offset1:100
	ds_load_b128 v[11:14], v5 offset:32
	ds_load_b128 v[15:18], v5 offset:48
	s_waitcnt lgkmcnt(1)
	v_fma_f64 v[2:3], -v[7:8], v[11:12], v[2:3]
	s_delay_alu instid0(VALU_DEP_1) | instskip(SKIP_4) | instid1(VALU_DEP_1)
	v_fma_f64 v[2:3], -v[9:10], v[13:14], v[2:3]
	ds_load_2addr_b64 v[7:10], v4 offset0:120 offset1:140
	v_add_nc_u32_e32 v4, 0x500, v4
	s_waitcnt lgkmcnt(0)
	v_fma_f64 v[2:3], -v[7:8], v[15:16], v[2:3]
	v_fma_f64 v[2:3], -v[9:10], v[17:18], v[2:3]
	s_cbranch_scc1 .LBB87_32
; %bb.33:                               ;   in Loop: Header=BB87_29 Depth=1
	s_set_inst_prefetch_distance 0x2
	s_and_b32 s15, s8, 7
	s_delay_alu instid0(SALU_CYCLE_1)
	s_cmp_eq_u32 s15, 0
	s_cbranch_scc0 .LBB87_35
	s_branch .LBB87_28
.LBB87_34:                              ;   in Loop: Header=BB87_29 Depth=1
	s_mov_b32 s14, 0
	s_and_b32 s15, s8, 7
	s_delay_alu instid0(SALU_CYCLE_1)
	s_cmp_eq_u32 s15, 0
	s_cbranch_scc1 .LBB87_28
.LBB87_35:                              ;   in Loop: Header=BB87_29 Depth=1
	s_waitcnt lgkmcnt(0)
	s_delay_alu instid0(VALU_DEP_1)
	v_mad_u64_u32 v[4:5], null, 0xa0, s14, v[1:2]
	s_and_b32 s15, s13, 7
	s_lshl_b32 s14, s14, 3
.LBB87_36:                              ;   Parent Loop BB87_29 Depth=1
                                        ; =>  This Inner Loop Header: Depth=2
	s_delay_alu instid0(SALU_CYCLE_1)
	s_add_i32 s19, s9, s14
	s_add_i32 s15, s15, -1
	v_mov_b32_e32 v5, s19
	s_add_i32 s14, s14, 8
	s_cmp_lg_u32 s15, 0
	ds_load_b64 v[7:8], v4
	ds_load_b64 v[9:10], v5
	v_add_nc_u32_e32 v4, 0xa0, v4
	s_waitcnt lgkmcnt(0)
	v_fma_f64 v[2:3], -v[7:8], v[9:10], v[2:3]
	s_cbranch_scc1 .LBB87_36
	s_branch .LBB87_28
.LBB87_37:
	s_mov_b32 s4, 0
.LBB87_38:
	s_delay_alu instid0(SALU_CYCLE_1)
	s_and_b32 vcc_lo, exec_lo, s4
	s_cbranch_vccz .LBB87_60
; %bb.39:
	s_cmp_gt_i32 s6, 19
	s_mov_b32 s4, s28
	s_cbranch_scc0 .LBB87_41
; %bb.40:
	s_mul_i32 s33, s20, 20
	s_add_i32 s25, s20, -6
	s_sub_i32 s4, s33, 20
	s_sub_i32 s24, s33, 40
	s_add_i32 s8, s20, s4
	s_add_i32 s15, s25, s24
	s_lshl_b32 s8, s8, 3
	s_mul_i32 s9, s28, 20
	s_add_i32 s8, s8, -16
	s_lshl_b32 s15, s15, 3
	s_delay_alu instid0(SALU_CYCLE_1)
	v_dual_mov_b32 v1, s8 :: v_dual_mov_b32 v20, s15
	v_add_lshl_u32 v2, s9, v0, 3
	s_mul_i32 s30, s28, 0xa8
	s_sub_i32 s23, s33, 60
	ds_load_2addr_b64 v[3:6], v1 offset1:1
	ds_load_b64 v[1:2], v2 offset:3200
	s_add_i32 s22, s33, 0xffffffb0
	v_add_lshl_u32 v23, s24, v0, 3
	s_add_i32 s8, s30, 0xffffff58
	v_add_lshl_u32 v24, s23, v0, 3
	v_add_lshl_u32 v25, s22, v0, 3
	v_mov_b32_e32 v9, s8
	ds_load_b64 v[7:8], v23 offset:3200
	ds_load_b64 v[13:14], v24 offset:3200
	;; [unrolled: 1-line block ×3, first 2 shown]
	ds_load_b64 v[17:18], v9
	s_add_i32 s8, s20, -4
	s_add_i32 s13, s33, 0xffffff9c
	s_add_i32 s9, s8, s4
	v_add_lshl_u32 v26, s13, v0, 3
	s_lshl_b32 s9, s9, 3
	s_add_i32 s12, s33, 0xffffff88
	s_add_i32 s14, s30, 0xfffffe08
	v_add_lshl_u32 v27, s12, v0, 3
	v_mov_b32_e32 v19, s14
	s_add_i32 s34, s20, -8
	s_add_i32 s36, s20, -10
	s_waitcnt lgkmcnt(4)
	v_mul_f64 v[1:2], v[5:6], v[1:2]
	v_mov_b32_e32 v5, s9
	s_add_i32 s9, s8, s24
	s_add_i32 s8, s8, s23
	s_lshl_b32 s9, s9, 3
	s_lshl_b32 s8, s8, 3
	v_mov_b32_e32 v9, s9
	s_add_i32 s9, s25, s4
	s_add_i32 s14, s34, s4
	s_lshl_b32 s9, s9, 3
	s_add_i32 s15, s25, s23
	s_lshl_b32 s14, s14, 3
	;; [unrolled: 2-line block ×3, first 2 shown]
	s_lshl_b32 s39, s39, 3
	s_add_i32 s37, s30, 0xfffffc10
	s_add_i32 s26, s36, s4
	;; [unrolled: 1-line block ×3, first 2 shown]
	s_lshl_b32 s26, s26, 3
	s_add_i32 s21, s33, 0xffffff4c
	s_add_i32 s19, s33, 0xffffff38
	s_add_i32 s35, s20, -12
	s_add_i32 s31, s20, -14
	s_add_i32 s40, s35, s23
	s_add_i32 s41, s31, s23
	;; [unrolled: 1-line block ×3, first 2 shown]
	s_lshl_b32 s41, s41, 3
	s_lshl_b32 s38, s38, 3
	s_add_i32 s29, s33, 0xfffffefc
	s_add_i32 s43, s31, s22
	ds_load_2addr_b64 v[9:12], v9 offset1:1
	s_waitcnt lgkmcnt(4)
	v_fma_f64 v[3:4], -v[1:2], v[3:4], v[7:8]
	ds_load_2addr_b64 v[5:8], v5 offset1:1
	s_waitcnt lgkmcnt(0)
	v_fma_f64 v[7:8], -v[1:2], v[7:8], v[13:14]
	v_fma_f64 v[5:6], -v[1:2], v[5:6], v[15:16]
	v_mov_b32_e32 v15, s8
	s_add_i32 s8, s33, 0xffffff60
	s_delay_alu instid0(SALU_CYCLE_1) | instskip(SKIP_1) | instid1(VALU_DEP_1)
	v_add_lshl_u32 v29, s8, v0, 3
	v_mul_f64 v[3:4], v[17:18], v[3:4]
	v_fma_f64 v[7:8], -v[3:4], v[11:12], v[7:8]
	v_mov_b32_e32 v11, s9
	v_fma_f64 v[9:10], -v[3:4], v[9:10], v[5:6]
	s_add_i32 s9, s33, 0xffffff74
	ds_load_2addr_b64 v[11:14], v11 offset1:1
	ds_load_b64 v[30:31], v26 offset:3200
	ds_load_2addr_b64 v[15:18], v15 offset1:1
	v_add_lshl_u32 v28, s9, v0, 3
	ds_load_b64 v[32:33], v27 offset:3200
	ds_load_b64 v[42:43], v28 offset:3200
	;; [unrolled: 1-line block ×3, first 2 shown]
	ds_load_b64 v[46:47], v19
	ds_load_2addr_b64 v[19:22], v20 offset1:1
	s_waitcnt lgkmcnt(6)
	v_fma_f64 v[13:14], -v[1:2], v[13:14], v[30:31]
	s_waitcnt lgkmcnt(5)
	v_mul_f64 v[5:6], v[17:18], v[7:8]
	s_waitcnt lgkmcnt(4)
	v_fma_f64 v[7:8], -v[1:2], v[11:12], v[32:33]
	s_waitcnt lgkmcnt(0)
	s_delay_alu instid0(VALU_DEP_3) | instskip(SKIP_2) | instid1(SALU_CYCLE_1)
	v_fma_f64 v[17:18], -v[3:4], v[21:22], v[13:14]
	v_mov_b32_e32 v13, s15
	s_add_i32 s15, s34, s24
	s_lshl_b32 s15, s15, 3
	s_delay_alu instid0(SALU_CYCLE_1) | instskip(SKIP_1) | instid1(SALU_CYCLE_1)
	v_mov_b32_e32 v31, s15
	s_add_i32 s15, s33, 0xffffff24
	v_add_lshl_u32 v32, s15, v0, 3
	v_fma_f64 v[21:22], -v[5:6], v[15:16], v[9:10]
	v_mov_b32_e32 v9, s14
	v_fma_f64 v[19:20], -v[3:4], v[19:20], v[7:8]
	s_add_i32 s14, s25, s22
	ds_load_2addr_b64 v[9:12], v9 offset1:1
	ds_load_2addr_b64 v[13:16], v13 offset1:1
	s_lshl_b32 s14, s14, 3
	s_add_i32 s25, s25, s13
	v_mov_b32_e32 v30, s14
	ds_load_2addr_b64 v[34:37], v30 offset1:1
	ds_load_2addr_b64 v[38:41], v31 offset1:1
	s_lshl_b32 s25, s25, 3
	v_add_lshl_u32 v30, s21, v0, 3
	s_add_i32 s14, s33, 0xffffff10
	v_add_lshl_u32 v31, s19, v0, 3
	v_add_lshl_u32 v33, s14, v0, 3
	s_waitcnt lgkmcnt(3)
	v_fma_f64 v[11:12], -v[1:2], v[11:12], v[42:43]
	s_waitcnt lgkmcnt(2)
	v_fma_f64 v[15:16], -v[5:6], v[15:16], v[17:18]
	v_fma_f64 v[9:10], -v[1:2], v[9:10], v[44:45]
	v_mul_f64 v[7:8], v[46:47], v[21:22]
	v_fma_f64 v[50:51], -v[5:6], v[13:14], v[19:20]
	v_mov_b32_e32 v19, s25
	s_add_i32 s25, s30, 0xfffffcb8
	s_waitcnt lgkmcnt(0)
	v_fma_f64 v[48:49], -v[3:4], v[40:41], v[11:12]
	v_mov_b32_e32 v11, s26
	s_lshl_b32 s26, s27, 3
	ds_load_2addr_b64 v[11:14], v11 offset1:1
	ds_load_b64 v[52:53], v30 offset:3200
	v_fma_f64 v[38:39], -v[3:4], v[38:39], v[9:10]
	v_mov_b32_e32 v40, s25
	s_add_i32 s25, s34, s22
	s_add_i32 s27, s36, s23
	s_lshl_b32 s25, s25, 3
	s_lshl_b32 s27, s27, 3
	v_fma_f64 v[36:37], -v[7:8], v[36:37], v[15:16]
	v_mov_b32_e32 v15, s26
	v_fma_f64 v[34:35], -v[7:8], v[34:35], v[50:51]
	s_add_i32 s26, s36, s24
	ds_load_2addr_b64 v[19:22], v19 offset1:1
	s_lshl_b32 s26, s26, 3
	ds_load_2addr_b64 v[15:18], v15 offset1:1
	v_dual_mov_b32 v41, s25 :: v_dual_mov_b32 v44, s26
	ds_load_b64 v[54:55], v31 offset:3200
	ds_load_b64 v[62:63], v32 offset:3200
	;; [unrolled: 1-line block ×3, first 2 shown]
	ds_load_b64 v[66:67], v40
	ds_load_2addr_b64 v[40:43], v41 offset1:1
	ds_load_2addr_b64 v[44:47], v44 offset1:1
	s_add_i32 s26, s35, s4
	s_add_i32 s25, s34, s13
	s_lshl_b32 s26, s26, 3
	s_waitcnt lgkmcnt(8)
	v_fma_f64 v[13:14], -v[1:2], v[13:14], v[52:53]
	s_lshl_b32 s25, s25, 3
	s_waitcnt lgkmcnt(5)
	v_fma_f64 v[11:12], -v[1:2], v[11:12], v[54:55]
	v_fma_f64 v[17:18], -v[5:6], v[17:18], v[48:49]
	v_mul_f64 v[9:10], v[21:22], v[36:37]
	v_fma_f64 v[36:37], -v[5:6], v[15:16], v[38:39]
	s_waitcnt lgkmcnt(0)
	v_fma_f64 v[21:22], -v[3:4], v[46:47], v[13:14]
	v_mov_b32_e32 v13, s26
	s_add_i32 s26, s36, s22
	s_delay_alu instid0(SALU_CYCLE_1)
	s_lshl_b32 s26, s26, 3
	v_fma_f64 v[38:39], -v[7:8], v[42:43], v[17:18]
	v_dual_mov_b32 v17, s27 :: v_dual_mov_b32 v42, s25
	s_add_i32 s25, s34, s12
	s_add_i32 s27, s35, s24
	s_lshl_b32 s25, s25, 3
	s_lshl_b32 s27, s27, 3
	s_delay_alu instid0(SALU_CYCLE_1)
	v_dual_mov_b32 v43, s26 :: v_dual_mov_b32 v58, s27
	s_add_i32 s34, s34, s9
	s_add_i32 s27, s33, 0xfffffee8
	s_lshl_b32 s34, s34, 3
	v_fma_f64 v[34:35], -v[9:10], v[19:20], v[34:35]
	ds_load_2addr_b64 v[13:16], v13 offset1:1
	ds_load_2addr_b64 v[17:20], v17 offset1:1
	;; [unrolled: 1-line block ×3, first 2 shown]
	v_mov_b32_e32 v42, s25
	s_add_i32 s26, s33, 0xfffffed4
	ds_load_2addr_b64 v[50:53], v42 offset1:1
	ds_load_2addr_b64 v[54:57], v43 offset1:1
	;; [unrolled: 1-line block ×3, first 2 shown]
	v_fma_f64 v[42:43], -v[3:4], v[44:45], v[11:12]
	s_add_i32 s25, s33, 0xfffffec0
	s_waitcnt lgkmcnt(5)
	v_fma_f64 v[15:16], -v[1:2], v[15:16], v[62:63]
	s_waitcnt lgkmcnt(4)
	v_fma_f64 v[19:20], -v[5:6], v[19:20], v[21:22]
	v_fma_f64 v[21:22], -v[7:8], v[40:41], v[36:37]
	;; [unrolled: 1-line block ×3, first 2 shown]
	v_add_lshl_u32 v36, s26, v0, 3
	s_waitcnt lgkmcnt(3)
	v_fma_f64 v[37:38], -v[9:10], v[48:49], v[38:39]
	v_mul_f64 v[11:12], v[66:67], v[34:35]
	v_add_lshl_u32 v34, s29, v0, 3
	v_add_lshl_u32 v35, s27, v0, 3
	v_fma_f64 v[66:67], -v[5:6], v[17:18], v[42:43]
	v_mov_b32_e32 v42, s37
	s_add_i32 s37, s36, s12
	s_delay_alu instid0(SALU_CYCLE_1)
	s_lshl_b32 s37, s37, 3
	s_waitcnt lgkmcnt(0)
	v_fma_f64 v[64:65], -v[3:4], v[60:61], v[15:16]
	v_fma_f64 v[56:57], -v[7:8], v[56:57], v[19:20]
	;; [unrolled: 1-line block ×3, first 2 shown]
	v_mov_b32_e32 v15, s38
	s_lshl_b32 s38, s40, 3
	ds_load_2addr_b64 v[15:18], v15 offset1:1
	ds_load_b64 v[70:71], v34 offset:3200
	v_mov_b32_e32 v19, s38
	ds_load_b64 v[72:73], v42
	v_fma_f64 v[58:59], -v[3:4], v[58:59], v[13:14]
	s_add_i32 s38, s35, s22
	v_mov_b32_e32 v42, s37
	ds_load_2addr_b64 v[19:22], v19 offset1:1
	s_lshl_b32 s38, s38, 3
	s_add_i32 s37, s30, 0xfffffb68
	v_mov_b32_e32 v46, s38
	s_add_i32 s40, s35, s12
	v_fma_f64 v[52:53], -v[11:12], v[52:53], v[37:38]
	v_mov_b32_e32 v38, s39
	s_add_i32 s39, s31, s24
	v_add_lshl_u32 v37, s25, v0, 3
	s_lshl_b32 s39, s39, 3
	s_add_i32 s38, s36, s8
	ds_load_2addr_b64 v[38:41], v38 offset1:1
	v_mov_b32_e32 v60, s39
	v_fma_f64 v[54:55], -v[7:8], v[54:55], v[66:67]
	s_waitcnt lgkmcnt(3)
	v_fma_f64 v[17:18], -v[1:2], v[17:18], v[70:71]
	ds_load_b64 v[74:75], v35 offset:3200
	ds_load_b64 v[78:79], v36 offset:3200
	;; [unrolled: 1-line block ×3, first 2 shown]
	ds_load_2addr_b64 v[42:45], v42 offset1:1
	ds_load_2addr_b64 v[46:49], v46 offset1:1
	;; [unrolled: 1-line block ×3, first 2 shown]
	s_add_i32 s39, s35, s13
	s_lshl_b32 s38, s38, 3
	s_lshl_b32 s39, s39, 3
	s_waitcnt lgkmcnt(7)
	v_fma_f64 v[21:22], -v[5:6], v[21:22], v[64:65]
	v_mov_b32_e32 v64, s37
	v_fma_f64 v[50:51], -v[11:12], v[50:51], v[68:69]
	s_add_i32 s37, s36, s9
	s_add_i32 s36, s36, s21
	s_lshl_b32 s37, s37, 3
	s_waitcnt lgkmcnt(5)
	v_fma_f64 v[15:16], -v[1:2], v[15:16], v[74:75]
	v_fma_f64 v[40:41], -v[9:10], v[40:41], v[56:57]
	v_mov_b32_e32 v56, s37
	s_lshl_b32 s36, s36, 3
	v_fma_f64 v[84:85], -v[5:6], v[19:20], v[58:59]
	v_mul_f64 v[13:14], v[72:73], v[52:53]
	v_mov_b32_e32 v52, s34
	s_add_i32 s34, s20, -16
	s_delay_alu instid0(SALU_CYCLE_1)
	s_add_i32 s42, s34, s4
	s_add_i32 s37, s34, s24
	ds_load_b64 v[52:53], v52
	s_lshl_b32 s42, s42, 3
	v_fma_f64 v[38:39], -v[9:10], v[38:39], v[54:55]
	s_waitcnt lgkmcnt(1)
	v_fma_f64 v[82:83], -v[3:4], v[62:63], v[17:18]
	v_mov_b32_e32 v62, s38
	s_lshl_b32 s37, s37, 3
	s_add_i32 s38, s33, 0xfffffe98
	s_add_i32 s44, s34, s23
	;; [unrolled: 1-line block ×3, first 2 shown]
	s_lshl_b32 s44, s44, 3
	v_fma_f64 v[21:22], -v[7:8], v[48:49], v[21:22]
	v_mov_b32_e32 v48, s41
	s_add_i32 s41, s30, 0xfffffac0
	v_fma_f64 v[60:61], -v[3:4], v[60:61], v[15:16]
	v_fma_f64 v[40:41], -v[11:12], v[44:45], v[40:41]
	;; [unrolled: 1-line block ×3, first 2 shown]
	s_waitcnt lgkmcnt(0)
	v_fma_f64 v[44:45], -v[13:14], v[52:53], v[50:51]
	v_mov_b32_e32 v52, s39
	s_lshl_b32 s39, s40, 3
	s_lshl_b32 s40, s43, 3
	s_delay_alu instid0(SALU_CYCLE_1)
	v_dual_mov_b32 v17, s42 :: v_dual_mov_b32 v70, s40
	ds_load_2addr_b64 v[48:51], v48 offset1:1
	ds_load_2addr_b64 v[52:55], v52 offset1:1
	v_fma_f64 v[42:43], -v[11:12], v[42:43], v[38:39]
	ds_load_2addr_b64 v[17:20], v17 offset1:1
	ds_load_2addr_b64 v[56:59], v56 offset1:1
	ds_load_b64 v[86:87], v64
	s_sub_i32 s40, s20, 18
	v_mov_b32_e32 v66, s39
	s_add_i32 s46, s40, s4
	s_add_i32 s39, s33, 0xfffffeac
	s_lshl_b32 s46, s46, 3
	v_mov_b32_e32 v74, s37
	ds_load_2addr_b64 v[62:65], v62 offset1:1
	ds_load_2addr_b64 v[66:69], v66 offset1:1
	;; [unrolled: 1-line block ×4, first 2 shown]
	s_add_i32 s37, s33, 0xfffffe84
	s_addk_i32 s33, 0xfe70
	s_add_i32 s42, s31, s13
	v_add_lshl_u32 v39, s33, v0, 3
	s_add_i32 s33, s35, s9
	s_lshl_b32 s42, s42, 3
	s_lshl_b32 s33, s33, 3
	s_waitcnt lgkmcnt(8)
	v_fma_f64 v[50:51], -v[5:6], v[50:51], v[82:83]
	s_waitcnt lgkmcnt(7)
	v_fma_f64 v[21:22], -v[9:10], v[54:55], v[21:22]
	v_fma_f64 v[90:91], -v[5:6], v[48:49], v[60:61]
	s_waitcnt lgkmcnt(6)
	v_fma_f64 v[19:20], -v[1:2], v[19:20], v[78:79]
	s_waitcnt lgkmcnt(5)
	v_fma_f64 v[54:55], -v[13:14], v[58:59], v[40:41]
	v_fma_f64 v[17:18], -v[1:2], v[17:18], v[80:81]
	;; [unrolled: 1-line block ×3, first 2 shown]
	v_add_lshl_u32 v40, s39, v0, 3
	v_mov_b32_e32 v58, s41
	s_add_i32 s41, s35, s8
	v_add_lshl_u32 v41, s38, v0, 3
	s_add_i32 s43, s31, s12
	s_waitcnt lgkmcnt(4)
	v_mul_f64 v[15:16], v[86:87], v[44:45]
	s_add_i32 s47, s40, s24
	v_add_lshl_u32 v38, s37, v0, 3
	s_lshl_b32 s41, s41, 3
	s_waitcnt lgkmcnt(1)
	v_fma_f64 v[72:73], -v[7:8], v[72:73], v[50:51]
	v_fma_f64 v[21:22], -v[11:12], v[68:69], v[21:22]
	;; [unrolled: 1-line block ×3, first 2 shown]
	s_waitcnt lgkmcnt(0)
	v_fma_f64 v[88:89], -v[3:4], v[76:77], v[19:20]
	v_dual_mov_b32 v19, s46 :: v_dual_mov_b32 v20, s44
	v_mov_b32_e32 v50, s42
	ds_load_2addr_b64 v[42:45], v19 offset1:1
	ds_load_b64 v[94:95], v40 offset:3200
	v_mov_b32_e32 v19, s33
	ds_load_2addr_b64 v[46:49], v20 offset1:1
	v_fma_f64 v[64:65], -v[15:16], v[64:65], v[54:55]
	ds_load_2addr_b64 v[50:53], v50 offset1:1
	ds_load_b64 v[96:97], v58
	ds_load_2addr_b64 v[54:57], v19 offset1:1
	v_fma_f64 v[74:75], -v[3:4], v[74:75], v[17:18]
	v_fma_f64 v[70:71], -v[7:8], v[70:71], v[90:91]
	;; [unrolled: 1-line block ×3, first 2 shown]
	s_lshl_b32 s33, s43, 3
	s_lshl_b32 s42, s45, 3
	;; [unrolled: 1-line block ×3, first 2 shown]
	v_mov_b32_e32 v58, s41
	v_mov_b32_e32 v76, s33
	v_mov_b32_e32 v80, s42
	v_mov_b32_e32 v84, s43
	ds_load_b64 v[98:99], v41 offset:3200
	ds_load_b64 v[100:101], v38 offset:3200
	;; [unrolled: 1-line block ×3, first 2 shown]
	ds_load_2addr_b64 v[58:61], v58 offset1:1
	ds_load_2addr_b64 v[76:79], v76 offset1:1
	ds_load_2addr_b64 v[80:83], v80 offset1:1
	ds_load_2addr_b64 v[84:87], v84 offset1:1
	s_add_i32 s33, s30, 0xfffffa18
	s_sub_i32 s30, s20, 20
	s_waitcnt lgkmcnt(11)
	v_fma_f64 v[44:45], -v[1:2], v[44:45], v[94:95]
	s_add_i32 s41, s31, s9
	s_add_i32 s43, s34, s13
	;; [unrolled: 1-line block ×4, first 2 shown]
	s_lshl_b32 s41, s41, 3
	s_lshl_b32 s47, s47, 3
	;; [unrolled: 1-line block ×4, first 2 shown]
	s_waitcnt lgkmcnt(9)
	v_fma_f64 v[52:53], -v[9:10], v[52:53], v[72:73]
	s_waitcnt lgkmcnt(7)
	v_fma_f64 v[21:22], -v[13:14], v[56:57], v[21:22]
	v_fma_f64 v[56:57], -v[15:16], v[62:63], v[68:69]
	;; [unrolled: 1-line block ×3, first 2 shown]
	v_mov_b32_e32 v62, s36
	s_waitcnt lgkmcnt(6)
	v_fma_f64 v[94:95], -v[1:2], v[42:43], v[98:99]
	v_mov_b32_e32 v42, s47
	s_add_i32 s36, s35, s19
	s_add_i32 s42, s31, s8
	ds_load_b64 v[62:63], v62
	s_add_i32 s44, s34, s12
	s_lshl_b32 s36, s36, 3
	v_mul_f64 v[17:18], v[96:97], v[64:65]
	v_mov_b32_e32 v64, s33
	s_add_i32 s33, s35, s21
	s_add_i32 s46, s40, s22
	v_fma_f64 v[98:99], -v[5:6], v[46:47], v[74:75]
	v_fma_f64 v[102:103], -v[9:10], v[50:51], v[70:71]
	;; [unrolled: 1-line block ×3, first 2 shown]
	s_lshl_b32 s33, s33, 3
	v_mov_b32_e32 v46, s45
	v_mov_b32_e32 v50, s43
	;; [unrolled: 1-line block ×3, first 2 shown]
	s_lshl_b32 s42, s42, 3
	s_add_i32 s24, s30, s24
	s_lshl_b32 s44, s44, 3
	v_mov_b32_e32 v68, s42
	s_lshl_b32 s24, s24, 3
	v_mov_b32_e32 v72, s44
	s_waitcnt lgkmcnt(1)
	v_fma_f64 v[96:97], -v[3:4], v[86:87], v[44:45]
	ds_load_2addr_b64 v[42:45], v42 offset1:1
	v_mov_b32_e32 v90, s24
	s_add_i32 s23, s30, s23
	s_add_i32 s42, s35, s15
	;; [unrolled: 1-line block ×5, first 2 shown]
	s_lshl_b32 s23, s23, 3
	v_fma_f64 v[78:79], -v[11:12], v[78:79], v[52:53]
	v_fma_f64 v[21:22], -v[15:16], v[60:61], v[21:22]
	v_mov_b32_e32 v60, s33
	v_fma_f64 v[82:83], -v[7:8], v[82:83], v[48:49]
	ds_load_2addr_b64 v[46:49], v46 offset1:1
	ds_load_2addr_b64 v[50:53], v50 offset1:1
	v_fma_f64 v[84:85], -v[3:4], v[84:85], v[94:95]
	s_lshl_b32 s33, s46, 3
	s_lshl_b32 s42, s42, 3
	v_mov_b32_e32 v86, s33
	s_lshl_b32 s44, s44, 3
	s_lshl_b32 s41, s41, 3
	s_waitcnt lgkmcnt(3)
	v_fma_f64 v[106:107], -v[17:18], v[62:63], v[56:57]
	ds_load_2addr_b64 v[54:57], v54 offset1:1
	ds_load_2addr_b64 v[60:63], v60 offset1:1
	ds_load_b64 v[108:109], v64
	s_waitcnt lgkmcnt(5)
	v_fma_f64 v[44:45], -v[1:2], v[44:45], v[100:101]
	v_fma_f64 v[80:81], -v[7:8], v[80:81], v[98:99]
	;; [unrolled: 1-line block ×4, first 2 shown]
	v_mov_b32_e32 v64, s36
	ds_load_2addr_b64 v[64:67], v64 offset1:1
	ds_load_2addr_b64 v[68:71], v68 offset1:1
	;; [unrolled: 1-line block ×5, first 2 shown]
	v_fma_f64 v[19:20], -v[1:2], v[42:43], v[19:20]
	v_mov_b32_e32 v42, s23
	s_lshl_b32 s23, s43, 3
	s_mul_i32 s24, s20, 0xa8
	s_waitcnt lgkmcnt(9)
	v_fma_f64 v[48:49], -v[5:6], v[48:49], v[96:97]
	s_add_i32 s33, s24, 0xfffff820
	s_add_i32 s35, s34, s8
	;; [unrolled: 1-line block ×5, first 2 shown]
	s_lshl_b32 s22, s22, 3
	s_lshl_b32 s13, s13, 3
	s_add_i32 s12, s30, s12
	s_waitcnt lgkmcnt(7)
	v_fma_f64 v[56:57], -v[13:14], v[56:57], v[78:79]
	s_waitcnt lgkmcnt(6)
	v_fma_f64 v[62:63], -v[17:18], v[62:63], v[21:22]
	v_mov_b32_e32 v78, s33
	v_fma_f64 v[52:53], -v[9:10], v[52:53], v[82:83]
	s_add_i32 s33, s31, s19
	s_lshl_b32 s12, s12, 3
	v_fma_f64 v[98:99], -v[5:6], v[46:47], v[84:85]
	v_mov_b32_e32 v46, s44
	s_waitcnt lgkmcnt(5)
	v_mul_f64 v[21:22], v[108:109], v[106:107]
	s_waitcnt lgkmcnt(0)
	v_fma_f64 v[96:97], -v[3:4], v[92:93], v[44:45]
	v_fma_f64 v[100:101], -v[9:10], v[50:51], v[80:81]
	;; [unrolled: 1-line block ×4, first 2 shown]
	v_mov_b32_e32 v50, s23
	v_mov_b32_e32 v54, s41
	;; [unrolled: 1-line block ×3, first 2 shown]
	ds_load_2addr_b64 v[42:45], v42 offset1:1
	s_lshl_b32 s23, s33, 3
	s_lshl_b32 s33, s35, 3
	;; [unrolled: 1-line block ×3, first 2 shown]
	ds_load_2addr_b64 v[58:61], v58 offset1:1
	v_mov_b32_e32 v82, s35
	v_mov_b32_e32 v92, s22
	v_fma_f64 v[88:89], -v[7:8], v[88:89], v[48:49]
	ds_load_2addr_b64 v[46:49], v46 offset1:1
	v_fma_f64 v[19:20], -v[3:4], v[90:91], v[19:20]
	s_add_i32 s22, s31, s15
	s_add_i32 s36, s40, s9
	s_lshl_b32 s22, s22, 3
	s_lshl_b32 s36, s36, 3
	s_add_i32 s35, s34, s19
	s_add_i32 s9, s30, s9
	v_fma_f64 v[70:71], -v[15:16], v[70:71], v[56:57]
	ds_load_2addr_b64 v[54:57], v54 offset1:1
	s_lshl_b32 s9, s9, 3
	v_fma_f64 v[102:103], -v[11:12], v[74:75], v[52:53]
	ds_load_2addr_b64 v[50:53], v50 offset1:1
	v_fma_f64 v[62:63], -v[21:22], v[66:67], v[62:63]
	v_dual_mov_b32 v66, s23 :: v_dual_mov_b32 v67, s33
	ds_load_b64 v[108:109], v78
	ds_load_2addr_b64 v[74:77], v66 offset1:1
	ds_load_2addr_b64 v[78:81], v67 offset1:1
	;; [unrolled: 1-line block ×4, first 2 shown]
	s_waitcnt lgkmcnt(9)
	v_fma_f64 v[44:45], -v[5:6], v[44:45], v[96:97]
	v_fma_f64 v[66:67], -v[7:8], v[86:87], v[98:99]
	;; [unrolled: 1-line block ×5, first 2 shown]
	s_add_i32 s33, s34, s21
	s_add_i32 s23, s31, s14
	;; [unrolled: 1-line block ×3, first 2 shown]
	s_waitcnt lgkmcnt(7)
	v_fma_f64 v[48:49], -v[9:10], v[48:49], v[88:89]
	v_fma_f64 v[19:20], -v[5:6], v[42:43], v[19:20]
	v_mov_b32_e32 v42, s13
	s_lshl_b32 s13, s33, 3
	s_waitcnt lgkmcnt(6)
	v_fma_f64 v[56:57], -v[17:18], v[56:57], v[70:71]
	v_mov_b32_e32 v70, s12
	s_add_i32 s12, s24, 0xfffff6d0
	s_waitcnt lgkmcnt(5)
	v_fma_f64 v[52:53], -v[13:14], v[52:53], v[102:103]
	v_mul_f64 v[86:87], v[60:61], v[62:63]
	s_waitcnt lgkmcnt(0)
	v_fma_f64 v[88:89], -v[7:8], v[94:95], v[44:45]
	v_fma_f64 v[90:91], -v[9:10], v[46:47], v[66:67]
	;; [unrolled: 1-line block ×4, first 2 shown]
	v_mov_b32_e32 v46, s36
	v_mov_b32_e32 v50, s13
	;; [unrolled: 1-line block ×3, first 2 shown]
	ds_load_2addr_b64 v[42:45], v42 offset1:1
	s_add_i32 s13, s40, s8
	s_lshl_b32 s22, s23, 3
	s_lshl_b32 s23, s35, 3
	v_fma_f64 v[84:85], -v[11:12], v[84:85], v[48:49]
	ds_load_2addr_b64 v[46:49], v46 offset1:1
	v_fma_f64 v[19:20], -v[7:8], v[92:93], v[19:20]
	s_lshl_b32 s13, s13, 3
	v_mov_b32_e32 v62, s23
	v_mov_b32_e32 v66, s13
	s_add_i32 s13, s34, s15
	s_add_i32 s8, s30, s8
	v_fma_f64 v[76:77], -v[21:22], v[76:77], v[56:57]
	ds_load_2addr_b64 v[54:57], v54 offset1:1
	s_lshl_b32 s8, s8, 3
	v_fma_f64 v[80:81], -v[15:16], v[80:81], v[52:53]
	ds_load_2addr_b64 v[50:53], v50 offset1:1
	v_fma_f64 v[98:99], -v[86:87], v[58:59], v[64:65]
	v_mov_b32_e32 v58, s22
	s_add_i32 s22, s40, s21
	ds_load_2addr_b64 v[58:61], v58 offset1:1
	ds_load_2addr_b64 v[62:65], v62 offset1:1
	ds_load_2addr_b64 v[66:69], v66 offset1:1
	ds_load_2addr_b64 v[70:73], v70 offset1:1
	s_waitcnt lgkmcnt(7)
	v_fma_f64 v[44:45], -v[9:10], v[44:45], v[88:89]
	v_fma_f64 v[82:83], -v[11:12], v[82:83], v[90:91]
	;; [unrolled: 1-line block ×4, first 2 shown]
	s_lshl_b32 s22, s22, 3
	s_waitcnt lgkmcnt(6)
	v_fma_f64 v[48:49], -v[13:14], v[48:49], v[84:85]
	v_fma_f64 v[19:20], -v[9:10], v[42:43], v[19:20]
	v_mov_b32_e32 v42, s9
	s_lshl_b32 s9, s13, 3
	s_lshl_b32 s13, s31, 3
	s_waitcnt lgkmcnt(5)
	v_fma_f64 v[56:57], -v[86:87], v[56:57], v[76:77]
	s_waitcnt lgkmcnt(4)
	v_fma_f64 v[52:53], -v[17:18], v[52:53], v[80:81]
	v_mov_b32_e32 v80, s8
	s_add_i32 s8, s34, s29
	s_delay_alu instid0(SALU_CYCLE_1)
	s_lshl_b32 s8, s8, 3
	v_mul_f64 v[84:85], v[108:109], v[98:99]
	s_waitcnt lgkmcnt(0)
	v_fma_f64 v[88:89], -v[11:12], v[72:73], v[44:45]
	v_fma_f64 v[90:91], -v[13:14], v[46:47], v[82:83]
	;; [unrolled: 1-line block ×4, first 2 shown]
	v_mov_b32_e32 v46, s22
	v_mov_b32_e32 v50, s9
	;; [unrolled: 1-line block ×3, first 2 shown]
	ds_load_2addr_b64 v[42:45], v42 offset1:1
	s_add_i32 s9, s34, s14
	v_mov_b32_e32 v72, s12
	v_fma_f64 v[68:69], -v[15:16], v[68:69], v[48:49]
	ds_load_2addr_b64 v[46:49], v46 offset1:1
	v_fma_f64 v[19:20], -v[11:12], v[70:71], v[19:20]
	s_add_i32 s12, s40, s19
	s_lshl_b32 s9, s9, 3
	s_lshl_b32 s12, s12, 3
	s_delay_alu instid0(SALU_CYCLE_1)
	v_dual_mov_b32 v73, s9 :: v_dual_mov_b32 v76, s12
	s_add_i32 s9, s30, s21
	s_add_i32 s12, s40, s15
	s_lshl_b32 s9, s9, 3
	s_lshl_b32 s12, s12, 3
	v_fma_f64 v[64:65], -v[21:22], v[64:65], v[52:53]
	ds_load_2addr_b64 v[50:53], v50 offset1:1
	v_fma_f64 v[60:61], -v[84:85], v[60:61], v[56:57]
	ds_load_2addr_b64 v[54:57], v54 offset1:1
	ds_load_b64 v[96:97], v72
	ds_load_2addr_b64 v[72:75], v73 offset1:1
	ds_load_2addr_b64 v[76:79], v76 offset1:1
	ds_load_2addr_b64 v[80:83], v80 offset1:1
	s_waitcnt lgkmcnt(7)
	v_fma_f64 v[44:45], -v[13:14], v[44:45], v[88:89]
	v_fma_f64 v[66:67], -v[15:16], v[66:67], v[90:91]
	;; [unrolled: 1-line block ×4, first 2 shown]
	s_waitcnt lgkmcnt(6)
	v_fma_f64 v[48:49], -v[17:18], v[48:49], v[68:69]
	v_fma_f64 v[19:20], -v[13:14], v[42:43], v[19:20]
	v_mov_b32_e32 v42, s9
	s_add_i32 s9, s40, s14
	s_delay_alu instid0(SALU_CYCLE_1)
	s_lshl_b32 s9, s9, 3
	s_waitcnt lgkmcnt(5)
	v_fma_f64 v[52:53], -v[86:87], v[52:53], v[64:65]
	s_waitcnt lgkmcnt(4)
	v_mul_f64 v[88:89], v[56:57], v[60:61]
	s_waitcnt lgkmcnt(0)
	v_fma_f64 v[68:69], -v[15:16], v[82:83], v[44:45]
	v_fma_f64 v[66:67], -v[17:18], v[46:47], v[66:67]
	v_mov_b32_e32 v46, s12
	s_add_i32 s12, s30, s19
	s_delay_alu instid0(SALU_CYCLE_1)
	s_lshl_b32 s12, s12, 3
	v_fma_f64 v[70:71], -v[21:22], v[78:79], v[48:49]
	v_fma_f64 v[78:79], -v[86:87], v[50:51], v[62:63]
	v_mov_b32_e32 v50, s8
	v_fma_f64 v[19:20], -v[15:16], v[80:81], v[19:20]
	s_add_i32 s8, s34, s27
	v_mov_b32_e32 v62, s12
	s_lshl_b32 s8, s8, 3
	s_add_i32 s34, s34, s26
	v_fma_f64 v[74:75], -v[84:85], v[74:75], v[52:53]
	ds_load_2addr_b64 v[42:45], v42 offset1:1
	ds_load_2addr_b64 v[46:49], v46 offset1:1
	;; [unrolled: 1-line block ×3, first 2 shown]
	v_fma_f64 v[82:83], -v[88:89], v[54:55], v[58:59]
	v_mov_b32_e32 v54, s8
	v_mov_b32_e32 v58, s9
	s_add_i32 s8, s30, s15
	ds_load_2addr_b64 v[54:57], v54 offset1:1
	ds_load_2addr_b64 v[58:61], v58 offset1:1
	;; [unrolled: 1-line block ×3, first 2 shown]
	s_add_i32 s9, s40, s29
	v_fma_f64 v[66:67], -v[21:22], v[76:77], v[66:67]
	s_lshl_b32 s8, s8, 3
	s_waitcnt lgkmcnt(5)
	v_fma_f64 v[44:45], -v[17:18], v[44:45], v[68:69]
	s_lshl_b32 s9, s9, 3
	s_waitcnt lgkmcnt(4)
	v_fma_f64 v[48:49], -v[86:87], v[48:49], v[70:71]
	v_fma_f64 v[68:69], -v[84:85], v[72:73], v[78:79]
	;; [unrolled: 1-line block ×3, first 2 shown]
	v_mov_b32_e32 v42, s8
	s_lshl_b32 s8, s34, 3
	s_waitcnt lgkmcnt(3)
	v_fma_f64 v[52:53], -v[88:89], v[52:53], v[74:75]
	v_mul_f64 v[72:73], v[96:97], v[82:83]
	v_fma_f64 v[76:77], -v[86:87], v[46:47], v[66:67]
	v_mov_b32_e32 v46, s9
	s_waitcnt lgkmcnt(0)
	v_fma_f64 v[74:75], -v[21:22], v[64:65], v[44:45]
	s_add_i32 s9, s30, s14
	s_delay_alu instid0(SALU_CYCLE_1)
	s_lshl_b32 s9, s9, 3
	v_fma_f64 v[60:61], -v[84:85], v[60:61], v[48:49]
	v_fma_f64 v[78:79], -v[88:89], v[50:51], v[68:69]
	v_mov_b32_e32 v50, s8
	v_fma_f64 v[19:20], -v[21:22], v[62:63], v[19:20]
	s_add_i32 s8, s24, 0xfffff580
	v_mov_b32_e32 v68, s9
	v_mov_b32_e32 v64, s8
	s_add_i32 s8, s40, s27
	s_add_i32 s9, s40, s26
	s_lshl_b32 s8, s8, 3
	s_lshl_b32 s9, s9, 3
	v_mov_b32_e32 v65, s8
	s_add_i32 s8, s30, s29
	s_delay_alu instid0(SALU_CYCLE_1)
	s_lshl_b32 s8, s8, 3
	v_fma_f64 v[56:57], -v[72:73], v[56:57], v[52:53]
	ds_load_2addr_b64 v[42:45], v42 offset1:1
	ds_load_2addr_b64 v[46:49], v46 offset1:1
	;; [unrolled: 1-line block ×3, first 2 shown]
	ds_load_b64 v[80:81], v64
	ds_load_2addr_b64 v[64:67], v65 offset1:1
	ds_load_2addr_b64 v[68:71], v68 offset1:1
	v_fma_f64 v[58:59], -v[84:85], v[58:59], v[76:77]
	v_fma_f64 v[54:55], -v[72:73], v[54:55], v[78:79]
	s_waitcnt lgkmcnt(5)
	v_fma_f64 v[44:45], -v[86:87], v[44:45], v[74:75]
	s_waitcnt lgkmcnt(4)
	v_fma_f64 v[48:49], -v[88:89], v[48:49], v[60:61]
	v_fma_f64 v[19:20], -v[86:87], v[42:43], v[19:20]
	v_mov_b32_e32 v42, s8
	s_add_i32 s8, s40, s25
	s_add_i32 s40, s40, s39
	s_lshl_b32 s8, s8, 3
	s_waitcnt lgkmcnt(3)
	v_mul_f64 v[60:61], v[52:53], v[56:57]
	v_fma_f64 v[58:59], -v[88:89], v[46:47], v[58:59]
	v_mov_b32_e32 v46, s9
	s_add_i32 s9, s30, s27
	s_delay_alu instid0(SALU_CYCLE_1)
	s_lshl_b32 s9, s9, 3
	s_waitcnt lgkmcnt(0)
	v_fma_f64 v[62:63], -v[84:85], v[70:71], v[44:45]
	v_fma_f64 v[66:67], -v[72:73], v[66:67], v[48:49]
	ds_load_2addr_b64 v[42:45], v42 offset1:1
	ds_load_2addr_b64 v[46:49], v46 offset1:1
	v_fma_f64 v[19:20], -v[84:85], v[68:69], v[19:20]
	v_fma_f64 v[70:71], -v[60:61], v[50:51], v[54:55]
	v_mov_b32_e32 v50, s8
	v_mov_b32_e32 v54, s9
	s_add_i32 s8, s30, s26
	ds_load_2addr_b64 v[50:53], v50 offset1:1
	ds_load_2addr_b64 v[54:57], v54 offset1:1
	s_lshl_b32 s8, s8, 3
	v_fma_f64 v[58:59], -v[72:73], v[64:65], v[58:59]
	s_lshl_b32 s9, s40, 3
	s_waitcnt lgkmcnt(3)
	v_fma_f64 v[44:45], -v[88:89], v[44:45], v[62:63]
	s_waitcnt lgkmcnt(2)
	v_fma_f64 v[48:49], -v[60:61], v[48:49], v[66:67]
	v_fma_f64 v[19:20], -v[88:89], v[42:43], v[19:20]
	v_mov_b32_e32 v42, s8
	s_add_i32 s8, s30, s25
	s_delay_alu instid0(SALU_CYCLE_1)
	s_lshl_b32 s8, s8, 3
	v_mul_f64 v[62:63], v[80:81], v[70:71]
	v_fma_f64 v[66:67], -v[60:61], v[46:47], v[58:59]
	v_mov_b32_e32 v46, s9
	s_add_i32 s9, s24, 0xfffff430
	s_waitcnt lgkmcnt(0)
	v_fma_f64 v[64:65], -v[72:73], v[56:57], v[44:45]
	v_dual_mov_b32 v56, s9 :: v_dual_mov_b32 v57, s8
	v_fma_f64 v[19:20], -v[72:73], v[54:55], v[19:20]
	s_add_i32 s8, s30, s39
	s_delay_alu instid0(SALU_CYCLE_1)
	s_lshl_b32 s8, s8, 3
	v_fma_f64 v[52:53], -v[62:63], v[52:53], v[48:49]
	ds_load_2addr_b64 v[42:45], v42 offset1:1
	ds_load_2addr_b64 v[46:49], v46 offset1:1
	ds_load_b64 v[68:69], v56
	ds_load_2addr_b64 v[56:59], v57 offset1:1
	v_fma_f64 v[50:51], -v[62:63], v[50:51], v[66:67]
	s_waitcnt lgkmcnt(3)
	v_fma_f64 v[44:45], -v[60:61], v[44:45], v[64:65]
	v_fma_f64 v[19:20], -v[60:61], v[42:43], v[19:20]
	v_mov_b32_e32 v42, s8
	s_add_i32 s8, s30, s38
	s_add_i32 s30, s30, s37
	s_lshl_b32 s8, s8, 3
	s_waitcnt lgkmcnt(2)
	v_mul_f64 v[52:53], v[48:49], v[52:53]
	s_waitcnt lgkmcnt(0)
	s_delay_alu instid0(VALU_DEP_4)
	v_fma_f64 v[54:55], -v[62:63], v[58:59], v[44:45]
	ds_load_2addr_b64 v[42:45], v42 offset1:1
	v_fma_f64 v[19:20], -v[62:63], v[56:57], v[19:20]
	v_fma_f64 v[50:51], -v[52:53], v[46:47], v[50:51]
	v_mov_b32_e32 v46, s8
	s_lshl_b32 s8, s30, 3
	ds_load_2addr_b64 v[46:49], v46 offset1:1
	s_waitcnt lgkmcnt(1)
	v_fma_f64 v[44:45], -v[52:53], v[44:45], v[54:55]
	v_fma_f64 v[19:20], -v[52:53], v[42:43], v[19:20]
	v_mov_b32_e32 v42, s8
	s_add_i32 s8, s24, 0xfffff2e0
	s_delay_alu instid0(SALU_CYCLE_1) | instskip(SKIP_3) | instid1(VALU_DEP_1)
	v_mov_b32_e32 v54, s8
	ds_load_b64 v[54:55], v54
	v_mul_f64 v[50:51], v[68:69], v[50:51]
	s_waitcnt lgkmcnt(1)
	v_fma_f64 v[48:49], -v[50:51], v[48:49], v[44:45]
	ds_load_2addr_b64 v[42:45], v42 offset1:1
	v_fma_f64 v[19:20], -v[50:51], v[46:47], v[19:20]
	s_waitcnt lgkmcnt(0)
	v_mul_f64 v[44:45], v[44:45], v[48:49]
	s_delay_alu instid0(VALU_DEP_1)
	v_fma_f64 v[19:20], -v[44:45], v[42:43], v[19:20]
	v_add_lshl_u32 v42, s4, v0, 3
	s_sub_i32 s4, s20, 21
	ds_store_b64 v42, v[1:2] offset:3200
	ds_store_b64 v23, v[3:4] offset:3200
	;; [unrolled: 1-line block ×18, first 2 shown]
	v_mul_f64 v[19:20], v[54:55], v[19:20]
	ds_store_b64 v38, v[44:45] offset:3200
	ds_store_b64 v39, v[19:20] offset:3200
.LBB87_41:
	s_cmp_gt_i32 s4, -1
	s_cbranch_scc0 .LBB87_60
; %bb.42:
	s_cmp_lt_u32 s4, 15
	s_cbranch_scc1 .LBB87_47
; %bb.43:
	s_mul_i32 s8, s4, 20
	s_delay_alu instid0(SALU_CYCLE_1) | instskip(SKIP_3) | instid1(VALU_DEP_2)
	v_add_lshl_u32 v33, s8, v0, 3
	s_sub_i32 s9, s8, 20
	s_cmp_le_i32 s28, s4
	v_add_lshl_u32 v34, s9, v0, 3
	v_add_nc_u32_e32 v1, 0x800, v33
	ds_load_2addr_b64 v[13:16], v33 offset0:220 offset1:240
	ds_load_2addr_b64 v[9:12], v33 offset0:180 offset1:200
	;; [unrolled: 1-line block ×3, first 2 shown]
	ds_load_b64 v[29:30], v33 offset:3200
	ds_load_b64 v[31:32], v34 offset:3200
	ds_load_2addr_b64 v[25:28], v1 offset0:84 offset1:104
	ds_load_2addr_b64 v[21:24], v1 offset0:44 offset1:64
	;; [unrolled: 1-line block ×4, first 2 shown]
	s_cbranch_scc1 .LBB87_46
; %bb.44:
	v_lshlrev_b32_e32 v35, 3, v0
	s_mul_i32 s12, s20, 0xa0
	s_lshl_b32 s13, s4, 3
	s_delay_alu instid0(SALU_CYCLE_1) | instskip(NEXT) | instid1(VALU_DEP_1)
	s_add_i32 s13, s12, s13
	v_add3_u32 v35, s12, v35, 0xbe0
	s_add_i32 s12, s13, 0xfffffee8
	s_mov_b32 s13, s28
.LBB87_45:                              ; =>This Inner Loop Header: Depth=1
	v_mov_b32_e32 v64, s12
	s_add_i32 s13, s13, -1
	s_addk_i32 s12, 0xff60
	s_cmp_gt_i32 s13, s4
	ds_load_b64 v[68:69], v35
	ds_load_2addr_b64 v[36:39], v64 offset0:14 offset1:15
	ds_load_2addr_b64 v[40:43], v64 offset0:12 offset1:13
	;; [unrolled: 1-line block ×7, first 2 shown]
	ds_load_2addr_b64 v[64:67], v64 offset1:1
	v_add_nc_u32_e32 v35, 0xffffff60, v35
	s_waitcnt lgkmcnt(7)
	v_fma_f64 v[29:30], -v[68:69], v[38:39], v[29:30]
	v_fma_f64 v[31:32], -v[68:69], v[36:37], v[31:32]
	s_waitcnt lgkmcnt(6)
	v_fma_f64 v[27:28], -v[68:69], v[42:43], v[27:28]
	v_fma_f64 v[25:26], -v[68:69], v[40:41], v[25:26]
	s_waitcnt lgkmcnt(5)
	v_fma_f64 v[23:24], -v[68:69], v[46:47], v[23:24]
	v_fma_f64 v[21:22], -v[68:69], v[44:45], v[21:22]
	s_waitcnt lgkmcnt(4)
	v_fma_f64 v[19:20], -v[68:69], v[50:51], v[19:20]
	v_fma_f64 v[17:18], -v[68:69], v[48:49], v[17:18]
	s_waitcnt lgkmcnt(3)
	v_fma_f64 v[15:16], -v[68:69], v[54:55], v[15:16]
	v_fma_f64 v[13:14], -v[68:69], v[52:53], v[13:14]
	s_waitcnt lgkmcnt(2)
	v_fma_f64 v[11:12], -v[68:69], v[58:59], v[11:12]
	v_fma_f64 v[9:10], -v[68:69], v[56:57], v[9:10]
	s_waitcnt lgkmcnt(1)
	v_fma_f64 v[7:8], -v[68:69], v[62:63], v[7:8]
	v_fma_f64 v[5:6], -v[68:69], v[60:61], v[5:6]
	s_waitcnt lgkmcnt(0)
	v_fma_f64 v[3:4], -v[68:69], v[66:67], v[3:4]
	v_fma_f64 v[1:2], -v[68:69], v[64:65], v[1:2]
	s_cbranch_scc1 .LBB87_45
.LBB87_46:
	s_mul_i32 s12, s4, 0xa8
	s_add_i32 s24, s4, -7
	s_add_i32 s13, s12, -8
	s_delay_alu instid0(SALU_CYCLE_1)
	v_dual_mov_b32 v35, s13 :: v_dual_add_nc_u32 v34, 0xc80, v34
	s_add_i32 s13, s12, 0xffffff58
	s_add_i32 s21, s24, s9
	s_add_i32 s14, s4, -3
	s_lshl_b32 s21, s21, 3
	ds_load_2addr_b64 v[35:38], v35 offset1:1
	v_mov_b32_e32 v39, s13
	s_add_i32 s13, s14, s8
	s_add_i32 s19, s4, -5
	s_lshl_b32 s13, s13, 3
	s_add_i32 s15, s19, s8
	ds_load_b64 v[43:44], v39
	s_lshl_b32 s15, s15, 3
	s_waitcnt lgkmcnt(1)
	v_mul_f64 v[29:30], v[37:38], v[29:30]
	s_delay_alu instid0(VALU_DEP_1) | instskip(SKIP_2) | instid1(SALU_CYCLE_1)
	v_fma_f64 v[31:32], -v[29:30], v[35:36], v[31:32]
	v_mov_b32_e32 v35, s13
	s_add_i32 s13, s14, s9
	s_lshl_b32 s13, s13, 3
	ds_load_2addr_b64 v[35:38], v35 offset1:1
	v_mov_b32_e32 v39, s13
	s_sub_i32 s13, s9, 20
	s_delay_alu instid0(SALU_CYCLE_1)
	s_add_i32 s14, s14, s13
	s_add_i32 s23, s24, s13
	ds_load_2addr_b64 v[39:42], v39 offset1:1
	s_lshl_b32 s14, s14, 3
	s_lshl_b32 s23, s23, 3
	s_waitcnt lgkmcnt(1)
	v_fma_f64 v[37:38], -v[29:30], v[37:38], v[27:28]
	v_fma_f64 v[25:26], -v[29:30], v[35:36], v[25:26]
	v_mov_b32_e32 v35, s15
	s_add_i32 s15, s12, 0xfffffe08
	s_delay_alu instid0(SALU_CYCLE_1) | instskip(SKIP_1) | instid1(SALU_CYCLE_1)
	v_mov_b32_e32 v45, s15
	s_add_i32 s15, s19, s13
	s_lshl_b32 s15, s15, 3
	v_mul_f64 v[27:28], v[43:44], v[31:32]
	s_waitcnt lgkmcnt(0)
	s_delay_alu instid0(VALU_DEP_1)
	v_fma_f64 v[31:32], -v[27:28], v[41:42], v[37:38]
	v_mov_b32_e32 v41, s14
	v_fma_f64 v[25:26], -v[27:28], v[39:40], v[25:26]
	s_add_i32 s14, s19, s9
	ds_load_2addr_b64 v[35:38], v35 offset1:1
	ds_load_2addr_b64 v[41:44], v41 offset1:1
	s_lshl_b32 s14, s14, 3
	s_delay_alu instid0(SALU_CYCLE_1)
	v_dual_mov_b32 v46, s14 :: v_dual_add_nc_u32 v33, 0xc80, v33
	ds_load_b64 v[55:56], v45
	ds_load_2addr_b64 v[45:48], v46 offset1:1
	s_add_i32 s14, s24, s8
	v_mov_b32_e32 v39, s15
	s_lshl_b32 s14, s14, 3
	s_waitcnt lgkmcnt(3)
	v_fma_f64 v[37:38], -v[29:30], v[37:38], v[23:24]
	v_fma_f64 v[21:22], -v[29:30], v[35:36], v[21:22]
	v_mov_b32_e32 v35, s14
	s_sub_i32 s14, s9, 40
	s_delay_alu instid0(SALU_CYCLE_1) | instskip(NEXT) | instid1(SALU_CYCLE_1)
	s_add_i32 s15, s19, s14
	s_lshl_b32 s15, s15, 3
	s_waitcnt lgkmcnt(2)
	v_mul_f64 v[23:24], v[43:44], v[31:32]
	v_dual_mov_b32 v43, s15 :: v_dual_mov_b32 v44, s21
	s_add_i32 s21, s4, -9
	s_sub_i32 s15, s9, 60
	s_add_i32 s22, s21, s8
	s_add_i32 s19, s19, s15
	s_lshl_b32 s22, s22, 3
	s_lshl_b32 s19, s19, 3
	s_add_i32 s25, s21, s13
	s_delay_alu instid0(SALU_CYCLE_1) | instskip(SKIP_3) | instid1(VALU_DEP_4)
	s_lshl_b32 s25, s25, 3
	s_waitcnt lgkmcnt(0)
	v_fma_f64 v[31:32], -v[27:28], v[47:48], v[37:38]
	v_fma_f64 v[21:22], -v[27:28], v[45:46], v[21:22]
	;; [unrolled: 1-line block ×3, first 2 shown]
	ds_load_2addr_b64 v[35:38], v35 offset1:1
	ds_load_2addr_b64 v[39:42], v39 offset1:1
	;; [unrolled: 1-line block ×4, first 2 shown]
	v_mov_b32_e32 v43, s19
	s_add_i32 s19, s12, 0xfffffcb8
	s_waitcnt lgkmcnt(3)
	v_fma_f64 v[37:38], -v[29:30], v[37:38], v[19:20]
	v_fma_f64 v[17:18], -v[29:30], v[35:36], v[17:18]
	v_mov_b32_e32 v35, s22
	s_add_i32 s22, s24, s14
	s_waitcnt lgkmcnt(2)
	v_fma_f64 v[31:32], -v[23:24], v[41:42], v[31:32]
	v_fma_f64 v[21:22], -v[23:24], v[39:40], v[21:22]
	v_mov_b32_e32 v39, s23
	s_add_i32 s23, s21, s9
	v_mul_f64 v[19:20], v[55:56], v[25:26]
	s_waitcnt lgkmcnt(0)
	v_fma_f64 v[25:26], -v[27:28], v[53:54], v[37:38]
	ds_load_2addr_b64 v[35:38], v35 offset1:1
	ds_load_2addr_b64 v[39:42], v39 offset1:1
	;; [unrolled: 1-line block ×3, first 2 shown]
	v_fma_f64 v[17:18], -v[27:28], v[51:52], v[17:18]
	v_fma_f64 v[31:32], -v[19:20], v[49:50], v[31:32]
	s_waitcnt lgkmcnt(2)
	v_fma_f64 v[37:38], -v[29:30], v[37:38], v[15:16]
	v_fma_f64 v[21:22], -v[19:20], v[47:48], v[21:22]
	v_mov_b32_e32 v49, s19
	s_lshl_b32 s19, s22, 3
	s_lshl_b32 s22, s23, 3
	s_delay_alu instid0(SALU_CYCLE_1)
	v_dual_mov_b32 v50, s19 :: v_dual_mov_b32 v57, s22
	ds_load_b64 v[67:68], v49
	ds_load_2addr_b64 v[53:56], v50 offset1:1
	ds_load_2addr_b64 v[57:60], v57 offset1:1
	v_fma_f64 v[13:14], -v[29:30], v[35:36], v[13:14]
	s_add_i32 s22, s4, -11
	s_add_i32 s19, s24, s15
	s_add_i32 s23, s22, s8
	s_lshl_b32 s19, s19, 3
	s_lshl_b32 s23, s23, 3
	s_add_i32 s26, s22, s9
	v_mov_b32_e32 v35, s23
	s_lshl_b32 s26, s26, 3
	s_waitcnt lgkmcnt(4)
	v_fma_f64 v[25:26], -v[23:24], v[41:42], v[25:26]
	v_mov_b32_e32 v52, s26
	v_fma_f64 v[17:18], -v[23:24], v[39:40], v[17:18]
	v_mov_b32_e32 v39, s25
	s_add_i32 s25, s21, s14
	s_add_i32 s27, s22, s13
	s_lshl_b32 s25, s25, 3
	s_lshl_b32 s27, s27, 3
	v_mov_b32_e32 v51, s25
	s_add_i32 s25, s4, -13
	s_add_i32 s31, s22, s15
	s_add_i32 s26, s25, s8
	s_add_i32 s34, s25, s13
	s_lshl_b32 s26, s26, 3
	s_lshl_b32 s34, s34, 3
	s_add_i32 s35, s25, s14
	s_waitcnt lgkmcnt(3)
	v_mul_f64 v[15:16], v[45:46], v[31:32]
	s_waitcnt lgkmcnt(0)
	v_fma_f64 v[31:32], -v[27:28], v[59:60], v[37:38]
	ds_load_2addr_b64 v[35:38], v35 offset1:1
	ds_load_2addr_b64 v[39:42], v39 offset1:1
	v_fma_f64 v[13:14], -v[27:28], v[57:58], v[13:14]
	v_fma_f64 v[25:26], -v[19:20], v[55:56], v[25:26]
	s_waitcnt lgkmcnt(1)
	v_fma_f64 v[37:38], -v[29:30], v[37:38], v[11:12]
	v_fma_f64 v[17:18], -v[19:20], v[53:54], v[17:18]
	;; [unrolled: 1-line block ×3, first 2 shown]
	v_mov_b32_e32 v35, s26
	s_add_i32 s26, s12, 0xfffffc10
	v_fma_f64 v[21:22], -v[15:16], v[43:44], v[21:22]
	v_mov_b32_e32 v43, s19
	s_waitcnt lgkmcnt(0)
	v_fma_f64 v[31:32], -v[23:24], v[41:42], v[31:32]
	s_add_i32 s19, s9, 0xffffffb0
	s_delay_alu instid0(SALU_CYCLE_1)
	s_add_i32 s23, s24, s19
	ds_load_2addr_b64 v[43:46], v43 offset1:1
	s_lshl_b32 s23, s23, 3
	s_add_i32 s33, s22, s19
	v_mov_b32_e32 v47, s23
	s_add_i32 s23, s21, s15
	ds_load_2addr_b64 v[47:50], v47 offset1:1
	ds_load_2addr_b64 v[59:62], v51 offset1:1
	;; [unrolled: 1-line block ×3, first 2 shown]
	v_fma_f64 v[13:14], -v[23:24], v[39:40], v[13:14]
	s_lshl_b32 s23, s23, 3
	v_mov_b32_e32 v39, s27
	s_add_i32 s27, s25, s9
	s_delay_alu instid0(SALU_CYCLE_1)
	s_lshl_b32 s27, s27, 3
	s_waitcnt lgkmcnt(3)
	v_fma_f64 v[25:26], -v[15:16], v[45:46], v[25:26]
	v_fma_f64 v[17:18], -v[15:16], v[43:44], v[17:18]
	v_mov_b32_e32 v43, s23
	s_add_i32 s23, s21, s19
	s_delay_alu instid0(SALU_CYCLE_1)
	s_lshl_b32 s23, s23, 3
	s_waitcnt lgkmcnt(0)
	v_fma_f64 v[9:10], -v[27:28], v[63:64], v[9:10]
	v_mul_f64 v[11:12], v[67:68], v[21:22]
	v_fma_f64 v[21:22], -v[27:28], v[65:66], v[37:38]
	v_fma_f64 v[31:32], -v[19:20], v[61:62], v[31:32]
	ds_load_2addr_b64 v[35:38], v35 offset1:1
	ds_load_2addr_b64 v[39:42], v39 offset1:1
	;; [unrolled: 1-line block ×3, first 2 shown]
	v_mov_b32_e32 v61, s27
	s_add_i32 s27, s12, 0xfffffb68
	v_fma_f64 v[13:14], -v[19:20], v[59:60], v[13:14]
	s_waitcnt lgkmcnt(2)
	v_fma_f64 v[37:38], -v[29:30], v[37:38], v[7:8]
	v_fma_f64 v[5:6], -v[29:30], v[35:36], v[5:6]
	s_waitcnt lgkmcnt(1)
	v_fma_f64 v[9:10], -v[23:24], v[39:40], v[9:10]
	v_mov_b32_e32 v39, s34
	v_fma_f64 v[25:26], -v[11:12], v[49:50], v[25:26]
	v_mov_b32_e32 v49, s26
	v_fma_f64 v[21:22], -v[23:24], v[41:42], v[21:22]
	s_waitcnt lgkmcnt(0)
	v_fma_f64 v[31:32], -v[15:16], v[45:46], v[31:32]
	v_fma_f64 v[17:18], -v[11:12], v[47:48], v[17:18]
	s_add_i32 s26, s22, s14
	ds_load_b64 v[57:58], v49
	v_mov_b32_e32 v49, s23
	s_add_i32 s23, s9, 0xffffff9c
	s_lshl_b32 s26, s26, 3
	s_add_i32 s24, s24, s23
	v_mov_b32_e32 v53, s26
	s_lshl_b32 s24, s24, 3
	ds_load_2addr_b64 v[49:52], v49 offset1:1
	ds_load_2addr_b64 v[53:56], v53 offset1:1
	;; [unrolled: 1-line block ×3, first 2 shown]
	s_add_i32 s26, s4, -15
	v_fma_f64 v[13:14], -v[15:16], v[43:44], v[13:14]
	s_add_i32 s36, s26, s8
	s_add_i32 s29, s21, s23
	s_add_i32 s4, s4, -16
	s_lshl_b32 s29, s29, 3
	ds_load_2addr_b64 v[39:42], v39 offset1:1
	s_waitcnt lgkmcnt(2)
	v_fma_f64 v[9:10], -v[19:20], v[53:54], v[9:10]
	s_waitcnt lgkmcnt(1)
	v_fma_f64 v[47:48], -v[27:28], v[67:68], v[37:38]
	v_fma_f64 v[5:6], -v[27:28], v[65:66], v[5:6]
	v_mul_f64 v[7:8], v[57:58], v[25:26]
	v_mov_b32_e32 v25, s24
	v_fma_f64 v[21:22], -v[19:20], v[55:56], v[21:22]
	v_fma_f64 v[31:32], -v[11:12], v[51:52], v[31:32]
	s_add_i32 s24, s9, 0xffffff88
	ds_load_b64 v[25:26], v25
	s_add_i32 s30, s21, s24
	v_fma_f64 v[13:14], -v[11:12], v[49:50], v[13:14]
	s_waitcnt lgkmcnt(1)
	v_fma_f64 v[5:6], -v[23:24], v[39:40], v[5:6]
	s_waitcnt lgkmcnt(0)
	v_fma_f64 v[17:18], -v[7:8], v[25:26], v[17:18]
	v_mov_b32_e32 v25, s27
	s_lshl_b32 s27, s36, 3
	s_delay_alu instid0(SALU_CYCLE_1)
	v_mov_b32_e32 v26, s27
	s_lshl_b32 s27, s31, 3
	s_lshl_b32 s31, s35, 3
	v_mov_b32_e32 v43, s27
	s_add_i32 s27, s26, s9
	ds_load_2addr_b64 v[35:38], v26 offset1:1
	s_lshl_b32 s27, s27, 3
	v_mov_b32_e32 v63, s31
	ds_load_2addr_b64 v[43:46], v43 offset1:1
	v_mov_b32_e32 v26, s29
	ds_load_2addr_b64 v[55:58], v26 offset1:1
	ds_load_b64 v[25:26], v25
	s_lshl_b32 s29, s30, 3
	s_lshl_b32 s30, s33, 3
	s_delay_alu instid0(SALU_CYCLE_1)
	v_dual_mov_b32 v51, s29 :: v_dual_mov_b32 v52, s30
	v_mov_b32_e32 v64, s27
	ds_load_2addr_b64 v[59:62], v51 offset1:1
	ds_load_2addr_b64 v[67:70], v52 offset1:1
	;; [unrolled: 1-line block ×4, first 2 shown]
	s_add_i32 s29, s26, s13
	s_add_i32 s30, s25, s15
	s_waitcnt lgkmcnt(7)
	v_fma_f64 v[3:4], -v[29:30], v[37:38], v[3:4]
	v_fma_f64 v[37:38], -v[23:24], v[41:42], v[47:48]
	s_lshl_b32 s29, s29, 3
	s_waitcnt lgkmcnt(6)
	v_fma_f64 v[21:22], -v[15:16], v[45:46], v[21:22]
	v_fma_f64 v[9:10], -v[15:16], v[43:44], v[9:10]
	s_add_i32 s27, s22, s23
	s_lshl_b32 s30, s30, 3
	s_lshl_b32 s27, s27, 3
	s_waitcnt lgkmcnt(5)
	v_fma_f64 v[31:32], -v[7:8], v[57:58], v[31:32]
	s_waitcnt lgkmcnt(4)
	v_mul_f64 v[17:18], v[25:26], v[17:18]
	v_fma_f64 v[13:14], -v[7:8], v[55:56], v[13:14]
	v_fma_f64 v[55:56], -v[29:30], v[35:36], v[1:2]
	v_mov_b32_e32 v1, s29
	s_add_i32 s29, s12, 0xfffffac0
	v_mov_b32_e32 v35, s30
	v_mov_b32_e32 v43, s29
	v_mov_b32_e32 v39, s27
	s_waitcnt lgkmcnt(1)
	v_fma_f64 v[5:6], -v[19:20], v[71:72], v[5:6]
	s_add_i32 s27, s22, s24
	s_add_i32 s29, s25, s19
	s_lshl_b32 s27, s27, 3
	s_add_i32 s30, s26, s14
	s_lshl_b32 s29, s29, 3
	s_lshl_b32 s30, s30, 3
	v_mov_b32_e32 v47, s29
	v_mov_b32_e32 v51, s30
	s_add_i32 s30, s26, s15
	s_add_i32 s31, s25, s23
	s_lshl_b32 s30, s30, 3
	s_lshl_b32 s31, s31, 3
	s_waitcnt lgkmcnt(0)
	v_fma_f64 v[25:26], -v[27:28], v[77:78], v[3:4]
	v_fma_f64 v[57:58], -v[19:20], v[73:74], v[37:38]
	ds_load_2addr_b64 v[1:4], v1 offset1:1
	v_fma_f64 v[21:22], -v[11:12], v[69:70], v[21:22]
	ds_load_2addr_b64 v[35:38], v35 offset1:1
	ds_load_2addr_b64 v[39:42], v39 offset1:1
	v_fma_f64 v[9:10], -v[11:12], v[67:68], v[9:10]
	v_fma_f64 v[31:32], -v[17:18], v[61:62], v[31:32]
	ds_load_b64 v[61:62], v43
	v_fma_f64 v[13:14], -v[17:18], v[59:60], v[13:14]
	v_mov_b32_e32 v43, s27
	s_add_i32 s27, s9, 0xffffff74
	ds_load_2addr_b64 v[43:46], v43 offset1:1
	ds_load_2addr_b64 v[47:50], v47 offset1:1
	;; [unrolled: 1-line block ×3, first 2 shown]
	s_add_i32 s21, s21, s27
	s_add_i32 s29, s22, s27
	s_lshl_b32 s21, s21, 3
	s_lshl_b32 s29, s29, 3
	s_addk_i32 s9, 0xff60
	s_waitcnt lgkmcnt(5)
	v_fma_f64 v[5:6], -v[15:16], v[35:36], v[5:6]
	v_mov_b32_e32 v35, s31
	v_fma_f64 v[3:4], -v[23:24], v[3:4], v[25:26]
	v_fma_f64 v[25:26], -v[15:16], v[37:38], v[57:58]
	v_fma_f64 v[37:38], -v[27:28], v[75:76], v[55:56]
	s_waitcnt lgkmcnt(4)
	v_fma_f64 v[21:22], -v[7:8], v[41:42], v[21:22]
	v_mov_b32_e32 v41, s21
	v_fma_f64 v[9:10], -v[7:8], v[39:40], v[9:10]
	s_add_i32 s21, s12, 0xfffffa18
	v_mov_b32_e32 v39, s29
	s_add_i32 s29, s25, s24
	s_waitcnt lgkmcnt(3)
	v_mul_f64 v[31:32], v[61:62], v[31:32]
	ds_load_b64 v[41:42], v41
	s_lshl_b32 s29, s29, 3
	s_delay_alu instid0(SALU_CYCLE_1) | instskip(SKIP_1) | instid1(SALU_CYCLE_1)
	v_mov_b32_e32 v57, s29
	s_add_i32 s29, s26, s23
	s_lshl_b32 s29, s29, 3
	s_waitcnt lgkmcnt(2)
	v_fma_f64 v[5:6], -v[11:12], v[47:48], v[5:6]
	s_waitcnt lgkmcnt(1)
	v_fma_f64 v[65:66], -v[19:20], v[53:54], v[3:4]
	v_fma_f64 v[25:26], -v[11:12], v[49:50], v[25:26]
	v_mov_b32_e32 v49, s21
	v_fma_f64 v[21:22], -v[17:18], v[45:46], v[21:22]
	v_fma_f64 v[45:46], -v[23:24], v[1:2], v[37:38]
	v_mov_b32_e32 v1, s30
	ds_load_2addr_b64 v[1:4], v1 offset1:1
	ds_load_2addr_b64 v[35:38], v35 offset1:1
	s_waitcnt lgkmcnt(2)
	v_fma_f64 v[13:14], -v[31:32], v[41:42], v[13:14]
	ds_load_2addr_b64 v[39:42], v39 offset1:1
	ds_load_b64 v[49:50], v49
	v_fma_f64 v[9:10], -v[17:18], v[43:44], v[9:10]
	s_add_i32 s21, s22, s9
	s_add_i32 s30, s26, s19
	s_lshl_b32 s21, s21, 3
	s_lshl_b32 s30, s30, 3
	v_mov_b32_e32 v53, s21
	v_mov_b32_e32 v61, s30
	ds_load_2addr_b64 v[53:56], v53 offset1:1
	ds_load_2addr_b64 v[57:60], v57 offset1:1
	;; [unrolled: 1-line block ×3, first 2 shown]
	s_add_i32 s21, s8, 0xffffff38
	s_add_i32 s30, s25, s27
	;; [unrolled: 1-line block ×3, first 2 shown]
	s_lshl_b32 s30, s30, 3
	s_lshl_b32 s22, s22, 3
	s_waitcnt lgkmcnt(5)
	v_fma_f64 v[5:6], -v[7:8], v[35:36], v[5:6]
	v_mov_b32_e32 v35, s30
	s_add_i32 s30, s26, s24
	v_fma_f64 v[3:4], -v[15:16], v[3:4], v[65:66]
	v_fma_f64 v[25:26], -v[7:8], v[37:38], v[25:26]
	s_waitcnt lgkmcnt(4)
	v_fma_f64 v[21:22], -v[31:32], v[41:42], v[21:22]
	v_fma_f64 v[37:38], -v[19:20], v[51:52], v[45:46]
	s_waitcnt lgkmcnt(3)
	v_mul_f64 v[13:14], v[49:50], v[13:14]
	v_fma_f64 v[9:10], -v[31:32], v[39:40], v[9:10]
	v_mov_b32_e32 v39, s22
	s_add_i32 s22, s12, 0xfffff8c8
	s_delay_alu instid0(SALU_CYCLE_1)
	v_mov_b32_e32 v43, s22
	s_waitcnt lgkmcnt(1)
	v_fma_f64 v[5:6], -v[17:18], v[57:58], v[5:6]
	s_waitcnt lgkmcnt(0)
	v_fma_f64 v[51:52], -v[11:12], v[63:64], v[3:4]
	v_fma_f64 v[25:26], -v[17:18], v[59:60], v[25:26]
	;; [unrolled: 1-line block ×4, first 2 shown]
	v_mov_b32_e32 v1, s29
	ds_load_2addr_b64 v[1:4], v1 offset1:1
	ds_load_2addr_b64 v[35:38], v35 offset1:1
	;; [unrolled: 1-line block ×3, first 2 shown]
	v_fma_f64 v[9:10], -v[13:14], v[53:54], v[9:10]
	s_add_i32 s29, s25, s9
	s_delay_alu instid0(SALU_CYCLE_1) | instskip(SKIP_1) | instid1(SALU_CYCLE_1)
	s_lshl_b32 s22, s29, 3
	s_lshl_b32 s29, s30, 3
	v_dual_mov_b32 v44, s22 :: v_dual_mov_b32 v47, s29
	ds_load_b64 v[59:60], v43
	ds_load_2addr_b64 v[43:46], v44 offset1:1
	ds_load_2addr_b64 v[47:50], v47 offset1:1
	s_add_i32 s22, s26, s27
	s_add_i32 s29, s25, s21
	s_lshl_b32 s22, s22, 3
	s_lshl_b32 s29, s29, 3
	s_add_i32 s30, s26, s9
	s_delay_alu instid0(SALU_CYCLE_1)
	s_lshl_b32 s30, s30, 3
	s_waitcnt lgkmcnt(4)
	v_fma_f64 v[5:6], -v[31:32], v[35:36], v[5:6]
	v_fma_f64 v[3:4], -v[7:8], v[3:4], v[51:52]
	v_fma_f64 v[25:26], -v[31:32], v[37:38], v[25:26]
	v_mov_b32_e32 v35, s29
	s_waitcnt lgkmcnt(3)
	v_mul_f64 v[21:22], v[41:42], v[21:22]
	v_fma_f64 v[37:38], -v[11:12], v[61:62], v[55:56]
	s_waitcnt lgkmcnt(1)
	v_fma_f64 v[5:6], -v[13:14], v[43:44], v[5:6]
	s_waitcnt lgkmcnt(0)
	v_fma_f64 v[53:54], -v[17:18], v[49:50], v[3:4]
	v_fma_f64 v[25:26], -v[13:14], v[45:46], v[25:26]
	v_mov_b32_e32 v49, s30
	s_add_i32 s30, s26, s21
	s_delay_alu instid0(SALU_CYCLE_1)
	s_lshl_b32 s30, s30, 3
	v_fma_f64 v[9:10], -v[21:22], v[39:40], v[9:10]
	v_fma_f64 v[45:46], -v[7:8], v[1:2], v[37:38]
	v_mov_b32_e32 v1, s22
	ds_load_2addr_b64 v[1:4], v1 offset1:1
	ds_load_2addr_b64 v[35:38], v35 offset1:1
	s_add_i32 s22, s8, 0xffffff24
	s_delay_alu instid0(SALU_CYCLE_1) | instskip(NEXT) | instid1(SALU_CYCLE_1)
	s_add_i32 s29, s25, s22
	s_lshl_b32 s29, s29, 3
	s_delay_alu instid0(SALU_CYCLE_1) | instskip(SKIP_3) | instid1(SALU_CYCLE_1)
	v_mov_b32_e32 v39, s29
	ds_load_2addr_b64 v[39:42], v39 offset1:1
	ds_load_2addr_b64 v[49:52], v49 offset1:1
	s_add_i32 s29, s8, 0xffffff10
	s_add_i32 s25, s25, s29
	s_delay_alu instid0(SALU_CYCLE_1)
	s_lshl_b32 s25, s25, 3
	s_waitcnt lgkmcnt(3)
	v_fma_f64 v[3:4], -v[31:32], v[3:4], v[53:54]
	s_waitcnt lgkmcnt(2)
	v_fma_f64 v[25:26], -v[21:22], v[37:38], v[25:26]
	v_fma_f64 v[5:6], -v[21:22], v[35:36], v[5:6]
	v_mov_b32_e32 v35, s25
	s_add_i32 s25, s26, s22
	s_delay_alu instid0(SALU_CYCLE_1) | instskip(SKIP_4) | instid1(VALU_DEP_3)
	s_lshl_b32 s25, s25, 3
	v_mul_f64 v[9:10], v[59:60], v[9:10]
	v_fma_f64 v[37:38], -v[17:18], v[47:48], v[45:46]
	s_waitcnt lgkmcnt(0)
	v_fma_f64 v[45:46], -v[13:14], v[51:52], v[3:4]
	v_fma_f64 v[25:26], -v[9:10], v[41:42], v[25:26]
	s_delay_alu instid0(VALU_DEP_3)
	v_fma_f64 v[47:48], -v[31:32], v[1:2], v[37:38]
	v_mov_b32_e32 v1, s30
	ds_load_2addr_b64 v[1:4], v1 offset1:1
	ds_load_2addr_b64 v[35:38], v35 offset1:1
	v_fma_f64 v[5:6], -v[9:10], v[39:40], v[5:6]
	s_add_i32 s30, s12, 0xfffff778
	s_delay_alu instid0(SALU_CYCLE_1)
	v_dual_mov_b32 v42, s25 :: v_dual_mov_b32 v41, s30
	ds_load_b64 v[51:52], v41
	ds_load_2addr_b64 v[41:44], v42 offset1:1
	s_add_i32 s25, s26, s29
	s_addk_i32 s12, 0xf628
	s_lshl_b32 s25, s25, 3
	s_waitcnt lgkmcnt(3)
	v_fma_f64 v[3:4], -v[21:22], v[3:4], v[45:46]
	s_waitcnt lgkmcnt(2)
	v_mul_f64 v[25:26], v[37:38], v[25:26]
	v_fma_f64 v[37:38], -v[13:14], v[49:50], v[47:48]
	s_waitcnt lgkmcnt(0)
	s_delay_alu instid0(VALU_DEP_3) | instskip(NEXT) | instid1(VALU_DEP_3)
	v_fma_f64 v[39:40], -v[9:10], v[43:44], v[3:4]
	v_fma_f64 v[5:6], -v[25:26], v[35:36], v[5:6]
	s_delay_alu instid0(VALU_DEP_3) | instskip(SKIP_2) | instid1(SALU_CYCLE_1)
	v_fma_f64 v[43:44], -v[21:22], v[1:2], v[37:38]
	v_mov_b32_e32 v1, s25
	s_add_i32 s25, s8, 0xfffffefc
	s_add_i32 s30, s26, s25
	ds_load_2addr_b64 v[1:4], v1 offset1:1
	s_lshl_b32 s30, s30, 3
	s_delay_alu instid0(SALU_CYCLE_1)
	v_mov_b32_e32 v35, s30
	s_add_i32 s30, s8, 0xfffffee8
	s_addk_i32 s8, 0xfed4
	s_add_i32 s26, s26, s30
	ds_load_2addr_b64 v[35:38], v35 offset1:1
	s_lshl_b32 s26, s26, 3
	s_waitcnt lgkmcnt(1)
	v_fma_f64 v[3:4], -v[25:26], v[3:4], v[39:40]
	v_mul_f64 v[5:6], v[51:52], v[5:6]
	v_fma_f64 v[39:40], -v[9:10], v[41:42], v[43:44]
	v_mov_b32_e32 v41, s12
	ds_load_b64 v[41:42], v41
	s_waitcnt lgkmcnt(1)
	v_fma_f64 v[37:38], -v[5:6], v[37:38], v[3:4]
	v_fma_f64 v[39:40], -v[25:26], v[1:2], v[39:40]
	v_mov_b32_e32 v1, s26
	ds_load_2addr_b64 v[1:4], v1 offset1:1
	s_waitcnt lgkmcnt(0)
	v_mul_f64 v[3:4], v[3:4], v[37:38]
	v_fma_f64 v[35:36], -v[5:6], v[35:36], v[39:40]
	s_delay_alu instid0(VALU_DEP_1)
	v_fma_f64 v[1:2], -v[3:4], v[1:2], v[35:36]
	v_add_lshl_u32 v35, s13, v0, 3
	v_add_lshl_u32 v36, s14, v0, 3
	ds_store_b64 v33, v[29:30]
	ds_store_b64 v34, v[27:28]
	ds_store_b64 v35, v[23:24] offset:3200
	ds_store_b64 v36, v[19:20] offset:3200
	v_add_lshl_u32 v19, s15, v0, 3
	v_add_lshl_u32 v20, s19, v0, 3
	;; [unrolled: 1-line block ×6, first 2 shown]
	ds_store_b64 v19, v[15:16] offset:3200
	ds_store_b64 v20, v[11:12] offset:3200
	;; [unrolled: 1-line block ×6, first 2 shown]
	v_add_lshl_u32 v7, s21, v0, 3
	v_add_lshl_u32 v13, s30, v0, 3
	;; [unrolled: 1-line block ×6, first 2 shown]
	ds_store_b64 v7, v[21:22] offset:3200
	ds_store_b64 v8, v[9:10] offset:3200
	;; [unrolled: 1-line block ×4, first 2 shown]
	v_mul_f64 v[1:2], v[41:42], v[1:2]
	ds_store_b64 v13, v[3:4] offset:3200
	ds_store_b64 v14, v[1:2] offset:3200
.LBB87_47:
	s_cmp_lt_i32 s4, 0
	s_cbranch_scc1 .LBB87_60
; %bb.48:
	s_bitcmp1_b32 s4, 0
	s_cselect_b32 s8, -1, 0
	s_delay_alu instid0(SALU_CYCLE_1)
	s_and_b32 vcc_lo, exec_lo, s8
	s_mov_b32 s8, s4
	s_cbranch_vccnz .LBB87_53
; %bb.49:
	s_mul_i32 s8, s4, 20
	s_cmp_le_i32 s28, s4
	v_add_lshl_u32 v3, s8, v0, 3
	ds_load_b64 v[1:2], v3 offset:3200
	s_cbranch_scc1 .LBB87_52
; %bb.50:
	v_lshlrev_b32_e32 v4, 3, v0
	s_mul_i32 s8, s20, 0xa0
	s_lshl_b32 s9, s4, 3
	s_delay_alu instid0(SALU_CYCLE_1) | instskip(NEXT) | instid1(VALU_DEP_1)
	s_add_i32 s9, s8, s9
	v_add3_u32 v4, s8, v4, 0xbe0
	s_add_i32 s8, s9, 0xffffff60
	s_mov_b32 s9, s28
.LBB87_51:                              ; =>This Inner Loop Header: Depth=1
	v_mov_b32_e32 v7, s8
	s_add_i32 s9, s9, -1
	s_addk_i32 s8, 0xff60
	s_cmp_gt_i32 s9, s4
	ds_load_b64 v[5:6], v4
	ds_load_b64 v[7:8], v7
	v_add_nc_u32_e32 v4, 0xffffff60, v4
	s_waitcnt lgkmcnt(0)
	v_fma_f64 v[1:2], -v[5:6], v[7:8], v[1:2]
	s_cbranch_scc1 .LBB87_51
.LBB87_52:
	s_mul_i32 s8, s4, 0xa8
	s_delay_alu instid0(SALU_CYCLE_1)
	v_dual_mov_b32 v4, s8 :: v_dual_add_nc_u32 v3, 0xc80, v3
	s_add_i32 s8, s4, -1
	ds_load_b64 v[4:5], v4
	s_waitcnt lgkmcnt(0)
	v_mul_f64 v[1:2], v[4:5], v[1:2]
	ds_store_b64 v3, v[1:2]
.LBB87_53:
	s_cmp_eq_u32 s4, 0
	s_cbranch_scc1 .LBB87_60
; %bb.54:
	v_lshlrev_b32_e32 v1, 3, v0
	s_mul_i32 s4, s20, 0xa0
	s_lshl_b32 s9, s8, 3
	s_delay_alu instid0(SALU_CYCLE_1) | instskip(NEXT) | instid1(VALU_DEP_1)
	s_add_i32 s9, s4, s9
	v_add3_u32 v5, s4, v1, 0xbe0
	s_add_i32 s4, s9, 0xffffff60
	s_addk_i32 s9, 0xff58
	s_branch .LBB87_56
.LBB87_55:                              ;   in Loop: Header=BB87_56 Depth=1
	s_addk_i32 s12, 0xff58
	s_add_i32 s4, s4, -16
	v_mov_b32_e32 v1, s12
	s_add_i32 s12, s8, -2
	s_add_i32 s9, s9, -16
	s_cmp_lt_i32 s8, 2
	s_mov_b32 s8, s12
	ds_load_b64 v[1:2], v1
	s_waitcnt lgkmcnt(0)
	v_mul_f64 v[1:2], v[1:2], v[3:4]
	ds_store_b64 v6, v[1:2]
	s_cbranch_scc1 .LBB87_60
.LBB87_56:                              ; =>This Loop Header: Depth=1
                                        ;     Child Loop BB87_57 Depth 2
                                        ;     Child Loop BB87_59 Depth 2
	s_mul_i32 s12, s8, 20
	v_mov_b32_e32 v4, v5
	v_add_lshl_u32 v3, s12, v0, 3
	s_cmp_le_i32 s28, s8
	s_mov_b32 s12, s4
	s_mov_b32 s13, s28
	ds_load_b64 v[1:2], v3 offset:3200
	s_cbranch_scc1 .LBB87_58
.LBB87_57:                              ;   Parent Loop BB87_56 Depth=1
                                        ; =>  This Inner Loop Header: Depth=2
	v_mov_b32_e32 v8, s12
	s_add_i32 s13, s13, -1
	s_addk_i32 s12, 0xff60
	s_cmp_gt_i32 s13, s8
	ds_load_b64 v[6:7], v4
	ds_load_b64 v[8:9], v8
	v_add_nc_u32_e32 v4, 0xffffff60, v4
	s_waitcnt lgkmcnt(0)
	v_fma_f64 v[1:2], -v[6:7], v[8:9], v[1:2]
	s_cbranch_scc1 .LBB87_57
.LBB87_58:                              ;   in Loop: Header=BB87_56 Depth=1
	s_mul_i32 s12, s8, 0xa8
	v_add_nc_u32_e32 v7, 0xc80, v3
	v_mov_b32_e32 v3, s12
	s_cmp_lt_i32 s28, s8
	s_mov_b32 s13, s9
	s_mov_b32 s14, s20
	v_add_nc_u32_e32 v6, 0xffffff60, v7
	ds_load_b64 v[8:9], v3
	ds_load_b64 v[3:4], v6
	s_waitcnt lgkmcnt(1)
	v_mul_f64 v[8:9], v[8:9], v[1:2]
	v_mov_b32_e32 v1, v5
	ds_store_b64 v7, v[8:9]
	s_cbranch_scc1 .LBB87_55
.LBB87_59:                              ;   Parent Loop BB87_56 Depth=1
                                        ; =>  This Inner Loop Header: Depth=2
	v_mov_b32_e32 v2, s13
	s_add_i32 s14, s14, -1
	s_addk_i32 s13, 0xff60
	s_cmp_gt_i32 s14, s8
	ds_load_b64 v[7:8], v1
	ds_load_b64 v[9:10], v2
	v_add_nc_u32_e32 v1, 0xffffff60, v1
	s_waitcnt lgkmcnt(0)
	v_fma_f64 v[3:4], -v[7:8], v[9:10], v[3:4]
	s_cbranch_scc1 .LBB87_59
	s_branch .LBB87_55
.LBB87_60:
	s_waitcnt vmcnt(0) lgkmcnt(0)
	s_waitcnt_vscnt null, 0x0
	; wave barrier
	s_waitcnt lgkmcnt(0)
	buffer_gl0_inv
	s_and_saveexec_b32 s4, s18
	s_cbranch_execz .LBB87_67
; %bb.61:
	s_cmp_lt_i32 s6, 8
	s_mov_b32 s4, 0
	s_cbranch_scc1 .LBB87_64
; %bb.62:
	v_mad_i64_i32 v[1:2], null, s16, v0, 0
	v_lshl_add_u32 v3, v0, 3, 0xc80
	s_lshl_b32 s4, s20, 3
	s_delay_alu instid0(VALU_DEP_2) | instskip(NEXT) | instid1(VALU_DEP_1)
	v_lshlrev_b64 v[1:2], 3, v[1:2]
	v_add_co_u32 v1, vcc_lo, s5, v1
	s_delay_alu instid0(VALU_DEP_2)
	v_add_co_ci_u32_e32 v2, vcc_lo, s7, v2, vcc_lo
	s_and_b32 s5, s4, 0xc0
	s_mov_b32 s4, 0
	s_mov_b64 s[6:7], 0
	.p2align	6
.LBB87_63:                              ; =>This Inner Loop Header: Depth=1
	ds_load_2addr_b64 v[4:7], v3 offset1:20
	ds_load_2addr_b64 v[8:11], v3 offset0:40 offset1:60
	ds_load_2addr_b64 v[12:15], v3 offset0:80 offset1:100
	ds_load_2addr_b64 v[16:19], v3 offset0:120 offset1:140
	v_add_co_u32 v20, vcc_lo, v1, s6
	v_add_co_ci_u32_e32 v21, vcc_lo, s7, v2, vcc_lo
	s_add_i32 s4, s4, 8
	v_add_nc_u32_e32 v3, 0x500, v3
	s_add_u32 s6, s6, 64
	s_addc_u32 s7, s7, 0
	s_cmp_lg_u32 s5, s6
	s_waitcnt lgkmcnt(3)
	global_store_b128 v[20:21], v[4:7], off
	s_waitcnt lgkmcnt(2)
	global_store_b128 v[20:21], v[8:11], off offset:16
	s_waitcnt lgkmcnt(1)
	global_store_b128 v[20:21], v[12:15], off offset:32
	;; [unrolled: 2-line block ×3, first 2 shown]
	s_cbranch_scc1 .LBB87_63
.LBB87_64:
	s_and_b32 s6, s20, 7
	s_mov_b32 s5, 0
	s_cmp_eq_u32 s6, 0
	s_cbranch_scc1 .LBB87_67
; %bb.65:
	v_lshlrev_b32_e32 v2, 3, v0
	s_lshl_b64 s[8:9], s[10:11], 3
	s_lshl_b64 s[10:11], s[4:5], 3
	s_delay_alu instid0(SALU_CYCLE_1) | instskip(NEXT) | instid1(VALU_DEP_1)
	s_add_u32 s2, s2, s10
	v_add_co_u32 v3, s5, s8, v2
	s_delay_alu instid0(VALU_DEP_1) | instskip(SKIP_3) | instid1(VALU_DEP_1)
	v_add_co_ci_u32_e64 v4, null, s9, 0, s5
	s_addc_u32 s3, s3, s11
	s_add_u32 s0, s2, s0
	s_addc_u32 s1, s3, s1
	v_mul_lo_u32 v4, v4, s16
	v_mad_u64_u32 v[0:1], null, v3, s16, s[0:1]
	v_mul_lo_u32 v3, v3, s17
	s_mul_i32 s0, s4, 0xa0
	s_delay_alu instid0(SALU_CYCLE_1) | instskip(NEXT) | instid1(VALU_DEP_2)
	v_add3_u32 v2, s0, v2, 0xc80
	v_add3_u32 v1, v4, v1, v3
.LBB87_66:                              ; =>This Inner Loop Header: Depth=1
	ds_load_b64 v[3:4], v2
	v_add_nc_u32_e32 v2, 0xa0, v2
	s_add_i32 s6, s6, -1
	s_delay_alu instid0(SALU_CYCLE_1)
	s_cmp_lg_u32 s6, 0
	s_waitcnt lgkmcnt(0)
	global_store_b64 v[0:1], v[3:4], off
	v_add_co_u32 v0, vcc_lo, v0, 8
	v_add_co_ci_u32_e32 v1, vcc_lo, 0, v1, vcc_lo
	s_cbranch_scc1 .LBB87_66
.LBB87_67:
	s_nop 0
	s_sendmsg sendmsg(MSG_DEALLOC_VGPRS)
	s_endpgm
	.section	.rodata,"a",@progbits
	.p2align	6, 0x0
	.amdhsa_kernel _ZL38rocblas_trsm_small_left_device_sharedBILi20ELi20ELb0EddPKPKdPKPdEv13rocblas_fill_18rocblas_operation_17rocblas_diagonal_iiT3_T4_lilT5_lili
		.amdhsa_group_segment_fixed_size 6400
		.amdhsa_private_segment_fixed_size 0
		.amdhsa_kernarg_size 360
		.amdhsa_user_sgpr_count 14
		.amdhsa_user_sgpr_dispatch_ptr 0
		.amdhsa_user_sgpr_queue_ptr 0
		.amdhsa_user_sgpr_kernarg_segment_ptr 1
		.amdhsa_user_sgpr_dispatch_id 0
		.amdhsa_user_sgpr_private_segment_size 0
		.amdhsa_wavefront_size32 1
		.amdhsa_uses_dynamic_stack 0
		.amdhsa_enable_private_segment 0
		.amdhsa_system_sgpr_workgroup_id_x 1
		.amdhsa_system_sgpr_workgroup_id_y 0
		.amdhsa_system_sgpr_workgroup_id_z 1
		.amdhsa_system_sgpr_workgroup_info 0
		.amdhsa_system_vgpr_workitem_id 0
		.amdhsa_next_free_vgpr 110
		.amdhsa_next_free_sgpr 48
		.amdhsa_reserve_vcc 1
		.amdhsa_float_round_mode_32 0
		.amdhsa_float_round_mode_16_64 0
		.amdhsa_float_denorm_mode_32 3
		.amdhsa_float_denorm_mode_16_64 3
		.amdhsa_dx10_clamp 1
		.amdhsa_ieee_mode 1
		.amdhsa_fp16_overflow 0
		.amdhsa_workgroup_processor_mode 1
		.amdhsa_memory_ordered 1
		.amdhsa_forward_progress 0
		.amdhsa_shared_vgpr_count 0
		.amdhsa_exception_fp_ieee_invalid_op 0
		.amdhsa_exception_fp_denorm_src 0
		.amdhsa_exception_fp_ieee_div_zero 0
		.amdhsa_exception_fp_ieee_overflow 0
		.amdhsa_exception_fp_ieee_underflow 0
		.amdhsa_exception_fp_ieee_inexact 0
		.amdhsa_exception_int_div_zero 0
	.end_amdhsa_kernel
	.section	.text._ZL38rocblas_trsm_small_left_device_sharedBILi20ELi20ELb0EddPKPKdPKPdEv13rocblas_fill_18rocblas_operation_17rocblas_diagonal_iiT3_T4_lilT5_lili,"axG",@progbits,_ZL38rocblas_trsm_small_left_device_sharedBILi20ELi20ELb0EddPKPKdPKPdEv13rocblas_fill_18rocblas_operation_17rocblas_diagonal_iiT3_T4_lilT5_lili,comdat
.Lfunc_end87:
	.size	_ZL38rocblas_trsm_small_left_device_sharedBILi20ELi20ELb0EddPKPKdPKPdEv13rocblas_fill_18rocblas_operation_17rocblas_diagonal_iiT3_T4_lilT5_lili, .Lfunc_end87-_ZL38rocblas_trsm_small_left_device_sharedBILi20ELi20ELb0EddPKPKdPKPdEv13rocblas_fill_18rocblas_operation_17rocblas_diagonal_iiT3_T4_lilT5_lili
                                        ; -- End function
	.section	.AMDGPU.csdata,"",@progbits
; Kernel info:
; codeLenInByte = 17516
; NumSgprs: 50
; NumVgprs: 110
; ScratchSize: 0
; MemoryBound: 0
; FloatMode: 240
; IeeeMode: 1
; LDSByteSize: 6400 bytes/workgroup (compile time only)
; SGPRBlocks: 6
; VGPRBlocks: 13
; NumSGPRsForWavesPerEU: 50
; NumVGPRsForWavesPerEU: 110
; Occupancy: 5
; WaveLimiterHint : 1
; COMPUTE_PGM_RSRC2:SCRATCH_EN: 0
; COMPUTE_PGM_RSRC2:USER_SGPR: 14
; COMPUTE_PGM_RSRC2:TRAP_HANDLER: 0
; COMPUTE_PGM_RSRC2:TGID_X_EN: 1
; COMPUTE_PGM_RSRC2:TGID_Y_EN: 0
; COMPUTE_PGM_RSRC2:TGID_Z_EN: 1
; COMPUTE_PGM_RSRC2:TIDIG_COMP_CNT: 0
	.section	.text._ZL30rocblas_trsm_small_left_deviceILi20ELi20ELb0EddPKPKdPKPdEv13rocblas_fill_18rocblas_operation_17rocblas_diagonal_iiT3_T4_lilT5_lili,"axG",@progbits,_ZL30rocblas_trsm_small_left_deviceILi20ELi20ELb0EddPKPKdPKPdEv13rocblas_fill_18rocblas_operation_17rocblas_diagonal_iiT3_T4_lilT5_lili,comdat
	.globl	_ZL30rocblas_trsm_small_left_deviceILi20ELi20ELb0EddPKPKdPKPdEv13rocblas_fill_18rocblas_operation_17rocblas_diagonal_iiT3_T4_lilT5_lili ; -- Begin function _ZL30rocblas_trsm_small_left_deviceILi20ELi20ELb0EddPKPKdPKPdEv13rocblas_fill_18rocblas_operation_17rocblas_diagonal_iiT3_T4_lilT5_lili
	.p2align	8
	.type	_ZL30rocblas_trsm_small_left_deviceILi20ELi20ELb0EddPKPKdPKPdEv13rocblas_fill_18rocblas_operation_17rocblas_diagonal_iiT3_T4_lilT5_lili,@function
_ZL30rocblas_trsm_small_left_deviceILi20ELi20ELb0EddPKPKdPKPdEv13rocblas_fill_18rocblas_operation_17rocblas_diagonal_iiT3_T4_lilT5_lili: ; @_ZL30rocblas_trsm_small_left_deviceILi20ELi20ELb0EddPKPKdPKPdEv13rocblas_fill_18rocblas_operation_17rocblas_diagonal_iiT3_T4_lilT5_lili
; %bb.0:
	s_load_b128 s[16:19], s[0:1], 0x40
	s_mov_b32 s2, s15
	s_mov_b32 s3, 0
	s_clause 0x1
	s_load_b128 s[8:11], s[0:1], 0x4
	s_load_b64 s[20:21], s[0:1], 0x28
	s_lshl_b64 s[24:25], s[2:3], 3
	s_waitcnt lgkmcnt(0)
	s_add_u32 s12, s16, s24
	s_addc_u32 s13, s17, s25
	s_load_b128 s[4:7], s[0:1], 0x18
	s_load_b64 s[16:17], s[12:13], 0x0
	s_min_i32 s2, s10, 20
	s_mov_b32 s13, exec_lo
	s_add_i32 s12, s2, -1
	v_cmpx_gt_i32_e64 s2, v0
	s_cbranch_execz .LBB88_10
; %bb.1:
	s_load_b32 s22, s[0:1], 0x30
	v_lshlrev_b32_e32 v3, 3, v0
	s_waitcnt lgkmcnt(0)
	s_ashr_i32 s23, s22, 31
	s_add_u32 s6, s6, s24
	s_addc_u32 s7, s7, s25
	s_cmp_lt_u32 s12, 3
	s_load_b64 s[6:7], s[6:7], 0x0
	s_cbranch_scc1 .LBB88_4
; %bb.2:
	s_lshl_b64 s[24:25], s[20:21], 3
	v_mov_b32_e32 v4, v3
	s_waitcnt lgkmcnt(0)
	s_add_u32 s3, s6, s24
	s_addc_u32 s15, s7, s25
	v_add_co_u32 v1, s3, s3, v3
	s_delay_alu instid0(VALU_DEP_1)
	v_add_co_ci_u32_e64 v2, null, s15, 0, s3
	s_and_b32 s3, s2, -4
	s_mul_hi_i32 s15, s22, 24
	s_mul_i32 s30, s22, 24
	s_lshl_b64 s[24:25], s[22:23], 5
	s_lshl_b64 s[26:27], s[22:23], 4
	;; [unrolled: 1-line block ×3, first 2 shown]
	s_mov_b32 s31, 0
	.p2align	6
.LBB88_3:                               ; =>This Inner Loop Header: Depth=1
	v_add_co_u32 v5, vcc_lo, v1, s28
	v_add_co_ci_u32_e32 v6, vcc_lo, s29, v2, vcc_lo
	v_add_co_u32 v7, vcc_lo, v1, s26
	v_add_co_ci_u32_e32 v8, vcc_lo, s27, v2, vcc_lo
	;; [unrolled: 2-line block ×3, first 2 shown]
	s_clause 0x3
	global_load_b64 v[11:12], v[1:2], off
	global_load_b64 v[5:6], v[5:6], off
	;; [unrolled: 1-line block ×4, first 2 shown]
	v_add_co_u32 v1, vcc_lo, v1, s24
	v_add_co_ci_u32_e32 v2, vcc_lo, s25, v2, vcc_lo
	s_add_i32 s31, s31, 4
	s_waitcnt vmcnt(2)
	ds_store_2addr_b64 v4, v[11:12], v[5:6] offset1:20
	s_waitcnt vmcnt(0)
	ds_store_2addr_b64 v4, v[7:8], v[9:10] offset0:40 offset1:60
	v_add_nc_u32_e32 v4, 0x280, v4
	s_cmp_eq_u32 s3, s31
	s_cbranch_scc0 .LBB88_3
.LBB88_4:
	s_and_b32 s15, s2, 3
	s_delay_alu instid0(SALU_CYCLE_1)
	s_cmp_eq_u32 s15, 0
	s_cbranch_scc1 .LBB88_7
; %bb.5:
	s_mul_i32 s24, s23, s3
	s_mul_hi_u32 s25, s22, s3
	s_lshl_b64 s[20:21], s[20:21], 3
	s_add_i32 s25, s25, s24
	s_mul_i32 s24, s22, s3
	s_mulk_i32 s3, 0xa0
	s_lshl_b64 s[24:25], s[24:25], 3
	v_lshl_add_u32 v4, v0, 3, s3
	s_add_u32 s3, s24, s20
	s_addc_u32 s20, s25, s21
	s_waitcnt lgkmcnt(0)
	s_add_u32 s3, s6, s3
	s_addc_u32 s6, s7, s20
	v_add_co_u32 v1, s3, s3, v3
	s_delay_alu instid0(VALU_DEP_1)
	v_add_co_ci_u32_e64 v2, null, s6, 0, s3
	s_lshl_b64 s[6:7], s[22:23], 3
.LBB88_6:                               ; =>This Inner Loop Header: Depth=1
	global_load_b64 v[5:6], v[1:2], off
	v_add_co_u32 v1, vcc_lo, v1, s6
	v_add_co_ci_u32_e32 v2, vcc_lo, s7, v2, vcc_lo
	s_add_i32 s15, s15, -1
	s_delay_alu instid0(SALU_CYCLE_1)
	s_cmp_lg_u32 s15, 0
	s_waitcnt vmcnt(0)
	ds_store_b64 v4, v[5:6]
	v_add_nc_u32_e32 v4, 0xa0, v4
	s_cbranch_scc1 .LBB88_6
.LBB88_7:
	v_mul_u32_u24_e32 v3, 21, v0
	v_mov_b32_e32 v1, 0
	v_mov_b32_e32 v2, 0x3ff00000
	s_cmpk_lg_i32 s9, 0x84
	s_delay_alu instid0(VALU_DEP_3)
	v_lshlrev_b32_e32 v3, 3, v3
	s_cbranch_scc0 .LBB88_9
; %bb.8:
	ds_load_b64 v[1:2], v3
	s_waitcnt lgkmcnt(0)
	v_div_scale_f64 v[4:5], null, v[1:2], v[1:2], 1.0
	s_delay_alu instid0(VALU_DEP_1) | instskip(SKIP_2) | instid1(VALU_DEP_1)
	v_rcp_f64_e32 v[6:7], v[4:5]
	s_waitcnt_depctr 0xfff
	v_fma_f64 v[8:9], -v[4:5], v[6:7], 1.0
	v_fma_f64 v[6:7], v[6:7], v[8:9], v[6:7]
	s_delay_alu instid0(VALU_DEP_1) | instskip(NEXT) | instid1(VALU_DEP_1)
	v_fma_f64 v[8:9], -v[4:5], v[6:7], 1.0
	v_fma_f64 v[6:7], v[6:7], v[8:9], v[6:7]
	v_div_scale_f64 v[8:9], vcc_lo, 1.0, v[1:2], 1.0
	s_delay_alu instid0(VALU_DEP_1) | instskip(NEXT) | instid1(VALU_DEP_1)
	v_mul_f64 v[10:11], v[8:9], v[6:7]
	v_fma_f64 v[4:5], -v[4:5], v[10:11], v[8:9]
	s_delay_alu instid0(VALU_DEP_1) | instskip(NEXT) | instid1(VALU_DEP_1)
	v_div_fmas_f64 v[4:5], v[4:5], v[6:7], v[10:11]
	v_div_fixup_f64 v[1:2], v[4:5], v[1:2], 1.0
.LBB88_9:
	ds_store_b64 v3, v[1:2]
.LBB88_10:
	s_or_b32 exec_lo, exec_lo, s13
	s_load_b32 s3, s[0:1], 0x68
	s_waitcnt lgkmcnt(0)
	s_mul_i32 s6, s14, 0xffffffec
	s_delay_alu instid0(SALU_CYCLE_1) | instskip(SKIP_2) | instid1(SALU_CYCLE_1)
	s_add_i32 s6, s6, s11
	; wave barrier
	buffer_gl0_inv
	s_add_i32 s3, s3, -1
	s_cmp_ge_u32 s14, s3
	s_cselect_b32 s3, s6, 20
	s_delay_alu instid0(SALU_CYCLE_1)
	v_cmp_gt_i32_e32 vcc_lo, s3, v0
	s_mov_b32 s3, -1
	s_and_saveexec_b32 s6, vcc_lo
	s_cbranch_execz .LBB88_54
; %bb.11:
	s_load_b32 s0, s[0:1], 0x50
	v_mad_u64_u32 v[1:2], null, s14, 20, v[0:1]
	s_waitcnt lgkmcnt(0)
	s_delay_alu instid0(VALU_DEP_1) | instskip(SKIP_1) | instid1(SALU_CYCLE_1)
	v_mad_i64_i32 v[2:3], null, s0, v1, 0
	s_lshl_b64 s[0:1], s[18:19], 3
	s_add_u32 s6, s16, s0
	s_addc_u32 s7, s17, s1
	s_cmpk_eq_i32 s8, 0x6f
	s_delay_alu instid0(VALU_DEP_1) | instskip(NEXT) | instid1(VALU_DEP_1)
	v_lshlrev_b64 v[42:43], 3, v[2:3]
	v_add_co_u32 v40, vcc_lo, s6, v42
	s_delay_alu instid0(VALU_DEP_2)
	v_add_co_ci_u32_e32 v41, vcc_lo, s7, v43, vcc_lo
	s_cbranch_scc1 .LBB88_32
; %bb.12:
	s_cmp_gt_i32 s10, 19
	s_mov_b32 s6, 0
	s_cselect_b32 s3, -1, 0
	s_delay_alu instid0(SALU_CYCLE_1)
	s_and_b32 vcc_lo, exec_lo, s3
	s_cbranch_vccz .LBB88_14
; %bb.13:
	s_clause 0x3
	global_load_b128 v[0:3], v[40:41], off
	global_load_b128 v[4:7], v[40:41], off offset:16
	global_load_b128 v[8:11], v[40:41], off offset:32
	;; [unrolled: 1-line block ×3, first 2 shown]
	v_mov_b32_e32 v28, 0
	global_load_b128 v[29:32], v[40:41], off offset:64
	v_add_nc_u32_e64 v39, 0x800, 0
	s_mov_b32 s6, 20
	ds_load_2addr_b64 v[20:23], v28 offset1:42
	ds_load_b128 v[12:15], v28 offset:160
	ds_load_b128 v[24:27], v28 offset:320
	;; [unrolled: 1-line block ×4, first 2 shown]
	global_load_b128 v[44:47], v[40:41], off offset:80
	ds_load_b128 v[52:55], v28 offset:640
	ds_load_b128 v[56:59], v28 offset:656
	;; [unrolled: 1-line block ×3, first 2 shown]
	s_waitcnt vmcnt(5)
	v_mul_f64 v[0:1], v[0:1], s[4:5]
	s_waitcnt lgkmcnt(7)
	s_delay_alu instid0(VALU_DEP_1) | instskip(SKIP_1) | instid1(VALU_DEP_1)
	v_mul_f64 v[0:1], v[20:21], v[0:1]
	s_waitcnt lgkmcnt(6)
	v_mul_f64 v[12:13], v[0:1], v[12:13]
	s_waitcnt lgkmcnt(5)
	v_mul_f64 v[20:21], v[0:1], v[24:25]
	s_delay_alu instid0(VALU_DEP_2) | instskip(SKIP_3) | instid1(VALU_DEP_3)
	v_fma_f64 v[2:3], v[2:3], s[4:5], -v[12:13]
	s_waitcnt lgkmcnt(4)
	v_mul_f64 v[12:13], v[0:1], v[33:34]
	s_waitcnt vmcnt(4)
	v_fma_f64 v[4:5], v[4:5], s[4:5], -v[20:21]
	s_waitcnt lgkmcnt(2)
	v_mul_f64 v[20:21], v[0:1], v[52:53]
	s_delay_alu instid0(VALU_DEP_4) | instskip(NEXT) | instid1(VALU_DEP_4)
	v_mul_f64 v[2:3], v[14:15], v[2:3]
	v_fma_f64 v[24:25], v[6:7], s[4:5], -v[12:13]
	global_load_b128 v[12:15], v[40:41], off offset:96
	s_waitcnt vmcnt(4)
	v_fma_f64 v[8:9], v[8:9], s[4:5], -v[20:21]
	v_fma_f64 v[26:27], -v[2:3], v[26:27], v[4:5]
	ds_load_b128 v[4:7], v28 offset:800
	v_fma_f64 v[24:25], -v[2:3], v[35:36], v[24:25]
	v_fma_f64 v[52:53], -v[2:3], v[54:55], v[8:9]
	s_waitcnt lgkmcnt(0)
	v_mul_f64 v[33:34], v[0:1], v[4:5]
	v_mul_f64 v[4:5], v[22:23], v[26:27]
	ds_load_b128 v[20:23], v28 offset:960
	v_fma_f64 v[37:38], v[10:11], s[4:5], -v[33:34]
	ds_load_b128 v[8:11], v28 offset:1120
	s_waitcnt lgkmcnt(1)
	v_mul_f64 v[20:21], v[0:1], v[20:21]
	ds_load_b128 v[33:36], v28 offset:1136
	v_fma_f64 v[48:49], -v[4:5], v[48:49], v[24:25]
	global_load_b128 v[24:27], v[40:41], off offset:112
	s_waitcnt lgkmcnt(1)
	v_mul_f64 v[8:9], v[0:1], v[8:9]
	s_waitcnt vmcnt(4)
	v_fma_f64 v[16:17], v[16:17], s[4:5], -v[20:21]
	v_fma_f64 v[20:21], -v[2:3], v[6:7], v[37:38]
	v_fma_f64 v[37:38], -v[4:5], v[56:57], v[52:53]
	v_mul_f64 v[6:7], v[50:51], v[48:49]
	ds_load_b128 v[48:51], v28 offset:1280
	ds_load_b128 v[52:55], v28 offset:1296
	v_fma_f64 v[8:9], v[18:19], s[4:5], -v[8:9]
	s_waitcnt lgkmcnt(1)
	v_mul_f64 v[48:49], v[0:1], v[48:49]
	v_fma_f64 v[76:77], -v[2:3], v[22:23], v[16:17]
	v_fma_f64 v[60:61], -v[4:5], v[60:61], v[20:21]
	global_load_b128 v[16:19], v[40:41], off offset:128
	v_fma_f64 v[37:38], -v[6:7], v[58:59], v[37:38]
	ds_load_b128 v[56:59], v28 offset:1440
	ds_load_b128 v[20:23], v28 offset:976
	ds_load_2addr_b64 v[64:67], v28 offset0:84 offset1:126
	ds_load_b128 v[68:71], v28 offset:992
	ds_load_b128 v[72:75], v28 offset:1456
	v_fma_f64 v[10:11], -v[2:3], v[10:11], v[8:9]
	s_waitcnt vmcnt(4)
	v_fma_f64 v[29:30], v[29:30], s[4:5], -v[48:49]
	s_waitcnt lgkmcnt(4)
	v_mul_f64 v[56:57], v[0:1], v[56:57]
	s_waitcnt lgkmcnt(3)
	v_fma_f64 v[20:21], -v[4:5], v[20:21], v[76:77]
	v_fma_f64 v[48:49], -v[6:7], v[62:63], v[60:61]
	ds_load_b128 v[60:63], v28 offset:1600
	ds_load_b128 v[76:79], v28 offset:832
	s_waitcnt lgkmcnt(4)
	v_mul_f64 v[8:9], v[64:65], v[37:38]
	v_fma_f64 v[10:11], -v[4:5], v[33:34], v[10:11]
	s_waitcnt lgkmcnt(1)
	v_mul_f64 v[37:38], v[0:1], v[60:61]
	v_fma_f64 v[60:61], -v[2:3], v[50:51], v[29:30]
	v_fma_f64 v[56:57], v[31:32], s[4:5], -v[56:57]
	ds_load_b128 v[29:32], v28 offset:1760
	v_fma_f64 v[33:34], -v[6:7], v[22:23], v[20:21]
	global_load_b128 v[20:23], v[40:41], off offset:144
	s_waitcnt lgkmcnt(1)
	v_fma_f64 v[64:65], -v[8:9], v[76:77], v[48:49]
	ds_load_b128 v[48:51], v28 offset:1776
	s_waitcnt lgkmcnt(1)
	v_mul_f64 v[29:30], v[0:1], v[29:30]
	s_waitcnt vmcnt(4)
	v_fma_f64 v[37:38], v[44:45], s[4:5], -v[37:38]
	v_fma_f64 v[52:53], -v[4:5], v[52:53], v[60:61]
	v_fma_f64 v[44:45], -v[2:3], v[58:59], v[56:57]
	;; [unrolled: 1-line block ×4, first 2 shown]
	v_mul_f64 v[10:11], v[78:79], v[64:65]
	ds_load_b128 v[33:36], v28 offset:1920
	ds_load_b128 v[56:59], v28 offset:1152
	;; [unrolled: 1-line block ×4, first 2 shown]
	v_fma_f64 v[29:30], v[46:47], s[4:5], -v[29:30]
	v_fma_f64 v[37:38], -v[2:3], v[62:63], v[37:38]
	s_waitcnt lgkmcnt(3)
	v_mul_f64 v[33:34], v[0:1], v[33:34]
	v_fma_f64 v[64:65], -v[4:5], v[72:73], v[44:45]
	v_fma_f64 v[72:73], -v[6:7], v[54:55], v[52:53]
	s_waitcnt lgkmcnt(2)
	v_fma_f64 v[56:57], -v[8:9], v[56:57], v[60:61]
	v_fma_f64 v[92:93], -v[10:11], v[70:71], v[68:69]
	ds_load_b128 v[44:47], v28 offset:2080
	ds_load_b128 v[52:55], v28 offset:1616
	ds_load_b128 v[60:63], v28 offset:1312
	ds_load_b128 v[68:71], v28 offset:1328
	ds_load_b128 v[84:87], v28 offset:1632
	ds_load_b128 v[88:91], v28 offset:2096
	v_fma_f64 v[94:95], -v[2:3], v[31:32], v[29:30]
	s_waitcnt lgkmcnt(5)
	v_mul_f64 v[44:45], v[0:1], v[44:45]
	s_waitcnt lgkmcnt(4)
	v_fma_f64 v[37:38], -v[4:5], v[52:53], v[37:38]
	s_waitcnt vmcnt(3)
	v_fma_f64 v[33:34], v[12:13], s[4:5], -v[33:34]
	v_fma_f64 v[52:53], -v[6:7], v[74:75], v[64:65]
	s_waitcnt lgkmcnt(3)
	v_fma_f64 v[60:61], -v[8:9], v[60:61], v[72:73]
	v_fma_f64 v[72:73], -v[10:11], v[58:59], v[56:57]
	v_mul_f64 v[12:13], v[66:67], v[92:93]
	ds_load_b128 v[29:32], v28 offset:2240
	ds_load_b128 v[56:59], v28 offset:1472
	;; [unrolled: 1-line block ×3, first 2 shown]
	v_fma_f64 v[48:49], -v[4:5], v[48:49], v[94:95]
	v_fma_f64 v[14:15], v[14:15], s[4:5], -v[44:45]
	v_fma_f64 v[37:38], -v[6:7], v[54:55], v[37:38]
	v_fma_f64 v[44:45], -v[2:3], v[35:36], v[33:34]
	s_waitcnt lgkmcnt(2)
	v_mul_f64 v[29:30], v[0:1], v[29:30]
	s_waitcnt lgkmcnt(1)
	v_fma_f64 v[56:57], -v[8:9], v[56:57], v[52:53]
	v_fma_f64 v[60:61], -v[10:11], v[62:63], v[60:61]
	ds_load_b128 v[33:36], v28 offset:2400
	ds_load_b128 v[52:55], v28 offset:2416
	v_fma_f64 v[62:63], -v[12:13], v[76:77], v[72:73]
	s_waitcnt lgkmcnt(1)
	v_mul_f64 v[33:34], v[0:1], v[33:34]
	v_fma_f64 v[74:75], -v[6:7], v[50:51], v[48:49]
	v_fma_f64 v[37:38], -v[8:9], v[84:85], v[37:38]
	;; [unrolled: 1-line block ×3, first 2 shown]
	s_waitcnt vmcnt(2)
	v_fma_f64 v[24:25], v[24:25], s[4:5], -v[29:30]
	v_fma_f64 v[29:30], -v[2:3], v[46:47], v[14:15]
	v_fma_f64 v[76:77], -v[10:11], v[58:59], v[56:57]
	;; [unrolled: 1-line block ×3, first 2 shown]
	v_mul_f64 v[14:15], v[78:79], v[62:63]
	ds_load_b128 v[44:47], v28 offset:2560
	ds_load_b128 v[48:51], v28 offset:1792
	;; [unrolled: 1-line block ×4, first 2 shown]
	v_fma_f64 v[33:34], v[26:27], s[4:5], -v[33:34]
	v_fma_f64 v[37:38], -v[10:11], v[86:87], v[37:38]
	s_waitcnt lgkmcnt(3)
	v_mul_f64 v[44:45], v[0:1], v[44:45]
	v_fma_f64 v[100:101], -v[2:3], v[31:32], v[24:25]
	v_fma_f64 v[88:89], -v[4:5], v[88:89], v[29:30]
	;; [unrolled: 1-line block ×3, first 2 shown]
	s_waitcnt lgkmcnt(2)
	v_fma_f64 v[48:49], -v[8:9], v[48:49], v[74:75]
	v_fma_f64 v[64:65], -v[12:13], v[64:65], v[76:77]
	;; [unrolled: 1-line block ×3, first 2 shown]
	ds_load_b128 v[24:27], v28 offset:2720
	ds_load_b128 v[29:32], v28 offset:2256
	;; [unrolled: 1-line block ×4, first 2 shown]
	ds_load_2addr_b64 v[76:79], v28 offset0:168 offset1:210
	ds_load_b128 v[80:83], v28 offset:1664
	ds_load_b128 v[84:87], v28 offset:1968
	;; [unrolled: 1-line block ×4, first 2 shown]
	v_fma_f64 v[106:107], -v[2:3], v[35:36], v[33:34]
	s_waitcnt lgkmcnt(8)
	v_mul_f64 v[24:25], v[0:1], v[24:25]
	s_waitcnt lgkmcnt(5)
	v_fma_f64 v[37:38], -v[12:13], v[72:73], v[37:38]
	s_waitcnt vmcnt(1)
	v_fma_f64 v[44:45], v[16:17], s[4:5], -v[44:45]
	v_fma_f64 v[29:30], -v[4:5], v[29:30], v[100:101]
	v_fma_f64 v[100:101], -v[6:7], v[90:91], v[88:89]
	;; [unrolled: 1-line block ×5, first 2 shown]
	ds_load_b128 v[33:36], v28 offset:2880
	ds_load_b128 v[48:51], v28 offset:2112
	;; [unrolled: 1-line block ×4, first 2 shown]
	s_waitcnt lgkmcnt(8)
	v_mul_f64 v[16:17], v[76:77], v[104:105]
	s_waitcnt lgkmcnt(3)
	v_mul_f64 v[33:34], v[0:1], v[33:34]
	v_fma_f64 v[52:53], -v[4:5], v[52:53], v[106:107]
	v_fma_f64 v[18:19], v[18:19], s[4:5], -v[24:25]
	v_fma_f64 v[37:38], -v[14:15], v[74:75], v[37:38]
	v_fma_f64 v[24:25], -v[2:3], v[46:47], v[44:45]
	;; [unrolled: 1-line block ×3, first 2 shown]
	s_waitcnt lgkmcnt(2)
	v_fma_f64 v[48:49], -v[8:9], v[48:49], v[100:101]
	v_fma_f64 v[68:69], -v[10:11], v[70:71], v[68:69]
	;; [unrolled: 1-line block ×3, first 2 shown]
	ds_load_b128 v[29:32], v28 offset:3040
	ds_load_b128 v[44:47], v28 offset:3056
	s_waitcnt lgkmcnt(3)
	v_fma_f64 v[64:65], -v[16:17], v[64:65], v[72:73]
	s_waitcnt vmcnt(0)
	v_fma_f64 v[20:21], v[20:21], s[4:5], -v[33:34]
	v_fma_f64 v[70:71], -v[6:7], v[54:55], v[52:53]
	s_waitcnt lgkmcnt(1)
	v_mul_f64 v[29:30], v[0:1], v[29:30]
	v_fma_f64 v[33:34], -v[2:3], v[26:27], v[18:19]
	v_fma_f64 v[37:38], -v[16:17], v[80:81], v[37:38]
	;; [unrolled: 1-line block ×7, first 2 shown]
	ds_load_b128 v[24:27], v28 offset:2432
	ds_load_b128 v[48:51], v28 offset:1824
	;; [unrolled: 1-line block ×4, first 2 shown]
	v_mul_f64 v[18:19], v[66:67], v[64:65]
	v_fma_f64 v[92:93], -v[2:3], v[35:36], v[20:21]
	s_waitcnt lgkmcnt(3)
	v_fma_f64 v[24:25], -v[8:9], v[24:25], v[70:71]
	v_fma_f64 v[29:30], v[22:23], s[4:5], -v[29:30]
	v_fma_f64 v[96:97], -v[4:5], v[96:97], v[33:34]
	v_fma_f64 v[100:101], -v[6:7], v[62:63], v[60:61]
	;; [unrolled: 1-line block ×5, first 2 shown]
	s_waitcnt lgkmcnt(2)
	v_fma_f64 v[48:49], -v[16:17], v[48:49], v[76:77]
	v_fma_f64 v[37:38], -v[18:19], v[82:83], v[37:38]
	ds_load_b128 v[20:23], v28 offset:2896
	ds_load_b128 v[33:36], v28 offset:2592
	;; [unrolled: 1-line block ×8, first 2 shown]
	v_fma_f64 v[96:97], -v[6:7], v[98:99], v[96:97]
	s_waitcnt lgkmcnt(7)
	v_fma_f64 v[92:93], -v[4:5], v[20:21], v[92:93]
	v_fma_f64 v[98:99], -v[10:11], v[26:27], v[24:25]
	s_waitcnt lgkmcnt(6)
	v_fma_f64 v[33:34], -v[8:9], v[33:34], v[100:101]
	s_waitcnt lgkmcnt(5)
	v_fma_f64 v[60:61], -v[12:13], v[60:61], v[94:95]
	v_fma_f64 v[88:89], -v[14:15], v[90:91], v[88:89]
	s_waitcnt lgkmcnt(4)
	v_fma_f64 v[64:65], -v[16:17], v[64:65], v[102:103]
	v_fma_f64 v[90:91], -v[18:19], v[50:51], v[48:49]
	v_mul_f64 v[20:21], v[78:79], v[37:38]
	v_fma_f64 v[37:38], -v[2:3], v[31:32], v[29:30]
	ds_load_b128 v[24:27], v28 offset:2752
	ds_load_b128 v[29:32], v28 offset:2144
	;; [unrolled: 1-line block ×4, first 2 shown]
	v_fma_f64 v[22:23], -v[6:7], v[22:23], v[92:93]
	v_fma_f64 v[33:34], -v[10:11], v[35:36], v[33:34]
	s_waitcnt lgkmcnt(3)
	v_fma_f64 v[24:25], -v[8:9], v[24:25], v[96:97]
	v_fma_f64 v[35:36], -v[12:13], v[56:57], v[98:99]
	;; [unrolled: 1-line block ×3, first 2 shown]
	s_waitcnt lgkmcnt(2)
	v_fma_f64 v[29:30], -v[16:17], v[29:30], v[88:89]
	v_fma_f64 v[60:61], -v[18:19], v[66:67], v[64:65]
	;; [unrolled: 1-line block ×11, first 2 shown]
	v_mul_f64 v[22:23], v[54:55], v[52:53]
	v_fma_f64 v[37:38], -v[6:7], v[46:47], v[37:38]
	ds_load_b128 v[24:27], v28 offset:2464
	ds_load_b128 v[29:32], v28 offset:3072
	;; [unrolled: 1-line block ×5, first 2 shown]
	v_fma_f64 v[84:85], -v[10:11], v[86:87], v[62:63]
	v_fma_f64 v[86:87], -v[14:15], v[82:83], v[66:67]
	s_waitcnt lgkmcnt(5)
	v_fma_f64 v[76:77], -v[12:13], v[76:77], v[64:65]
	s_waitcnt lgkmcnt(4)
	v_fma_f64 v[24:25], -v[16:17], v[24:25], v[58:59]
	v_fma_f64 v[88:89], -v[18:19], v[74:75], v[56:57]
	;; [unrolled: 1-line block ×4, first 2 shown]
	s_waitcnt lgkmcnt(3)
	v_fma_f64 v[29:30], -v[8:9], v[29:30], v[37:38]
	v_add_nc_u32_e64 v37, 0x400, 0
	ds_load_b128 v[56:59], v28 offset:2624
	ds_load_b128 v[60:63], v28 offset:2320
	ds_load_2addr_b64 v[64:67], v37 offset0:124 offset1:166
	ds_load_b128 v[68:71], v28 offset:2336
	ds_load_b128 v[72:75], v28 offset:2640
	;; [unrolled: 1-line block ×3, first 2 shown]
	s_waitcnt lgkmcnt(6)
	v_fma_f64 v[37:38], -v[12:13], v[52:53], v[84:85]
	v_fma_f64 v[52:53], -v[14:15], v[78:79], v[76:77]
	s_waitcnt lgkmcnt(5)
	v_fma_f64 v[56:57], -v[16:17], v[56:57], v[86:87]
	v_fma_f64 v[26:27], -v[18:19], v[26:27], v[24:25]
	;; [unrolled: 3-line block ×3, first 2 shown]
	s_waitcnt lgkmcnt(3)
	v_mul_f64 v[24:25], v[64:65], v[90:91]
	v_fma_f64 v[64:65], -v[10:11], v[31:32], v[29:30]
	ds_load_b128 v[29:32], v28 offset:2784
	ds_load_b128 v[48:51], v28 offset:2176
	ds_load_b128 v[76:79], v28 offset:2800
	v_fma_f64 v[37:38], -v[14:15], v[54:55], v[37:38]
	s_waitcnt lgkmcnt(2)
	v_fma_f64 v[29:30], -v[16:17], v[29:30], v[52:53]
	v_fma_f64 v[52:53], -v[18:19], v[58:59], v[56:57]
	v_fma_f64 v[26:27], -v[20:21], v[33:34], v[26:27]
	v_fma_f64 v[33:34], -v[22:23], v[62:63], v[60:61]
	s_waitcnt lgkmcnt(1)
	v_fma_f64 v[48:49], -v[24:25], v[48:49], v[84:85]
	v_fma_f64 v[44:45], -v[12:13], v[44:45], v[64:65]
	;; [unrolled: 1-line block ×7, first 2 shown]
	v_mul_f64 v[26:27], v[50:51], v[48:49]
	v_fma_f64 v[60:61], -v[14:15], v[46:47], v[44:45]
	ds_load_b128 v[29:32], v28 offset:2496
	ds_load_b128 v[33:36], v28 offset:3104
	;; [unrolled: 1-line block ×4, first 2 shown]
	v_fma_f64 v[37:38], -v[18:19], v[82:83], v[37:38]
	s_waitcnt lgkmcnt(4)
	v_fma_f64 v[64:65], -v[20:21], v[76:77], v[54:55]
	v_fma_f64 v[72:73], -v[22:23], v[74:75], v[52:53]
	s_waitcnt lgkmcnt(3)
	v_fma_f64 v[29:30], -v[24:25], v[29:30], v[56:57]
	;; [unrolled: 3-line block ×3, first 2 shown]
	ds_load_b128 v[52:55], v28 offset:2960
	ds_load_b128 v[56:59], v28 offset:2656
	;; [unrolled: 1-line block ×4, first 2 shown]
	s_waitcnt lgkmcnt(3)
	v_fma_f64 v[52:53], -v[20:21], v[52:53], v[37:38]
	v_fma_f64 v[64:65], -v[22:23], v[78:79], v[64:65]
	s_waitcnt lgkmcnt(2)
	v_fma_f64 v[56:57], -v[24:25], v[56:57], v[72:73]
	v_fma_f64 v[72:73], -v[26:27], v[31:32], v[29:30]
	v_mul_f64 v[29:30], v[66:67], v[74:75]
	v_fma_f64 v[66:67], -v[18:19], v[35:36], v[33:34]
	ds_load_b128 v[31:34], v28 offset:2816
	ds_load_b128 v[35:38], v28 offset:2832
	v_fma_f64 v[52:53], -v[22:23], v[54:55], v[52:53]
	s_waitcnt lgkmcnt(1)
	v_fma_f64 v[31:32], -v[24:25], v[31:32], v[64:65]
	v_fma_f64 v[54:55], -v[26:27], v[58:59], v[56:57]
	;; [unrolled: 1-line block ×7, first 2 shown]
	v_mul_f64 v[31:32], v[46:47], v[44:45]
	v_fma_f64 v[56:57], -v[22:23], v[50:51], v[48:49]
	ds_load_b128 v[44:47], v28 offset:3136
	ds_load_b128 v[48:51], v28 offset:3152
	v_fma_f64 v[60:61], -v[26:27], v[70:71], v[52:53]
	s_waitcnt lgkmcnt(2)
	v_fma_f64 v[64:65], -v[29:30], v[35:36], v[33:34]
	v_fma_f64 v[62:63], -v[31:32], v[62:63], v[54:55]
	s_waitcnt lgkmcnt(1)
	v_fma_f64 v[44:45], -v[24:25], v[44:45], v[56:57]
	ds_load_b128 v[33:36], v28 offset:2992
	ds_load_2addr_b64 v[52:55], v39 offset0:80 offset1:122
	ds_load_b128 v[56:59], v28 offset:3008
	s_waitcnt lgkmcnt(2)
	v_fma_f64 v[60:61], -v[29:30], v[33:34], v[60:61]
	v_fma_f64 v[37:38], -v[31:32], v[37:38], v[64:65]
	s_waitcnt lgkmcnt(1)
	v_mul_f64 v[33:34], v[52:53], v[62:63]
	v_fma_f64 v[52:53], -v[26:27], v[46:47], v[44:45]
	ds_load_b128 v[44:47], v28 offset:2848
	v_fma_f64 v[35:36], -v[31:32], v[35:36], v[60:61]
	s_waitcnt lgkmcnt(0)
	v_fma_f64 v[37:38], -v[33:34], v[44:45], v[37:38]
	v_fma_f64 v[44:45], -v[29:30], v[48:49], v[52:53]
	s_delay_alu instid0(VALU_DEP_3) | instskip(NEXT) | instid1(VALU_DEP_3)
	v_fma_f64 v[52:53], -v[33:34], v[56:57], v[35:36]
	v_mul_f64 v[35:36], v[46:47], v[37:38]
	s_delay_alu instid0(VALU_DEP_3)
	v_fma_f64 v[37:38], -v[31:32], v[50:51], v[44:45]
	ds_load_b128 v[44:47], v28 offset:3168
	ds_load_b128 v[48:51], v28 offset:3184
	s_clause 0x7
	global_store_b128 v[40:41], v[0:3], off
	global_store_b128 v[40:41], v[4:7], off offset:16
	global_store_b128 v[40:41], v[8:11], off offset:32
	;; [unrolled: 1-line block ×7, first 2 shown]
	v_fma_f64 v[52:53], -v[35:36], v[58:59], v[52:53]
	s_waitcnt lgkmcnt(1)
	v_fma_f64 v[37:38], -v[33:34], v[44:45], v[37:38]
	s_delay_alu instid0(VALU_DEP_2) | instskip(NEXT) | instid1(VALU_DEP_2)
	v_mul_f64 v[44:45], v[54:55], v[52:53]
	v_fma_f64 v[37:38], -v[35:36], v[46:47], v[37:38]
	s_waitcnt lgkmcnt(0)
	s_delay_alu instid0(VALU_DEP_1) | instskip(NEXT) | instid1(VALU_DEP_1)
	v_fma_f64 v[37:38], -v[44:45], v[48:49], v[37:38]
	v_mul_f64 v[46:47], v[50:51], v[37:38]
	s_clause 0x1
	global_store_b128 v[40:41], v[33:36], off offset:128
	global_store_b128 v[40:41], v[44:47], off offset:144
.LBB88_14:
	s_cmp_lt_i32 s6, s2
	s_cbranch_scc0 .LBB88_31
; %bb.15:
	s_add_i32 s7, s6, 15
	s_delay_alu instid0(SALU_CYCLE_1)
	s_cmp_ge_u32 s7, s2
	s_cbranch_scc1 .LBB88_20
; %bb.16:
	s_lshl_b32 s8, s6, 3
	s_delay_alu instid0(SALU_CYCLE_1)
	v_add_co_u32 v12, vcc_lo, v40, s8
	v_add_co_ci_u32_e32 v13, vcc_lo, 0, v41, vcc_lo
	s_and_not1_b32 vcc_lo, exec_lo, s3
	s_mov_b32 s3, 0
	s_clause 0x7
	global_load_b128 v[0:3], v[12:13], off
	global_load_b128 v[4:7], v[12:13], off offset:16
	global_load_b128 v[8:11], v[12:13], off offset:32
	;; [unrolled: 1-line block ×7, first 2 shown]
	s_waitcnt vmcnt(7)
	v_mul_f64 v[0:1], v[0:1], s[4:5]
	v_mul_f64 v[32:33], v[2:3], s[4:5]
	s_waitcnt vmcnt(6)
	v_mul_f64 v[2:3], v[4:5], s[4:5]
	v_mul_f64 v[30:31], v[6:7], s[4:5]
	;; [unrolled: 3-line block ×8, first 2 shown]
	s_cbranch_vccnz .LBB88_19
; %bb.17:
	v_dual_mov_b32 v34, v40 :: v_dual_mov_b32 v35, v41
	s_mul_i32 s8, s6, 0xa0
.LBB88_18:                              ; =>This Inner Loop Header: Depth=1
	global_load_b64 v[72:73], v[34:35], off
	v_mov_b32_e32 v60, s8
	v_add_nc_u32_e64 v64, 0x400, s8
	v_add_nc_u32_e64 v68, 0x800, s8
	v_add_co_u32 v34, vcc_lo, v34, 8
	ds_load_2addr_b64 v[36:39], v60 offset1:20
	ds_load_2addr_b64 v[44:47], v60 offset0:40 offset1:60
	ds_load_2addr_b64 v[48:51], v60 offset0:80 offset1:100
	;; [unrolled: 1-line block ×7, first 2 shown]
	v_add_co_ci_u32_e32 v35, vcc_lo, 0, v35, vcc_lo
	s_add_i32 s3, s3, 1
	s_add_i32 s8, s8, 8
	s_cmp_lt_u32 s3, s6
	s_waitcnt vmcnt(0) lgkmcnt(7)
	v_fma_f64 v[0:1], -v[72:73], v[36:37], v[0:1]
	v_fma_f64 v[32:33], -v[72:73], v[38:39], v[32:33]
	s_waitcnt lgkmcnt(6)
	v_fma_f64 v[2:3], -v[72:73], v[44:45], v[2:3]
	v_fma_f64 v[30:31], -v[72:73], v[46:47], v[30:31]
	s_waitcnt lgkmcnt(5)
	;; [unrolled: 3-line block ×7, first 2 shown]
	v_fma_f64 v[16:17], -v[72:73], v[68:69], v[16:17]
	v_fma_f64 v[14:15], -v[72:73], v[70:71], v[14:15]
	s_cbranch_scc1 .LBB88_18
.LBB88_19:
	s_or_b32 s8, s6, 1
	s_mul_i32 s3, s6, 0xa8
	s_mul_i32 s8, s8, 20
	;; [unrolled: 1-line block ×3, first 2 shown]
	s_add_i32 s8, s8, s6
	s_add_i32 s7, s7, s6
	s_lshl_b32 s8, s8, 3
	s_delay_alu instid0(SALU_CYCLE_1)
	v_dual_mov_b32 v35, s3 :: v_dual_mov_b32 v34, s8
	s_add_i32 s8, s6, 14
	s_lshl_b32 s7, s7, 3
	s_mul_i32 s8, s8, 20
	ds_load_2addr_b64 v[36:39], v35 offset1:42
	ds_load_b128 v[44:47], v34
	ds_load_b128 v[48:51], v34 offset:160
	s_add_i32 s8, s8, s6
	s_add_i32 s6, s6, 16
	s_lshl_b32 s8, s8, 3
	s_delay_alu instid0(SALU_CYCLE_1) | instskip(SKIP_3) | instid1(VALU_DEP_1)
	v_mov_b32_e32 v90, s8
	s_waitcnt lgkmcnt(2)
	v_mul_f64 v[0:1], v[36:37], v[0:1]
	s_waitcnt lgkmcnt(1)
	v_fma_f64 v[32:33], -v[0:1], v[44:45], v[32:33]
	s_waitcnt lgkmcnt(0)
	v_fma_f64 v[36:37], -v[0:1], v[48:49], v[2:3]
	s_delay_alu instid0(VALU_DEP_2)
	v_mul_f64 v[2:3], v[46:47], v[32:33]
	ds_load_b128 v[44:47], v34 offset:320
	ds_load_b128 v[52:55], v34 offset:336
	s_waitcnt lgkmcnt(1)
	v_fma_f64 v[44:45], -v[0:1], v[44:45], v[30:31]
	v_fma_f64 v[36:37], -v[2:3], v[50:51], v[36:37]
	ds_load_b128 v[30:33], v34 offset:480
	ds_load_b128 v[48:51], v34 offset:496
	s_waitcnt lgkmcnt(1)
	v_fma_f64 v[30:31], -v[0:1], v[30:31], v[4:5]
	v_fma_f64 v[56:57], -v[2:3], v[46:47], v[44:45]
	v_mul_f64 v[4:5], v[38:39], v[36:37]
	ds_load_b128 v[36:39], v34 offset:640
	ds_load_b128 v[44:47], v34 offset:656
	s_waitcnt lgkmcnt(1)
	v_fma_f64 v[36:37], -v[0:1], v[36:37], v[28:29]
	v_fma_f64 v[32:33], -v[2:3], v[32:33], v[30:31]
	ds_load_2addr_b64 v[28:31], v34 offset0:100 offset1:105
	v_fma_f64 v[52:53], -v[4:5], v[52:53], v[56:57]
	s_waitcnt lgkmcnt(0)
	v_fma_f64 v[28:29], -v[0:1], v[28:29], v[6:7]
	v_fma_f64 v[56:57], -v[2:3], v[38:39], v[36:37]
	;; [unrolled: 1-line block ×3, first 2 shown]
	s_delay_alu instid0(VALU_DEP_4)
	v_mul_f64 v[6:7], v[54:55], v[52:53]
	ds_load_2addr_b64 v[36:39], v34 offset0:120 offset1:140
	ds_load_2addr_b64 v[52:55], v34 offset0:101 offset1:102
	s_waitcnt lgkmcnt(1)
	v_fma_f64 v[36:37], -v[0:1], v[36:37], v[26:27]
	s_waitcnt lgkmcnt(0)
	v_fma_f64 v[52:53], -v[2:3], v[52:53], v[28:29]
	v_fma_f64 v[44:45], -v[4:5], v[44:45], v[56:57]
	;; [unrolled: 1-line block ×4, first 2 shown]
	ds_load_2addr_b64 v[26:29], v34 offset0:121 offset1:122
	ds_load_2addr_b64 v[48:51], v35 offset0:84 offset1:126
	s_waitcnt lgkmcnt(1)
	v_fma_f64 v[26:27], -v[2:3], v[26:27], v[36:37]
	v_fma_f64 v[66:67], -v[4:5], v[54:55], v[52:53]
	;; [unrolled: 1-line block ×3, first 2 shown]
	ds_load_2addr_b64 v[36:39], v34 offset0:147 offset1:160
	ds_load_2addr_b64 v[44:47], v34 offset0:141 offset1:142
	;; [unrolled: 1-line block ×3, first 2 shown]
	ds_load_b128 v[56:59], v34 offset:672
	ds_load_2addr_b64 v[60:63], v34 offset0:143 offset1:144
	s_waitcnt lgkmcnt(5)
	v_mul_f64 v[8:9], v[48:49], v[32:33]
	s_waitcnt lgkmcnt(4)
	v_fma_f64 v[32:33], -v[0:1], v[38:39], v[24:25]
	s_waitcnt lgkmcnt(3)
	v_fma_f64 v[38:39], -v[2:3], v[44:45], v[64:65]
	v_fma_f64 v[28:29], -v[4:5], v[28:29], v[26:27]
	s_waitcnt lgkmcnt(2)
	v_fma_f64 v[44:45], -v[6:7], v[52:53], v[66:67]
	s_waitcnt lgkmcnt(1)
	v_fma_f64 v[48:49], -v[8:9], v[56:57], v[68:69]
	ds_load_2addr_b64 v[24:27], v34 offset0:180 offset1:189
	ds_load_2addr_b64 v[64:67], v34 offset0:161 offset1:162
	;; [unrolled: 1-line block ×4, first 2 shown]
	v_fma_f64 v[38:39], -v[4:5], v[46:47], v[38:39]
	s_waitcnt lgkmcnt(3)
	v_fma_f64 v[24:25], -v[0:1], v[24:25], v[10:11]
	s_waitcnt lgkmcnt(2)
	;; [unrolled: 2-line block ×3, first 2 shown]
	v_fma_f64 v[28:29], -v[6:7], v[68:69], v[28:29]
	v_fma_f64 v[56:57], -v[8:9], v[54:55], v[44:45]
	ds_load_2addr_b64 v[44:47], v34 offset0:200 offset1:220
	ds_load_2addr_b64 v[52:55], v34 offset0:181 offset1:182
	v_mul_f64 v[10:11], v[58:59], v[48:49]
	v_fma_f64 v[38:39], -v[6:7], v[60:61], v[38:39]
	s_waitcnt lgkmcnt(1)
	v_fma_f64 v[44:45], -v[0:1], v[44:45], v[22:23]
	v_fma_f64 v[76:77], -v[0:1], v[46:47], v[20:21]
	s_waitcnt lgkmcnt(0)
	v_fma_f64 v[48:49], -v[2:3], v[52:53], v[24:25]
	v_fma_f64 v[32:33], -v[4:5], v[66:67], v[32:33]
	;; [unrolled: 1-line block ×4, first 2 shown]
	ds_load_2addr_b64 v[22:25], v34 offset0:201 offset1:202
	ds_load_2addr_b64 v[28:31], v34 offset0:163 offset1:164
	;; [unrolled: 1-line block ×3, first 2 shown]
	v_fma_f64 v[78:79], -v[4:5], v[54:55], v[48:49]
	s_waitcnt lgkmcnt(2)
	v_fma_f64 v[22:23], -v[2:3], v[22:23], v[44:45]
	s_waitcnt lgkmcnt(1)
	v_fma_f64 v[28:29], -v[6:7], v[28:29], v[32:33]
	v_fma_f64 v[32:33], -v[8:9], v[62:63], v[38:39]
	;; [unrolled: 1-line block ×3, first 2 shown]
	v_mul_f64 v[20:21], v[50:51], v[60:61]
	ds_load_2addr_b64 v[44:47], v34 offset0:231 offset1:240
	ds_load_2addr_b64 v[48:51], v34 offset0:221 offset1:222
	;; [unrolled: 1-line block ×6, first 2 shown]
	s_waitcnt lgkmcnt(5)
	v_fma_f64 v[18:19], -v[0:1], v[46:47], v[18:19]
	s_waitcnt lgkmcnt(4)
	v_fma_f64 v[84:85], -v[2:3], v[48:49], v[76:77]
	v_fma_f64 v[86:87], -v[4:5], v[24:25], v[22:23]
	s_waitcnt lgkmcnt(3)
	v_fma_f64 v[52:53], -v[6:7], v[52:53], v[78:79]
	;; [unrolled: 3-line block ×3, first 2 shown]
	v_fma_f64 v[38:39], -v[20:21], v[74:75], v[38:39]
	ds_load_b128 v[22:25], v90
	ds_load_2addr_b64 v[28:31], v34 offset0:241 offset1:242
	ds_load_2addr_b64 v[46:49], v34 offset0:203 offset1:204
	;; [unrolled: 1-line block ×4, first 2 shown]
	ds_load_b128 v[80:83], v90 offset:16
	s_waitcnt lgkmcnt(5)
	v_fma_f64 v[60:61], -v[0:1], v[22:23], v[16:17]
	s_waitcnt lgkmcnt(4)
	v_fma_f64 v[28:29], -v[2:3], v[28:29], v[18:19]
	v_fma_f64 v[50:51], -v[4:5], v[50:51], v[84:85]
	s_waitcnt lgkmcnt(3)
	v_fma_f64 v[46:47], -v[6:7], v[46:47], v[86:87]
	v_fma_f64 v[52:53], -v[8:9], v[54:55], v[52:53]
	v_fma_f64 v[54:55], -v[10:11], v[56:57], v[88:89]
	v_fma_f64 v[32:33], -v[20:21], v[62:63], v[32:33]
	v_mov_b32_e32 v84, s7
	ds_load_b128 v[16:19], v84
	s_waitcnt lgkmcnt(3)
	v_mul_f64 v[22:23], v[72:73], v[38:39]
	v_fma_f64 v[24:25], -v[2:3], v[24:25], v[60:61]
	v_fma_f64 v[56:57], -v[4:5], v[30:31], v[28:29]
	;; [unrolled: 1-line block ×6, first 2 shown]
	s_waitcnt lgkmcnt(0)
	v_fma_f64 v[54:55], -v[0:1], v[16:17], v[14:15]
	v_fma_f64 v[32:33], -v[22:23], v[36:37], v[32:33]
	ds_load_2addr_b64 v[14:17], v34 offset0:243 offset1:244
	ds_load_2addr_b64 v[28:31], v34 offset0:167 offset1:168
	;; [unrolled: 1-line block ×3, first 2 shown]
	v_fma_f64 v[24:25], -v[4:5], v[80:81], v[24:25]
	s_waitcnt lgkmcnt(2)
	v_fma_f64 v[68:69], -v[6:7], v[14:15], v[56:57]
	v_fma_f64 v[70:71], -v[8:9], v[70:71], v[50:51]
	v_fma_f64 v[72:73], -v[10:11], v[76:77], v[46:47]
	v_fma_f64 v[66:67], -v[20:21], v[66:67], v[48:49]
	s_waitcnt lgkmcnt(1)
	v_fma_f64 v[28:29], -v[22:23], v[28:29], v[52:53]
	v_fma_f64 v[18:19], -v[2:3], v[18:19], v[54:55]
	ds_load_2addr_b64 v[46:49], v34 offset0:225 offset1:226
	ds_load_2addr_b64 v[50:53], v34 offset0:187 offset1:188
	ds_load_b128 v[54:57], v84 offset:16
	ds_load_b128 v[58:61], v84 offset:32
	ds_load_2addr_b64 v[62:65], v34 offset0:227 offset1:228
	v_mul_f64 v[14:15], v[74:75], v[32:33]
	v_fma_f64 v[24:25], -v[6:7], v[82:83], v[24:25]
	v_fma_f64 v[32:33], -v[8:9], v[16:17], v[68:69]
	s_waitcnt lgkmcnt(4)
	v_fma_f64 v[46:47], -v[10:11], v[46:47], v[70:71]
	v_fma_f64 v[78:79], -v[20:21], v[78:79], v[72:73]
	s_waitcnt lgkmcnt(3)
	v_fma_f64 v[50:51], -v[22:23], v[50:51], v[66:67]
	s_waitcnt lgkmcnt(2)
	v_fma_f64 v[54:55], -v[4:5], v[54:55], v[18:19]
	v_fma_f64 v[80:81], -v[14:15], v[30:31], v[28:29]
	ds_load_b128 v[16:19], v90 offset:32
	ds_load_2addr_b64 v[28:31], v34 offset0:207 offset1:208
	ds_load_2addr_b64 v[66:69], v35 offset0:189 offset1:210
	;; [unrolled: 1-line block ×3, first 2 shown]
	ds_load_b128 v[74:77], v90 offset:48
	s_waitcnt lgkmcnt(4)
	v_fma_f64 v[24:25], -v[8:9], v[16:17], v[24:25]
	v_fma_f64 v[32:33], -v[10:11], v[36:37], v[32:33]
	;; [unrolled: 1-line block ×3, first 2 shown]
	s_waitcnt lgkmcnt(3)
	v_fma_f64 v[28:29], -v[22:23], v[28:29], v[78:79]
	v_fma_f64 v[46:47], -v[14:15], v[52:53], v[50:51]
	;; [unrolled: 1-line block ×3, first 2 shown]
	s_waitcnt lgkmcnt(2)
	v_mul_f64 v[16:17], v[66:67], v[80:81]
	v_fma_f64 v[18:19], -v[10:11], v[18:19], v[24:25]
	v_fma_f64 v[32:33], -v[20:21], v[38:39], v[32:33]
	;; [unrolled: 1-line block ×6, first 2 shown]
	ds_load_2addr_b64 v[24:27], v34 offset0:247 offset1:248
	ds_load_2addr_b64 v[28:31], v34 offset0:249 offset1:250
	s_waitcnt lgkmcnt(2)
	v_fma_f64 v[18:19], -v[20:21], v[74:75], v[18:19]
	s_waitcnt lgkmcnt(1)
	v_fma_f64 v[32:33], -v[22:23], v[24:25], v[32:33]
	v_fma_f64 v[54:55], -v[14:15], v[64:65], v[36:37]
	v_fma_f64 v[56:57], -v[16:17], v[70:71], v[38:39]
	v_fma_f64 v[58:59], -v[10:11], v[60:61], v[48:49]
	v_mul_f64 v[24:25], v[68:69], v[46:47]
	ds_load_2addr_b64 v[36:39], v34 offset0:229 offset1:230
	ds_load_b128 v[46:49], v84 offset:48
	ds_load_b128 v[50:53], v84 offset:64
	v_fma_f64 v[18:19], -v[22:23], v[76:77], v[18:19]
	v_fma_f64 v[26:27], -v[14:15], v[26:27], v[32:33]
	s_waitcnt lgkmcnt(2)
	v_fma_f64 v[32:33], -v[16:17], v[36:37], v[54:55]
	s_waitcnt lgkmcnt(1)
	v_fma_f64 v[46:47], -v[20:21], v[46:47], v[58:59]
	v_fma_f64 v[36:37], -v[24:25], v[72:73], v[56:57]
	ds_load_b128 v[54:57], v90 offset:64
	ds_load_2addr_b64 v[58:61], v35 offset0:231 offset1:252
	ds_load_b128 v[62:65], v90 offset:80
	s_waitcnt lgkmcnt(2)
	v_fma_f64 v[18:19], -v[14:15], v[54:55], v[18:19]
	v_fma_f64 v[28:29], -v[16:17], v[28:29], v[26:27]
	;; [unrolled: 1-line block ×3, first 2 shown]
	s_waitcnt lgkmcnt(1)
	v_mul_f64 v[26:27], v[58:59], v[36:37]
	v_fma_f64 v[35:36], -v[22:23], v[48:49], v[46:47]
	v_fma_f64 v[18:19], -v[16:17], v[56:57], v[18:19]
	;; [unrolled: 1-line block ×3, first 2 shown]
	ds_load_2addr_b64 v[28:31], v34 offset0:251 offset1:252
	v_fma_f64 v[32:33], -v[26:27], v[44:45], v[32:33]
	v_fma_f64 v[35:36], -v[14:15], v[50:51], v[35:36]
	s_waitcnt lgkmcnt(1)
	v_fma_f64 v[18:19], -v[24:25], v[62:63], v[18:19]
	s_waitcnt lgkmcnt(0)
	v_fma_f64 v[44:45], -v[26:27], v[28:29], v[37:38]
	s_delay_alu instid0(VALU_DEP_4) | instskip(NEXT) | instid1(VALU_DEP_4)
	v_mul_f64 v[28:29], v[60:61], v[32:33]
	v_fma_f64 v[46:47], -v[16:17], v[52:53], v[35:36]
	ds_load_b128 v[32:35], v84 offset:80
	ds_load_b128 v[36:39], v84 offset:96
	v_fma_f64 v[18:19], -v[26:27], v[64:65], v[18:19]
	v_fma_f64 v[48:49], -v[28:29], v[30:31], v[44:45]
	s_waitcnt lgkmcnt(1)
	v_fma_f64 v[50:51], -v[24:25], v[32:33], v[46:47]
	v_add_nc_u32_e64 v44, 0x800, s3
	ds_load_b128 v[30:33], v90 offset:96
	ds_load_2addr_b64 v[44:47], v44 offset0:17 offset1:38
	s_waitcnt lgkmcnt(1)
	v_fma_f64 v[18:19], -v[28:29], v[30:31], v[18:19]
	s_waitcnt lgkmcnt(0)
	v_mul_f64 v[30:31], v[44:45], v[48:49]
	v_fma_f64 v[34:35], -v[26:27], v[34:35], v[50:51]
	s_delay_alu instid0(VALU_DEP_2) | instskip(NEXT) | instid1(VALU_DEP_2)
	v_fma_f64 v[18:19], -v[30:31], v[32:33], v[18:19]
	v_fma_f64 v[34:35], -v[28:29], v[36:37], v[34:35]
	s_delay_alu instid0(VALU_DEP_2) | instskip(NEXT) | instid1(VALU_DEP_2)
	v_mul_f64 v[32:33], v[46:47], v[18:19]
	v_fma_f64 v[18:19], -v[30:31], v[38:39], v[34:35]
	ds_load_b128 v[34:37], v84 offset:112
	s_waitcnt lgkmcnt(0)
	v_fma_f64 v[18:19], -v[32:33], v[34:35], v[18:19]
	s_delay_alu instid0(VALU_DEP_1)
	v_mul_f64 v[34:35], v[36:37], v[18:19]
	s_clause 0x7
	global_store_b128 v[12:13], v[0:3], off
	global_store_b128 v[12:13], v[4:7], off offset:16
	global_store_b128 v[12:13], v[8:11], off offset:32
	;; [unrolled: 1-line block ×7, first 2 shown]
.LBB88_20:
	s_cmp_ge_i32 s6, s2
	s_cbranch_scc1 .LBB88_31
; %bb.21:
	s_add_i32 s3, s6, -1
	s_add_u32 s7, s16, s0
	s_addc_u32 s8, s17, s1
	v_add_co_u32 v8, vcc_lo, s7, v42
	v_add_co_ci_u32_e32 v9, vcc_lo, s8, v43, vcc_lo
	s_mul_i32 s11, s6, 0xa0
	s_delay_alu instid0(VALU_DEP_2) | instskip(NEXT) | instid1(VALU_DEP_2)
	v_add_co_u32 v0, vcc_lo, v8, 56
	v_add_co_ci_u32_e32 v1, vcc_lo, 0, v9, vcc_lo
	s_mov_b32 s9, 0
	s_mov_b32 s14, s6
	;; [unrolled: 1-line block ×3, first 2 shown]
	s_branch .LBB88_23
.LBB88_22:                              ;   in Loop: Header=BB88_23 Depth=1
	s_mul_i32 s7, s6, 0xa8
	s_add_i32 s6, s6, 1
	v_mov_b32_e32 v6, s7
	s_add_i32 s13, s13, 1
	s_addk_i32 s11, 0xa0
	s_cmp_ge_i32 s6, s2
	ds_load_b64 v[6:7], v6
	s_waitcnt lgkmcnt(0)
	v_mul_f64 v[4:5], v[6:7], v[4:5]
	v_add_nc_u16 v6, s14, 1
	s_delay_alu instid0(VALU_DEP_1)
	v_readfirstlane_b32 s14, v6
	global_store_b64 v[2:3], v[4:5], off
	s_cbranch_scc1 .LBB88_31
.LBB88_23:                              ; =>This Loop Header: Depth=1
                                        ;     Child Loop BB88_26 Depth 2
                                        ;     Child Loop BB88_30 Depth 2
	s_ashr_i32 s7, s6, 31
	s_delay_alu instid0(SALU_CYCLE_1)
	s_lshl_b64 s[18:19], s[6:7], 3
	s_cmp_eq_u32 s6, 0
	v_add_co_u32 v2, vcc_lo, v40, s18
	v_add_co_ci_u32_e32 v3, vcc_lo, s19, v41, vcc_lo
	global_load_b64 v[4:5], v[2:3], off
	s_waitcnt vmcnt(0)
	v_mul_f64 v[4:5], v[4:5], s[4:5]
	s_cbranch_scc1 .LBB88_22
; %bb.24:                               ;   in Loop: Header=BB88_23 Depth=1
	s_add_i32 s7, s3, s13
	s_delay_alu instid0(SALU_CYCLE_1)
	s_cmp_lt_u32 s7, 7
	s_cbranch_scc1 .LBB88_28
; %bb.25:                               ;   in Loop: Header=BB88_23 Depth=1
	v_dual_mov_b32 v7, v1 :: v_dual_mov_b32 v6, v0
	s_and_b32 s8, s6, -8
	s_mov_b32 s7, 0
	s_mov_b32 s15, s11
	s_set_inst_prefetch_distance 0x1
	.p2align	6
.LBB88_26:                              ;   Parent Loop BB88_23 Depth=1
                                        ; =>  This Inner Loop Header: Depth=2
	s_clause 0x3
	global_load_b128 v[10:13], v[6:7], off offset:-56
	global_load_b128 v[14:17], v[6:7], off offset:-40
	;; [unrolled: 1-line block ×4, first 2 shown]
	v_mov_b32_e32 v34, s15
	v_add_co_u32 v6, vcc_lo, v6, 64
	v_add_co_ci_u32_e32 v7, vcc_lo, 0, v7, vcc_lo
	ds_load_b128 v[26:29], v34
	ds_load_b128 v[30:33], v34 offset:16
	s_add_i32 s7, s7, 8
	s_add_i32 s15, s15, 64
	s_cmp_lg_u32 s8, s7
	s_waitcnt vmcnt(3) lgkmcnt(1)
	v_fma_f64 v[4:5], -v[10:11], v[26:27], v[4:5]
	s_delay_alu instid0(VALU_DEP_1) | instskip(SKIP_1) | instid1(VALU_DEP_1)
	v_fma_f64 v[4:5], -v[12:13], v[28:29], v[4:5]
	s_waitcnt vmcnt(2) lgkmcnt(0)
	v_fma_f64 v[4:5], -v[14:15], v[30:31], v[4:5]
	s_delay_alu instid0(VALU_DEP_1) | instskip(SKIP_4) | instid1(VALU_DEP_1)
	v_fma_f64 v[4:5], -v[16:17], v[32:33], v[4:5]
	ds_load_b128 v[10:13], v34 offset:32
	ds_load_b128 v[14:17], v34 offset:48
	s_waitcnt vmcnt(1) lgkmcnt(1)
	v_fma_f64 v[4:5], -v[18:19], v[10:11], v[4:5]
	v_fma_f64 v[4:5], -v[20:21], v[12:13], v[4:5]
	s_waitcnt vmcnt(0) lgkmcnt(0)
	s_delay_alu instid0(VALU_DEP_1) | instskip(NEXT) | instid1(VALU_DEP_1)
	v_fma_f64 v[4:5], -v[22:23], v[14:15], v[4:5]
	v_fma_f64 v[4:5], -v[24:25], v[16:17], v[4:5]
	s_cbranch_scc1 .LBB88_26
; %bb.27:                               ;   in Loop: Header=BB88_23 Depth=1
	s_set_inst_prefetch_distance 0x2
	s_and_b32 s7, s6, 7
	s_delay_alu instid0(SALU_CYCLE_1)
	s_cmp_eq_u32 s7, 0
	s_cbranch_scc0 .LBB88_29
	s_branch .LBB88_22
.LBB88_28:                              ;   in Loop: Header=BB88_23 Depth=1
	s_mov_b32 s8, 0
	s_and_b32 s7, s6, 7
	s_delay_alu instid0(SALU_CYCLE_1)
	s_cmp_eq_u32 s7, 0
	s_cbranch_scc1 .LBB88_22
.LBB88_29:                              ;   in Loop: Header=BB88_23 Depth=1
	s_lshl_b64 s[18:19], s[8:9], 3
	s_and_b32 s7, s14, 7
	v_add_co_u32 v6, vcc_lo, v8, s18
	v_add_co_ci_u32_e32 v7, vcc_lo, s19, v9, vcc_lo
	s_lshl_b32 s8, s8, 3
.LBB88_30:                              ;   Parent Loop BB88_23 Depth=1
                                        ; =>  This Inner Loop Header: Depth=2
	global_load_b64 v[10:11], v[6:7], off
	s_add_i32 s15, s11, s8
	v_add_co_u32 v6, vcc_lo, v6, 8
	v_mov_b32_e32 v12, s15
	v_add_co_ci_u32_e32 v7, vcc_lo, 0, v7, vcc_lo
	s_add_i32 s7, s7, -1
	s_add_i32 s8, s8, 8
	ds_load_b64 v[12:13], v12
	s_cmp_lg_u32 s7, 0
	s_waitcnt vmcnt(0) lgkmcnt(0)
	v_fma_f64 v[4:5], -v[10:11], v[12:13], v[4:5]
	s_cbranch_scc1 .LBB88_30
	s_branch .LBB88_22
.LBB88_31:
	s_mov_b32 s3, 0
.LBB88_32:
	s_delay_alu instid0(SALU_CYCLE_1)
	s_and_b32 vcc_lo, exec_lo, s3
	s_cbranch_vccz .LBB88_54
; %bb.33:
	s_cmp_gt_i32 s10, 19
	s_mov_b32 s6, s12
	s_cbranch_scc0 .LBB88_35
; %bb.34:
	s_ashr_i32 s13, s12, 31
	s_mov_b32 s3, 0
	s_lshl_b64 s[6:7], s[12:13], 3
	s_mul_i32 s9, s12, 0xa8
	v_add_co_u32 v44, vcc_lo, v40, s6
	v_add_co_ci_u32_e32 v45, vcc_lo, s7, v41, vcc_lo
	s_lshl_b64 s[6:7], s[2:3], 3
	s_add_i32 s13, s2, -14
	v_add_co_u32 v68, vcc_lo, v40, s6
	global_load_b64 v[16:17], v[44:45], off
	v_add_co_ci_u32_e32 v69, vcc_lo, s7, v41, vcc_lo
	s_clause 0x4
	global_load_b64 v[28:29], v[68:69], off offset:-16
	global_load_b128 v[0:3], v[68:69], off offset:-32
	global_load_b128 v[8:11], v[68:69], off offset:-48
	;; [unrolled: 1-line block ×4, first 2 shown]
	s_mul_i32 s6, s12, 20
	global_load_b128 v[24:27], v[68:69], off offset:-80
	s_add_i32 s3, s2, s6
	s_add_i32 s11, s6, 0xffffff74
	s_lshl_b32 s3, s3, 3
	s_delay_alu instid0(SALU_CYCLE_1) | instskip(SKIP_4) | instid1(SALU_CYCLE_1)
	s_add_i32 s3, s3, -16
	s_waitcnt vmcnt(6)
	v_mul_f64 v[20:21], v[16:17], s[4:5]
	v_mov_b32_e32 v16, s3
	s_add_i32 s3, s9, 0xffffff58
	v_mov_b32_e32 v22, s3
	s_add_i32 s3, s2, -4
	ds_load_2addr_b64 v[16:19], v16 offset1:1
	s_add_i32 s7, s3, s6
	ds_load_b64 v[30:31], v22
	s_lshl_b32 s7, s7, 3
	s_waitcnt lgkmcnt(1)
	v_mul_f64 v[46:47], v[18:19], v[20:21]
	s_delay_alu instid0(VALU_DEP_1) | instskip(SKIP_2) | instid1(SALU_CYCLE_1)
	v_mul_f64 v[32:33], v[46:47], v[16:17]
	v_mov_b32_e32 v16, s7
	s_sub_i32 s7, s6, 20
	s_add_i32 s8, s3, s7
	ds_load_2addr_b64 v[16:19], v16 offset1:1
	s_lshl_b32 s8, s8, 3
	s_delay_alu instid0(SALU_CYCLE_1) | instskip(SKIP_1) | instid1(SALU_CYCLE_1)
	v_mov_b32_e32 v20, s8
	s_add_i32 s8, s2, -6
	s_add_i32 s10, s8, s6
	s_add_i32 s7, s8, s7
	ds_load_2addr_b64 v[20:23], v20 offset1:1
	s_lshl_b32 s10, s10, 3
	s_lshl_b32 s7, s7, 3
	s_waitcnt lgkmcnt(1)
	v_mul_f64 v[18:19], v[46:47], v[18:19]
	v_mul_f64 v[16:17], v[46:47], v[16:17]
	s_waitcnt vmcnt(5)
	v_fma_f64 v[28:29], v[28:29], s[4:5], -v[32:33]
	global_load_b128 v[32:35], v[68:69], off offset:-96
	s_waitcnt vmcnt(5)
	v_fma_f64 v[2:3], v[2:3], s[4:5], -v[18:19]
	v_mov_b32_e32 v18, s10
	v_fma_f64 v[36:37], v[0:1], s[4:5], -v[16:17]
	v_mul_f64 v[48:49], v[30:31], v[28:29]
	ds_load_2addr_b64 v[28:31], v18 offset1:1
	v_mov_b32_e32 v18, s7
	s_sub_i32 s7, s6, 40
	s_delay_alu instid0(SALU_CYCLE_1)
	s_add_i32 s3, s3, s7
	s_add_i32 s8, s8, s7
	s_lshl_b32 s3, s3, 3
	ds_load_2addr_b64 v[50:53], v18 offset1:1
	v_mov_b32_e32 v0, s3
	s_add_i32 s3, s9, 0xfffffe08
	s_lshl_b32 s7, s8, 3
	v_mov_b32_e32 v38, s3
	s_add_i32 s3, s6, 0xffffff9c
	s_add_i32 s8, s7, 0xffffff60
	;; [unrolled: 1-line block ×3, first 2 shown]
	ds_load_b64 v[56:57], v38
	global_load_b128 v[16:19], v[68:69], off offset:-112
	s_lshl_b32 s10, s10, 3
	s_waitcnt lgkmcnt(2)
	v_mul_f64 v[30:31], v[46:47], v[30:31]
	v_mul_f64 v[54:55], v[46:47], v[28:29]
	v_mov_b32_e32 v72, s10
	s_sub_i32 s10, s10, 64
	v_fma_f64 v[22:23], -v[48:49], v[22:23], v[2:3]
	ds_load_2addr_b64 v[0:3], v0 offset1:1
	v_fma_f64 v[20:21], -v[48:49], v[20:21], v[36:37]
	s_waitcnt vmcnt(5)
	v_fma_f64 v[10:11], v[10:11], s[4:5], -v[30:31]
	v_fma_f64 v[58:59], v[8:9], s[4:5], -v[54:55]
	v_mov_b32_e32 v8, s7
	ds_load_2addr_b64 v[28:31], v72 offset0:92 offset1:93
	s_addk_i32 s7, 0xfec0
	s_waitcnt lgkmcnt(0)
	v_mul_f64 v[30:31], v[46:47], v[30:31]
	v_mul_f64 v[70:71], v[46:47], v[28:29]
	v_fma_f64 v[60:61], -v[48:49], v[52:53], v[10:11]
	ds_load_2addr_b64 v[8:11], v8 offset1:1
	v_mul_f64 v[2:3], v[2:3], v[22:23]
	v_mov_b32_e32 v22, s10
	v_mov_b32_e32 v52, s8
	v_fma_f64 v[50:51], -v[48:49], v[50:51], v[58:59]
	s_add_i32 s8, s2, -10
	ds_load_2addr_b64 v[36:39], v22 offset1:1
	ds_load_2addr_b64 v[52:55], v52 offset1:1
	s_add_i32 s10, s11, s8
	s_add_i32 s8, s8, s3
	s_lshl_b32 s10, s10, 3
	s_lshl_b32 s8, s8, 3
	v_mov_b32_e32 v86, s10
	v_mov_b32_e32 v28, s8
	s_add_i32 s10, s2, -12
	s_waitcnt vmcnt(4)
	v_fma_f64 v[14:15], v[14:15], s[4:5], -v[30:31]
	v_fma_f64 v[70:71], v[12:13], s[4:5], -v[70:71]
	v_fma_f64 v[0:1], -v[2:3], v[0:1], v[20:21]
	global_load_b128 v[20:23], v[68:69], off offset:-128
	s_waitcnt lgkmcnt(2)
	v_fma_f64 v[10:11], -v[2:3], v[10:11], v[60:61]
	v_fma_f64 v[50:51], -v[2:3], v[8:9], v[50:51]
	v_mov_b32_e32 v8, s7
	s_add_i32 s7, s9, 0xfffffcb8
	s_addk_i32 s9, 0xfc10
	v_mul_f64 v[0:1], v[56:57], v[0:1]
	ds_load_2addr_b64 v[56:59], v86 offset0:140 offset1:141
	ds_load_2addr_b64 v[60:63], v72 offset0:72 offset1:73
	;; [unrolled: 1-line block ×3, first 2 shown]
	ds_load_2addr_b64 v[28:31], v28 offset1:1
	s_waitcnt lgkmcnt(3)
	v_mul_f64 v[58:59], v[46:47], v[58:59]
	s_waitcnt lgkmcnt(2)
	v_fma_f64 v[62:63], -v[48:49], v[62:63], v[14:15]
	global_load_b128 v[12:15], v[68:69], off offset:-144
	v_mov_b32_e32 v68, s7
	v_mul_f64 v[80:81], v[46:47], v[56:57]
	v_fma_f64 v[82:83], -v[48:49], v[60:61], v[70:71]
	s_add_i32 s7, s6, 0xffffff4c
	s_delay_alu instid0(SALU_CYCLE_1)
	s_add_i32 s8, s7, s10
	s_add_i32 s10, s10, s3
	s_lshl_b32 s8, s8, 3
	s_lshl_b32 s10, s10, 3
	v_mov_b32_e32 v87, s8
	s_add_i32 s8, s6, 0xffffff24
	ds_load_b64 v[78:79], v68
	s_add_i32 s14, s8, s13
	s_add_i32 s13, s13, s3
	s_lshl_b32 s14, s14, 3
	v_fma_f64 v[54:55], -v[0:1], v[54:55], v[10:11]
	ds_load_2addr_b64 v[8:11], v8 offset1:1
	v_fma_f64 v[84:85], -v[0:1], v[52:53], v[50:51]
	v_mov_b32_e32 v92, s14
	s_lshl_b32 s13, s13, 3
	s_waitcnt vmcnt(4)
	v_fma_f64 v[26:27], v[26:27], s[4:5], -v[58:59]
	s_waitcnt lgkmcnt(3)
	v_fma_f64 v[62:63], -v[2:3], v[66:67], v[62:63]
	v_fma_f64 v[24:25], v[24:25], s[4:5], -v[80:81]
	s_waitcnt lgkmcnt(0)
	v_mul_f64 v[10:11], v[10:11], v[54:55]
	ds_load_2addr_b64 v[50:53], v87 offset0:180 offset1:181
	ds_load_2addr_b64 v[54:57], v86 offset0:120 offset1:121
	;; [unrolled: 1-line block ×6, first 2 shown]
	s_waitcnt lgkmcnt(5)
	v_mul_f64 v[52:53], v[46:47], v[52:53]
	s_waitcnt lgkmcnt(4)
	v_fma_f64 v[26:27], -v[48:49], v[56:57], v[26:27]
	v_fma_f64 v[56:57], -v[2:3], v[64:65], v[82:83]
	s_waitcnt lgkmcnt(3)
	v_fma_f64 v[60:61], -v[0:1], v[60:61], v[62:63]
	v_mul_f64 v[62:63], v[46:47], v[50:51]
	v_fma_f64 v[64:65], -v[48:49], v[54:55], v[24:25]
	v_mov_b32_e32 v24, s13
	s_add_i32 s13, s2, -16
	v_fma_f64 v[8:9], -v[10:11], v[8:9], v[84:85]
	s_waitcnt vmcnt(3)
	v_fma_f64 v[34:35], v[34:35], s[4:5], -v[52:53]
	s_waitcnt lgkmcnt(1)
	v_fma_f64 v[72:73], -v[2:3], v[72:73], v[26:27]
	v_fma_f64 v[80:81], -v[0:1], v[58:59], v[56:57]
	;; [unrolled: 1-line block ×3, first 2 shown]
	ds_load_2addr_b64 v[50:53], v92 offset0:220 offset1:221
	ds_load_2addr_b64 v[54:57], v86 offset0:80 offset1:81
	v_fma_f64 v[70:71], -v[2:3], v[70:71], v[64:65]
	ds_load_2addr_b64 v[58:61], v86 offset0:60 offset1:61
	ds_load_2addr_b64 v[24:27], v24 offset1:1
	v_mul_f64 v[8:9], v[78:79], v[8:9]
	v_fma_f64 v[78:79], v[32:33], s[4:5], -v[62:63]
	v_mov_b32_e32 v62, s9
	s_add_i32 s9, s6, 0xfffffefc
	s_waitcnt lgkmcnt(3)
	v_mul_f64 v[52:53], v[46:47], v[52:53]
	s_add_i32 s14, s9, s13
	s_add_i32 s13, s13, s3
	s_lshl_b32 s20, s14, 3
	s_add_i32 s14, s2, -9
	s_add_i32 s15, s20, 0x820
	s_add_i32 s18, s3, s14
	;; [unrolled: 1-line block ×3, first 2 shown]
	v_mov_b32_e32 v93, s20
	s_lshl_b32 s11, s14, 3
	s_add_i32 s14, s2, -11
	s_lshl_b32 s13, s13, 3
	v_fma_f64 v[76:77], -v[48:49], v[76:77], v[34:35]
	s_waitcnt lgkmcnt(2)
	v_fma_f64 v[56:57], -v[0:1], v[56:57], v[72:73]
	v_fma_f64 v[66:67], -v[10:11], v[66:67], v[80:81]
	v_mul_f64 v[80:81], v[46:47], v[50:51]
	v_fma_f64 v[38:39], -v[8:9], v[38:39], v[68:69]
	ds_load_2addr_b64 v[32:35], v87 offset0:140 offset1:141
	ds_load_b64 v[68:69], v62
	v_fma_f64 v[74:75], -v[48:49], v[74:75], v[78:79]
	v_fma_f64 v[78:79], -v[0:1], v[54:55], v[70:71]
	s_waitcnt vmcnt(2)
	v_fma_f64 v[82:83], v[18:19], s[4:5], -v[52:53]
	ds_load_2addr_b64 v[62:65], v87 offset0:120 offset1:121
	s_waitcnt lgkmcnt(2)
	v_fma_f64 v[76:77], -v[2:3], v[34:35], v[76:77]
	v_fma_f64 v[60:61], -v[10:11], v[60:61], v[56:57]
	;; [unrolled: 1-line block ×3, first 2 shown]
	v_mov_b32_e32 v34, s15
	s_lshl_b32 s15, s18, 3
	v_fma_f64 v[16:17], v[16:17], s[4:5], -v[80:81]
	s_addk_i32 s15, 0xff60
	s_add_i32 s18, s3, s14
	ds_load_2addr_b64 v[34:37], v34 offset1:1
	s_lshl_b32 s18, s18, 3
	s_add_i32 s14, s14, s7
	s_add_i32 s20, s18, 0xffffff60
	s_lshl_b32 s7, s14, 3
	s_waitcnt lgkmcnt(2)
	v_mul_f64 v[18:19], v[68:69], v[38:39]
	v_mov_b32_e32 v38, s15
	ds_load_2addr_b64 v[50:53], v92 offset0:200 offset1:201
	ds_load_2addr_b64 v[54:57], v38 offset1:1
	v_mov_b32_e32 v38, s11
	ds_load_2addr_b64 v[66:69], v92 offset0:180 offset1:181
	ds_load_2addr_b64 v[70:73], v38 offset1:1
	s_waitcnt lgkmcnt(4)
	v_mul_f64 v[36:37], v[46:47], v[36:37]
	v_fma_f64 v[58:59], -v[10:11], v[58:59], v[78:79]
	v_mul_f64 v[80:81], v[46:47], v[34:35]
	s_sub_i32 s15, s2, 18
	s_add_i32 s11, s6, 0xfffffed4
	s_delay_alu instid0(SALU_CYCLE_1)
	s_add_i32 s19, s11, s15
	s_add_i32 s15, s15, s3
	s_lshl_b32 s19, s19, 3
	v_fma_f64 v[64:65], -v[0:1], v[64:65], v[76:77]
	v_fma_f64 v[60:61], -v[8:9], v[30:31], v[60:61]
	s_add_i32 s21, s19, 0x960
	s_waitcnt lgkmcnt(3)
	v_fma_f64 v[38:39], -v[48:49], v[52:53], v[82:83]
	v_fma_f64 v[52:53], -v[2:3], v[32:33], v[74:75]
	ds_load_2addr_b64 v[30:33], v87 offset0:100 offset1:101
	v_fma_f64 v[82:83], -v[48:49], v[50:51], v[16:17]
	s_waitcnt lgkmcnt(3)
	v_fma_f64 v[56:57], -v[18:19], v[56:57], v[84:85]
	v_fma_f64 v[28:29], -v[8:9], v[28:29], v[58:59]
	v_mov_b32_e32 v58, s20
	s_waitcnt vmcnt(1)
	v_fma_f64 v[22:23], v[22:23], s[4:5], -v[36:37]
	v_fma_f64 v[80:81], v[20:21], s[4:5], -v[80:81]
	s_waitcnt lgkmcnt(0)
	v_fma_f64 v[86:87], -v[10:11], v[32:33], v[64:65]
	v_fma_f64 v[88:89], -v[18:19], v[54:55], v[60:61]
	v_mov_b32_e32 v32, s21
	v_mov_b32_e32 v54, s10
	v_fma_f64 v[68:69], -v[2:3], v[68:69], v[38:39]
	v_fma_f64 v[84:85], -v[0:1], v[62:63], v[52:53]
	s_mul_i32 s10, s2, 0xa8
	ds_load_2addr_b64 v[32:35], v32 offset1:1
	ds_load_2addr_b64 v[36:39], v93 offset0:240 offset1:241
	ds_load_2addr_b64 v[50:53], v92 offset0:160 offset1:161
	v_fma_f64 v[66:67], -v[2:3], v[66:67], v[82:83]
	s_add_i32 s20, s10, 0xfffff8c8
	s_add_i32 s21, s10, 0xfffffa18
	v_mov_b32_e32 v62, s20
	s_add_i32 s20, s19, 0x8c0
	s_delay_alu instid0(SALU_CYCLE_1)
	v_mov_b32_e32 v76, s20
	s_add_i32 s20, s18, 0xfffffec0
	v_mul_f64 v[16:17], v[72:73], v[56:57]
	ds_load_2addr_b64 v[54:57], v54 offset1:1
	ds_load_2addr_b64 v[58:61], v58 offset1:1
	v_mov_b32_e32 v20, s20
	ds_load_b64 v[90:91], v62
	ds_load_2addr_b64 v[62:65], v92 offset0:140 offset1:141
	ds_load_2addr_b64 v[72:75], v93 offset0:220 offset1:221
	ds_load_2addr_b64 v[76:79], v76 offset1:1
	s_sub_i32 s20, s2, 20
	s_waitcnt lgkmcnt(8)
	v_mul_f64 v[34:35], v[46:47], v[34:35]
	s_waitcnt lgkmcnt(7)
	v_fma_f64 v[38:39], -v[48:49], v[38:39], v[22:23]
	v_fma_f64 v[80:81], -v[48:49], v[36:37], v[80:81]
	s_waitcnt lgkmcnt(5)
	v_fma_f64 v[56:57], -v[8:9], v[56:57], v[86:87]
	s_waitcnt lgkmcnt(4)
	v_fma_f64 v[60:61], -v[18:19], v[60:61], v[28:29]
	v_mov_b32_e32 v28, s21
	ds_load_2addr_b64 v[20:23], v20 offset1:1
	ds_load_b64 v[82:83], v28
	v_fma_f64 v[52:53], -v[0:1], v[52:53], v[68:69]
	v_fma_f64 v[68:69], -v[10:11], v[30:31], v[84:85]
	v_mul_f64 v[84:85], v[46:47], v[32:33]
	s_add_i32 s21, s18, 0xfffffe20
	s_add_i32 s18, s6, 0xfffffeac
	v_fma_f64 v[66:67], -v[0:1], v[50:51], v[66:67]
	s_add_i32 s6, s18, s20
	v_mov_b32_e32 v28, s21
	s_lshl_b32 s6, s6, 3
	s_add_i32 s20, s2, -13
	s_add_i32 s21, s6, 0xaa0
	v_fma_f64 v[70:71], -v[16:17], v[70:71], v[88:89]
	v_mov_b32_e32 v32, s21
	s_add_i32 s22, s3, s20
	ds_load_2addr_b64 v[28:31], v28 offset1:1
	s_lshl_b32 s21, s22, 3
	s_add_i32 s20, s20, s8
	s_add_i32 s22, s21, 0xffffff60
	s_lshl_b32 s8, s20, 3
	v_mov_b32_e32 v50, s22
	s_waitcnt vmcnt(0)
	v_fma_f64 v[86:87], v[14:15], s[4:5], -v[34:35]
	ds_load_2addr_b64 v[32:35], v32 offset1:1
	s_add_i32 s22, s21, 0xfffffec0
	s_waitcnt lgkmcnt(5)
	v_fma_f64 v[74:75], -v[2:3], v[74:75], v[38:39]
	v_fma_f64 v[72:73], -v[2:3], v[72:73], v[80:81]
	v_mov_b32_e32 v80, s19
	v_fma_f64 v[88:89], -v[18:19], v[58:59], v[56:57]
	s_waitcnt lgkmcnt(3)
	v_fma_f64 v[22:23], -v[16:17], v[22:23], v[60:61]
	v_mov_b32_e32 v58, s22
	s_add_i32 s22, s19, 0x820
	s_add_i32 s19, s6, 0xa00
	v_fma_f64 v[64:65], -v[10:11], v[64:65], v[52:53]
	v_fma_f64 v[68:69], -v[8:9], v[54:55], v[68:69]
	ds_load_2addr_b64 v[36:39], v93 offset0:200 offset1:201
	ds_load_2addr_b64 v[50:53], v50 offset1:1
	s_waitcnt lgkmcnt(2)
	v_mul_f64 v[34:35], v[46:47], v[34:35]
	v_fma_f64 v[12:13], v[12:13], s[4:5], -v[84:85]
	ds_load_2addr_b64 v[54:57], v93 offset0:180 offset1:181
	ds_load_2addr_b64 v[58:61], v58 offset1:1
	v_mul_f64 v[14:15], v[82:83], v[70:71]
	v_fma_f64 v[70:71], -v[48:49], v[78:79], v[86:87]
	s_waitcnt lgkmcnt(3)
	v_fma_f64 v[38:39], -v[0:1], v[38:39], v[74:75]
	v_fma_f64 v[74:75], -v[10:11], v[62:63], v[66:67]
	v_mov_b32_e32 v62, s7
	v_fma_f64 v[78:79], -v[16:17], v[20:21], v[88:89]
	v_mov_b32_e32 v20, s22
	v_fma_f64 v[86:87], -v[0:1], v[36:37], v[72:73]
	s_add_i32 s7, s2, -15
	s_delay_alu instid0(SALU_CYCLE_1)
	s_add_i32 s14, s3, s7
	s_add_i32 s7, s7, s9
	v_fma_f64 v[26:27], -v[8:9], v[26:27], v[64:65]
	s_waitcnt lgkmcnt(2)
	v_fma_f64 v[52:53], -v[18:19], v[52:53], v[68:69]
	s_lshl_b32 s14, s14, 3
	v_fma_f64 v[6:7], v[6:7], s[4:5], -v[34:35]
	v_fma_f64 v[82:83], -v[48:49], v[76:77], v[12:13]
	ds_load_2addr_b64 v[66:69], v80 offset0:220 offset1:221
	s_add_i32 s22, s14, 0xffffff60
	ds_load_2addr_b64 v[62:65], v62 offset1:1
	v_mov_b32_e32 v34, s22
	s_lshl_b32 s7, s7, 3
	s_add_i32 s9, s10, 0xfffff4d8
	v_fma_f64 v[30:31], -v[14:15], v[30:31], v[22:23]
	ds_load_2addr_b64 v[20:23], v20 offset1:1
	s_waitcnt lgkmcnt(4)
	v_fma_f64 v[38:39], -v[10:11], v[56:57], v[38:39]
	v_fma_f64 v[56:57], -v[8:9], v[24:25], v[74:75]
	;; [unrolled: 1-line block ×3, first 2 shown]
	s_waitcnt lgkmcnt(0)
	v_fma_f64 v[84:85], -v[2:3], v[22:23], v[70:71]
	v_mov_b32_e32 v22, s19
	s_add_i32 s19, s21, 0xfffffe20
	v_fma_f64 v[54:55], -v[10:11], v[54:55], v[86:87]
	v_fma_f64 v[88:89], -v[18:19], v[50:51], v[26:27]
	;; [unrolled: 1-line block ×3, first 2 shown]
	ds_load_2addr_b64 v[22:25], v22 offset1:1
	v_mov_b32_e32 v50, s19
	ds_load_2addr_b64 v[26:29], v80 offset0:240 offset1:241
	v_fma_f64 v[20:21], -v[2:3], v[20:21], v[82:83]
	s_add_i32 s19, s6, 0x8c0
	v_mul_f64 v[12:13], v[64:65], v[30:31]
	v_mul_f64 v[64:65], v[46:47], v[32:33]
	v_mov_b32_e32 v30, s13
	ds_load_2addr_b64 v[30:33], v30 offset1:1
	ds_load_2addr_b64 v[34:37], v34 offset1:1
	;; [unrolled: 1-line block ×3, first 2 shown]
	s_add_i32 s13, s10, 0xfffff628
	s_waitcnt lgkmcnt(4)
	v_fma_f64 v[24:25], -v[48:49], v[24:25], v[6:7]
	v_mov_b32_e32 v70, s13
	s_lshl_b32 s13, s15, 3
	s_add_i32 s15, s21, 0xfffffd80
	v_mov_b32_e32 v71, s13
	s_add_i32 s13, s6, 0x960
	v_mov_b32_e32 v74, s15
	v_mov_b32_e32 v78, s13
	ds_load_b64 v[94:95], v70
	ds_load_2addr_b64 v[70:73], v71 offset1:1
	ds_load_2addr_b64 v[74:77], v74 offset1:1
	;; [unrolled: 1-line block ×3, first 2 shown]
	s_waitcnt lgkmcnt(7)
	v_fma_f64 v[28:29], -v[0:1], v[28:29], v[84:85]
	s_add_i32 s13, s14, 0xfffffec0
	s_waitcnt lgkmcnt(6)
	v_fma_f64 v[32:33], -v[8:9], v[32:33], v[38:39]
	s_waitcnt lgkmcnt(5)
	v_fma_f64 v[56:57], -v[18:19], v[36:37], v[56:57]
	v_fma_f64 v[58:59], -v[16:17], v[58:59], v[88:89]
	s_waitcnt lgkmcnt(4)
	v_fma_f64 v[52:53], -v[14:15], v[52:53], v[60:61]
	v_fma_f64 v[82:83], -v[8:9], v[30:31], v[54:55]
	;; [unrolled: 1-line block ×3, first 2 shown]
	v_fma_f64 v[62:63], v[4:5], s[4:5], -v[64:65]
	v_mov_b32_e32 v4, s13
	s_add_i32 s13, s14, 0xfffffe20
	s_delay_alu instid0(SALU_CYCLE_1)
	v_mov_b32_e32 v36, s13
	s_sub_i32 s13, s2, 17
	ds_load_2addr_b64 v[4:7], v4 offset1:1
	s_add_i32 s15, s3, s13
	s_add_i32 s13, s13, s11
	s_lshl_b32 s15, s15, 3
	s_waitcnt lgkmcnt(1)
	v_fma_f64 v[64:65], -v[2:3], v[80:81], v[24:25]
	v_fma_f64 v[80:81], -v[0:1], v[26:27], v[20:21]
	v_mov_b32_e32 v20, s19
	s_add_i32 s19, s15, 0xffffff60
	ds_load_2addr_b64 v[36:39], v36 offset1:1
	v_mov_b32_e32 v24, s19
	s_add_i32 s19, s21, 0xfffffce0
	ds_load_2addr_b64 v[24:27], v24 offset1:1
	v_fma_f64 v[68:69], -v[10:11], v[68:69], v[28:29]
	v_mov_b32_e32 v28, s19
	s_add_i32 s19, s6, 0x820
	v_fma_f64 v[84:85], -v[18:19], v[34:35], v[32:33]
	s_waitcnt lgkmcnt(2)
	v_fma_f64 v[86:87], -v[16:17], v[6:7], v[56:57]
	v_fma_f64 v[58:59], -v[14:15], v[50:51], v[58:59]
	;; [unrolled: 1-line block ×3, first 2 shown]
	v_mov_b32_e32 v32, s8
	s_add_i32 s8, s15, 0xfffffec0
	v_mov_b32_e32 v54, s19
	v_mov_b32_e32 v50, s8
	ds_load_2addr_b64 v[28:31], v28 offset1:1
	s_add_i32 s8, s14, 0xfffffd80
	s_add_i32 s19, s15, 0xfffffe20
	v_mul_f64 v[6:7], v[90:91], v[60:61]
	v_fma_f64 v[60:61], -v[48:49], v[22:23], v[62:63]
	ds_load_2addr_b64 v[20:23], v20 offset1:1
	s_waitcnt lgkmcnt(2)
	v_fma_f64 v[26:27], -v[18:19], v[26:27], v[82:83]
	ds_load_2addr_b64 v[32:35], v32 offset1:1
	ds_load_2addr_b64 v[50:53], v50 offset1:1
	;; [unrolled: 1-line block ×3, first 2 shown]
	v_fma_f64 v[66:67], -v[10:11], v[66:67], v[80:81]
	v_mov_b32_e32 v80, s6
	s_waitcnt lgkmcnt(3)
	v_fma_f64 v[22:23], -v[0:1], v[22:23], v[64:65]
	v_fma_f64 v[68:69], -v[8:9], v[72:73], v[68:69]
	;; [unrolled: 1-line block ×5, first 2 shown]
	v_mov_b32_e32 v58, s8
	s_add_i32 s8, s14, 0xfffffce0
	s_delay_alu instid0(SALU_CYCLE_1) | instskip(SKIP_1) | instid1(SALU_CYCLE_1)
	v_mov_b32_e32 v62, s8
	s_sub_i32 s8, s2, 19
	s_add_i32 s3, s3, s8
	s_add_i32 s8, s8, s18
	ds_load_2addr_b64 v[62:65], v62 offset1:1
	v_fma_f64 v[30:31], -v[6:7], v[30:31], v[76:77]
	v_fma_f64 v[74:75], -v[2:3], v[78:79], v[60:61]
	ds_load_2addr_b64 v[58:61], v58 offset1:1
	s_waitcnt lgkmcnt(3)
	v_fma_f64 v[52:53], -v[16:17], v[52:53], v[26:27]
	s_lshl_b32 s3, s3, 3
	s_delay_alu instid0(SALU_CYCLE_1)
	s_add_i32 s20, s3, 0xffffff60
	v_fma_f64 v[66:67], -v[8:9], v[70:71], v[66:67]
	s_waitcnt lgkmcnt(2)
	v_fma_f64 v[56:57], -v[10:11], v[56:57], v[22:23]
	v_fma_f64 v[68:69], -v[18:19], v[24:25], v[68:69]
	v_mov_b32_e32 v24, s20
	s_add_i32 s20, s15, 0xfffffd80
	v_fma_f64 v[70:71], -v[14:15], v[36:37], v[4:5]
	s_waitcnt lgkmcnt(0)
	v_fma_f64 v[38:39], -v[12:13], v[60:61], v[38:39]
	v_fma_f64 v[60:61], -v[6:7], v[28:29], v[72:73]
	v_mov_b32_e32 v28, s19
	s_add_i32 s19, s10, 0xfffff388
	v_mul_f64 v[4:5], v[34:35], v[30:31]
	v_fma_f64 v[72:73], -v[0:1], v[20:21], v[74:75]
	ds_load_2addr_b64 v[20:23], v80 offset0:240 offset1:241
	ds_load_2addr_b64 v[24:27], v24 offset1:1
	ds_load_2addr_b64 v[28:31], v28 offset1:1
	v_mov_b32_e32 v34, s19
	s_add_i32 s19, s3, 0xfffffec0
	v_mov_b32_e32 v35, s20
	s_add_i32 s20, s14, 0xfffffc40
	ds_load_b64 v[74:75], v34
	ds_load_2addr_b64 v[34:37], v35 offset1:1
	s_addk_i32 s14, 0xfba0
	s_waitcnt lgkmcnt(3)
	v_fma_f64 v[26:27], -v[18:19], v[26:27], v[66:67]
	v_fma_f64 v[22:23], -v[8:9], v[22:23], v[56:57]
	;; [unrolled: 1-line block ×3, first 2 shown]
	s_waitcnt lgkmcnt(2)
	v_fma_f64 v[68:69], -v[14:15], v[30:31], v[52:53]
	v_mov_b32_e32 v30, s19
	v_fma_f64 v[70:71], -v[12:13], v[58:59], v[70:71]
	v_fma_f64 v[38:39], -v[6:7], v[64:65], v[38:39]
	s_add_i32 s19, s10, 0xfffff778
	v_mov_b32_e32 v50, s20
	v_fma_f64 v[64:65], -v[4:5], v[32:33], v[60:61]
	v_fma_f64 v[72:73], -v[10:11], v[54:55], v[72:73]
	v_mov_b32_e32 v54, s19
	ds_load_2addr_b64 v[30:33], v30 offset1:1
	ds_load_2addr_b64 v[50:53], v50 offset1:1
	ds_load_b64 v[76:77], v54
	v_mov_b32_e32 v54, s14
	s_add_i32 s14, s15, 0xfffffce0
	s_add_i32 s19, s3, 0xfffffe20
	s_delay_alu instid0(SALU_CYCLE_1)
	v_mov_b32_e32 v58, s19
	ds_load_2addr_b64 v[54:57], v54 offset1:1
	ds_load_2addr_b64 v[58:61], v58 offset1:1
	v_fma_f64 v[78:79], -v[18:19], v[24:25], v[22:23]
	s_waitcnt lgkmcnt(4)
	v_fma_f64 v[32:33], -v[16:17], v[32:33], v[26:27]
	v_fma_f64 v[28:29], -v[14:15], v[28:29], v[66:67]
	;; [unrolled: 1-line block ×4, first 2 shown]
	s_waitcnt lgkmcnt(3)
	v_fma_f64 v[52:53], -v[4:5], v[52:53], v[38:39]
	v_mov_b32_e32 v24, s14
	ds_load_2addr_b64 v[24:27], v24 offset1:1
	ds_load_2addr_b64 v[36:39], v80 offset0:200 offset1:220
	s_add_i32 s14, s15, 0xfffffc40
	s_delay_alu instid0(SALU_CYCLE_1)
	v_mov_b32_e32 v62, s14
	s_add_i32 s14, s3, 0xfffffd80
	s_waitcnt lgkmcnt(4)
	v_mul_f64 v[22:23], v[76:77], v[64:65]
	v_fma_f64 v[20:21], -v[8:9], v[20:21], v[72:73]
	ds_load_2addr_b64 v[62:65], v62 offset1:1
	v_fma_f64 v[70:71], -v[16:17], v[30:31], v[78:79]
	s_waitcnt lgkmcnt(3)
	v_fma_f64 v[60:61], -v[14:15], v[60:61], v[32:33]
	v_fma_f64 v[34:35], -v[12:13], v[34:35], v[28:29]
	s_waitcnt lgkmcnt(2)
	v_fma_f64 v[66:67], -v[6:7], v[26:27], v[66:67]
	v_fma_f64 v[68:69], -v[4:5], v[50:51], v[68:69]
	;; [unrolled: 1-line block ×3, first 2 shown]
	s_waitcnt lgkmcnt(1)
	v_fma_f64 v[38:39], -v[18:19], v[38:39], v[20:21]
	v_dual_mov_b32 v20, s14 :: v_dual_mov_b32 v21, s7
	ds_load_2addr_b64 v[26:29], v20 offset1:1
	ds_load_2addr_b64 v[30:33], v21 offset1:1
	s_add_i32 s7, s3, 0xfffffce0
	s_delay_alu instid0(SALU_CYCLE_1)
	v_mov_b32_e32 v20, s7
	s_add_i32 s7, s15, 0xfffffba0
	ds_load_2addr_b64 v[50:53], v20 offset1:1
	v_fma_f64 v[58:59], -v[14:15], v[58:59], v[70:71]
	v_fma_f64 v[24:25], -v[6:7], v[24:25], v[34:35]
	s_waitcnt lgkmcnt(2)
	v_fma_f64 v[28:29], -v[12:13], v[28:29], v[60:61]
	v_fma_f64 v[60:61], -v[4:5], v[64:65], v[66:67]
	;; [unrolled: 1-line block ×3, first 2 shown]
	s_waitcnt lgkmcnt(1)
	v_mul_f64 v[20:21], v[32:33], v[56:57]
	v_fma_f64 v[66:67], -v[16:17], v[36:37], v[38:39]
	v_mov_b32_e32 v32, s7
	ds_load_2addr_b64 v[32:35], v32 offset1:1
	ds_load_2addr_b64 v[36:39], v80 offset0:160 offset1:180
	s_add_i32 s7, s15, 0xfffffb00
	s_delay_alu instid0(SALU_CYCLE_1)
	v_mov_b32_e32 v54, s7
	s_add_i32 s7, s3, 0xfffffc40
	ds_load_2addr_b64 v[54:57], v54 offset1:1
	v_fma_f64 v[58:59], -v[12:13], v[26:27], v[58:59]
	v_fma_f64 v[62:63], -v[4:5], v[62:63], v[24:25]
	v_mov_b32_e32 v24, s7
	s_waitcnt lgkmcnt(3)
	v_fma_f64 v[52:53], -v[6:7], v[52:53], v[28:29]
	s_waitcnt lgkmcnt(2)
	v_fma_f64 v[34:35], -v[22:23], v[34:35], v[60:61]
	s_add_i32 s7, s3, 0xfffffba0
	ds_load_2addr_b64 v[24:27], v24 offset1:1
	v_mov_b32_e32 v28, s7
	s_add_i32 s7, s15, 0xfffffa60
	v_fma_f64 v[60:61], -v[20:21], v[30:31], v[64:65]
	ds_load_2addr_b64 v[28:31], v28 offset1:1
	s_waitcnt lgkmcnt(3)
	v_fma_f64 v[38:39], -v[14:15], v[38:39], v[66:67]
	v_fma_f64 v[58:59], -v[6:7], v[50:51], v[58:59]
	;; [unrolled: 1-line block ×3, first 2 shown]
	v_mov_b32_e32 v32, s7
	s_waitcnt lgkmcnt(1)
	v_fma_f64 v[64:65], -v[4:5], v[26:27], v[52:53]
	v_fma_f64 v[56:57], -v[20:21], v[56:57], v[34:35]
	s_lshl_b32 s7, s13, 3
	s_delay_alu instid0(SALU_CYCLE_1)
	v_mov_b32_e32 v50, s7
	s_add_i32 s7, s3, 0xfffffb00
	v_mul_f64 v[26:27], v[94:95], v[60:61]
	v_fma_f64 v[60:61], -v[12:13], v[36:37], v[38:39]
	ds_load_2addr_b64 v[32:35], v32 offset1:1
	ds_load_2addr_b64 v[36:39], v80 offset0:120 offset1:140
	ds_load_2addr_b64 v[50:53], v50 offset1:1
	v_fma_f64 v[24:25], -v[4:5], v[24:25], v[58:59]
	v_fma_f64 v[62:63], -v[20:21], v[54:55], v[62:63]
	v_mov_b32_e32 v54, s7
	s_waitcnt lgkmcnt(3)
	v_fma_f64 v[30:31], -v[22:23], v[30:31], v[64:65]
	s_add_i32 s7, s3, 0xfffffa60
	s_delay_alu instid0(SALU_CYCLE_1)
	v_mov_b32_e32 v58, s7
	s_add_i32 s7, s3, 0xfffff9c0
	s_addk_i32 s3, 0xf920
	s_waitcnt lgkmcnt(2)
	v_fma_f64 v[34:35], -v[26:27], v[34:35], v[56:57]
	ds_load_2addr_b64 v[54:57], v54 offset1:1
	s_waitcnt lgkmcnt(2)
	v_fma_f64 v[38:39], -v[6:7], v[38:39], v[60:61]
	ds_load_2addr_b64 v[58:61], v58 offset1:1
	v_fma_f64 v[64:65], -v[22:23], v[28:29], v[24:25]
	v_fma_f64 v[32:33], -v[26:27], v[32:33], v[62:63]
	s_waitcnt lgkmcnt(1)
	v_fma_f64 v[56:57], -v[20:21], v[56:57], v[30:31]
	ds_load_2addr_b64 v[28:31], v80 offset0:80 offset1:100
	v_mul_f64 v[24:25], v[52:53], v[34:35]
	v_fma_f64 v[34:35], -v[4:5], v[36:37], v[38:39]
	v_fma_f64 v[38:39], -v[20:21], v[54:55], v[64:65]
	s_waitcnt lgkmcnt(1)
	v_fma_f64 v[52:53], -v[26:27], v[60:61], v[56:57]
	s_delay_alu instid0(VALU_DEP_4) | instskip(SKIP_1) | instid1(VALU_DEP_4)
	v_fma_f64 v[50:51], -v[24:25], v[50:51], v[32:33]
	s_waitcnt lgkmcnt(0)
	v_fma_f64 v[54:55], -v[22:23], v[30:31], v[34:35]
	v_mov_b32_e32 v30, s7
	v_mov_b32_e32 v34, s9
	ds_load_2addr_b64 v[30:33], v30 offset1:1
	ds_load_b64 v[56:57], v34
	v_mov_b32_e32 v34, s3
	s_lshl_b32 s3, s8, 3
	ds_load_2addr_b64 v[34:37], v34 offset1:1
	v_fma_f64 v[38:39], -v[26:27], v[58:59], v[38:39]
	s_waitcnt lgkmcnt(2)
	v_fma_f64 v[58:59], -v[24:25], v[32:33], v[52:53]
	s_waitcnt lgkmcnt(1)
	v_mul_f64 v[32:33], v[56:57], v[50:51]
	ds_load_2addr_b64 v[50:53], v80 offset0:40 offset1:60
	v_fma_f64 v[28:29], -v[20:21], v[28:29], v[54:55]
	v_fma_f64 v[38:39], -v[24:25], v[30:31], v[38:39]
	s_waitcnt lgkmcnt(0)
	s_delay_alu instid0(VALU_DEP_2)
	v_fma_f64 v[52:53], -v[26:27], v[52:53], v[28:29]
	v_mov_b32_e32 v28, s3
	s_add_i32 s3, s6, 0xffffff60
	ds_load_2addr_b64 v[28:31], v28 offset1:1
	v_fma_f64 v[36:37], -v[32:33], v[36:37], v[58:59]
	v_fma_f64 v[38:39], -v[32:33], v[34:35], v[38:39]
	;; [unrolled: 1-line block ×3, first 2 shown]
	s_waitcnt lgkmcnt(0)
	s_delay_alu instid0(VALU_DEP_3) | instskip(SKIP_4) | instid1(VALU_DEP_2)
	v_mul_f64 v[30:31], v[30:31], v[36:37]
	ds_load_2addr_b64 v[34:37], v80 offset1:20
	v_fma_f64 v[28:29], -v[30:31], v[28:29], v[38:39]
	s_waitcnt lgkmcnt(0)
	v_fma_f64 v[38:39], -v[32:33], v[36:37], v[50:51]
	v_mul_f64 v[36:37], v[74:75], v[28:29]
	s_delay_alu instid0(VALU_DEP_2)
	v_fma_f64 v[28:29], -v[30:31], v[34:35], v[38:39]
	v_mov_b32_e32 v34, s3
	s_add_i32 s3, s10, 0xfffff2e0
	ds_load_b64 v[34:35], v34
	s_waitcnt lgkmcnt(0)
	v_fma_f64 v[28:29], -v[36:37], v[34:35], v[28:29]
	v_mov_b32_e32 v34, s3
	s_ashr_i32 s3, s2, 31
	s_delay_alu instid0(SALU_CYCLE_1)
	s_lshl_b64 s[6:7], s[2:3], 3
	ds_load_b64 v[34:35], v34
	s_waitcnt lgkmcnt(0)
	v_mul_f64 v[34:35], v[34:35], v[28:29]
	v_add_co_u32 v28, vcc_lo, v40, s6
	v_add_co_ci_u32_e32 v29, vcc_lo, s7, v41, vcc_lo
	s_sub_i32 s6, s2, 21
	s_clause 0xa
	global_store_b64 v[44:45], v[46:47], off
	global_store_b64 v[28:29], v[48:49], off offset:-16
	global_store_b128 v[28:29], v[0:3], off offset:-32
	global_store_b128 v[28:29], v[8:11], off offset:-48
	;; [unrolled: 1-line block ×9, first 2 shown]
.LBB88_35:
	s_cmp_gt_i32 s6, -1
	s_cbranch_scc0 .LBB88_54
; %bb.36:
	s_cmp_lt_u32 s6, 15
	s_cbranch_scc1 .LBB88_41
; %bb.37:
	s_mov_b32 s7, 0
	s_delay_alu instid0(SALU_CYCLE_1)
	s_lshl_b64 s[8:9], s[6:7], 3
	s_cmp_le_i32 s12, s6
	v_add_co_u32 v12, vcc_lo, v40, s8
	v_add_co_ci_u32_e32 v13, vcc_lo, s9, v41, vcc_lo
	s_clause 0x7
	global_load_b128 v[0:3], v[12:13], off offset:-8
	global_load_b128 v[4:7], v[12:13], off offset:-24
	;; [unrolled: 1-line block ×8, first 2 shown]
	s_waitcnt vmcnt(7)
	v_mul_f64 v[16:17], v[2:3], s[4:5]
	v_mul_f64 v[32:33], v[0:1], s[4:5]
	s_waitcnt vmcnt(6)
	v_mul_f64 v[18:19], v[6:7], s[4:5]
	v_mul_f64 v[30:31], v[4:5], s[4:5]
	;; [unrolled: 3-line block ×8, first 2 shown]
	s_cbranch_scc1 .LBB88_40
; %bb.38:
	s_mul_i32 s3, s2, 0xa0
	s_lshl_b32 s7, s6, 3
	s_ashr_i32 s13, s12, 31
	s_add_i32 s3, s3, s7
	s_lshl_b64 s[8:9], s[12:13], 3
	s_addk_i32 s3, 0xfee8
	s_add_u32 s7, s16, s8
	s_addc_u32 s8, s17, s9
	s_add_u32 s7, s7, s0
	s_addc_u32 s8, s8, s1
	v_add_co_u32 v34, vcc_lo, s7, v42
	v_add_co_ci_u32_e32 v35, vcc_lo, s8, v43, vcc_lo
	s_mov_b32 s7, s12
.LBB88_39:                              ; =>This Inner Loop Header: Depth=1
	global_load_b64 v[72:73], v[34:35], off
	v_mov_b32_e32 v68, s3
	v_add_co_u32 v34, vcc_lo, v34, -8
	v_add_co_ci_u32_e32 v35, vcc_lo, -1, v35, vcc_lo
	ds_load_2addr_b64 v[36:39], v68 offset0:14 offset1:15
	ds_load_2addr_b64 v[44:47], v68 offset0:12 offset1:13
	;; [unrolled: 1-line block ×7, first 2 shown]
	ds_load_2addr_b64 v[68:71], v68 offset1:1
	s_add_i32 s7, s7, -1
	s_addk_i32 s3, 0xff60
	s_cmp_gt_i32 s7, s6
	s_waitcnt vmcnt(0) lgkmcnt(7)
	v_fma_f64 v[16:17], -v[72:73], v[38:39], v[16:17]
	v_fma_f64 v[32:33], -v[72:73], v[36:37], v[32:33]
	s_waitcnt lgkmcnt(6)
	v_fma_f64 v[18:19], -v[72:73], v[46:47], v[18:19]
	v_fma_f64 v[30:31], -v[72:73], v[44:45], v[30:31]
	s_waitcnt lgkmcnt(5)
	;; [unrolled: 3-line block ×7, first 2 shown]
	v_fma_f64 v[8:9], -v[72:73], v[70:71], v[8:9]
	v_fma_f64 v[14:15], -v[72:73], v[68:69], v[14:15]
	s_cbranch_scc1 .LBB88_39
.LBB88_40:
	s_mul_i32 s3, s6, 0xa8
	s_add_i32 s9, s6, -3
	s_add_i32 s7, s3, -8
	;; [unrolled: 1-line block ×3, first 2 shown]
	v_mov_b32_e32 v34, s7
	s_add_i32 s7, s3, 0xffffff58
	s_add_i32 s19, s6, -7
	v_mov_b32_e32 v38, s7
	s_mul_i32 s7, s6, 20
	ds_load_2addr_b64 v[34:37], v34 offset1:1
	s_add_i32 s8, s9, s7
	s_sub_i32 s10, s7, 20
	ds_load_b64 v[44:45], v38
	s_lshl_b32 s8, s8, 3
	s_add_i32 s11, s13, s7
	s_add_i32 s14, s19, s10
	s_lshl_b32 s11, s11, 3
	s_lshl_b32 s14, s14, 3
	s_add_i32 s15, s6, -9
	s_waitcnt lgkmcnt(1)
	v_mul_f64 v[16:17], v[36:37], v[16:17]
	s_delay_alu instid0(VALU_DEP_1) | instskip(SKIP_2) | instid1(SALU_CYCLE_1)
	v_fma_f64 v[46:47], -v[16:17], v[34:35], v[32:33]
	v_mov_b32_e32 v32, s8
	s_add_i32 s8, s9, s10
	s_lshl_b32 s8, s8, 3
	ds_load_2addr_b64 v[32:35], v32 offset1:1
	v_mov_b32_e32 v36, s8
	s_sub_i32 s8, s7, 40
	s_delay_alu instid0(SALU_CYCLE_1)
	s_add_i32 s9, s9, s8
	s_add_i32 s18, s19, s8
	ds_load_2addr_b64 v[36:39], v36 offset1:1
	s_lshl_b32 s9, s9, 3
	s_lshl_b32 s18, s18, 3
	s_add_i32 s20, s15, s8
	s_delay_alu instid0(SALU_CYCLE_1)
	s_lshl_b32 s20, s20, 3
	s_waitcnt lgkmcnt(1)
	v_fma_f64 v[34:35], -v[16:17], v[34:35], v[18:19]
	v_fma_f64 v[52:53], -v[16:17], v[32:33], v[30:31]
	v_mov_b32_e32 v30, s11
	s_add_i32 s11, s3, 0xfffffe08
	v_mul_f64 v[18:19], v[44:45], v[46:47]
	s_waitcnt lgkmcnt(0)
	s_delay_alu instid0(VALU_DEP_1)
	v_fma_f64 v[34:35], -v[18:19], v[38:39], v[34:35]
	v_mov_b32_e32 v38, s9
	v_fma_f64 v[36:37], -v[18:19], v[36:37], v[52:53]
	s_add_i32 s9, s13, s10
	ds_load_2addr_b64 v[30:33], v30 offset1:1
	ds_load_2addr_b64 v[44:47], v38 offset1:1
	s_lshl_b32 s9, s9, 3
	s_delay_alu instid0(SALU_CYCLE_1)
	v_dual_mov_b32 v38, s11 :: v_dual_mov_b32 v39, s9
	ds_load_b64 v[54:55], v38
	ds_load_2addr_b64 v[48:51], v39 offset1:1
	s_add_i32 s9, s19, s7
	s_add_i32 s11, s13, s8
	s_lshl_b32 s9, s9, 3
	s_lshl_b32 s11, s11, 3
	s_waitcnt lgkmcnt(3)
	v_fma_f64 v[32:33], -v[16:17], v[32:33], v[2:3]
	v_fma_f64 v[52:53], -v[16:17], v[30:31], v[28:29]
	v_mov_b32_e32 v28, s9
	s_sub_i32 s9, s7, 60
	s_waitcnt lgkmcnt(2)
	v_mul_f64 v[2:3], v[46:47], v[34:35]
	s_waitcnt lgkmcnt(0)
	s_delay_alu instid0(VALU_DEP_4)
	v_fma_f64 v[50:51], -v[18:19], v[50:51], v[32:33]
	v_mov_b32_e32 v32, s11
	v_fma_f64 v[48:49], -v[18:19], v[48:49], v[52:53]
	ds_load_2addr_b64 v[28:31], v28 offset1:1
	ds_load_2addr_b64 v[32:35], v32 offset1:1
	s_add_i32 s11, s13, s9
	s_delay_alu instid0(SALU_CYCLE_1)
	s_lshl_b32 s11, s11, 3
	v_fma_f64 v[56:57], -v[2:3], v[44:45], v[36:37]
	v_mov_b32_e32 v36, s11
	v_mov_b32_e32 v44, s14
	s_add_i32 s11, s7, 0xffffffb0
	s_add_i32 s14, s15, s7
	ds_load_2addr_b64 v[36:39], v36 offset1:1
	ds_load_2addr_b64 v[44:47], v44 offset1:1
	s_add_i32 s13, s13, s11
	s_lshl_b32 s14, s14, 3
	s_lshl_b32 s13, s13, 3
	s_waitcnt lgkmcnt(3)
	v_fma_f64 v[30:31], -v[16:17], v[30:31], v[0:1]
	v_fma_f64 v[58:59], -v[16:17], v[28:29], v[26:27]
	v_mov_b32_e32 v26, s14
	s_add_i32 s14, s15, s10
	s_delay_alu instid0(SALU_CYCLE_1)
	s_lshl_b32 s14, s14, 3
	s_waitcnt lgkmcnt(2)
	v_fma_f64 v[34:35], -v[2:3], v[34:35], v[50:51]
	v_fma_f64 v[62:63], -v[2:3], v[32:33], v[48:49]
	v_mul_f64 v[0:1], v[54:55], v[56:57]
	v_mov_b32_e32 v54, s14
	s_waitcnt lgkmcnt(0)
	v_fma_f64 v[60:61], -v[18:19], v[46:47], v[30:31]
	v_mov_b32_e32 v30, s18
	s_add_i32 s18, s19, s11
	s_delay_alu instid0(VALU_DEP_4)
	v_fma_f64 v[34:35], -v[0:1], v[38:39], v[34:35]
	v_mov_b32_e32 v38, s13
	s_add_i32 s13, s3, 0xfffffcb8
	ds_load_2addr_b64 v[26:29], v26 offset1:1
	ds_load_2addr_b64 v[30:33], v30 offset1:1
	;; [unrolled: 1-line block ×3, first 2 shown]
	v_mov_b32_e32 v38, s13
	s_add_i32 s13, s19, s9
	v_fma_f64 v[36:37], -v[0:1], v[36:37], v[62:63]
	s_lshl_b32 s13, s13, 3
	s_delay_alu instid0(SALU_CYCLE_1)
	v_mov_b32_e32 v39, s13
	ds_load_b64 v[64:65], v38
	ds_load_2addr_b64 v[50:53], v39 offset1:1
	ds_load_2addr_b64 v[54:57], v54 offset1:1
	v_fma_f64 v[38:39], -v[18:19], v[44:45], v[58:59]
	s_add_i32 s13, s6, -11
	s_delay_alu instid0(SALU_CYCLE_1)
	s_add_i32 s14, s13, s7
	s_add_i32 s21, s13, s10
	s_lshl_b32 s14, s14, 3
	s_lshl_b32 s21, s21, 3
	s_waitcnt lgkmcnt(5)
	v_fma_f64 v[28:29], -v[16:17], v[28:29], v[6:7]
	s_waitcnt lgkmcnt(4)
	v_fma_f64 v[32:33], -v[2:3], v[32:33], v[60:61]
	s_add_i32 s22, s13, s8
	s_add_i32 s25, s13, s11
	s_lshl_b32 s22, s22, 3
	s_waitcnt lgkmcnt(3)
	v_mul_f64 v[6:7], v[48:49], v[34:35]
	v_fma_f64 v[48:49], -v[16:17], v[26:27], v[24:25]
	v_mov_b32_e32 v24, s14
	s_lshl_b32 s14, s18, 3
	v_fma_f64 v[62:63], -v[2:3], v[30:31], v[38:39]
	s_waitcnt lgkmcnt(0)
	v_fma_f64 v[60:61], -v[18:19], v[56:57], v[28:29]
	v_fma_f64 v[52:53], -v[0:1], v[52:53], v[32:33]
	v_mov_b32_e32 v32, s14
	v_mov_b32_e32 v28, s20
	ds_load_2addr_b64 v[24:27], v24 offset1:1
	ds_load_2addr_b64 v[28:31], v28 offset1:1
	;; [unrolled: 1-line block ×3, first 2 shown]
	s_add_i32 s14, s7, 0xffffff9c
	s_add_i32 s20, s15, s9
	;; [unrolled: 1-line block ×3, first 2 shown]
	s_lshl_b32 s20, s20, 3
	s_lshl_b32 s18, s18, 3
	v_mov_b32_e32 v44, s20
	v_mov_b32_e32 v56, s21
	v_fma_f64 v[66:67], -v[6:7], v[46:47], v[36:37]
	v_fma_f64 v[48:49], -v[18:19], v[54:55], v[48:49]
	v_mov_b32_e32 v36, s18
	s_add_i32 s18, s6, -13
	s_add_i32 s21, s15, s11
	ds_load_2addr_b64 v[36:39], v36 offset1:1
	ds_load_2addr_b64 v[44:47], v44 offset1:1
	;; [unrolled: 1-line block ×3, first 2 shown]
	s_add_i32 s20, s18, s7
	s_add_i32 s27, s18, s8
	s_waitcnt lgkmcnt(5)
	v_fma_f64 v[26:27], -v[16:17], v[26:27], v[4:5]
	v_fma_f64 v[54:55], -v[16:17], v[24:25], v[22:23]
	s_lshl_b32 s20, s20, 3
	s_lshl_b32 s27, s27, 3
	v_mov_b32_e32 v22, s20
	v_fma_f64 v[50:51], -v[0:1], v[50:51], v[62:63]
	s_lshl_b32 s20, s21, 3
	s_add_i32 s21, s3, 0xfffffc10
	s_add_i32 s26, s13, s14
	ds_load_2addr_b64 v[22:25], v22 offset1:1
	s_waitcnt lgkmcnt(5)
	v_fma_f64 v[30:31], -v[2:3], v[30:31], v[60:61]
	s_waitcnt lgkmcnt(4)
	v_fma_f64 v[34:35], -v[6:7], v[34:35], v[52:53]
	v_mul_f64 v[4:5], v[64:65], v[66:67]
	v_fma_f64 v[64:65], -v[2:3], v[28:29], v[48:49]
	s_waitcnt lgkmcnt(0)
	v_fma_f64 v[24:25], -v[16:17], v[24:25], v[10:11]
	v_fma_f64 v[62:63], -v[18:19], v[58:59], v[26:27]
	v_mov_b32_e32 v26, s22
	v_fma_f64 v[54:55], -v[18:19], v[56:57], v[54:55]
	s_add_i32 s22, s18, s10
	v_fma_f64 v[68:69], -v[6:7], v[32:33], v[50:51]
	s_lshl_b32 s22, s22, 3
	s_delay_alu instid0(SALU_CYCLE_1)
	v_mov_b32_e32 v58, s22
	v_fma_f64 v[66:67], -v[0:1], v[46:47], v[30:31]
	v_mov_b32_e32 v30, s20
	s_add_i32 s20, s15, s14
	ds_load_2addr_b64 v[26:29], v26 offset1:1
	ds_load_2addr_b64 v[30:33], v30 offset1:1
	s_lshl_b32 s20, s20, 3
	s_delay_alu instid0(SALU_CYCLE_1) | instskip(SKIP_1) | instid1(SALU_CYCLE_1)
	v_mov_b32_e32 v46, s20
	s_add_i32 s20, s7, 0xffffff88
	s_add_i32 s19, s19, s20
	;; [unrolled: 1-line block ×3, first 2 shown]
	s_lshl_b32 s19, s19, 3
	s_lshl_b32 s23, s23, 3
	v_fma_f64 v[34:35], -v[4:5], v[38:39], v[34:35]
	v_mov_b32_e32 v38, s21
	v_fma_f64 v[44:45], -v[0:1], v[44:45], v[64:65]
	s_add_i32 s21, s13, s9
	s_delay_alu instid0(SALU_CYCLE_1)
	s_lshl_b32 s21, s21, 3
	ds_load_b64 v[38:39], v38
	v_mov_b32_e32 v50, s21
	ds_load_2addr_b64 v[46:49], v46 offset1:1
	ds_load_2addr_b64 v[50:53], v50 offset1:1
	;; [unrolled: 1-line block ×3, first 2 shown]
	s_waitcnt lgkmcnt(5)
	v_fma_f64 v[28:29], -v[2:3], v[28:29], v[62:63]
	s_add_i32 s21, s3, 0xfffffb68
	v_fma_f64 v[72:73], -v[2:3], v[26:27], v[54:55]
	v_fma_f64 v[36:37], -v[4:5], v[36:37], v[68:69]
	v_fma_f64 v[68:69], -v[16:17], v[22:23], v[20:21]
	s_waitcnt lgkmcnt(4)
	v_fma_f64 v[32:33], -v[6:7], v[32:33], v[66:67]
	s_waitcnt lgkmcnt(0)
	v_fma_f64 v[70:71], -v[18:19], v[60:61], v[24:25]
	v_mov_b32_e32 v24, s27
	ds_load_2addr_b64 v[24:27], v24 offset1:1
	v_mul_f64 v[10:11], v[38:39], v[34:35]
	v_mov_b32_e32 v34, s19
	v_mov_b32_e32 v38, s21
	v_fma_f64 v[44:45], -v[6:7], v[30:31], v[44:45]
	s_add_i32 s19, s6, -15
	s_add_i32 s21, s7, 0xffffff74
	ds_load_b64 v[34:35], v34
	ds_load_b64 v[56:57], v38
	s_add_i32 s22, s19, s7
	s_add_i32 s24, s15, s21
	s_lshl_b32 s22, s22, 3
	s_add_i32 s10, s19, s10
	v_fma_f64 v[74:75], -v[0:1], v[52:53], v[28:29]
	v_mov_b32_e32 v20, s22
	s_lshl_b32 s22, s25, 3
	v_fma_f64 v[50:51], -v[0:1], v[50:51], v[72:73]
	v_mov_b32_e32 v28, s22
	v_fma_f64 v[58:59], -v[18:19], v[58:59], v[68:69]
	ds_load_2addr_b64 v[20:23], v20 offset1:1
	s_add_i32 s22, s18, s9
	s_lshl_b32 s10, s10, 3
	ds_load_2addr_b64 v[28:31], v28 offset1:1
	v_fma_f64 v[48:49], -v[4:5], v[48:49], v[32:33]
	v_mov_b32_e32 v32, s23
	s_lshl_b32 s23, s24, 3
	s_lshl_b32 s24, s26, 3
	;; [unrolled: 1-line block ×3, first 2 shown]
	v_mov_b32_e32 v52, s24
	v_mov_b32_e32 v60, s22
	;; [unrolled: 1-line block ×3, first 2 shown]
	s_add_i32 s8, s19, s8
	s_waitcnt lgkmcnt(4)
	v_fma_f64 v[26:27], -v[2:3], v[26:27], v[70:71]
	s_lshl_b32 s8, s8, 3
	s_add_i32 s10, s7, 0xffffff60
	s_add_i32 s24, s18, s11
	;; [unrolled: 1-line block ×3, first 2 shown]
	s_lshl_b32 s24, s24, 3
	s_lshl_b32 s15, s15, 3
	s_waitcnt lgkmcnt(3)
	v_fma_f64 v[76:77], -v[10:11], v[34:35], v[36:37]
	ds_load_2addr_b64 v[32:35], v32 offset1:1
	s_waitcnt lgkmcnt(2)
	v_fma_f64 v[22:23], -v[16:17], v[22:23], v[8:9]
	v_fma_f64 v[44:45], -v[4:5], v[46:47], v[44:45]
	v_mov_b32_e32 v36, s23
	ds_load_2addr_b64 v[36:39], v36 offset1:1
	ds_load_2addr_b64 v[52:55], v52 offset1:1
	;; [unrolled: 1-line block ×4, first 2 shown]
	v_fma_f64 v[14:15], -v[16:17], v[20:21], v[14:15]
	v_mov_b32_e32 v20, s8
	s_waitcnt lgkmcnt(5)
	v_fma_f64 v[30:31], -v[6:7], v[30:31], v[74:75]
	s_add_i32 s23, s13, s20
	s_add_i32 s22, s3, 0xfffffa18
	v_fma_f64 v[68:69], -v[6:7], v[28:29], v[50:51]
	s_lshl_b32 s8, s23, 3
	v_fma_f64 v[58:59], -v[2:3], v[24:25], v[58:59]
	v_mov_b32_e32 v24, s24
	v_mov_b32_e32 v28, s8
	s_add_i32 s8, s13, s21
	s_add_i32 s9, s19, s9
	s_waitcnt lgkmcnt(4)
	v_fma_f64 v[34:35], -v[10:11], v[34:35], v[48:49]
	s_lshl_b32 s8, s8, 3
	s_lshl_b32 s9, s9, 3
	s_waitcnt lgkmcnt(1)
	v_fma_f64 v[62:63], -v[0:1], v[62:63], v[26:27]
	ds_load_2addr_b64 v[24:27], v24 offset1:1
	v_mul_f64 v[8:9], v[56:57], v[76:77]
	s_waitcnt lgkmcnt(1)
	v_fma_f64 v[66:67], -v[18:19], v[66:67], v[22:23]
	v_fma_f64 v[72:73], -v[10:11], v[32:33], v[44:45]
	ds_load_2addr_b64 v[20:23], v20 offset1:1
	v_mov_b32_e32 v32, s15
	s_add_i32 s15, s18, s14
	v_mov_b32_e32 v44, s22
	s_lshl_b32 s15, s15, 3
	v_mov_b32_e32 v45, s8
	v_fma_f64 v[14:15], -v[18:19], v[64:65], v[14:15]
	v_mov_b32_e32 v48, s15
	v_fma_f64 v[70:71], -v[4:5], v[54:55], v[30:31]
	ds_load_2addr_b64 v[28:31], v28 offset1:1
	v_mov_b32_e32 v54, s9
	v_fma_f64 v[52:53], -v[4:5], v[52:53], v[68:69]
	s_add_i32 s9, s19, s11
	v_fma_f64 v[58:59], -v[0:1], v[60:61], v[58:59]
	s_add_i32 s11, s18, s20
	s_lshl_b32 s9, s9, 3
	s_lshl_b32 s11, s11, 3
	s_add_i32 s8, s13, s10
	s_add_i32 s14, s19, s14
	s_lshl_b32 s8, s8, 3
	s_lshl_b32 s14, s14, 3
	s_waitcnt lgkmcnt(2)
	v_fma_f64 v[26:27], -v[6:7], v[26:27], v[62:63]
	v_fma_f64 v[38:39], -v[8:9], v[38:39], v[34:35]
	ds_load_2addr_b64 v[32:35], v32 offset1:1
	s_waitcnt lgkmcnt(2)
	v_fma_f64 v[66:67], -v[2:3], v[22:23], v[66:67]
	v_fma_f64 v[36:37], -v[8:9], v[36:37], v[72:73]
	ds_load_b64 v[74:75], v44
	ds_load_2addr_b64 v[44:47], v45 offset1:1
	ds_load_2addr_b64 v[48:51], v48 offset1:1
	;; [unrolled: 1-line block ×3, first 2 shown]
	v_fma_f64 v[14:15], -v[2:3], v[20:21], v[14:15]
	v_mov_b32_e32 v20, s9
	s_waitcnt lgkmcnt(5)
	v_fma_f64 v[30:31], -v[10:11], v[30:31], v[70:71]
	v_mov_b32_e32 v21, s11
	s_add_i32 s11, s18, s21
	s_delay_alu instid0(SALU_CYCLE_1)
	s_lshl_b32 s11, s11, 3
	v_fma_f64 v[62:63], -v[6:7], v[24:25], v[58:59]
	s_waitcnt lgkmcnt(1)
	v_fma_f64 v[64:65], -v[4:5], v[50:51], v[26:27]
	v_mul_f64 v[22:23], v[34:35], v[38:39]
	s_waitcnt lgkmcnt(0)
	v_fma_f64 v[60:61], -v[0:1], v[56:57], v[66:67]
	v_fma_f64 v[66:67], -v[10:11], v[28:29], v[52:53]
	v_mov_b32_e32 v56, s14
	s_add_i32 s14, s18, s10
	s_add_i32 s10, s19, s10
	s_lshl_b32 s14, s14, 3
	s_lshl_b32 s10, s10, 3
	v_fma_f64 v[14:15], -v[0:1], v[54:55], v[14:15]
	v_fma_f64 v[46:47], -v[8:9], v[46:47], v[30:31]
	ds_load_2addr_b64 v[24:27], v20 offset1:1
	ds_load_2addr_b64 v[28:31], v21 offset1:1
	v_mov_b32_e32 v21, s11
	s_add_i32 s11, s19, s20
	v_fma_f64 v[48:49], -v[4:5], v[48:49], v[62:63]
	s_lshl_b32 s11, s11, 3
	s_waitcnt lgkmcnt(0)
	v_fma_f64 v[30:31], -v[10:11], v[30:31], v[64:65]
	v_fma_f64 v[68:69], -v[22:23], v[32:33], v[36:37]
	v_mov_b32_e32 v32, s8
	s_add_i32 s8, s7, 0xffffff4c
	v_fma_f64 v[26:27], -v[6:7], v[26:27], v[60:61]
	s_add_i32 s9, s13, s8
	v_fma_f64 v[44:45], -v[8:9], v[44:45], v[66:67]
	ds_load_2addr_b64 v[32:35], v32 offset1:1
	s_lshl_b32 s9, s9, 3
	s_delay_alu instid0(SALU_CYCLE_1)
	v_mov_b32_e32 v20, s9
	v_fma_f64 v[14:15], -v[6:7], v[24:25], v[14:15]
	ds_load_2addr_b64 v[36:39], v20 offset1:1
	ds_load_2addr_b64 v[50:53], v21 offset1:1
	;; [unrolled: 1-line block ×3, first 2 shown]
	s_add_i32 s9, s7, 0xffffff38
	v_mov_b32_e32 v24, s11
	v_fma_f64 v[48:49], -v[10:11], v[28:29], v[48:49]
	s_add_i32 s13, s13, s9
	v_mov_b32_e32 v28, s14
	s_lshl_b32 s11, s13, 3
	s_add_i32 s13, s19, s21
	s_delay_alu instid0(SALU_CYCLE_1)
	s_lshl_b32 s13, s13, 3
	s_waitcnt lgkmcnt(3)
	v_fma_f64 v[34:35], -v[22:23], v[34:35], v[46:47]
	s_waitcnt lgkmcnt(1)
	v_fma_f64 v[60:61], -v[8:9], v[52:53], v[30:31]
	v_mov_b32_e32 v52, s13
	v_mul_f64 v[20:21], v[74:75], v[68:69]
	s_waitcnt lgkmcnt(0)
	v_fma_f64 v[58:59], -v[4:5], v[58:59], v[26:27]
	v_fma_f64 v[62:63], -v[22:23], v[32:33], v[44:45]
	v_mov_b32_e32 v32, s11
	s_add_i32 s11, s3, 0xfffff8c8
	s_delay_alu instid0(SALU_CYCLE_1)
	v_mov_b32_e32 v44, s11
	v_fma_f64 v[14:15], -v[4:5], v[56:57], v[14:15]
	s_add_i32 s11, s18, s8
	s_add_i32 s8, s19, s8
	s_lshl_b32 s11, s11, 3
	s_lshl_b32 s8, s8, 3
	v_mov_b32_e32 v45, s11
	s_add_i32 s11, s18, s9
	v_fma_f64 v[48:49], -v[8:9], v[50:51], v[48:49]
	s_lshl_b32 s11, s11, 3
	v_fma_f64 v[38:39], -v[20:21], v[38:39], v[34:35]
	ds_load_2addr_b64 v[24:27], v24 offset1:1
	ds_load_2addr_b64 v[28:31], v28 offset1:1
	;; [unrolled: 1-line block ×3, first 2 shown]
	ds_load_b64 v[64:65], v44
	ds_load_2addr_b64 v[44:47], v45 offset1:1
	ds_load_2addr_b64 v[52:55], v52 offset1:1
	v_fma_f64 v[36:37], -v[20:21], v[36:37], v[62:63]
	s_waitcnt lgkmcnt(5)
	v_fma_f64 v[58:59], -v[10:11], v[26:27], v[58:59]
	s_waitcnt lgkmcnt(4)
	v_fma_f64 v[30:31], -v[22:23], v[30:31], v[60:61]
	v_fma_f64 v[14:15], -v[10:11], v[24:25], v[14:15]
	v_dual_mov_b32 v24, s10 :: v_dual_mov_b32 v25, s11
	s_add_i32 s10, s7, 0xffffff24
	s_addk_i32 s7, 0xff10
	s_add_i32 s11, s18, s10
	s_add_i32 s18, s18, s7
	s_lshl_b32 s11, s11, 3
	s_waitcnt lgkmcnt(3)
	v_mul_f64 v[26:27], v[34:35], v[38:39]
	s_waitcnt lgkmcnt(0)
	v_fma_f64 v[50:51], -v[8:9], v[54:55], v[58:59]
	v_fma_f64 v[54:55], -v[22:23], v[28:29], v[48:49]
	;; [unrolled: 1-line block ×5, first 2 shown]
	ds_load_2addr_b64 v[28:31], v24 offset1:1
	ds_load_2addr_b64 v[32:35], v25 offset1:1
	v_dual_mov_b32 v24, s11 :: v_dual_mov_b32 v25, s8
	s_add_i32 s8, s19, s9
	ds_load_2addr_b64 v[36:39], v24 offset1:1
	ds_load_2addr_b64 v[46:49], v25 offset1:1
	s_lshl_b32 s8, s8, 3
	s_lshl_b32 s9, s18, 3
	v_fma_f64 v[44:45], -v[20:21], v[44:45], v[54:55]
	s_waitcnt lgkmcnt(3)
	v_fma_f64 v[30:31], -v[22:23], v[30:31], v[50:51]
	s_waitcnt lgkmcnt(2)
	v_fma_f64 v[34:35], -v[26:27], v[34:35], v[56:57]
	v_fma_f64 v[14:15], -v[22:23], v[28:29], v[14:15]
	v_mov_b32_e32 v28, s8
	s_add_i32 s8, s19, s10
	s_add_i32 s19, s19, s7
	s_lshl_b32 s8, s8, 3
	s_lshl_b32 s7, s19, 3
	v_mul_f64 v[24:25], v[64:65], v[58:59]
	v_fma_f64 v[44:45], -v[26:27], v[32:33], v[44:45]
	s_waitcnt lgkmcnt(0)
	v_fma_f64 v[52:53], -v[20:21], v[48:49], v[30:31]
	v_mov_b32_e32 v32, s9
	v_fma_f64 v[14:15], -v[20:21], v[46:47], v[14:15]
	s_add_i32 s9, s3, 0xfffff778
	s_delay_alu instid0(SALU_CYCLE_1)
	v_dual_mov_b32 v49, s8 :: v_dual_mov_b32 v48, s9
	s_add_i32 s8, s7, 0xffffff60
	s_addk_i32 s3, 0xf628
	v_fma_f64 v[38:39], -v[24:25], v[38:39], v[34:35]
	ds_load_2addr_b64 v[28:31], v28 offset1:1
	ds_load_2addr_b64 v[32:35], v32 offset1:1
	ds_load_b64 v[54:55], v48
	ds_load_2addr_b64 v[48:51], v49 offset1:1
	v_fma_f64 v[36:37], -v[24:25], v[36:37], v[44:45]
	s_waitcnt lgkmcnt(3)
	v_fma_f64 v[52:53], -v[26:27], v[30:31], v[52:53]
	v_fma_f64 v[14:15], -v[26:27], v[28:29], v[14:15]
	v_mov_b32_e32 v28, s7
	s_addk_i32 s7, 0xfec0
	s_waitcnt lgkmcnt(2)
	v_mul_f64 v[30:31], v[34:35], v[38:39]
	s_waitcnt lgkmcnt(0)
	s_delay_alu instid0(VALU_DEP_4) | instskip(NEXT) | instid1(VALU_DEP_4)
	v_fma_f64 v[44:45], -v[24:25], v[50:51], v[52:53]
	v_fma_f64 v[14:15], -v[24:25], v[48:49], v[14:15]
	s_delay_alu instid0(VALU_DEP_3)
	v_fma_f64 v[46:47], -v[30:31], v[32:33], v[36:37]
	ds_load_2addr_b64 v[32:35], v28 offset1:1
	v_mov_b32_e32 v28, s8
	ds_load_2addr_b64 v[36:39], v28 offset1:1
	s_waitcnt lgkmcnt(1)
	v_fma_f64 v[34:35], -v[30:31], v[34:35], v[44:45]
	v_mov_b32_e32 v44, s3
	v_fma_f64 v[14:15], -v[30:31], v[32:33], v[14:15]
	v_mov_b32_e32 v32, s7
	s_ashr_i32 s7, s6, 31
	ds_load_b64 v[44:45], v44
	s_lshl_b64 s[8:9], s[6:7], 3
	s_add_i32 s6, s6, -16
	v_mul_f64 v[28:29], v[54:55], v[46:47]
	s_waitcnt lgkmcnt(1)
	s_delay_alu instid0(VALU_DEP_1) | instskip(SKIP_4) | instid1(VALU_DEP_1)
	v_fma_f64 v[38:39], -v[28:29], v[38:39], v[34:35]
	ds_load_2addr_b64 v[32:35], v32 offset1:1
	v_fma_f64 v[14:15], -v[28:29], v[36:37], v[14:15]
	s_waitcnt lgkmcnt(0)
	v_mul_f64 v[34:35], v[34:35], v[38:39]
	v_fma_f64 v[14:15], -v[34:35], v[32:33], v[14:15]
	s_delay_alu instid0(VALU_DEP_1)
	v_mul_f64 v[32:33], v[44:45], v[14:15]
	v_add_co_u32 v14, vcc_lo, v40, s8
	v_add_co_ci_u32_e32 v15, vcc_lo, s9, v41, vcc_lo
	s_clause 0x8
	global_store_b64 v[14:15], v[18:19], off offset:-8
	global_store_b128 v[14:15], v[0:3], off offset:-24
	global_store_b128 v[14:15], v[4:7], off offset:-40
	;; [unrolled: 1-line block ×6, first 2 shown]
	global_store_b64 v[12:13], v[16:17], off
	global_store_b128 v[14:15], v[32:35], off offset:-120
.LBB88_41:
	s_cmp_lt_i32 s6, 0
	s_cbranch_scc1 .LBB88_54
; %bb.42:
	s_bitcmp1_b32 s6, 0
	s_mov_b32 s8, s6
	s_cselect_b32 s3, -1, 0
	s_delay_alu instid0(SALU_CYCLE_1)
	s_and_b32 vcc_lo, exec_lo, s3
	s_cbranch_vccnz .LBB88_47
; %bb.43:
	s_mov_b32 s7, 0
	s_delay_alu instid0(SALU_CYCLE_1)
	s_lshl_b64 s[8:9], s[6:7], 3
	s_cmp_le_i32 s12, s6
	v_add_co_u32 v0, vcc_lo, v40, s8
	v_add_co_ci_u32_e32 v1, vcc_lo, s9, v41, vcc_lo
	global_load_b64 v[2:3], v[0:1], off
	s_waitcnt vmcnt(0)
	v_mul_f64 v[2:3], v[2:3], s[4:5]
	s_cbranch_scc1 .LBB88_46
; %bb.44:
	s_mul_i32 s3, s2, 0xa0
	s_lshl_b32 s7, s6, 3
	s_ashr_i32 s13, s12, 31
	s_add_i32 s3, s3, s7
	s_lshl_b64 s[8:9], s[12:13], 3
	s_addk_i32 s3, 0xff60
	s_add_u32 s7, s16, s8
	s_addc_u32 s8, s17, s9
	s_add_u32 s7, s7, s0
	s_addc_u32 s8, s8, s1
	v_add_co_u32 v4, vcc_lo, s7, v42
	v_add_co_ci_u32_e32 v5, vcc_lo, s8, v43, vcc_lo
	s_mov_b32 s7, s12
.LBB88_45:                              ; =>This Inner Loop Header: Depth=1
	global_load_b64 v[6:7], v[4:5], off
	v_mov_b32_e32 v8, s3
	v_add_co_u32 v4, vcc_lo, v4, -8
	v_add_co_ci_u32_e32 v5, vcc_lo, -1, v5, vcc_lo
	ds_load_b64 v[8:9], v8
	s_add_i32 s7, s7, -1
	s_addk_i32 s3, 0xff60
	s_cmp_gt_i32 s7, s6
	s_waitcnt vmcnt(0) lgkmcnt(0)
	v_fma_f64 v[2:3], -v[6:7], v[8:9], v[2:3]
	s_cbranch_scc1 .LBB88_45
.LBB88_46:
	s_mul_i32 s3, s6, 0xa8
	s_add_i32 s8, s6, -1
	v_mov_b32_e32 v4, s3
	ds_load_b64 v[4:5], v4
	s_waitcnt lgkmcnt(0)
	v_mul_f64 v[2:3], v[4:5], v[2:3]
	global_store_b64 v[0:1], v[2:3], off
.LBB88_47:
	s_cmp_eq_u32 s6, 0
	s_mov_b32 s9, 0
	s_cbranch_scc1 .LBB88_54
; %bb.48:
	s_mul_i32 s3, s2, 0xa0
	s_lshl_b32 s6, s8, 3
	s_ashr_i32 s13, s12, 31
	s_add_i32 s10, s3, s6
	s_lshl_b64 s[6:7], s[12:13], 3
	s_add_i32 s3, s10, 0xffffff60
	s_add_u32 s6, s16, s6
	s_addc_u32 s7, s17, s7
	s_add_u32 s0, s6, s0
	s_addc_u32 s1, s7, s1
	v_add_co_u32 v0, vcc_lo, s0, v42
	v_add_co_ci_u32_e32 v1, vcc_lo, s1, v43, vcc_lo
	s_add_i32 s0, s10, 0xffffff58
	s_branch .LBB88_50
.LBB88_49:                              ;   in Loop: Header=BB88_50 Depth=1
	s_addk_i32 s1, 0xff58
	s_add_i32 s3, s3, -16
	v_mov_b32_e32 v6, s1
	s_add_i32 s1, s8, -2
	s_add_i32 s0, s0, -16
	s_cmp_lt_i32 s8, 2
	s_mov_b32 s8, s1
	ds_load_b64 v[6:7], v6
	s_waitcnt lgkmcnt(0)
	v_mul_f64 v[4:5], v[6:7], v[4:5]
	global_store_b64 v[2:3], v[4:5], off offset:-8
	s_cbranch_scc1 .LBB88_54
.LBB88_50:                              ; =>This Loop Header: Depth=1
                                        ;     Child Loop BB88_51 Depth 2
                                        ;     Child Loop BB88_53 Depth 2
	s_lshl_b64 s[6:7], s[8:9], 3
	s_delay_alu instid0(VALU_DEP_1)
	v_dual_mov_b32 v5, v1 :: v_dual_mov_b32 v4, v0
	v_add_co_u32 v2, vcc_lo, v40, s6
	v_add_co_ci_u32_e32 v3, vcc_lo, s7, v41, vcc_lo
	s_cmp_le_i32 s12, s8
	s_mov_b32 s1, s3
	s_mov_b32 s6, s12
	global_load_b64 v[2:3], v[2:3], off
	s_waitcnt vmcnt(0)
	v_mul_f64 v[2:3], v[2:3], s[4:5]
	s_cbranch_scc1 .LBB88_52
.LBB88_51:                              ;   Parent Loop BB88_50 Depth=1
                                        ; =>  This Inner Loop Header: Depth=2
	global_load_b64 v[6:7], v[4:5], off
	v_mov_b32_e32 v8, s1
	v_add_co_u32 v4, vcc_lo, v4, -8
	v_add_co_ci_u32_e32 v5, vcc_lo, -1, v5, vcc_lo
	ds_load_b64 v[8:9], v8
	s_add_i32 s6, s6, -1
	s_addk_i32 s1, 0xff60
	s_cmp_gt_i32 s6, s8
	s_waitcnt vmcnt(0) lgkmcnt(0)
	v_fma_f64 v[2:3], -v[6:7], v[8:9], v[2:3]
	s_cbranch_scc1 .LBB88_51
.LBB88_52:                              ;   in Loop: Header=BB88_50 Depth=1
	s_add_i32 s6, s8, -1
	s_mov_b32 s7, s9
	s_mul_i32 s1, s8, 0xa8
	s_lshl_b64 s[6:7], s[6:7], 3
	v_mov_b32_e32 v6, s1
	v_add_co_u32 v4, vcc_lo, v40, s6
	v_add_co_ci_u32_e32 v5, vcc_lo, s7, v41, vcc_lo
	ds_load_b64 v[6:7], v6
	s_ashr_i32 s7, s8, 31
	s_mov_b32 s6, s8
	global_load_b64 v[4:5], v[4:5], off
	s_lshl_b64 s[6:7], s[6:7], 3
	s_cmp_lt_i32 s12, s8
	s_waitcnt lgkmcnt(0)
	v_mul_f64 v[8:9], v[6:7], v[2:3]
	v_add_co_u32 v2, vcc_lo, v40, s6
	v_add_co_ci_u32_e32 v3, vcc_lo, s7, v41, vcc_lo
	v_dual_mov_b32 v7, v1 :: v_dual_mov_b32 v6, v0
	s_mov_b32 s6, s0
	s_mov_b32 s7, s2
	global_store_b64 v[2:3], v[8:9], off
	s_waitcnt vmcnt(0)
	v_mul_f64 v[4:5], v[4:5], s[4:5]
	s_cbranch_scc1 .LBB88_49
.LBB88_53:                              ;   Parent Loop BB88_50 Depth=1
                                        ; =>  This Inner Loop Header: Depth=2
	global_load_b64 v[8:9], v[6:7], off
	v_mov_b32_e32 v10, s6
	v_add_co_u32 v6, vcc_lo, v6, -8
	v_add_co_ci_u32_e32 v7, vcc_lo, -1, v7, vcc_lo
	ds_load_b64 v[10:11], v10
	s_add_i32 s7, s7, -1
	s_addk_i32 s6, 0xff60
	s_cmp_gt_i32 s7, s8
	s_waitcnt vmcnt(0) lgkmcnt(0)
	v_fma_f64 v[4:5], -v[8:9], v[10:11], v[4:5]
	s_cbranch_scc1 .LBB88_53
	s_branch .LBB88_49
.LBB88_54:
	s_nop 0
	s_sendmsg sendmsg(MSG_DEALLOC_VGPRS)
	s_endpgm
	.section	.rodata,"a",@progbits
	.p2align	6, 0x0
	.amdhsa_kernel _ZL30rocblas_trsm_small_left_deviceILi20ELi20ELb0EddPKPKdPKPdEv13rocblas_fill_18rocblas_operation_17rocblas_diagonal_iiT3_T4_lilT5_lili
		.amdhsa_group_segment_fixed_size 3200
		.amdhsa_private_segment_fixed_size 0
		.amdhsa_kernarg_size 360
		.amdhsa_user_sgpr_count 14
		.amdhsa_user_sgpr_dispatch_ptr 0
		.amdhsa_user_sgpr_queue_ptr 0
		.amdhsa_user_sgpr_kernarg_segment_ptr 1
		.amdhsa_user_sgpr_dispatch_id 0
		.amdhsa_user_sgpr_private_segment_size 0
		.amdhsa_wavefront_size32 1
		.amdhsa_uses_dynamic_stack 0
		.amdhsa_enable_private_segment 0
		.amdhsa_system_sgpr_workgroup_id_x 1
		.amdhsa_system_sgpr_workgroup_id_y 0
		.amdhsa_system_sgpr_workgroup_id_z 1
		.amdhsa_system_sgpr_workgroup_info 0
		.amdhsa_system_vgpr_workitem_id 0
		.amdhsa_next_free_vgpr 108
		.amdhsa_next_free_sgpr 32
		.amdhsa_reserve_vcc 1
		.amdhsa_float_round_mode_32 0
		.amdhsa_float_round_mode_16_64 0
		.amdhsa_float_denorm_mode_32 3
		.amdhsa_float_denorm_mode_16_64 3
		.amdhsa_dx10_clamp 1
		.amdhsa_ieee_mode 1
		.amdhsa_fp16_overflow 0
		.amdhsa_workgroup_processor_mode 1
		.amdhsa_memory_ordered 1
		.amdhsa_forward_progress 0
		.amdhsa_shared_vgpr_count 0
		.amdhsa_exception_fp_ieee_invalid_op 0
		.amdhsa_exception_fp_denorm_src 0
		.amdhsa_exception_fp_ieee_div_zero 0
		.amdhsa_exception_fp_ieee_overflow 0
		.amdhsa_exception_fp_ieee_underflow 0
		.amdhsa_exception_fp_ieee_inexact 0
		.amdhsa_exception_int_div_zero 0
	.end_amdhsa_kernel
	.section	.text._ZL30rocblas_trsm_small_left_deviceILi20ELi20ELb0EddPKPKdPKPdEv13rocblas_fill_18rocblas_operation_17rocblas_diagonal_iiT3_T4_lilT5_lili,"axG",@progbits,_ZL30rocblas_trsm_small_left_deviceILi20ELi20ELb0EddPKPKdPKPdEv13rocblas_fill_18rocblas_operation_17rocblas_diagonal_iiT3_T4_lilT5_lili,comdat
.Lfunc_end88:
	.size	_ZL30rocblas_trsm_small_left_deviceILi20ELi20ELb0EddPKPKdPKPdEv13rocblas_fill_18rocblas_operation_17rocblas_diagonal_iiT3_T4_lilT5_lili, .Lfunc_end88-_ZL30rocblas_trsm_small_left_deviceILi20ELi20ELb0EddPKPKdPKPdEv13rocblas_fill_18rocblas_operation_17rocblas_diagonal_iiT3_T4_lilT5_lili
                                        ; -- End function
	.section	.AMDGPU.csdata,"",@progbits
; Kernel info:
; codeLenInByte = 16164
; NumSgprs: 34
; NumVgprs: 108
; ScratchSize: 0
; MemoryBound: 1
; FloatMode: 240
; IeeeMode: 1
; LDSByteSize: 3200 bytes/workgroup (compile time only)
; SGPRBlocks: 4
; VGPRBlocks: 13
; NumSGPRsForWavesPerEU: 34
; NumVGPRsForWavesPerEU: 108
; Occupancy: 10
; WaveLimiterHint : 1
; COMPUTE_PGM_RSRC2:SCRATCH_EN: 0
; COMPUTE_PGM_RSRC2:USER_SGPR: 14
; COMPUTE_PGM_RSRC2:TRAP_HANDLER: 0
; COMPUTE_PGM_RSRC2:TGID_X_EN: 1
; COMPUTE_PGM_RSRC2:TGID_Y_EN: 0
; COMPUTE_PGM_RSRC2:TGID_Z_EN: 1
; COMPUTE_PGM_RSRC2:TIDIG_COMP_CNT: 0
	.section	.text._ZL38rocblas_trsm_small_left_device_sharedBILi20ELi20ELb1EddPKPKdPKPdEv13rocblas_fill_18rocblas_operation_17rocblas_diagonal_iiT3_T4_lilT5_lili,"axG",@progbits,_ZL38rocblas_trsm_small_left_device_sharedBILi20ELi20ELb1EddPKPKdPKPdEv13rocblas_fill_18rocblas_operation_17rocblas_diagonal_iiT3_T4_lilT5_lili,comdat
	.globl	_ZL38rocblas_trsm_small_left_device_sharedBILi20ELi20ELb1EddPKPKdPKPdEv13rocblas_fill_18rocblas_operation_17rocblas_diagonal_iiT3_T4_lilT5_lili ; -- Begin function _ZL38rocblas_trsm_small_left_device_sharedBILi20ELi20ELb1EddPKPKdPKPdEv13rocblas_fill_18rocblas_operation_17rocblas_diagonal_iiT3_T4_lilT5_lili
	.p2align	8
	.type	_ZL38rocblas_trsm_small_left_device_sharedBILi20ELi20ELb1EddPKPKdPKPdEv13rocblas_fill_18rocblas_operation_17rocblas_diagonal_iiT3_T4_lilT5_lili,@function
_ZL38rocblas_trsm_small_left_device_sharedBILi20ELi20ELb1EddPKPKdPKPdEv13rocblas_fill_18rocblas_operation_17rocblas_diagonal_iiT3_T4_lilT5_lili: ; @_ZL38rocblas_trsm_small_left_device_sharedBILi20ELi20ELb1EddPKPKdPKPdEv13rocblas_fill_18rocblas_operation_17rocblas_diagonal_iiT3_T4_lilT5_lili
; %bb.0:
	s_load_b128 s[16:19], s[0:1], 0x40
	s_mov_b32 s20, s15
	s_mov_b32 s21, 0
	s_clause 0x1
	s_load_b128 s[4:7], s[0:1], 0x4
	s_load_b64 s[12:13], s[0:1], 0x28
	s_lshl_b64 s[22:23], s[20:21], 3
	s_mov_b32 s15, exec_lo
	s_waitcnt lgkmcnt(0)
	s_add_u32 s2, s16, s22
	s_addc_u32 s3, s17, s23
	s_load_b128 s[8:11], s[0:1], 0x18
	s_load_b64 s[2:3], s[2:3], 0x0
	s_min_i32 s20, s6, 20
	s_delay_alu instid0(SALU_CYCLE_1)
	s_add_i32 s28, s20, -1
	v_cmpx_gt_i32_e64 s20, v0
	s_cbranch_execz .LBB89_10
; %bb.1:
	s_load_b32 s16, s[0:1], 0x30
	s_waitcnt lgkmcnt(0)
	s_ashr_i32 s17, s16, 31
	s_add_u32 s10, s10, s22
	s_addc_u32 s11, s11, s23
	s_cmp_lt_u32 s28, 3
	s_load_b64 s[10:11], s[10:11], 0x0
	s_cbranch_scc1 .LBB89_4
; %bb.2:
	v_lshlrev_b32_e32 v3, 3, v0
	s_lshl_b64 s[22:23], s[12:13], 3
	s_mul_hi_i32 s29, s16, 24
	s_waitcnt lgkmcnt(0)
	s_add_u32 s21, s10, s22
	s_addc_u32 s22, s11, s23
	v_add_co_u32 v1, s21, s21, v3
	s_delay_alu instid0(VALU_DEP_1)
	v_add_co_ci_u32_e64 v2, null, s22, 0, s21
	s_and_b32 s21, s20, -4
	s_mul_i32 s30, s16, 24
	s_lshl_b64 s[22:23], s[16:17], 5
	s_lshl_b64 s[24:25], s[16:17], 4
	;; [unrolled: 1-line block ×3, first 2 shown]
	s_mov_b32 s31, 0
	.p2align	6
.LBB89_3:                               ; =>This Inner Loop Header: Depth=1
	v_add_co_u32 v4, vcc_lo, v1, s26
	v_add_co_ci_u32_e32 v5, vcc_lo, s27, v2, vcc_lo
	v_add_co_u32 v6, vcc_lo, v1, s24
	v_add_co_ci_u32_e32 v7, vcc_lo, s25, v2, vcc_lo
	;; [unrolled: 2-line block ×3, first 2 shown]
	s_clause 0x3
	global_load_b64 v[10:11], v[1:2], off
	global_load_b64 v[4:5], v[4:5], off
	;; [unrolled: 1-line block ×4, first 2 shown]
	v_add_co_u32 v1, vcc_lo, v1, s22
	v_add_co_ci_u32_e32 v2, vcc_lo, s23, v2, vcc_lo
	s_add_i32 s31, s31, 4
	s_waitcnt vmcnt(2)
	ds_store_2addr_b64 v3, v[10:11], v[4:5] offset1:20
	s_waitcnt vmcnt(0)
	ds_store_2addr_b64 v3, v[6:7], v[8:9] offset0:40 offset1:60
	v_add_nc_u32_e32 v3, 0x280, v3
	s_cmp_eq_u32 s21, s31
	s_cbranch_scc0 .LBB89_3
.LBB89_4:
	s_and_b32 s22, s20, 3
	s_delay_alu instid0(SALU_CYCLE_1)
	s_cmp_eq_u32 s22, 0
	s_cbranch_scc1 .LBB89_7
; %bb.5:
	s_mul_i32 s23, s17, s21
	s_mul_hi_u32 s24, s16, s21
	s_lshl_b64 s[12:13], s[12:13], 3
	s_add_i32 s25, s24, s23
	s_mul_i32 s24, s16, s21
	v_lshlrev_b32_e32 v1, 3, v0
	s_lshl_b64 s[24:25], s[24:25], 3
	s_mulk_i32 s21, 0xa0
	s_add_u32 s12, s24, s12
	s_addc_u32 s13, s25, s13
	s_waitcnt lgkmcnt(0)
	s_add_u32 s10, s10, s12
	s_addc_u32 s11, s11, s13
	v_add_co_u32 v1, s10, s10, v1
	v_lshl_add_u32 v3, v0, 3, s21
	v_add_co_ci_u32_e64 v2, null, s11, 0, s10
	s_lshl_b64 s[10:11], s[16:17], 3
.LBB89_6:                               ; =>This Inner Loop Header: Depth=1
	global_load_b64 v[4:5], v[1:2], off
	v_add_co_u32 v1, vcc_lo, v1, s10
	v_add_co_ci_u32_e32 v2, vcc_lo, s11, v2, vcc_lo
	s_add_i32 s22, s22, -1
	s_delay_alu instid0(SALU_CYCLE_1)
	s_cmp_lg_u32 s22, 0
	s_waitcnt vmcnt(0)
	ds_store_b64 v3, v[4:5]
	v_add_nc_u32_e32 v3, 0xa0, v3
	s_cbranch_scc1 .LBB89_6
.LBB89_7:
	v_mul_u32_u24_e32 v3, 21, v0
	v_mov_b32_e32 v1, 0
	v_mov_b32_e32 v2, 0x3ff00000
	s_cmpk_lg_i32 s5, 0x84
	s_delay_alu instid0(VALU_DEP_3)
	v_lshlrev_b32_e32 v3, 3, v3
	s_cbranch_scc0 .LBB89_9
; %bb.8:
	ds_load_b64 v[1:2], v3
	s_waitcnt lgkmcnt(0)
	v_div_scale_f64 v[4:5], null, v[1:2], v[1:2], 1.0
	s_delay_alu instid0(VALU_DEP_1) | instskip(SKIP_2) | instid1(VALU_DEP_1)
	v_rcp_f64_e32 v[6:7], v[4:5]
	s_waitcnt_depctr 0xfff
	v_fma_f64 v[8:9], -v[4:5], v[6:7], 1.0
	v_fma_f64 v[6:7], v[6:7], v[8:9], v[6:7]
	s_delay_alu instid0(VALU_DEP_1) | instskip(NEXT) | instid1(VALU_DEP_1)
	v_fma_f64 v[8:9], -v[4:5], v[6:7], 1.0
	v_fma_f64 v[6:7], v[6:7], v[8:9], v[6:7]
	v_div_scale_f64 v[8:9], vcc_lo, 1.0, v[1:2], 1.0
	s_delay_alu instid0(VALU_DEP_1) | instskip(NEXT) | instid1(VALU_DEP_1)
	v_mul_f64 v[10:11], v[8:9], v[6:7]
	v_fma_f64 v[4:5], -v[4:5], v[10:11], v[8:9]
	s_delay_alu instid0(VALU_DEP_1) | instskip(NEXT) | instid1(VALU_DEP_1)
	v_div_fmas_f64 v[4:5], v[4:5], v[6:7], v[10:11]
	v_div_fixup_f64 v[1:2], v[4:5], v[1:2], 1.0
.LBB89_9:
	ds_store_b64 v3, v[1:2]
.LBB89_10:
	s_or_b32 exec_lo, exec_lo, s15
	s_clause 0x1
	s_load_b32 s5, s[0:1], 0x68
	s_load_b32 s16, s[0:1], 0x50
	s_lshl_b64 s[0:1], s[18:19], 3
	s_waitcnt lgkmcnt(0)
	s_mul_i32 s11, s14, 0xffffffec
	s_mul_i32 s10, s14, 20
	s_ashr_i32 s17, s16, 31
	s_add_u32 s15, s2, s0
	s_addc_u32 s18, s3, s1
	s_add_i32 s5, s5, -1
	s_add_i32 s11, s11, s7
	s_mul_hi_i32 s13, s16, s10
	s_cmp_ge_u32 s14, s5
	s_mul_i32 s12, s16, s10
	s_cselect_b32 s14, s11, 20
	s_lshl_b64 s[12:13], s[12:13], 3
	s_ashr_i32 s11, s10, 31
	s_add_u32 s5, s15, s12
	s_addc_u32 s7, s18, s13
	v_cmp_gt_i32_e32 vcc_lo, s14, v0
	s_cmp_gt_i32 s6, 0
	s_mov_b32 s12, 0
	s_cselect_b32 s13, -1, 0
	s_delay_alu instid0(SALU_CYCLE_1) | instskip(NEXT) | instid1(SALU_CYCLE_1)
	s_and_b32 s18, vcc_lo, s13
	s_and_saveexec_b32 s19, s18
	s_cbranch_execz .LBB89_17
; %bb.11:
	s_cmp_lt_i32 s6, 8
	s_cbranch_scc1 .LBB89_14
; %bb.12:
	v_mad_i64_i32 v[1:2], null, s16, v0, 0
	v_lshl_add_u32 v3, v0, 3, 0xc80
	s_lshl_b32 s12, s20, 3
	s_mov_b64 s[14:15], 0
	s_and_b32 s13, s12, 0xc0
	s_mov_b32 s12, 0
	s_delay_alu instid0(VALU_DEP_2) | instskip(NEXT) | instid1(VALU_DEP_1)
	v_lshlrev_b64 v[1:2], 3, v[1:2]
	v_add_co_u32 v1, vcc_lo, s5, v1
	s_delay_alu instid0(VALU_DEP_2)
	v_add_co_ci_u32_e32 v2, vcc_lo, s7, v2, vcc_lo
	s_set_inst_prefetch_distance 0x1
	.p2align	6
.LBB89_13:                              ; =>This Inner Loop Header: Depth=1
	s_delay_alu instid0(VALU_DEP_2) | instskip(NEXT) | instid1(VALU_DEP_2)
	v_add_co_u32 v16, vcc_lo, v1, s14
	v_add_co_ci_u32_e32 v17, vcc_lo, s15, v2, vcc_lo
	s_add_i32 s12, s12, 8
	s_add_u32 s14, s14, 64
	s_addc_u32 s15, s15, 0
	s_clause 0x3
	global_load_b128 v[4:7], v[16:17], off
	global_load_b128 v[8:11], v[16:17], off offset:16
	global_load_b128 v[12:15], v[16:17], off offset:32
	;; [unrolled: 1-line block ×3, first 2 shown]
	s_cmp_lg_u32 s13, s14
	s_waitcnt vmcnt(3)
	v_mul_f64 v[4:5], v[4:5], s[8:9]
	v_mul_f64 v[6:7], v[6:7], s[8:9]
	s_waitcnt vmcnt(2)
	v_mul_f64 v[8:9], v[8:9], s[8:9]
	v_mul_f64 v[10:11], v[10:11], s[8:9]
	;; [unrolled: 3-line block ×4, first 2 shown]
	ds_store_2addr_b64 v3, v[4:5], v[6:7] offset1:20
	ds_store_2addr_b64 v3, v[8:9], v[10:11] offset0:40 offset1:60
	ds_store_2addr_b64 v3, v[12:13], v[14:15] offset0:80 offset1:100
	;; [unrolled: 1-line block ×3, first 2 shown]
	v_add_nc_u32_e32 v3, 0x500, v3
	s_cbranch_scc1 .LBB89_13
.LBB89_14:
	s_set_inst_prefetch_distance 0x2
	s_and_b32 s14, s20, 7
	s_mov_b32 s13, 0
	s_cmp_eq_u32 s14, 0
	s_cbranch_scc1 .LBB89_17
; %bb.15:
	v_lshlrev_b32_e32 v3, 3, v0
	s_lshl_b64 s[22:23], s[10:11], 3
	s_lshl_b64 s[24:25], s[12:13], 3
	s_mulk_i32 s12, 0xa0
	s_delay_alu instid0(VALU_DEP_1) | instskip(NEXT) | instid1(VALU_DEP_1)
	v_add_co_u32 v4, s13, s22, v3
	v_add_co_ci_u32_e64 v5, null, s23, 0, s13
	s_add_u32 s13, s2, s24
	s_addc_u32 s15, s3, s25
	s_add_u32 s22, s13, s0
	s_addc_u32 s23, s15, s1
	v_mul_lo_u32 v5, v5, s16
	v_mad_u64_u32 v[1:2], null, v4, s16, s[22:23]
	v_mul_lo_u32 v4, v4, s17
	v_add3_u32 v3, s12, v3, 0xc80
	s_delay_alu instid0(VALU_DEP_2)
	v_add3_u32 v2, v5, v2, v4
.LBB89_16:                              ; =>This Inner Loop Header: Depth=1
	global_load_b64 v[4:5], v[1:2], off
	v_add_co_u32 v1, vcc_lo, v1, 8
	v_add_co_ci_u32_e32 v2, vcc_lo, 0, v2, vcc_lo
	s_add_i32 s14, s14, -1
	s_delay_alu instid0(SALU_CYCLE_1)
	s_cmp_lg_u32 s14, 0
	s_waitcnt vmcnt(0)
	v_mul_f64 v[4:5], v[4:5], s[8:9]
	ds_store_b64 v3, v[4:5]
	v_add_nc_u32_e32 v3, 0xa0, v3
	s_cbranch_scc1 .LBB89_16
.LBB89_17:
	s_or_b32 exec_lo, exec_lo, s19
	s_cmpk_eq_i32 s4, 0x6f
	s_mov_b32 s4, -1
	s_waitcnt vmcnt(0) lgkmcnt(0)
	s_waitcnt_vscnt null, 0x0
	; wave barrier
	s_waitcnt lgkmcnt(0)
	buffer_gl0_inv
	s_cbranch_scc1 .LBB89_40
; %bb.18:
	s_cmp_gt_i32 s6, 19
	s_mov_b32 s4, s28
	s_cbranch_scc0 .LBB89_20
; %bb.19:
	s_mul_i32 s8, s28, 0xa8
	s_mul_i32 s4, s28, 20
	v_mov_b32_e32 v1, s8
	v_add_lshl_u32 v3, s4, v0, 3
	s_mul_i32 s4, s20, 20
	s_add_i32 s14, s8, 0xffffff58
	s_sub_i32 s9, s4, 40
	ds_load_b64 v[1:2], v1
	ds_load_b64 v[7:8], v3 offset:3200
	s_sub_i32 s12, s4, 60
	s_add_i32 s13, s4, 0xffffffb0
	v_add_lshl_u32 v19, s9, v0, 3
	v_add_lshl_u32 v20, s12, v0, 3
	;; [unrolled: 1-line block ×3, first 2 shown]
	v_mov_b32_e32 v3, s14
	ds_load_b64 v[9:10], v19 offset:3200
	ds_load_b64 v[11:12], v20 offset:3200
	;; [unrolled: 1-line block ×3, first 2 shown]
	ds_load_2addr_b64 v[3:6], v3 offset1:1
	s_add_i32 s12, s12, s28
	s_add_i32 s13, s13, s28
	s_lshl_b32 s9, s12, 3
	s_add_i32 s14, s4, 0xffffff60
	s_add_i32 s19, s4, 0xffffff24
	v_add_lshl_u32 v25, s14, v0, 3
	s_add_i32 s14, s14, s28
	s_add_i32 s24, s8, 0xfffffc10
	s_lshl_b32 s14, s14, 3
	s_add_i32 s22, s4, 0xfffffefc
	s_add_i32 s23, s4, 0xfffffee8
	s_waitcnt lgkmcnt(4)
	v_mul_f64 v[1:2], v[1:2], v[7:8]
	s_waitcnt lgkmcnt(0)
	s_delay_alu instid0(VALU_DEP_1)
	v_fma_f64 v[9:10], -v[1:2], v[5:6], v[9:10]
	v_mov_b32_e32 v5, s9
	s_add_i32 s9, s8, 0xfffffeb0
	ds_load_b64 v[13:14], v5
	v_mov_b32_e32 v5, s9
	s_lshl_b32 s9, s13, 3
	s_add_i32 s13, s4, 0xffffff74
	s_add_i32 s9, s9, -8
	v_add_lshl_u32 v24, s13, v0, 3
	ds_load_2addr_b64 v[5:8], v5 offset1:1
	s_add_i32 s13, s13, s28
	s_waitcnt lgkmcnt(1)
	v_fma_f64 v[22:23], -v[1:2], v[13:14], v[11:12]
	v_mul_f64 v[3:4], v[3:4], v[9:10]
	v_mov_b32_e32 v9, s9
	s_add_i32 s9, s8, 0xfffffe08
	s_delay_alu instid0(SALU_CYCLE_1) | instskip(SKIP_3) | instid1(SALU_CYCLE_1)
	v_mov_b32_e32 v13, s9
	s_add_i32 s9, s4, 0xffffff9c
	ds_load_2addr_b64 v[9:12], v9 offset1:1
	s_add_i32 s12, s9, s28
	s_lshl_b32 s12, s12, 3
	ds_load_2addr_b64 v[13:16], v13 offset1:1
	s_waitcnt lgkmcnt(1)
	v_fma_f64 v[11:12], -v[1:2], v[11:12], v[17:18]
	v_mov_b32_e32 v17, s12
	s_add_i32 s12, s12, -16
	s_delay_alu instid0(SALU_CYCLE_1)
	v_mov_b32_e32 v26, s12
	v_fma_f64 v[7:8], -v[3:4], v[7:8], v[22:23]
	v_add_lshl_u32 v22, s9, v0, 3
	s_add_i32 s9, s4, 0xffffff88
	ds_load_b64 v[17:18], v17
	ds_load_b64 v[30:31], v22 offset:3200
	v_add_lshl_u32 v23, s9, v0, 3
	s_add_i32 s9, s9, s28
	ds_load_b64 v[32:33], v23 offset:3200
	ds_load_b64 v[34:35], v24 offset:3200
	;; [unrolled: 1-line block ×3, first 2 shown]
	ds_load_2addr_b64 v[26:29], v26 offset1:1
	s_lshl_b32 s12, s9, 3
	s_delay_alu instid0(SALU_CYCLE_1)
	s_add_i32 s9, s12, -8
	s_sub_i32 s12, s12, 24
	s_waitcnt lgkmcnt(4)
	v_fma_f64 v[17:18], -v[1:2], v[17:18], v[30:31]
	v_fma_f64 v[11:12], -v[3:4], v[9:10], v[11:12]
	v_mul_f64 v[5:6], v[5:6], v[7:8]
	v_mov_b32_e32 v7, s9
	s_lshl_b32 s9, s13, 3
	s_delay_alu instid0(SALU_CYCLE_1)
	s_add_i32 s13, s9, -8
	ds_load_2addr_b64 v[7:10], v7 offset1:1
	s_waitcnt lgkmcnt(1)
	v_fma_f64 v[28:29], -v[3:4], v[28:29], v[17:18]
	s_waitcnt lgkmcnt(0)
	v_fma_f64 v[30:31], -v[1:2], v[9:10], v[32:33]
	v_mov_b32_e32 v9, s13
	s_sub_i32 s13, s9, 24
	s_sub_i32 s9, s9, 40
	v_fma_f64 v[32:33], -v[5:6], v[15:16], v[11:12]
	ds_load_2addr_b64 v[9:12], v9 offset1:1
	v_mov_b32_e32 v15, s13
	s_add_i32 s13, s8, 0xfffffd60
	ds_load_2addr_b64 v[15:18], v15 offset1:1
	s_waitcnt lgkmcnt(1)
	v_fma_f64 v[44:45], -v[1:2], v[11:12], v[34:35]
	v_dual_mov_b32 v11, s14 :: v_dual_mov_b32 v12, s12
	s_add_i32 s12, s8, 0xfffffcb8
	v_fma_f64 v[26:27], -v[5:6], v[26:27], v[28:29]
	v_fma_f64 v[46:47], -v[3:4], v[7:8], v[30:31]
	v_mov_b32_e32 v30, s13
	s_add_i32 s13, s14, -16
	v_mov_b32_e32 v34, s12
	v_mov_b32_e32 v38, s13
	s_add_i32 s13, s4, 0xffffff4c
	s_delay_alu instid0(SALU_CYCLE_1) | instskip(NEXT) | instid1(SALU_CYCLE_1)
	s_add_i32 s12, s13, s28
	s_lshl_b32 s12, s12, 3
	s_delay_alu instid0(SALU_CYCLE_1)
	s_add_i32 s15, s12, -8
	v_mul_f64 v[7:8], v[13:14], v[32:33]
	ds_load_b64 v[28:29], v11
	ds_load_2addr_b64 v[11:14], v12 offset1:1
	ds_load_2addr_b64 v[30:33], v30 offset1:1
	;; [unrolled: 1-line block ×4, first 2 shown]
	s_sub_i32 s21, s12, 24
	s_waitcnt lgkmcnt(4)
	v_fma_f64 v[50:51], -v[1:2], v[28:29], v[42:43]
	v_add_lshl_u32 v28, s19, v0, 3
	v_fma_f64 v[9:10], -v[3:4], v[9:10], v[44:45]
	s_add_i32 s19, s19, s28
	s_waitcnt lgkmcnt(3)
	v_fma_f64 v[13:14], -v[5:6], v[13:14], v[46:47]
	v_mov_b32_e32 v46, s21
	s_waitcnt lgkmcnt(2)
	v_fma_f64 v[32:33], -v[7:8], v[32:33], v[26:27]
	v_mov_b32_e32 v27, s15
	v_add_lshl_u32 v26, s13, v0, 3
	s_add_i32 s15, s4, 0xffffff38
	s_add_i32 s13, s4, 0xffffff10
	ds_load_2addr_b64 v[42:45], v27 offset1:1
	ds_load_b64 v[52:53], v26 offset:3200
	v_add_lshl_u32 v27, s15, v0, 3
	s_add_i32 s15, s15, s28
	v_add_lshl_u32 v29, s13, v0, 3
	s_lshl_b32 s21, s15, 3
	ds_load_b64 v[54:55], v27 offset:3200
	ds_load_b64 v[56:57], v28 offset:3200
	;; [unrolled: 1-line block ×3, first 2 shown]
	ds_load_2addr_b64 v[46:49], v46 offset1:1
	s_add_i32 s15, s21, -16
	s_add_i32 s13, s13, s28
	s_sub_i32 s25, s21, 32
	s_waitcnt lgkmcnt(6)
	v_fma_f64 v[40:41], -v[3:4], v[40:41], v[50:51]
	v_fma_f64 v[17:18], -v[5:6], v[17:18], v[9:10]
	s_waitcnt lgkmcnt(4)
	v_fma_f64 v[44:45], -v[1:2], v[44:45], v[52:53]
	v_fma_f64 v[11:12], -v[7:8], v[11:12], v[13:14]
	v_mov_b32_e32 v13, s21
	ds_load_b64 v[13:14], v13
	v_mul_f64 v[9:10], v[30:31], v[32:33]
	v_mov_b32_e32 v30, s15
	s_lshl_b32 s15, s19, 3
	s_sub_i32 s19, s14, 32
	ds_load_2addr_b64 v[30:33], v30 offset1:1
	s_waitcnt lgkmcnt(1)
	v_fma_f64 v[54:55], -v[1:2], v[13:14], v[54:55]
	v_dual_mov_b32 v13, s15 :: v_dual_mov_b32 v14, s19
	s_add_i32 s19, s4, 0xfffffec0
	v_fma_f64 v[60:61], -v[5:6], v[38:39], v[40:41]
	v_fma_f64 v[17:18], -v[7:8], v[15:16], v[17:18]
	;; [unrolled: 1-line block ×4, first 2 shown]
	v_mov_b32_e32 v36, s9
	s_sub_i32 s9, s14, 48
	ds_load_b64 v[62:63], v13
	ds_load_2addr_b64 v[13:16], v14 offset1:1
	ds_load_2addr_b64 v[36:39], v36 offset1:1
	v_mov_b32_e32 v40, s9
	s_lshl_b32 s9, s13, 3
	s_add_i32 s14, s15, -16
	s_add_i32 s13, s9, -8
	v_mov_b32_e32 v50, s14
	ds_load_2addr_b64 v[40:43], v40 offset1:1
	ds_load_2addr_b64 v[50:53], v50 offset1:1
	s_add_i32 s14, s4, 0xfffffed4
	s_waitcnt lgkmcnt(5)
	v_fma_f64 v[32:33], -v[3:4], v[32:33], v[54:55]
	s_waitcnt lgkmcnt(4)
	v_fma_f64 v[62:63], -v[1:2], v[62:63], v[56:57]
	;; [unrolled: 2-line block ×3, first 2 shown]
	v_fma_f64 v[44:45], -v[5:6], v[48:49], v[44:45]
	v_fma_f64 v[48:49], -v[7:8], v[15:16], v[60:61]
	v_mov_b32_e32 v15, s13
	s_sub_i32 s13, s9, 24
	ds_load_2addr_b64 v[15:18], v15 offset1:1
	v_mul_f64 v[11:12], v[34:35], v[11:12]
	v_mov_b32_e32 v34, s13
	s_add_i32 s13, s22, s28
	s_delay_alu instid0(SALU_CYCLE_1)
	s_lshl_b32 s13, s13, 3
	ds_load_2addr_b64 v[54:57], v34 offset1:1
	s_waitcnt lgkmcnt(1)
	v_fma_f64 v[17:18], -v[1:2], v[17:18], v[58:59]
	v_fma_f64 v[70:71], -v[5:6], v[30:31], v[32:33]
	v_add_lshl_u32 v30, s22, v0, 3
	s_sub_i32 s22, s12, 40
	v_mov_b32_e32 v58, s24
	v_mov_b32_e32 v32, s22
	s_sub_i32 s22, s21, 48
	v_fma_f64 v[52:53], -v[3:4], v[52:53], v[62:63]
	v_dual_mov_b32 v31, s13 :: v_dual_mov_b32 v62, s22
	s_add_i32 s24, s13, -16
	v_fma_f64 v[72:73], -v[7:8], v[46:47], v[44:45]
	v_fma_f64 v[13:14], -v[9:10], v[13:14], v[48:49]
	v_dual_mov_b32 v33, s25 :: v_dual_mov_b32 v66, s24
	ds_load_b64 v[48:49], v31
	ds_load_b64 v[74:75], v30 offset:3200
	v_add_lshl_u32 v31, s23, v0, 3
	s_sub_i32 s12, s12, 56
	s_add_i32 s23, s23, s28
	s_sub_i32 s21, s21, 64
	v_fma_f64 v[38:39], -v[11:12], v[36:37], v[38:39]
	ds_load_2addr_b64 v[34:37], v33 offset1:1
	ds_load_2addr_b64 v[44:47], v32 offset1:1
	ds_load_b64 v[76:77], v58
	v_mov_b32_e32 v58, s12
	s_lshl_b32 s12, s23, 3
	v_add_lshl_u32 v32, s14, v0, 3
	s_add_i32 s22, s12, -8
	v_add_lshl_u32 v33, s19, v0, 3
	ds_load_b64 v[78:79], v31 offset:3200
	ds_load_b64 v[80:81], v32 offset:3200
	ds_load_b64 v[84:85], v33 offset:3200
	ds_load_2addr_b64 v[58:61], v58 offset1:1
	ds_load_2addr_b64 v[62:65], v62 offset1:1
	;; [unrolled: 1-line block ×3, first 2 shown]
	s_add_i32 s14, s14, s28
	s_waitcnt lgkmcnt(9)
	v_fma_f64 v[74:75], -v[1:2], v[48:49], v[74:75]
	s_lshl_b32 s14, s14, 3
	s_add_i32 s19, s19, s28
	v_fma_f64 v[82:83], -v[3:4], v[15:16], v[17:18]
	v_mov_b32_e32 v15, s22
	s_sub_i32 s22, s15, 32
	s_lshl_b32 s19, s19, 3
	s_sub_i32 s24, s12, 24
	s_add_i32 s23, s19, -8
	s_sub_i32 s25, s12, 40
	v_fma_f64 v[50:51], -v[5:6], v[50:51], v[52:53]
	s_waitcnt lgkmcnt(8)
	v_fma_f64 v[52:53], -v[7:8], v[36:37], v[70:71]
	v_mov_b32_e32 v36, s22
	s_sub_i32 s22, s15, 48
	s_waitcnt lgkmcnt(7)
	v_fma_f64 v[70:71], -v[9:10], v[46:47], v[72:73]
	v_fma_f64 v[42:43], -v[11:12], v[42:43], v[13:14]
	v_mov_b32_e32 v46, s22
	s_add_i32 s22, s8, 0xfffffb68
	s_sub_i32 s26, s19, 24
	s_sub_i32 s15, s15, 64
	;; [unrolled: 1-line block ×4, first 2 shown]
	s_waitcnt lgkmcnt(6)
	v_mul_f64 v[13:14], v[76:77], v[38:39]
	ds_load_2addr_b64 v[15:18], v15 offset1:1
	ds_load_2addr_b64 v[36:39], v36 offset1:1
	;; [unrolled: 1-line block ×3, first 2 shown]
	v_mov_b32_e32 v76, s25
	s_waitcnt lgkmcnt(3)
	v_fma_f64 v[68:69], -v[3:4], v[68:69], v[74:75]
	v_fma_f64 v[56:57], -v[5:6], v[56:57], v[82:83]
	s_waitcnt lgkmcnt(2)
	v_fma_f64 v[17:18], -v[1:2], v[17:18], v[78:79]
	s_waitcnt lgkmcnt(1)
	v_fma_f64 v[50:51], -v[7:8], v[38:39], v[50:51]
	v_fma_f64 v[34:35], -v[9:10], v[34:35], v[52:53]
	v_mov_b32_e32 v38, s14
	v_fma_f64 v[44:45], -v[11:12], v[44:45], v[70:71]
	ds_load_b64 v[52:53], v38
	v_mov_b32_e32 v38, s22
	s_add_i32 s22, s14, -16
	ds_load_b64 v[70:71], v38
	v_mov_b32_e32 v38, s22
	s_sub_i32 s22, s9, 40
	v_fma_f64 v[42:43], -v[13:14], v[40:41], v[42:43]
	ds_load_2addr_b64 v[38:41], v38 offset1:1
	s_waitcnt lgkmcnt(2)
	v_fma_f64 v[86:87], -v[1:2], v[52:53], v[80:81]
	v_fma_f64 v[88:89], -v[5:6], v[66:67], v[68:69]
	v_mov_b32_e32 v80, s26
	s_sub_i32 s26, s14, 48
	v_fma_f64 v[90:91], -v[7:8], v[54:55], v[56:57]
	v_fma_f64 v[17:18], -v[3:4], v[15:16], v[17:18]
	;; [unrolled: 1-line block ×4, first 2 shown]
	v_mov_b32_e32 v50, s24
	v_mov_b32_e32 v64, s22
	v_fma_f64 v[60:61], -v[13:14], v[60:61], v[44:45]
	s_sub_i32 s22, s9, 56
	s_sub_i32 s24, s13, 48
	v_mov_b32_e32 v68, s22
	v_mov_b32_e32 v72, s24
	s_add_i32 s24, s4, 0xfffffe70
	s_addk_i32 s9, 0xffb8
	s_waitcnt lgkmcnt(1)
	v_mul_f64 v[15:16], v[70:71], v[42:43]
	v_mov_b32_e32 v42, s23
	s_sub_i32 s23, s13, 32
	s_delay_alu instid0(SALU_CYCLE_1)
	v_mov_b32_e32 v54, s23
	ds_load_2addr_b64 v[42:45], v42 offset1:1
	ds_load_2addr_b64 v[50:53], v50 offset1:1
	;; [unrolled: 1-line block ×4, first 2 shown]
	s_add_i32 s23, s4, 0xfffffeac
	ds_load_2addr_b64 v[68:71], v68 offset1:1
	ds_load_2addr_b64 v[72:75], v72 offset1:1
	;; [unrolled: 1-line block ×4, first 2 shown]
	s_add_i32 s22, s23, s28
	s_waitcnt lgkmcnt(8)
	v_fma_f64 v[40:41], -v[3:4], v[40:41], v[86:87]
	s_lshl_b32 s22, s22, 3
	s_delay_alu instid0(SALU_CYCLE_1)
	s_add_i32 s25, s22, -16
	s_sub_i32 s31, s22, 48
	v_fma_f64 v[48:49], -v[11:12], v[48:49], v[36:37]
	v_add_lshl_u32 v37, s24, v0, 3
	s_waitcnt lgkmcnt(7)
	v_fma_f64 v[44:45], -v[1:2], v[44:45], v[84:85]
	s_waitcnt lgkmcnt(6)
	v_fma_f64 v[17:18], -v[5:6], v[52:53], v[17:18]
	;; [unrolled: 2-line block ×4, first 2 shown]
	v_fma_f64 v[84:85], -v[13:14], v[62:63], v[34:35]
	v_mov_b32_e32 v35, s22
	v_add_lshl_u32 v34, s23, v0, 3
	s_add_i32 s23, s8, 0xfffffac0
	ds_load_b64 v[88:89], v35
	ds_load_b64 v[90:91], v34 offset:3200
	v_dual_mov_b32 v35, s21 :: v_dual_mov_b32 v36, s23
	s_add_i32 s21, s4, 0xfffffe98
	v_fma_f64 v[86:87], -v[15:16], v[58:59], v[60:61]
	ds_load_2addr_b64 v[56:59], v35 offset1:1
	ds_load_b64 v[92:93], v36
	v_add_lshl_u32 v35, s21, v0, 3
	s_add_i32 s21, s21, s28
	v_mov_b32_e32 v60, s25
	s_lshl_b32 s21, s21, 3
	s_add_i32 s23, s4, 0xfffffe84
	s_add_i32 s25, s21, -8
	v_add_lshl_u32 v36, s23, v0, 3
	ds_load_b64 v[94:95], v35 offset:3200
	ds_load_b64 v[96:97], v36 offset:3200
	;; [unrolled: 1-line block ×3, first 2 shown]
	ds_load_2addr_b64 v[60:63], v60 offset1:1
	v_fma_f64 v[98:99], -v[5:6], v[38:39], v[40:41]
	v_mov_b32_e32 v38, s25
	s_waitcnt lgkmcnt(6)
	v_fma_f64 v[88:89], -v[1:2], v[88:89], v[90:91]
	s_sub_i32 s25, s14, 32
	s_add_i32 s23, s23, s28
	s_addk_i32 s8, 0xfa18
	ds_load_2addr_b64 v[38:41], v38 offset1:1
	s_lshl_b32 s23, s23, 3
	v_fma_f64 v[104:105], -v[13:14], v[46:47], v[48:49]
	v_mov_b32_e32 v46, s15
	v_fma_f64 v[90:91], -v[3:4], v[42:43], v[44:45]
	v_fma_f64 v[100:101], -v[7:8], v[50:51], v[17:18]
	;; [unrolled: 1-line block ×4, first 2 shown]
	s_waitcnt lgkmcnt(6)
	v_fma_f64 v[58:59], -v[15:16], v[58:59], v[84:85]
	v_mov_b32_e32 v42, s25
	ds_load_2addr_b64 v[42:45], v42 offset1:1
	ds_load_2addr_b64 v[46:49], v46 offset1:1
	s_mul_i32 s15, s20, 0xa8
	v_mov_b32_e32 v64, s26
	s_add_i32 s25, s15, 0xfffff8c8
	s_waitcnt lgkmcnt(7)
	v_mul_f64 v[17:18], v[92:93], v[86:87]
	v_mov_b32_e32 v50, s25
	s_waitcnt lgkmcnt(2)
	v_fma_f64 v[40:41], -v[1:2], v[40:41], v[94:95]
	ds_load_2addr_b64 v[50:53], v50 offset1:1
	ds_load_2addr_b64 v[64:67], v64 offset1:1
	s_add_i32 s24, s24, s28
	s_add_i32 s25, s15, 0xfffff820
	s_add_i32 s29, s23, -16
	s_sub_i32 s33, s21, 24
	s_add_i32 s26, s12, 0xffffffb8
	s_sub_i32 s34, s21, 40
	v_mov_b32_e32 v92, s30
	s_sub_i32 s4, s4, 20
	s_waitcnt lgkmcnt(3)
	v_fma_f64 v[44:45], -v[7:8], v[44:45], v[98:99]
	v_fma_f64 v[62:63], -v[3:4], v[62:63], v[88:89]
	v_dual_mov_b32 v89, s26 :: v_dual_mov_b32 v88, s25
	s_sub_i32 s25, s12, 56
	s_addk_i32 s12, 0xffa8
	s_waitcnt lgkmcnt(2)
	v_fma_f64 v[48:49], -v[15:16], v[48:49], v[104:105]
	v_fma_f64 v[82:83], -v[5:6], v[82:83], v[90:91]
	;; [unrolled: 1-line block ×5, first 2 shown]
	v_mov_b32_e32 v54, s23
	v_mov_b32_e32 v100, s34
	ds_load_b64 v[84:85], v54
	v_mov_b32_e32 v54, s8
	s_lshl_b32 s8, s24, 3
	s_sub_i32 s24, s13, 64
	s_add_i32 s35, s8, -8
	v_fma_f64 v[58:59], -v[17:18], v[56:57], v[58:59]
	ds_load_b64 v[86:87], v54
	v_fma_f64 v[112:113], -v[3:4], v[38:39], v[40:41]
	v_mov_b32_e32 v54, s29
	s_sub_i32 s29, s22, 32
	v_mov_b32_e32 v38, s33
	s_addk_i32 s13, 0xffb0
	s_sub_i32 s36, s8, 24
	ds_load_2addr_b64 v[54:57], v54 offset1:1
	v_mov_b32_e32 v104, s36
	s_sub_i32 s26, s8, 40
	s_waitcnt lgkmcnt(2)
	v_fma_f64 v[110:111], -v[1:2], v[84:85], v[96:97]
	v_fma_f64 v[62:63], -v[5:6], v[60:61], v[62:63]
	;; [unrolled: 1-line block ×3, first 2 shown]
	v_mov_b32_e32 v42, s29
	v_mov_b32_e32 v84, s13
	;; [unrolled: 1-line block ×3, first 2 shown]
	s_sub_i32 s13, s23, 48
	v_fma_f64 v[124:125], -v[17:18], v[46:47], v[48:49]
	v_mov_b32_e32 v46, s27
	v_fma_f64 v[114:115], -v[7:8], v[80:81], v[82:83]
	v_fma_f64 v[118:119], -v[11:12], v[76:77], v[78:79]
	;; [unrolled: 1-line block ×4, first 2 shown]
	v_mov_b32_e32 v76, s35
	v_mov_b32_e32 v68, s24
	;; [unrolled: 1-line block ×3, first 2 shown]
	ds_load_2addr_b64 v[38:41], v38 offset1:1
	ds_load_2addr_b64 v[42:45], v42 offset1:1
	;; [unrolled: 1-line block ×3, first 2 shown]
	s_sub_i32 s9, s23, 32
	s_sub_i32 s24, s22, 64
	s_waitcnt lgkmcnt(4)
	v_mul_f64 v[126:127], v[86:87], v[58:59]
	v_mov_b32_e32 v58, s25
	s_sub_i32 s25, s21, 56
	ds_load_2addr_b64 v[58:61], v58 offset1:1
	ds_load_2addr_b64 v[68:71], v68 offset1:1
	;; [unrolled: 1-line block ×11, first 2 shown]
	s_waitcnt lgkmcnt(13)
	v_fma_f64 v[40:41], -v[5:6], v[40:41], v[112:113]
	v_fma_f64 v[56:57], -v[3:4], v[56:57], v[110:111]
	s_waitcnt lgkmcnt(12)
	v_fma_f64 v[44:45], -v[7:8], v[44:45], v[62:63]
	v_fma_f64 v[62:63], -v[11:12], v[66:67], v[116:117]
	s_waitcnt lgkmcnt(11)
	v_fma_f64 v[48:49], -v[9:10], v[48:49], v[114:115]
	s_waitcnt lgkmcnt(10)
	;; [unrolled: 2-line block ×5, first 2 shown]
	v_fma_f64 v[74:75], -v[1:2], v[78:79], v[108:109]
	v_fma_f64 v[52:53], -v[126:127], v[52:53], v[124:125]
	;; [unrolled: 1-line block ×6, first 2 shown]
	v_mov_b32_e32 v38, s9
	s_sub_i32 s9, s14, 64
	s_delay_alu instid0(SALU_CYCLE_1)
	v_mov_b32_e32 v42, s9
	ds_load_2addr_b64 v[38:41], v38 offset1:1
	ds_load_2addr_b64 v[42:45], v42 offset1:1
	v_fma_f64 v[108:109], -v[11:12], v[46:47], v[48:49]
	v_fma_f64 v[58:59], -v[15:16], v[58:59], v[60:61]
	;; [unrolled: 1-line block ×5, first 2 shown]
	s_add_i32 s9, s14, 0xffffffb0
	s_delay_alu instid0(SALU_CYCLE_1)
	v_mov_b32_e32 v46, s9
	s_add_i32 s9, s15, 0xfffff778
	v_mul_f64 v[110:111], v[50:51], v[52:53]
	v_mov_b32_e32 v50, s13
	s_add_i32 s13, s19, 0xffffffb8
	ds_load_2addr_b64 v[46:49], v46 offset1:1
	ds_load_2addr_b64 v[50:53], v50 offset1:1
	s_waitcnt lgkmcnt(3)
	v_fma_f64 v[40:41], -v[7:8], v[40:41], v[54:55]
	v_fma_f64 v[68:69], -v[9:10], v[102:103], v[56:57]
	;; [unrolled: 1-line block ×3, first 2 shown]
	s_waitcnt lgkmcnt(2)
	v_fma_f64 v[44:45], -v[15:16], v[44:45], v[62:63]
	v_mov_b32_e32 v54, s9
	s_add_i32 s9, s15, 0xfffff6d0
	ds_load_2addr_b64 v[54:57], v54 offset1:1
	v_fma_f64 v[72:73], -v[13:14], v[94:95], v[108:109]
	v_fma_f64 v[58:59], -v[17:18], v[90:91], v[58:59]
	;; [unrolled: 1-line block ×5, first 2 shown]
	v_mov_b32_e32 v66, s26
	v_fma_f64 v[90:91], -v[9:10], v[38:39], v[40:41]
	v_fma_f64 v[94:95], -v[11:12], v[100:101], v[68:69]
	v_fma_f64 v[96:97], -v[13:14], v[96:97], v[70:71]
	v_fma_f64 v[98:99], -v[17:18], v[42:43], v[44:45]
	v_mov_b32_e32 v38, s25
	v_mov_b32_e32 v42, s24
	;; [unrolled: 1-line block ×3, first 2 shown]
	s_add_i32 s9, s19, 0xffffffa8
	s_sub_i32 s24, s8, 56
	v_mov_b32_e32 v74, s9
	s_sub_i32 s9, s23, 64
	v_mov_b32_e32 v86, s24
	v_fma_f64 v[92:93], -v[15:16], v[92:93], v[72:73]
	v_fma_f64 v[100:101], -v[126:127], v[88:89], v[58:59]
	;; [unrolled: 1-line block ×3, first 2 shown]
	v_mov_b32_e32 v58, s13
	ds_load_2addr_b64 v[38:41], v38 offset1:1
	ds_load_2addr_b64 v[42:45], v42 offset1:1
	ds_load_2addr_b64 v[58:61], v58 offset1:1
	s_add_i32 s13, s21, 0xffffffb8
	ds_load_2addr_b64 v[66:69], v66 offset1:1
	v_mov_b32_e32 v82, s13
	s_add_i32 s13, s21, 0xffffffa8
	v_mul_f64 v[106:107], v[80:81], v[62:63]
	v_fma_f64 v[104:105], -v[7:8], v[104:105], v[64:65]
	v_mov_b32_e32 v62, s12
	s_add_i32 s12, s22, 0xffffffb0
	s_delay_alu instid0(SALU_CYCLE_1)
	v_mov_b32_e32 v78, s12
	s_add_i32 s12, s23, 0xffffffb0
	ds_load_2addr_b64 v[62:65], v62 offset1:1
	ds_load_2addr_b64 v[70:73], v70 offset1:1
	;; [unrolled: 1-line block ×6, first 2 shown]
	s_waitcnt lgkmcnt(11)
	v_fma_f64 v[52:53], -v[11:12], v[52:53], v[90:91]
	s_waitcnt lgkmcnt(9)
	v_fma_f64 v[40:41], -v[13:14], v[40:41], v[94:95]
	;; [unrolled: 2-line block ×3, first 2 shown]
	v_fma_f64 v[48:49], -v[126:127], v[48:49], v[98:99]
	s_waitcnt lgkmcnt(7)
	v_fma_f64 v[60:61], -v[17:18], v[60:61], v[92:93]
	s_waitcnt lgkmcnt(5)
	v_fma_f64 v[64:65], -v[110:111], v[64:65], v[100:101]
	v_fma_f64 v[56:57], -v[106:107], v[56:57], v[102:103]
	;; [unrolled: 1-line block ×6, first 2 shown]
	v_mov_b32_e32 v38, s9
	s_add_i32 s9, s14, 0xffffffa0
	v_mov_b32_e32 v50, s12
	v_mov_b32_e32 v42, s9
	ds_load_2addr_b64 v[38:41], v38 offset1:1
	ds_load_2addr_b64 v[42:45], v42 offset1:1
	s_add_i32 s9, s15, 0xfffff628
	v_fma_f64 v[58:59], -v[126:127], v[58:59], v[60:61]
	v_fma_f64 v[60:61], -v[110:111], v[46:47], v[48:49]
	;; [unrolled: 1-line block ×3, first 2 shown]
	s_add_i32 s12, s22, 0xffffffa0
	v_mov_b32_e32 v46, s9
	s_add_i32 s9, s19, 0xffffff98
	s_add_i32 s14, s8, 0xffffffb8
	ds_load_2addr_b64 v[46:49], v46 offset1:1
	ds_load_2addr_b64 v[50:53], v50 offset1:1
	v_mul_f64 v[96:97], v[54:55], v[56:57]
	v_fma_f64 v[54:55], -v[11:12], v[66:67], v[68:69]
	s_waitcnt lgkmcnt(3)
	v_fma_f64 v[40:41], -v[15:16], v[40:41], v[90:91]
	v_fma_f64 v[56:57], -v[17:18], v[84:85], v[92:93]
	v_fma_f64 v[64:65], -v[126:127], v[80:81], v[94:95]
	v_fma_f64 v[58:59], -v[110:111], v[76:77], v[58:59]
	s_waitcnt lgkmcnt(2)
	v_fma_f64 v[44:45], -v[106:107], v[44:45], v[60:61]
	v_fma_f64 v[60:61], -v[96:97], v[72:73], v[62:63]
	;; [unrolled: 1-line block ×6, first 2 shown]
	v_mov_b32_e32 v38, s13
	s_add_i32 s13, s8, 0xffffffa8
	v_fma_f64 v[84:85], -v[106:107], v[74:75], v[58:59]
	v_fma_f64 v[88:89], -v[96:97], v[42:43], v[44:45]
	v_mov_b32_e32 v42, s12
	v_mov_b32_e32 v58, s14
	s_add_i32 s12, s21, 0xffffff98
	v_mov_b32_e32 v74, s13
	s_add_i32 s13, s8, 0xffffff98
	v_mul_f64 v[90:91], v[70:71], v[60:61]
	v_fma_f64 v[86:87], -v[15:16], v[86:87], v[54:55]
	v_mov_b32_e32 v54, s9
	ds_load_2addr_b64 v[38:41], v38 offset1:1
	ds_load_2addr_b64 v[42:45], v42 offset1:1
	;; [unrolled: 1-line block ×4, first 2 shown]
	s_add_i32 s9, s15, 0xfffff580
	v_mov_b32_e32 v70, s12
	v_mov_b32_e32 v62, s9
	s_add_i32 s9, s22, 0xffffff90
	s_add_i32 s12, s21, 0xffffff88
	v_mov_b32_e32 v66, s9
	s_add_i32 s9, s23, 0xffffffa0
	ds_load_2addr_b64 v[62:65], v62 offset1:1
	ds_load_2addr_b64 v[66:69], v66 offset1:1
	;; [unrolled: 1-line block ×4, first 2 shown]
	s_waitcnt lgkmcnt(8)
	v_fma_f64 v[52:53], -v[126:127], v[52:53], v[80:81]
	s_waitcnt lgkmcnt(7)
	v_fma_f64 v[40:41], -v[110:111], v[40:41], v[82:83]
	;; [unrolled: 2-line block ×4, first 2 shown]
	v_fma_f64 v[48:49], -v[90:91], v[48:49], v[88:89]
	s_waitcnt lgkmcnt(4)
	v_fma_f64 v[60:61], -v[17:18], v[60:61], v[86:87]
	v_fma_f64 v[50:51], -v[110:111], v[50:51], v[52:53]
	;; [unrolled: 1-line block ×4, first 2 shown]
	v_mov_b32_e32 v38, s9
	s_add_i32 s9, s23, 0xffffff90
	v_fma_f64 v[54:55], -v[90:91], v[54:55], v[56:57]
	v_mov_b32_e32 v42, s9
	ds_load_2addr_b64 v[38:41], v38 offset1:1
	s_add_i32 s9, s15, 0xfffff4d8
	ds_load_2addr_b64 v[42:45], v42 offset1:1
	v_mul_f64 v[80:81], v[46:47], v[48:49]
	v_fma_f64 v[46:47], -v[126:127], v[58:59], v[60:61]
	s_waitcnt lgkmcnt(1)
	v_fma_f64 v[40:41], -v[106:107], v[40:41], v[50:51]
	v_fma_f64 v[48:49], -v[96:97], v[72:73], v[52:53]
	;; [unrolled: 1-line block ×6, first 2 shown]
	v_mov_b32_e32 v38, s12
	s_add_i32 s12, s8, 0xffffff88
	s_addk_i32 s8, 0xff78
	v_mov_b32_e32 v58, s12
	v_fma_f64 v[68:69], -v[90:91], v[70:71], v[48:49]
	v_fma_f64 v[66:67], -v[80:81], v[66:67], v[50:51]
	v_mov_b32_e32 v50, s13
	v_mul_f64 v[62:63], v[62:63], v[52:53]
	v_fma_f64 v[70:71], -v[106:107], v[74:75], v[46:47]
	v_mov_b32_e32 v46, s9
	s_add_i32 s9, s15, 0xfffff430
	ds_load_2addr_b64 v[38:41], v38 offset1:1
	ds_load_2addr_b64 v[46:49], v46 offset1:1
	;; [unrolled: 1-line block ×3, first 2 shown]
	v_mov_b32_e32 v54, s9
	s_add_i32 s9, s23, 0xffffff80
	ds_load_2addr_b64 v[54:57], v54 offset1:1
	ds_load_2addr_b64 v[58:61], v58 offset1:1
	s_waitcnt lgkmcnt(5)
	v_fma_f64 v[44:45], -v[90:91], v[44:45], v[64:65]
	s_waitcnt lgkmcnt(4)
	v_fma_f64 v[40:41], -v[80:81], v[40:41], v[68:69]
	;; [unrolled: 2-line block ×4, first 2 shown]
	s_delay_alu instid0(VALU_DEP_4) | instskip(NEXT) | instid1(VALU_DEP_4)
	v_fma_f64 v[64:65], -v[80:81], v[42:43], v[44:45]
	v_fma_f64 v[66:67], -v[62:63], v[38:39], v[40:41]
	v_mov_b32_e32 v38, s9
	s_add_i32 s9, s15, 0xfffff388
	s_delay_alu instid0(SALU_CYCLE_1)
	v_mov_b32_e32 v42, s9
	ds_load_2addr_b64 v[38:41], v38 offset1:1
	ds_load_2addr_b64 v[42:45], v42 offset1:1
	v_mul_f64 v[68:69], v[46:47], v[48:49]
	v_fma_f64 v[46:47], -v[90:91], v[50:51], v[52:53]
	s_waitcnt lgkmcnt(1)
	v_fma_f64 v[40:41], -v[62:63], v[40:41], v[64:65]
	s_delay_alu instid0(VALU_DEP_3) | instskip(NEXT) | instid1(VALU_DEP_3)
	v_fma_f64 v[48:49], -v[68:69], v[56:57], v[66:67]
	v_fma_f64 v[46:47], -v[80:81], v[60:61], v[46:47]
	s_delay_alu instid0(VALU_DEP_3)
	v_fma_f64 v[50:51], -v[68:69], v[38:39], v[40:41]
	v_mov_b32_e32 v38, s8
	s_add_i32 s8, s15, 0xfffff2e0
	ds_load_2addr_b64 v[38:41], v38 offset1:1
	v_mul_f64 v[52:53], v[54:55], v[48:49]
	v_fma_f64 v[54:55], -v[62:63], v[58:59], v[46:47]
	v_mov_b32_e32 v46, s8
	ds_load_2addr_b64 v[46:49], v46 offset1:1
	s_waitcnt lgkmcnt(2)
	v_fma_f64 v[44:45], -v[52:53], v[44:45], v[50:51]
	s_waitcnt lgkmcnt(1)
	v_fma_f64 v[40:41], -v[68:69], v[40:41], v[54:55]
	s_delay_alu instid0(VALU_DEP_2) | instskip(NEXT) | instid1(VALU_DEP_2)
	v_mul_f64 v[42:43], v[42:43], v[44:45]
	v_fma_f64 v[38:39], -v[52:53], v[38:39], v[40:41]
	v_add_lshl_u32 v40, s4, v0, 3
	s_sub_i32 s4, s20, 21
	ds_store_b64 v40, v[1:2] offset:3200
	ds_store_b64 v19, v[3:4] offset:3200
	;; [unrolled: 1-line block ×19, first 2 shown]
	s_waitcnt lgkmcnt(19)
	v_fma_f64 v[38:39], -v[42:43], v[48:49], v[38:39]
	s_delay_alu instid0(VALU_DEP_1)
	v_mul_f64 v[38:39], v[46:47], v[38:39]
	ds_store_b64 v37, v[38:39] offset:3200
.LBB89_20:
	s_cmp_gt_i32 s4, -1
	s_cbranch_scc0 .LBB89_39
; %bb.21:
	s_cmp_lt_u32 s4, 15
	s_cbranch_scc1 .LBB89_26
; %bb.22:
	s_mul_i32 s13, s4, 20
	s_delay_alu instid0(SALU_CYCLE_1)
	s_sub_i32 s8, s13, 40
	s_sub_i32 s9, s13, 60
	;; [unrolled: 1-line block ×3, first 2 shown]
	v_add_lshl_u32 v3, s8, v0, 3
	s_add_i32 s8, s13, 0xffffffb0
	v_add_lshl_u32 v38, s13, v0, 3
	v_add_lshl_u32 v4, s9, v0, 3
	s_add_i32 s9, s13, 0xffffff9c
	v_add_lshl_u32 v39, s27, v0, 3
	;; [unrolled: 3-line block ×3, first 2 shown]
	s_add_i32 s9, s13, 0xffffff74
	v_add_lshl_u32 v10, s8, v0, 3
	s_add_i32 s8, s13, 0xffffff60
	v_add_lshl_u32 v13, s9, v0, 3
	s_add_i32 s9, s13, 0xffffff4c
	ds_load_b64 v[1:2], v38 offset:3200
	ds_load_b64 v[31:32], v39 offset:3200
	;; [unrolled: 1-line block ×8, first 2 shown]
	v_add_lshl_u32 v3, s8, v0, 3
	s_add_i32 s8, s13, 0xffffff38
	v_add_lshl_u32 v4, s9, v0, 3
	s_add_i32 s29, s13, 0xffffff24
	;; [unrolled: 2-line block ×4, first 2 shown]
	s_add_i32 s21, s13, 0xfffffee8
	s_addk_i32 s13, 0xfed4
	v_add_lshl_u32 v34, s26, v0, 3
	v_add_lshl_u32 v35, s23, v0, 3
	;; [unrolled: 1-line block ×4, first 2 shown]
	ds_load_b64 v[15:16], v3 offset:3200
	ds_load_b64 v[23:24], v4 offset:3200
	;; [unrolled: 1-line block ×8, first 2 shown]
	s_cmp_le_i32 s28, s4
	s_cbranch_scc1 .LBB89_25
; %bb.23:
	v_lshlrev_b32_e32 v40, 3, v0
	s_mul_i32 s12, s20, 0xa0
	s_mul_i32 s8, s4, 0xa0
	s_lshl_b32 s9, s20, 3
	s_delay_alu instid0(SALU_CYCLE_1)
	s_add_i32 s8, s8, s9
	v_add3_u32 v40, s12, v40, 0xbe0
	s_addk_i32 s8, 0xf698
	s_mov_b32 s9, s28
.LBB89_24:                              ; =>This Inner Loop Header: Depth=1
	v_add_nc_u32_e64 v41, 0x800, s8
	v_add_nc_u32_e64 v45, 0x400, s8
	v_mov_b32_e32 v69, s8
	ds_load_b64 v[73:74], v40
	v_add_nc_u32_e32 v40, 0xffffff60, v40
	ds_load_2addr_b64 v[41:44], v41 offset0:24 offset1:44
	ds_load_2addr_b64 v[45:48], v45 offset0:112 offset1:132
	;; [unrolled: 1-line block ×7, first 2 shown]
	ds_load_2addr_b64 v[69:72], v69 offset1:20
	s_add_i32 s9, s9, -1
	s_add_i32 s8, s8, -8
	s_cmp_gt_i32 s9, s4
	s_waitcnt lgkmcnt(7)
	v_fma_f64 v[1:2], -v[73:74], v[43:44], v[1:2]
	v_fma_f64 v[31:32], -v[73:74], v[41:42], v[31:32]
	s_waitcnt lgkmcnt(6)
	v_fma_f64 v[5:6], -v[73:74], v[47:48], v[5:6]
	v_fma_f64 v[29:30], -v[73:74], v[45:46], v[29:30]
	;; [unrolled: 3-line block ×8, first 2 shown]
	s_cbranch_scc1 .LBB89_24
.LBB89_25:
	s_mul_i32 s8, s4, 0xa8
	s_delay_alu instid0(SALU_CYCLE_1)
	v_dual_mov_b32 v40, s8 :: v_dual_add_nc_u32 v39, 0xc80, v39
	s_add_i32 s9, s8, 0xffffff58
	s_add_i32 s26, s26, s4
	s_add_i32 s21, s21, s4
	s_lshl_b32 s26, s26, 3
	ds_load_b64 v[44:45], v40
	v_mov_b32_e32 v40, s9
	s_sub_i32 s9, s27, 20
	s_lshl_b32 s21, s21, 3
	s_add_i32 s12, s9, s4
	s_add_i32 s29, s29, s4
	ds_load_2addr_b64 v[40:43], v40 offset1:1
	s_lshl_b32 s12, s12, 3
	s_lshl_b32 s29, s29, 3
	s_add_i32 s23, s23, s4
	s_add_i32 s13, s13, s4
	s_lshl_b32 s23, s23, 3
	s_lshl_b32 s13, s13, 3
	s_waitcnt lgkmcnt(1)
	v_mul_f64 v[1:2], v[44:45], v[1:2]
	s_waitcnt lgkmcnt(0)
	s_delay_alu instid0(VALU_DEP_1)
	v_fma_f64 v[31:32], -v[1:2], v[42:43], v[31:32]
	v_mov_b32_e32 v42, s12
	s_add_i32 s12, s8, 0xfffffeb0
	ds_load_b64 v[46:47], v42
	v_mov_b32_e32 v42, s12
	s_sub_i32 s12, s27, 40
	s_delay_alu instid0(SALU_CYCLE_1) | instskip(NEXT) | instid1(SALU_CYCLE_1)
	s_add_i32 s14, s12, s4
	s_lshl_b32 s14, s14, 3
	ds_load_2addr_b64 v[42:45], v42 offset1:1
	s_add_i32 s14, s14, -8
	v_add_nc_u32_e32 v38, 0xc80, v38
	s_waitcnt lgkmcnt(1)
	v_fma_f64 v[54:55], -v[1:2], v[46:47], v[5:6]
	v_mul_f64 v[5:6], v[40:41], v[31:32]
	v_mov_b32_e32 v31, s14
	s_add_i32 s14, s8, 0xfffffe08
	ds_load_2addr_b64 v[46:49], v31 offset1:1
	v_mov_b32_e32 v31, s14
	s_sub_i32 s14, s27, 60
	s_delay_alu instid0(SALU_CYCLE_1) | instskip(NEXT) | instid1(SALU_CYCLE_1)
	s_add_i32 s15, s14, s4
	s_lshl_b32 s15, s15, 3
	ds_load_2addr_b64 v[50:53], v31 offset1:1
	s_waitcnt lgkmcnt(1)
	v_fma_f64 v[40:41], -v[1:2], v[48:49], v[29:30]
	v_mov_b32_e32 v29, s15
	s_add_i32 s15, s15, -16
	ds_load_b64 v[48:49], v29
	v_mov_b32_e32 v29, s15
	s_add_i32 s15, s27, 0xffffffb0
	s_delay_alu instid0(SALU_CYCLE_1) | instskip(NEXT) | instid1(SALU_CYCLE_1)
	s_add_i32 s19, s15, s4
	s_lshl_b32 s24, s19, 3
	v_fma_f64 v[44:45], -v[5:6], v[44:45], v[54:55]
	s_add_i32 s19, s24, -8
	ds_load_2addr_b64 v[29:32], v29 offset1:1
	s_sub_i32 s24, s24, 24
	s_waitcnt lgkmcnt(1)
	v_fma_f64 v[48:49], -v[1:2], v[48:49], v[7:8]
	v_fma_f64 v[46:47], -v[5:6], v[46:47], v[40:41]
	v_mov_b32_e32 v40, s19
	s_add_i32 s19, s27, 0xffffff9c
	s_delay_alu instid0(SALU_CYCLE_1) | instskip(NEXT) | instid1(SALU_CYCLE_1)
	s_add_i32 s22, s19, s4
	s_lshl_b32 s34, s22, 3
	s_delay_alu instid0(SALU_CYCLE_1)
	s_add_i32 s22, s34, -8
	v_mul_f64 v[7:8], v[42:43], v[44:45]
	ds_load_2addr_b64 v[40:43], v40 offset1:1
	s_waitcnt lgkmcnt(1)
	v_fma_f64 v[31:32], -v[5:6], v[31:32], v[48:49]
	s_waitcnt lgkmcnt(0)
	v_fma_f64 v[27:28], -v[1:2], v[42:43], v[27:28]
	v_mov_b32_e32 v42, s22
	s_sub_i32 s22, s34, 24
	s_sub_i32 s34, s34, 40
	ds_load_2addr_b64 v[42:45], v42 offset1:1
	v_fma_f64 v[52:53], -v[7:8], v[52:53], v[46:47]
	v_mov_b32_e32 v46, s22
	s_add_i32 s22, s27, 0xffffff88
	s_delay_alu instid0(SALU_CYCLE_1)
	s_add_i32 s25, s22, s4
	ds_load_2addr_b64 v[46:49], v46 offset1:1
	s_lshl_b32 s35, s25, 3
	s_add_i32 s25, s8, 0xfffffd60
	s_waitcnt lgkmcnt(1)
	v_fma_f64 v[44:45], -v[1:2], v[44:45], v[11:12]
	s_sub_i32 s36, s35, 32
	v_fma_f64 v[31:32], -v[7:8], v[29:30], v[31:32]
	v_fma_f64 v[40:41], -v[5:6], v[40:41], v[27:28]
	v_dual_mov_b32 v27, s35 :: v_dual_mov_b32 v28, s24
	s_add_i32 s24, s8, 0xfffffcb8
	s_delay_alu instid0(SALU_CYCLE_1)
	v_mov_b32_e32 v54, s24
	s_add_i32 s24, s27, 0xffffff74
	v_mul_f64 v[11:12], v[50:51], v[52:53]
	v_mov_b32_e32 v50, s25
	ds_load_b64 v[62:63], v27
	ds_load_2addr_b64 v[27:30], v28 offset1:1
	ds_load_2addr_b64 v[50:53], v50 offset1:1
	s_add_i32 s25, s35, -16
	s_delay_alu instid0(SALU_CYCLE_1)
	v_mov_b32_e32 v58, s25
	s_add_i32 s25, s24, s4
	v_fma_f64 v[44:45], -v[5:6], v[42:43], v[44:45]
	s_lshl_b32 s33, s25, 3
	ds_load_2addr_b64 v[54:57], v54 offset1:1
	ds_load_2addr_b64 v[58:61], v58 offset1:1
	s_add_i32 s25, s33, -8
	s_waitcnt lgkmcnt(4)
	v_fma_f64 v[25:26], -v[1:2], v[62:63], v[25:26]
	s_waitcnt lgkmcnt(3)
	v_fma_f64 v[62:63], -v[7:8], v[29:30], v[40:41]
	v_mov_b32_e32 v29, s25
	s_sub_i32 s25, s33, 24
	s_delay_alu instid0(SALU_CYCLE_1) | instskip(SKIP_3) | instid1(SALU_CYCLE_1)
	v_mov_b32_e32 v40, s25
	s_add_i32 s25, s27, 0xffffff60
	s_addk_i32 s27, 0xff4c
	s_add_i32 s30, s25, s4
	s_lshl_b32 s30, s30, 3
	ds_load_2addr_b64 v[40:43], v40 offset1:1
	s_add_i32 s31, s30, -16
	s_waitcnt lgkmcnt(3)
	v_fma_f64 v[52:53], -v[11:12], v[52:53], v[31:32]
	ds_load_2addr_b64 v[29:32], v29 offset1:1
	v_fma_f64 v[44:45], -v[7:8], v[48:49], v[44:45]
	s_waitcnt lgkmcnt(0)
	v_fma_f64 v[31:32], -v[1:2], v[31:32], v[15:16]
	v_fma_f64 v[60:61], -v[5:6], v[60:61], v[25:26]
	;; [unrolled: 1-line block ×3, first 2 shown]
	v_mov_b32_e32 v25, s30
	v_mul_f64 v[15:16], v[50:51], v[52:53]
	ds_load_b64 v[50:51], v25
	v_mov_b32_e32 v25, s31
	s_add_i32 s31, s27, s4
	s_add_i32 s4, s4, -16
	s_lshl_b32 s31, s31, 3
	ds_load_2addr_b64 v[25:28], v25 offset1:1
	v_fma_f64 v[62:63], -v[11:12], v[46:47], v[44:45]
	v_mov_b32_e32 v44, s34
	s_sub_i32 s34, s35, 48
	s_add_i32 s35, s31, -16
	s_waitcnt lgkmcnt(1)
	v_fma_f64 v[23:24], -v[1:2], v[50:51], v[23:24]
	v_fma_f64 v[52:53], -v[5:6], v[29:30], v[31:32]
	;; [unrolled: 1-line block ×3, first 2 shown]
	v_dual_mov_b32 v29, s31 :: v_dual_mov_b32 v30, s36
	ds_load_b64 v[66:67], v29
	ds_load_2addr_b64 v[29:32], v30 offset1:1
	ds_load_2addr_b64 v[44:47], v44 offset1:1
	s_sub_i32 s36, s33, 40
	s_sub_i32 s33, s33, 56
	v_fma_f64 v[64:65], -v[15:16], v[56:57], v[48:49]
	v_mov_b32_e32 v48, s34
	s_add_i32 s34, s29, -8
	v_mov_b32_e32 v56, s35
	ds_load_2addr_b64 v[48:51], v48 offset1:1
	ds_load_2addr_b64 v[56:59], v56 offset1:1
	s_sub_i32 s35, s30, 32
	s_waitcnt lgkmcnt(4)
	v_fma_f64 v[66:67], -v[1:2], v[66:67], v[19:20]
	v_fma_f64 v[23:24], -v[5:6], v[27:28], v[23:24]
	;; [unrolled: 1-line block ×3, first 2 shown]
	s_waitcnt lgkmcnt(3)
	v_fma_f64 v[31:32], -v[11:12], v[31:32], v[60:61]
	s_waitcnt lgkmcnt(2)
	v_fma_f64 v[42:43], -v[15:16], v[46:47], v[62:63]
	v_mov_b32_e32 v46, s34
	s_sub_i32 s34, s29, 24
	v_mul_f64 v[19:20], v[54:55], v[64:65]
	ds_load_2addr_b64 v[52:55], v46 offset1:1
	v_mov_b32_e32 v46, s34
	s_add_i32 s34, s8, 0xfffffc10
	ds_load_2addr_b64 v[60:63], v46 offset1:1
	s_waitcnt lgkmcnt(2)
	v_fma_f64 v[58:59], -v[5:6], v[58:59], v[66:67]
	s_waitcnt lgkmcnt(1)
	v_fma_f64 v[54:55], -v[1:2], v[54:55], v[21:22]
	v_fma_f64 v[64:65], -v[7:8], v[25:26], v[23:24]
	;; [unrolled: 1-line block ×4, first 2 shown]
	v_dual_mov_b32 v21, s26 :: v_dual_mov_b32 v22, s35
	v_mov_b32_e32 v25, s36
	v_dual_mov_b32 v29, s34 :: v_dual_mov_b32 v40, s33
	ds_load_b64 v[72:73], v21
	ds_load_2addr_b64 v[21:24], v22 offset1:1
	ds_load_2addr_b64 v[25:28], v25 offset1:1
	ds_load_b64 v[74:75], v29
	s_add_i32 s33, s23, -8
	s_add_i32 s34, s26, -16
	s_sub_i32 s35, s30, 48
	v_mov_b32_e32 v29, s34
	s_add_i32 s36, s13, -8
	s_sub_i32 s34, s26, 32
	v_fma_f64 v[70:71], -v[19:20], v[44:45], v[42:43]
	v_mov_b32_e32 v44, s35
	ds_load_2addr_b64 v[29:32], v29 offset1:1
	ds_load_2addr_b64 v[40:43], v40 offset1:1
	;; [unrolled: 1-line block ×3, first 2 shown]
	s_sub_i32 s35, s23, 24
	s_sub_i32 s30, s30, 64
	v_fma_f64 v[58:59], -v[7:8], v[56:57], v[58:59]
	s_waitcnt lgkmcnt(6)
	v_fma_f64 v[72:73], -v[1:2], v[72:73], v[17:18]
	v_fma_f64 v[76:77], -v[5:6], v[52:53], v[54:55]
	s_waitcnt lgkmcnt(5)
	v_fma_f64 v[23:24], -v[11:12], v[23:24], v[64:65]
	s_waitcnt lgkmcnt(4)
	v_fma_f64 v[27:28], -v[15:16], v[27:28], v[66:67]
	v_fma_f64 v[68:69], -v[19:20], v[50:51], v[68:69]
	v_mov_b32_e32 v50, s33
	s_sub_i32 s33, s31, 32
	s_delay_alu instid0(SALU_CYCLE_1) | instskip(SKIP_3) | instid1(SALU_CYCLE_1)
	v_mov_b32_e32 v54, s33
	ds_load_2addr_b64 v[50:53], v50 offset1:1
	ds_load_2addr_b64 v[54:57], v54 offset1:1
	s_sub_i32 s33, s31, 48
	v_mov_b32_e32 v64, s33
	s_add_i32 s33, s8, 0xfffffb68
	s_waitcnt lgkmcnt(5)
	v_mul_f64 v[17:18], v[74:75], v[70:71]
	ds_load_2addr_b64 v[64:67], v64 offset1:1
	s_waitcnt lgkmcnt(5)
	v_fma_f64 v[31:32], -v[5:6], v[31:32], v[72:73]
	s_waitcnt lgkmcnt(2)
	v_fma_f64 v[13:14], -v[1:2], v[52:53], v[13:14]
	;; [unrolled: 2-line block ×3, first 2 shown]
	v_fma_f64 v[52:53], -v[7:8], v[62:63], v[76:77]
	v_fma_f64 v[58:59], -v[15:16], v[21:22], v[23:24]
	;; [unrolled: 1-line block ×3, first 2 shown]
	v_mov_b32_e32 v21, s21
	v_fma_f64 v[27:28], -v[17:18], v[48:49], v[68:69]
	ds_load_b64 v[48:49], v21
	v_mov_b32_e32 v21, s33
	s_add_i32 s33, s21, -16
	ds_load_b64 v[62:63], v21
	v_mov_b32_e32 v21, s33
	s_sub_i32 s33, s29, 40
	v_fma_f64 v[76:77], -v[7:8], v[29:30], v[31:32]
	v_fma_f64 v[13:14], -v[5:6], v[50:51], v[13:14]
	;; [unrolled: 1-line block ×3, first 2 shown]
	v_dual_mov_b32 v50, s36 :: v_dual_mov_b32 v29, s34
	ds_load_2addr_b64 v[21:24], v21 offset1:1
	s_sub_i32 s34, s26, 48
	s_sub_i32 s36, s13, 24
	s_waitcnt lgkmcnt(2)
	v_fma_f64 v[9:10], -v[1:2], v[48:49], v[9:10]
	v_fma_f64 v[78:79], -v[11:12], v[60:61], v[52:53]
	;; [unrolled: 1-line block ×4, first 2 shown]
	v_dual_mov_b32 v25, s35 :: v_dual_mov_b32 v46, s33
	s_sub_i32 s33, s29, 56
	s_sub_i32 s35, s23, 40
	v_mov_b32_e32 v54, s33
	s_add_i32 s33, s8, 0xfffffac0
	v_mov_b32_e32 v58, s34
	s_addk_i32 s29, 0xffb8
	s_waitcnt lgkmcnt(1)
	v_mul_f64 v[84:85], v[62:63], v[27:28]
	ds_load_2addr_b64 v[25:28], v25 offset1:1
	ds_load_2addr_b64 v[29:32], v29 offset1:1
	;; [unrolled: 1-line block ×4, first 2 shown]
	v_dual_mov_b32 v62, s35 :: v_dual_mov_b32 v63, s36
	ds_load_2addr_b64 v[54:57], v54 offset1:1
	ds_load_2addr_b64 v[58:61], v58 offset1:1
	;; [unrolled: 1-line block ×4, first 2 shown]
	s_waitcnt lgkmcnt(7)
	v_fma_f64 v[13:14], -v[7:8], v[27:28], v[13:14]
	v_fma_f64 v[9:10], -v[5:6], v[23:24], v[9:10]
	s_waitcnt lgkmcnt(6)
	v_fma_f64 v[23:24], -v[11:12], v[31:32], v[76:77]
	s_waitcnt lgkmcnt(5)
	v_fma_f64 v[27:28], -v[15:16], v[48:49], v[78:79]
	v_fma_f64 v[31:32], -v[19:20], v[66:67], v[80:81]
	;; [unrolled: 1-line block ×3, first 2 shown]
	s_waitcnt lgkmcnt(4)
	v_fma_f64 v[3:4], -v[1:2], v[52:53], v[3:4]
	v_mov_b32_e32 v52, s33
	s_sub_i32 s33, s13, 40
	v_fma_f64 v[48:49], -v[84:85], v[40:41], v[42:43]
	v_mov_b32_e32 v40, s30
	s_sub_i32 s30, s21, 32
	ds_load_2addr_b64 v[40:43], v40 offset1:1
	ds_load_b64 v[52:53], v52
	v_fma_f64 v[13:14], -v[11:12], v[25:26], v[13:14]
	v_fma_f64 v[9:10], -v[7:8], v[21:22], v[9:10]
	;; [unrolled: 1-line block ×5, first 2 shown]
	s_waitcnt lgkmcnt(1)
	v_fma_f64 v[66:67], -v[84:85], v[42:43], v[44:45]
	v_fma_f64 v[3:4], -v[5:6], v[50:51], v[3:4]
	v_mov_b32_e32 v21, s30
	s_sub_i32 s30, s31, 64
	s_add_i32 s31, s8, 0xfffff970
	v_mov_b32_e32 v25, s30
	ds_load_2addr_b64 v[21:24], v21 offset1:1
	ds_load_2addr_b64 v[25:28], v25 offset1:1
	s_sub_i32 s30, s21, 48
	s_delay_alu instid0(SALU_CYCLE_1)
	v_dual_mov_b32 v42, s31 :: v_dual_mov_b32 v29, s30
	s_waitcnt lgkmcnt(2)
	v_mul_f64 v[76:77], v[52:53], v[48:49]
	s_add_i32 s30, s8, 0xfffffa18
	ds_load_2addr_b64 v[29:32], v29 offset1:1
	ds_load_2addr_b64 v[42:45], v42 offset1:1
	v_mov_b32_e32 v48, s30
	s_sub_i32 s31, s23, 56
	s_sub_i32 s30, s26, 64
	s_addk_i32 s26, 0xffb0
	ds_load_b64 v[48:49], v48
	v_fma_f64 v[13:14], -v[15:16], v[70:71], v[13:14]
	s_waitcnt lgkmcnt(4)
	v_fma_f64 v[9:10], -v[11:12], v[23:24], v[9:10]
	v_fma_f64 v[23:24], -v[19:20], v[60:61], v[62:63]
	;; [unrolled: 1-line block ×3, first 2 shown]
	s_waitcnt lgkmcnt(3)
	v_fma_f64 v[27:28], -v[84:85], v[27:28], v[64:65]
	v_fma_f64 v[3:4], -v[7:8], v[74:75], v[3:4]
	;; [unrolled: 1-line block ×8, first 2 shown]
	v_mov_b32_e32 v21, s31
	v_fma_f64 v[3:4], -v[11:12], v[72:73], v[3:4]
	v_mov_b32_e32 v25, s30
	s_sub_i32 s30, s13, 56
	s_delay_alu instid0(SALU_CYCLE_1)
	v_mov_b32_e32 v66, s30
	s_waitcnt lgkmcnt(0)
	v_mul_f64 v[80:81], v[48:49], v[40:41]
	v_dual_mov_b32 v40, s29 :: v_dual_mov_b32 v41, s33
	ds_load_2addr_b64 v[21:24], v21 offset1:1
	ds_load_2addr_b64 v[25:28], v25 offset1:1
	;; [unrolled: 1-line block ×4, first 2 shown]
	s_add_i32 s29, s8, 0xfffff8c8
	s_delay_alu instid0(SALU_CYCLE_1)
	v_dual_mov_b32 v41, s26 :: v_dual_mov_b32 v40, s29
	s_add_i32 s29, s23, 0xffffffb8
	s_sub_i32 s26, s21, 64
	v_mov_b32_e32 v62, s29
	ds_load_2addr_b64 v[54:57], v40 offset1:1
	ds_load_2addr_b64 v[58:61], v41 offset1:1
	;; [unrolled: 1-line block ×4, first 2 shown]
	s_addk_i32 s23, 0xffa8
	s_add_i32 s29, s13, 0xffffffb8
	v_fma_f64 v[9:10], -v[19:20], v[31:32], v[9:10]
	s_waitcnt lgkmcnt(7)
	v_fma_f64 v[13:14], -v[17:18], v[23:24], v[13:14]
	s_waitcnt lgkmcnt(6)
	;; [unrolled: 2-line block ×4, first 2 shown]
	v_fma_f64 v[3:4], -v[15:16], v[52:53], v[3:4]
	v_fma_f64 v[31:32], -v[80:81], v[44:45], v[78:79]
	;; [unrolled: 1-line block ×6, first 2 shown]
	v_mov_b32_e32 v21, s26
	v_fma_f64 v[3:4], -v[19:20], v[50:51], v[3:4]
	s_add_i32 s26, s21, 0xffffffb0
	s_addk_i32 s21, 0xffa0
	v_mov_b32_e32 v25, s26
	ds_load_2addr_b64 v[21:24], v21 offset1:1
	s_add_i32 s26, s8, 0xfffff820
	ds_load_2addr_b64 v[25:28], v25 offset1:1
	v_mul_f64 v[52:53], v[42:43], v[31:32]
	s_waitcnt lgkmcnt(1)
	v_fma_f64 v[9:10], -v[84:85], v[23:24], v[9:10]
	v_fma_f64 v[13:14], -v[76:77], v[64:65], v[13:14]
	;; [unrolled: 1-line block ×5, first 2 shown]
	v_mov_b32_e32 v40, s29
	v_fma_f64 v[9:10], -v[76:77], v[21:22], v[9:10]
	v_fma_f64 v[13:14], -v[80:81], v[62:63], v[13:14]
	;; [unrolled: 1-line block ×3, first 2 shown]
	v_mov_b32_e32 v21, s23
	s_add_i32 s23, s8, 0xfffff778
	v_fma_f64 v[3:4], -v[84:85], v[66:67], v[3:4]
	v_mov_b32_e32 v44, s23
	v_mul_f64 v[54:55], v[54:55], v[29:30]
	v_mov_b32_e32 v29, s26
	s_add_i32 s26, s13, 0xffffffa8
	ds_load_2addr_b64 v[21:24], v21 offset1:1
	ds_load_2addr_b64 v[29:32], v29 offset1:1
	;; [unrolled: 1-line block ×3, first 2 shown]
	v_mov_b32_e32 v48, s26
	ds_load_2addr_b64 v[44:47], v44 offset1:1
	ds_load_2addr_b64 v[48:51], v48 offset1:1
	s_addk_i32 s13, 0xff98
	s_waitcnt lgkmcnt(5)
	v_fma_f64 v[9:10], -v[80:81], v[27:28], v[9:10]
	s_waitcnt lgkmcnt(4)
	v_fma_f64 v[13:14], -v[52:53], v[23:24], v[13:14]
	;; [unrolled: 2-line block ×3, first 2 shown]
	v_fma_f64 v[23:24], -v[54:55], v[31:32], v[56:57]
	s_delay_alu instid0(VALU_DEP_4) | instskip(NEXT) | instid1(VALU_DEP_4)
	v_fma_f64 v[9:10], -v[52:53], v[25:26], v[9:10]
	v_fma_f64 v[13:14], -v[54:55], v[21:22], v[13:14]
	v_mov_b32_e32 v21, s21
	s_add_i32 s21, s8, 0xfffff6d0
	v_fma_f64 v[3:4], -v[80:81], v[40:41], v[3:4]
	v_mov_b32_e32 v25, s21
	s_addk_i32 s8, 0xf628
	ds_load_2addr_b64 v[25:28], v25 offset1:1
	v_mul_f64 v[42:43], v[29:30], v[23:24]
	ds_load_2addr_b64 v[21:24], v21 offset1:1
	v_mov_b32_e32 v29, s8
	ds_load_2addr_b64 v[29:32], v29 offset1:1
	s_waitcnt lgkmcnt(1)
	v_fma_f64 v[9:10], -v[54:55], v[23:24], v[9:10]
	v_fma_f64 v[3:4], -v[52:53], v[50:51], v[3:4]
	;; [unrolled: 1-line block ×3, first 2 shown]
	s_delay_alu instid0(VALU_DEP_3) | instskip(SKIP_1) | instid1(VALU_DEP_4)
	v_fma_f64 v[9:10], -v[42:43], v[21:22], v[9:10]
	v_mov_b32_e32 v21, s13
	v_fma_f64 v[3:4], -v[54:55], v[48:49], v[3:4]
	ds_load_2addr_b64 v[21:24], v21 offset1:1
	v_mul_f64 v[13:14], v[44:45], v[13:14]
	s_waitcnt lgkmcnt(0)
	v_fma_f64 v[3:4], -v[42:43], v[23:24], v[3:4]
	v_add_lshl_u32 v23, s14, v0, 3
	v_add_lshl_u32 v24, s15, v0, 3
	s_delay_alu instid0(VALU_DEP_4) | instskip(NEXT) | instid1(VALU_DEP_4)
	v_fma_f64 v[9:10], -v[13:14], v[27:28], v[9:10]
	v_fma_f64 v[3:4], -v[13:14], v[21:22], v[3:4]
	v_add_lshl_u32 v21, s9, v0, 3
	v_add_lshl_u32 v22, s12, v0, 3
	ds_store_b64 v38, v[1:2]
	ds_store_b64 v39, v[5:6]
	ds_store_b64 v21, v[7:8] offset:3200
	ds_store_b64 v22, v[11:12] offset:3200
	;; [unrolled: 1-line block ×4, first 2 shown]
	v_add_lshl_u32 v1, s19, v0, 3
	v_add_lshl_u32 v2, s22, v0, 3
	;; [unrolled: 1-line block ×5, first 2 shown]
	v_mul_f64 v[9:10], v[25:26], v[9:10]
	ds_store_b64 v1, v[17:18] offset:3200
	ds_store_b64 v2, v[84:85] offset:3200
	;; [unrolled: 1-line block ×9, first 2 shown]
	v_fma_f64 v[3:4], -v[9:10], v[31:32], v[3:4]
	s_delay_alu instid0(VALU_DEP_1)
	v_mul_f64 v[3:4], v[29:30], v[3:4]
	ds_store_b64 v36, v[3:4] offset:3200
.LBB89_26:
	s_cmp_lt_i32 s4, 0
	s_cbranch_scc1 .LBB89_39
; %bb.27:
	s_bitcmp1_b32 s4, 0
	s_cselect_b32 s8, -1, 0
	s_delay_alu instid0(SALU_CYCLE_1)
	s_and_b32 vcc_lo, exec_lo, s8
	s_mov_b32 s8, s4
	s_cbranch_vccnz .LBB89_32
; %bb.28:
	s_mul_i32 s8, s4, 20
	s_cmp_le_i32 s28, s4
	v_add_lshl_u32 v3, s8, v0, 3
	ds_load_b64 v[1:2], v3 offset:3200
	s_cbranch_scc1 .LBB89_31
; %bb.29:
	v_lshlrev_b32_e32 v4, 3, v0
	s_mul_i32 s12, s20, 0xa0
	s_mul_i32 s8, s4, 0xa0
	s_lshl_b32 s9, s20, 3
	s_delay_alu instid0(SALU_CYCLE_1)
	s_add_i32 s8, s8, s9
	v_add3_u32 v4, s12, v4, 0xbe0
	s_add_i32 s8, s8, -8
	s_mov_b32 s9, s28
.LBB89_30:                              ; =>This Inner Loop Header: Depth=1
	v_mov_b32_e32 v7, s8
	s_add_i32 s9, s9, -1
	s_add_i32 s8, s8, -8
	s_cmp_gt_i32 s9, s4
	ds_load_b64 v[5:6], v4
	ds_load_b64 v[7:8], v7
	v_add_nc_u32_e32 v4, 0xffffff60, v4
	s_waitcnt lgkmcnt(0)
	v_fma_f64 v[1:2], -v[5:6], v[7:8], v[1:2]
	s_cbranch_scc1 .LBB89_30
.LBB89_31:
	s_mul_i32 s8, s4, 0xa8
	s_delay_alu instid0(SALU_CYCLE_1)
	v_dual_mov_b32 v4, s8 :: v_dual_add_nc_u32 v3, 0xc80, v3
	s_add_i32 s8, s4, -1
	ds_load_b64 v[4:5], v4
	s_waitcnt lgkmcnt(0)
	v_mul_f64 v[1:2], v[4:5], v[1:2]
	ds_store_b64 v3, v[1:2]
.LBB89_32:
	s_cmp_eq_u32 s4, 0
	s_cbranch_scc1 .LBB89_39
; %bb.33:
	v_lshlrev_b32_e32 v1, 3, v0
	s_mul_i32 s12, s20, 0xa0
	s_mul_i32 s4, s8, 0xa0
	s_lshl_b32 s9, s20, 3
	s_delay_alu instid0(SALU_CYCLE_1)
	s_add_i32 s9, s4, s9
	v_add3_u32 v5, s12, v1, 0xbe0
	s_add_i32 s4, s9, -8
	s_addk_i32 s9, 0xff58
	s_branch .LBB89_35
.LBB89_34:                              ;   in Loop: Header=BB89_35 Depth=1
	s_addk_i32 s12, 0xff58
	s_delay_alu instid0(SALU_CYCLE_1)
	v_dual_mov_b32 v2, s12 :: v_dual_add_nc_u32 v1, 0xc80, v6
	s_add_i32 s12, s8, -2
	s_addk_i32 s4, 0xfec0
	s_addk_i32 s9, 0xfec0
	s_cmp_lt_i32 s8, 2
	ds_load_b64 v[6:7], v2
	s_mov_b32 s8, s12
	s_waitcnt lgkmcnt(0)
	v_mul_f64 v[2:3], v[6:7], v[3:4]
	ds_store_b64 v1, v[2:3]
	s_cbranch_scc1 .LBB89_39
.LBB89_35:                              ; =>This Loop Header: Depth=1
                                        ;     Child Loop BB89_36 Depth 2
                                        ;     Child Loop BB89_38 Depth 2
	s_mul_i32 s13, s8, 20
	v_mov_b32_e32 v4, v5
	v_add_lshl_u32 v3, s13, v0, 3
	s_cmp_le_i32 s28, s8
	s_mov_b32 s12, s4
	s_mov_b32 s14, s28
	ds_load_b64 v[1:2], v3 offset:3200
	s_cbranch_scc1 .LBB89_37
.LBB89_36:                              ;   Parent Loop BB89_35 Depth=1
                                        ; =>  This Inner Loop Header: Depth=2
	v_mov_b32_e32 v8, s12
	s_add_i32 s14, s14, -1
	s_add_i32 s12, s12, -8
	s_cmp_gt_i32 s14, s8
	ds_load_b64 v[6:7], v4
	ds_load_b64 v[8:9], v8
	v_add_nc_u32_e32 v4, 0xffffff60, v4
	s_waitcnt lgkmcnt(0)
	v_fma_f64 v[1:2], -v[6:7], v[8:9], v[1:2]
	s_cbranch_scc1 .LBB89_36
.LBB89_37:                              ;   in Loop: Header=BB89_35 Depth=1
	s_mul_i32 s12, s8, 0xa8
	v_add_nc_u32_e32 v7, 0xc80, v3
	v_mov_b32_e32 v3, s12
	s_sub_i32 s13, s13, 20
	s_cmp_lt_i32 s28, s8
	v_add_lshl_u32 v6, s13, v0, 3
	s_mov_b32 s13, s9
	ds_load_b64 v[8:9], v3
	s_mov_b32 s14, s20
	ds_load_b64 v[3:4], v6 offset:3200
	s_waitcnt lgkmcnt(1)
	v_mul_f64 v[8:9], v[8:9], v[1:2]
	v_mov_b32_e32 v1, v5
	ds_store_b64 v7, v[8:9]
	s_cbranch_scc1 .LBB89_34
.LBB89_38:                              ;   Parent Loop BB89_35 Depth=1
                                        ; =>  This Inner Loop Header: Depth=2
	v_mov_b32_e32 v2, s13
	s_add_i32 s14, s14, -1
	s_add_i32 s13, s13, -8
	s_cmp_gt_i32 s14, s8
	ds_load_b64 v[7:8], v1
	ds_load_b64 v[9:10], v2
	v_add_nc_u32_e32 v1, 0xffffff60, v1
	s_waitcnt lgkmcnt(0)
	v_fma_f64 v[3:4], -v[7:8], v[9:10], v[3:4]
	s_cbranch_scc1 .LBB89_38
	s_branch .LBB89_34
.LBB89_39:
	s_mov_b32 s4, 0
.LBB89_40:
	s_delay_alu instid0(SALU_CYCLE_1)
	s_and_b32 vcc_lo, exec_lo, s4
	s_cbranch_vccz .LBB89_60
; %bb.41:
	s_cmp_gt_i32 s6, 19
	s_mov_b32 s4, 0
	s_cselect_b32 s8, -1, 0
	s_delay_alu instid0(SALU_CYCLE_1)
	s_and_b32 vcc_lo, exec_lo, s8
	s_cbranch_vccz .LBB89_43
; %bb.42:
	v_dual_mov_b32 v30, 0 :: v_dual_lshlrev_b32 v31, 3, v0
	s_mov_b32 s4, 20
	s_delay_alu instid0(VALU_DEP_1)
	v_add_nc_u32_e32 v29, 0x800, v31
	ds_load_2addr_b64 v[1:4], v29 offset0:144 offset1:164
	ds_load_b128 v[5:8], v30
	ds_load_b128 v[9:12], v30 offset:16
	s_waitcnt lgkmcnt(1)
	v_mul_f64 v[21:22], v[5:6], v[1:2]
	s_delay_alu instid0(VALU_DEP_1)
	v_fma_f64 v[17:18], -v[21:22], v[7:8], v[3:4]
	ds_load_2addr_b64 v[5:8], v29 offset0:184 offset1:204
	ds_load_2addr_b64 v[13:16], v30 offset0:21 offset1:22
	;; [unrolled: 1-line block ×3, first 2 shown]
	s_waitcnt lgkmcnt(2)
	v_fma_f64 v[5:6], -v[21:22], v[9:10], v[5:6]
	v_fma_f64 v[27:28], -v[21:22], v[11:12], v[7:8]
	s_waitcnt lgkmcnt(1)
	v_mul_f64 v[23:24], v[13:14], v[17:18]
	s_delay_alu instid0(VALU_DEP_1)
	v_fma_f64 v[25:26], -v[23:24], v[15:16], v[5:6]
	ds_load_2addr_b64 v[9:12], v29 offset0:224 offset1:244
	ds_load_b128 v[13:16], v30 offset:32
	ds_load_b128 v[5:8], v30 offset:336
	ds_load_b128 v[17:20], v30 offset:48
	ds_load_2addr_b64 v[32:35], v30 offset0:37 offset1:38
	s_waitcnt lgkmcnt(3)
	v_fma_f64 v[9:10], -v[21:22], v[13:14], v[9:10]
	v_fma_f64 v[13:14], -v[23:24], v[1:2], v[27:28]
	;; [unrolled: 1-line block ×3, first 2 shown]
	s_waitcnt lgkmcnt(2)
	v_mul_f64 v[1:2], v[5:6], v[25:26]
	s_delay_alu instid0(VALU_DEP_4) | instskip(SKIP_1) | instid1(VALU_DEP_3)
	v_fma_f64 v[50:51], -v[23:24], v[3:4], v[9:10]
	v_add_nc_u32_e32 v3, 0x1000, v31
	v_fma_f64 v[52:53], -v[1:2], v[7:8], v[13:14]
	ds_load_2addr_b64 v[4:7], v3 offset0:8 offset1:28
	ds_load_2addr_b64 v[8:11], v30 offset0:25 offset1:26
	ds_load_b128 v[12:15], v30 offset:352
	ds_load_2addr_b64 v[25:28], v30 offset0:63 offset1:64
	ds_load_2addr_b64 v[36:39], v30 offset0:65 offset1:66
	ds_load_b128 v[40:43], v30 offset:368
	ds_load_2addr_b64 v[44:47], v30 offset0:27 offset1:28
	s_waitcnt lgkmcnt(6)
	v_fma_f64 v[4:5], -v[21:22], v[17:18], v[4:5]
	s_waitcnt lgkmcnt(5)
	v_fma_f64 v[8:9], -v[23:24], v[8:9], v[48:49]
	v_fma_f64 v[48:49], -v[21:22], v[19:20], v[6:7]
	s_waitcnt lgkmcnt(4)
	v_fma_f64 v[12:13], -v[1:2], v[12:13], v[50:51]
	v_add_nc_u32_e32 v20, 0x1400, v31
	s_waitcnt lgkmcnt(3)
	v_mul_f64 v[84:85], v[25:26], v[52:53]
	v_fma_f64 v[50:51], -v[23:24], v[10:11], v[4:5]
	v_fma_f64 v[52:53], -v[1:2], v[14:15], v[8:9]
	s_delay_alu instid0(VALU_DEP_3)
	v_fma_f64 v[54:55], -v[84:85], v[27:28], v[12:13]
	ds_load_b128 v[4:7], v30 offset:64
	ds_load_2addr_b64 v[8:11], v3 offset0:48 offset1:68
	ds_load_b128 v[12:15], v30 offset:672
	ds_load_b128 v[16:19], v30 offset:688
	;; [unrolled: 1-line block ×3, first 2 shown]
	s_waitcnt lgkmcnt(6)
	v_fma_f64 v[40:41], -v[1:2], v[40:41], v[50:51]
	v_fma_f64 v[36:37], -v[84:85], v[36:37], v[52:53]
	s_waitcnt lgkmcnt(3)
	v_fma_f64 v[4:5], -v[21:22], v[4:5], v[8:9]
	v_fma_f64 v[8:9], -v[23:24], v[44:45], v[48:49]
	;; [unrolled: 1-line block ×3, first 2 shown]
	s_waitcnt lgkmcnt(2)
	v_mul_f64 v[86:87], v[12:13], v[54:55]
	v_fma_f64 v[66:67], -v[84:85], v[38:39], v[40:41]
	v_fma_f64 v[62:63], -v[23:24], v[46:47], v[4:5]
	;; [unrolled: 1-line block ×3, first 2 shown]
	s_delay_alu instid0(VALU_DEP_4)
	v_fma_f64 v[68:69], -v[86:87], v[14:15], v[36:37]
	ds_load_2addr_b64 v[4:7], v3 offset0:88 offset1:108
	ds_load_2addr_b64 v[8:11], v30 offset0:29 offset1:30
	ds_load_b128 v[12:15], v30 offset:384
	ds_load_2addr_b64 v[36:39], v30 offset0:67 offset1:68
	ds_load_2addr_b64 v[40:43], v30 offset0:105 offset1:106
	;; [unrolled: 1-line block ×4, first 2 shown]
	ds_load_b128 v[52:55], v30 offset:400
	ds_load_2addr_b64 v[56:59], v30 offset0:31 offset1:32
	s_waitcnt lgkmcnt(8)
	v_fma_f64 v[4:5], -v[21:22], v[25:26], v[4:5]
	s_waitcnt lgkmcnt(7)
	v_fma_f64 v[8:9], -v[23:24], v[8:9], v[60:61]
	v_fma_f64 v[16:17], -v[86:87], v[16:17], v[66:67]
	;; [unrolled: 1-line block ×3, first 2 shown]
	s_waitcnt lgkmcnt(6)
	v_fma_f64 v[12:13], -v[1:2], v[12:13], v[62:63]
	s_waitcnt lgkmcnt(5)
	v_fma_f64 v[25:26], -v[84:85], v[36:37], v[64:65]
	s_waitcnt lgkmcnt(4)
	v_mul_f64 v[88:89], v[40:41], v[68:69]
	v_fma_f64 v[62:63], -v[23:24], v[10:11], v[4:5]
	v_fma_f64 v[64:65], -v[1:2], v[14:15], v[8:9]
	;; [unrolled: 1-line block ×5, first 2 shown]
	ds_load_b128 v[4:7], v30 offset:96
	ds_load_2addr_b64 v[8:11], v3 offset0:128 offset1:148
	ds_load_b128 v[12:15], v30 offset:704
	ds_load_b128 v[16:19], v30 offset:1008
	;; [unrolled: 1-line block ×4, first 2 shown]
	ds_load_2addr_b64 v[40:43], v30 offset0:117 offset1:118
	s_waitcnt lgkmcnt(8)
	v_fma_f64 v[52:53], -v[1:2], v[52:53], v[62:63]
	v_fma_f64 v[48:49], -v[84:85], v[48:49], v[64:65]
	s_waitcnt lgkmcnt(5)
	v_fma_f64 v[4:5], -v[21:22], v[4:5], v[8:9]
	v_fma_f64 v[8:9], -v[23:24], v[56:57], v[60:61]
	;; [unrolled: 3-line block ×3, first 2 shown]
	v_fma_f64 v[80:81], -v[21:22], v[6:7], v[10:11]
	s_waitcnt lgkmcnt(3)
	v_mul_f64 v[90:91], v[16:17], v[70:71]
	v_fma_f64 v[94:95], -v[84:85], v[50:51], v[52:53]
	v_fma_f64 v[96:97], -v[86:87], v[14:15], v[48:49]
	;; [unrolled: 1-line block ×6, first 2 shown]
	ds_load_2addr_b64 v[4:7], v3 offset0:168 offset1:188
	ds_load_2addr_b64 v[8:11], v30 offset0:33 offset1:34
	ds_load_b128 v[12:15], v30 offset:416
	ds_load_2addr_b64 v[16:19], v30 offset0:71 offset1:72
	ds_load_2addr_b64 v[44:47], v30 offset0:109 offset1:110
	ds_load_b128 v[48:51], v30 offset:1024
	;; [unrolled: 3-line block ×4, first 2 shown]
	ds_load_2addr_b64 v[76:79], v30 offset0:35 offset1:36
	s_waitcnt lgkmcnt(12)
	v_fma_f64 v[4:5], -v[21:22], v[36:37], v[4:5]
	s_waitcnt lgkmcnt(11)
	v_fma_f64 v[8:9], -v[23:24], v[8:9], v[80:81]
	v_fma_f64 v[25:26], -v[86:87], v[25:26], v[94:95]
	s_waitcnt lgkmcnt(8)
	v_fma_f64 v[36:37], -v[88:89], v[44:45], v[96:97]
	v_fma_f64 v[12:13], -v[1:2], v[12:13], v[82:83]
	;; [unrolled: 1-line block ×3, first 2 shown]
	s_waitcnt lgkmcnt(7)
	v_fma_f64 v[44:45], -v[90:91], v[48:49], v[98:99]
	v_fma_f64 v[48:49], -v[21:22], v[38:39], v[6:7]
	s_waitcnt lgkmcnt(6)
	v_mul_f64 v[92:93], v[52:53], v[100:101]
	v_fma_f64 v[52:53], -v[23:24], v[10:11], v[4:5]
	v_fma_f64 v[80:81], -v[1:2], v[14:15], v[8:9]
	;; [unrolled: 1-line block ×7, first 2 shown]
	ds_load_b128 v[4:7], v30 offset:128
	ds_load_2addr_b64 v[8:11], v3 offset0:208 offset1:228
	ds_load_b128 v[12:15], v30 offset:736
	ds_load_b128 v[16:19], v30 offset:1344
	;; [unrolled: 1-line block ×5, first 2 shown]
	s_waitcnt lgkmcnt(11)
	v_fma_f64 v[60:61], -v[90:91], v[60:61], v[96:97]
	v_fma_f64 v[50:51], -v[92:93], v[56:57], v[50:51]
	s_waitcnt lgkmcnt(5)
	v_fma_f64 v[4:5], -v[21:22], v[4:5], v[8:9]
	v_fma_f64 v[8:9], -v[23:24], v[76:77], v[48:49]
	v_fma_f64 v[48:49], -v[1:2], v[72:73], v[52:53]
	v_fma_f64 v[52:53], -v[84:85], v[68:69], v[80:81]
	s_waitcnt lgkmcnt(4)
	v_fma_f64 v[12:13], -v[86:87], v[12:13], v[82:83]
	v_fma_f64 v[64:65], -v[88:89], v[64:65], v[94:95]
	;; [unrolled: 1-line block ×3, first 2 shown]
	s_waitcnt lgkmcnt(3)
	v_mul_f64 v[94:95], v[16:17], v[54:55]
	v_fma_f64 v[110:111], -v[92:93], v[58:59], v[60:61]
	v_fma_f64 v[98:99], -v[23:24], v[78:79], v[4:5]
	;; [unrolled: 1-line block ×9, first 2 shown]
	ds_load_2addr_b64 v[4:7], v20 offset0:120 offset1:140
	ds_load_b128 v[8:11], v30 offset:448
	ds_load_2addr_b64 v[12:15], v30 offset0:75 offset1:76
	ds_load_2addr_b64 v[16:19], v30 offset0:113 offset1:114
	ds_load_b128 v[48:51], v30 offset:1056
	ds_load_2addr_b64 v[52:55], v30 offset0:151 offset1:152
	ds_load_2addr_b64 v[56:59], v30 offset0:189 offset1:190
	;; [unrolled: 1-line block ×4, first 2 shown]
	ds_load_b128 v[68:71], v30 offset:1072
	ds_load_2addr_b64 v[72:75], v30 offset0:115 offset1:116
	ds_load_2addr_b64 v[76:79], v30 offset0:77 offset1:78
	ds_load_b128 v[80:83], v30 offset:464
	s_waitcnt lgkmcnt(12)
	v_fma_f64 v[4:5], -v[21:22], v[44:45], v[4:5]
	v_fma_f64 v[46:47], -v[21:22], v[46:47], v[6:7]
	;; [unrolled: 1-line block ×3, first 2 shown]
	s_waitcnt lgkmcnt(11)
	v_fma_f64 v[8:9], -v[1:2], v[8:9], v[98:99]
	s_waitcnt lgkmcnt(10)
	v_fma_f64 v[12:13], -v[84:85], v[12:13], v[100:101]
	v_fma_f64 v[36:37], -v[86:87], v[36:37], v[102:103]
	s_waitcnt lgkmcnt(9)
	v_fma_f64 v[16:17], -v[88:89], v[16:17], v[104:105]
	s_waitcnt lgkmcnt(8)
	;; [unrolled: 2-line block ×4, first 2 shown]
	v_mul_f64 v[96:97], v[56:57], v[112:113]
	v_fma_f64 v[56:57], -v[1:2], v[10:11], v[31:32]
	v_fma_f64 v[52:53], -v[23:24], v[34:35], v[4:5]
	;; [unrolled: 1-line block ×9, first 2 shown]
	ds_load_b128 v[4:7], v30 offset:768
	ds_load_b128 v[8:11], v30 offset:1376
	;; [unrolled: 1-line block ×3, first 2 shown]
	ds_load_2addr_b64 v[16:19], v30 offset0:39 offset1:79
	ds_load_b128 v[25:28], v30 offset:1392
	ds_load_2addr_b64 v[31:34], v30 offset0:197 offset1:198
	ds_load_b128 v[35:38], v30 offset:784
	s_waitcnt lgkmcnt(8)
	v_fma_f64 v[56:57], -v[84:85], v[76:77], v[56:57]
	s_waitcnt lgkmcnt(7)
	v_fma_f64 v[52:53], -v[1:2], v[80:81], v[52:53]
	;; [unrolled: 2-line block ×3, first 2 shown]
	v_fma_f64 v[58:59], -v[88:89], v[72:73], v[100:101]
	v_fma_f64 v[68:69], -v[90:91], v[68:69], v[102:103]
	;; [unrolled: 1-line block ×3, first 2 shown]
	s_waitcnt lgkmcnt(5)
	v_fma_f64 v[8:9], -v[94:95], v[8:9], v[44:45]
	v_fma_f64 v[44:45], -v[96:97], v[60:61], v[48:49]
	s_waitcnt lgkmcnt(4)
	v_mul_f64 v[72:73], v[12:13], v[54:55]
	s_waitcnt lgkmcnt(3)
	v_fma_f64 v[12:13], -v[23:24], v[16:17], v[46:47]
	v_fma_f64 v[76:77], -v[86:87], v[6:7], v[56:57]
	;; [unrolled: 1-line block ×10, first 2 shown]
	ds_load_b128 v[4:7], v30 offset:1088
	ds_load_2addr_b64 v[8:11], v30 offset0:155 offset1:156
	ds_load_2addr_b64 v[12:15], v30 offset0:193 offset1:194
	ds_load_b128 v[44:47], v30 offset:1696
	ds_load_2addr_b64 v[48:51], v30 offset0:231 offset1:232
	ds_load_2addr_b64 v[52:55], v30 offset0:233 offset1:234
	;; [unrolled: 3-line block ×3, first 2 shown]
	ds_load_b128 v[68:71], v30 offset:1104
	s_waitcnt lgkmcnt(10)
	v_fma_f64 v[16:17], -v[86:87], v[35:36], v[16:17]
	v_fma_f64 v[35:36], -v[88:89], v[40:41], v[76:77]
	s_waitcnt lgkmcnt(9)
	v_fma_f64 v[4:5], -v[90:91], v[4:5], v[74:75]
	s_waitcnt lgkmcnt(8)
	v_fma_f64 v[8:9], -v[92:93], v[8:9], v[78:79]
	v_fma_f64 v[25:26], -v[94:95], v[25:26], v[80:81]
	s_waitcnt lgkmcnt(7)
	v_fma_f64 v[12:13], -v[96:97], v[12:13], v[98:99]
	s_waitcnt lgkmcnt(6)
	;; [unrolled: 2-line block ×3, first 2 shown]
	v_mul_f64 v[74:75], v[48:49], v[102:103]
	v_fma_f64 v[18:19], -v[84:85], v[18:19], v[82:83]
	v_fma_f64 v[41:42], -v[88:89], v[42:43], v[16:17]
	;; [unrolled: 1-line block ×9, first 2 shown]
	ds_load_b128 v[4:7], v30 offset:1408
	ds_load_b128 v[8:11], v30 offset:2016
	ds_load_2addr_b64 v[12:15], v30 offset0:119 offset1:159
	ds_load_b128 v[16:19], v30 offset:2032
	ds_load_b128 v[25:28], v30 offset:1424
	s_waitcnt lgkmcnt(5)
	v_fma_f64 v[41:42], -v[90:91], v[68:69], v[41:42]
	v_fma_f64 v[35:36], -v[92:93], v[64:65], v[35:36]
	s_waitcnt lgkmcnt(4)
	v_fma_f64 v[4:5], -v[94:95], v[4:5], v[43:44]
	v_fma_f64 v[43:44], -v[96:97], v[60:61], v[48:49]
	;; [unrolled: 1-line block ×4, first 2 shown]
	s_waitcnt lgkmcnt(3)
	v_mul_f64 v[51:52], v[8:9], v[39:40]
	s_waitcnt lgkmcnt(2)
	v_fma_f64 v[8:9], -v[88:89], v[12:13], v[37:38]
	v_mov_b32_e32 v39, 0x898
	v_fma_f64 v[12:13], -v[92:93], v[66:67], v[41:42]
	v_fma_f64 v[56:57], -v[94:95], v[6:7], v[35:36]
	v_mov_b32_e32 v35, 0x888
	v_fma_f64 v[60:61], -v[96:97], v[62:63], v[4:5]
	v_fma_f64 v[58:59], -v[72:73], v[58:59], v[43:44]
	;; [unrolled: 1-line block ×5, first 2 shown]
	ds_load_b128 v[4:7], v30 offset:1728
	ds_load_2addr_b64 v[8:11], v30 offset0:235 offset1:236
	ds_load_2addr_b64 v[35:38], v35 offset1:1
	ds_load_2addr_b64 v[39:42], v39 offset1:1
	ds_load_2addr_b64 v[43:46], v30 offset0:237 offset1:238
	ds_load_b128 v[47:50], v30 offset:1744
	s_waitcnt lgkmcnt(6)
	v_fma_f64 v[12:13], -v[94:95], v[25:26], v[12:13]
	v_fma_f64 v[25:26], -v[96:97], v[31:32], v[56:57]
	v_fma_f64 v[16:17], -v[51:52], v[16:17], v[53:54]
	s_waitcnt lgkmcnt(5)
	v_fma_f64 v[4:5], -v[72:73], v[4:5], v[60:61]
	s_waitcnt lgkmcnt(4)
	v_fma_f64 v[8:9], -v[74:75], v[8:9], v[58:59]
	s_waitcnt lgkmcnt(3)
	v_mul_f64 v[31:32], v[35:36], v[62:63]
	v_fma_f64 v[14:15], -v[92:93], v[14:15], v[64:65]
	v_fma_f64 v[33:34], -v[96:97], v[33:34], v[12:13]
	;; [unrolled: 1-line block ×7, first 2 shown]
	ds_load_b128 v[4:7], v30 offset:2048
	ds_load_b128 v[8:11], v30 offset:2352
	ds_load_2addr_b64 v[12:15], v30 offset0:199 offset1:239
	ds_load_b128 v[16:19], v30 offset:2368
	ds_load_b128 v[25:28], v30 offset:2064
	s_waitcnt lgkmcnt(5)
	v_fma_f64 v[33:34], -v[72:73], v[47:48], v[33:34]
	v_fma_f64 v[35:36], -v[74:75], v[43:44], v[35:36]
	s_waitcnt lgkmcnt(4)
	v_fma_f64 v[4:5], -v[51:52], v[4:5], v[53:54]
	v_fma_f64 v[39:40], -v[31:32], v[39:40], v[55:56]
	s_waitcnt lgkmcnt(3)
	v_mul_f64 v[37:38], v[8:9], v[37:38]
	s_waitcnt lgkmcnt(2)
	v_fma_f64 v[8:9], -v[96:97], v[12:13], v[57:58]
	v_fma_f64 v[12:13], -v[74:75], v[45:46], v[33:34]
	;; [unrolled: 1-line block ×3, first 2 shown]
	v_add_nc_u32_e64 v45, 0x800, 0
	v_fma_f64 v[35:36], -v[31:32], v[41:42], v[4:5]
	v_mov_b32_e32 v4, 0x8a8
	v_fma_f64 v[39:40], -v[37:38], v[10:11], v[39:40]
	v_fma_f64 v[41:42], -v[72:73], v[49:50], v[8:9]
	v_mov_b32_e32 v8, 0x9d8
	ds_load_2addr_b64 v[4:7], v4 offset1:1
	ds_load_2addr_b64 v[8:11], v8 offset1:1
	s_waitcnt lgkmcnt(2)
	v_fma_f64 v[12:13], -v[51:52], v[25:26], v[12:13]
	v_mov_b32_e32 v25, 0xb28
	v_fma_f64 v[16:17], -v[37:38], v[16:17], v[35:36]
	s_waitcnt lgkmcnt(1)
	v_fma_f64 v[4:5], -v[31:32], v[4:5], v[33:34]
	s_waitcnt lgkmcnt(0)
	v_mul_f64 v[33:34], v[8:9], v[39:40]
	v_fma_f64 v[8:9], -v[74:75], v[14:15], v[41:42]
	v_fma_f64 v[35:36], -v[31:32], v[6:7], v[12:13]
	s_delay_alu instid0(VALU_DEP_4) | instskip(NEXT) | instid1(VALU_DEP_4)
	v_fma_f64 v[39:40], -v[37:38], v[18:19], v[4:5]
	v_fma_f64 v[41:42], -v[33:34], v[10:11], v[16:17]
	s_delay_alu instid0(VALU_DEP_4)
	v_fma_f64 v[43:44], -v[51:52], v[27:28], v[8:9]
	v_mov_b32_e32 v8, 0x9e8
	ds_load_b128 v[4:7], v30 offset:2384
	ds_load_2addr_b64 v[8:11], v8 offset1:1
	ds_load_b128 v[12:15], v30 offset:2688
	ds_load_2addr_b64 v[16:19], v45 offset0:23 offset1:63
	ds_load_2addr_b64 v[25:28], v25 offset1:1
	s_waitcnt lgkmcnt(4)
	v_fma_f64 v[4:5], -v[37:38], v[4:5], v[35:36]
	s_waitcnt lgkmcnt(3)
	v_fma_f64 v[8:9], -v[33:34], v[8:9], v[39:40]
	s_waitcnt lgkmcnt(2)
	v_mul_f64 v[12:13], v[12:13], v[41:42]
	s_waitcnt lgkmcnt(1)
	v_fma_f64 v[16:17], -v[31:32], v[16:17], v[43:44]
	s_delay_alu instid0(VALU_DEP_4) | instskip(NEXT) | instid1(VALU_DEP_3)
	v_fma_f64 v[35:36], -v[33:34], v[10:11], v[4:5]
	v_fma_f64 v[14:15], -v[12:13], v[14:15], v[8:9]
	s_delay_alu instid0(VALU_DEP_3)
	v_fma_f64 v[16:17], -v[37:38], v[6:7], v[16:17]
	ds_load_b128 v[4:7], v30 offset:2704
	ds_load_b128 v[8:11], v30 offset:3024
	s_waitcnt lgkmcnt(1)
	v_fma_f64 v[4:5], -v[12:13], v[4:5], v[35:36]
	v_mul_f64 v[14:15], v[25:26], v[14:15]
	v_fma_f64 v[16:17], -v[33:34], v[18:19], v[16:17]
	s_delay_alu instid0(VALU_DEP_2) | instskip(NEXT) | instid1(VALU_DEP_2)
	v_fma_f64 v[18:19], -v[14:15], v[27:28], v[4:5]
	v_fma_f64 v[16:17], -v[12:13], v[6:7], v[16:17]
	ds_load_2addr_b64 v[4:7], v45 offset0:103 offset1:143
	ds_store_2addr_b64 v29, v[21:22], v[23:24] offset0:144 offset1:164
	ds_store_2addr_b64 v29, v[1:2], v[84:85] offset0:184 offset1:204
	;; [unrolled: 1-line block ×9, first 2 shown]
	s_waitcnt lgkmcnt(10)
	v_mul_f64 v[8:9], v[8:9], v[18:19]
	s_waitcnt lgkmcnt(9)
	v_fma_f64 v[4:5], -v[14:15], v[4:5], v[16:17]
	s_delay_alu instid0(VALU_DEP_1) | instskip(NEXT) | instid1(VALU_DEP_1)
	v_fma_f64 v[4:5], -v[8:9], v[10:11], v[4:5]
	v_mul_f64 v[4:5], v[6:7], v[4:5]
	ds_store_2addr_b64 v20, v[8:9], v[4:5] offset0:120 offset1:140
.LBB89_43:
	s_cmp_lt_i32 s4, s20
	s_cbranch_scc0 .LBB89_60
; %bb.44:
	s_add_i32 s9, s4, 15
	s_delay_alu instid0(SALU_CYCLE_1)
	s_cmp_ge_u32 s9, s20
	s_cbranch_scc1 .LBB89_49
; %bb.45:
	s_mul_i32 s12, s4, 20
	s_and_not1_b32 vcc_lo, exec_lo, s8
	v_add_lshl_u32 v29, s12, v0, 3
	s_delay_alu instid0(VALU_DEP_1)
	v_add_nc_u32_e32 v1, 0x800, v29
	v_add_nc_u32_e32 v2, 0x1000, v29
	ds_load_2addr_b64 v[21:24], v1 offset0:144 offset1:164
	ds_load_2addr_b64 v[25:28], v1 offset0:184 offset1:204
	;; [unrolled: 1-line block ×8, first 2 shown]
	s_cbranch_vccnz .LBB89_48
; %bb.46:
	v_lshl_add_u32 v30, v0, 3, 0xc80
	s_lshl_b32 s8, s4, 3
	s_mov_b32 s13, 0
.LBB89_47:                              ; =>This Inner Loop Header: Depth=1
	v_mov_b32_e32 v65, s8
	s_add_i32 s13, s13, 1
	s_addk_i32 s8, 0xa0
	s_cmp_lt_u32 s13, s4
	ds_load_b64 v[35:36], v30
	ds_load_b128 v[31:34], v65
	ds_load_b128 v[41:44], v65 offset:16
	ds_load_b128 v[45:48], v65 offset:32
	;; [unrolled: 1-line block ×7, first 2 shown]
	v_add_nc_u32_e32 v30, 0xa0, v30
	s_waitcnt lgkmcnt(7)
	v_fma_f64 v[21:22], -v[35:36], v[31:32], v[21:22]
	v_fma_f64 v[23:24], -v[35:36], v[33:34], v[23:24]
	s_waitcnt lgkmcnt(6)
	v_fma_f64 v[25:26], -v[35:36], v[41:42], v[25:26]
	v_fma_f64 v[27:28], -v[35:36], v[43:44], v[27:28]
	;; [unrolled: 3-line block ×8, first 2 shown]
	s_cbranch_scc1 .LBB89_47
.LBB89_48:
	s_mul_i32 s8, s4, 0xa8
	s_delay_alu instid0(SALU_CYCLE_1)
	v_dual_mov_b32 v54, s8 :: v_dual_add_nc_u32 v53, 0xc80, v29
	s_add_i32 s13, s12, 20
	s_add_i32 s21, s4, s12
	;; [unrolled: 1-line block ×3, first 2 shown]
	s_lshl_b32 s21, s21, 3
	ds_load_b128 v[29:32], v54
	ds_load_b128 v[33:36], v54 offset:16
	s_lshl_b32 s14, s14, 3
	s_or_b32 s27, s4, 10
	v_mov_b32_e32 v55, s14
	s_add_i32 s14, s12, 40
	s_mul_i32 s28, s27, 0xa8
	s_add_i32 s15, s4, s14
	s_mul_i32 s27, s27, 20
	s_lshl_b32 s15, s15, 3
	s_addk_i32 s8, 0x888
	v_mov_b32_e32 v90, s21
	s_waitcnt lgkmcnt(1)
	v_mul_f64 v[41:42], v[29:30], v[21:22]
	s_delay_alu instid0(VALU_DEP_1)
	v_fma_f64 v[43:44], -v[41:42], v[31:32], v[23:24]
	ds_load_2addr_b64 v[29:32], v54 offset0:21 offset1:22
	ds_load_b128 v[21:24], v54 offset:64
	s_waitcnt lgkmcnt(2)
	v_fma_f64 v[25:26], -v[41:42], v[33:34], v[25:26]
	v_fma_f64 v[49:50], -v[41:42], v[35:36], v[27:28]
	s_waitcnt lgkmcnt(0)
	v_fma_f64 v[13:14], -v[41:42], v[21:22], v[13:14]
	v_mul_f64 v[43:44], v[29:30], v[43:44]
	s_delay_alu instid0(VALU_DEP_1)
	v_fma_f64 v[51:52], -v[43:44], v[31:32], v[25:26]
	ds_load_b128 v[45:48], v54 offset:32
	ds_load_2addr_b64 v[56:59], v55 offset0:3 offset1:4
	ds_load_b128 v[60:63], v54 offset:336
	ds_load_2addr_b64 v[25:28], v54 offset0:63 offset1:64
	;; [unrolled: 2-line block ×3, first 2 shown]
	s_waitcnt lgkmcnt(5)
	v_fma_f64 v[37:38], -v[41:42], v[45:46], v[37:38]
	s_waitcnt lgkmcnt(4)
	v_fma_f64 v[56:57], -v[43:44], v[56:57], v[49:50]
	;; [unrolled: 2-line block ×3, first 2 shown]
	v_fma_f64 v[65:66], -v[41:42], v[35:36], v[19:20]
	v_mul_f64 v[45:46], v[60:61], v[51:52]
	v_fma_f64 v[51:52], -v[41:42], v[47:48], v[39:40]
	v_fma_f64 v[49:50], -v[43:44], v[58:59], v[37:38]
	s_waitcnt lgkmcnt(0)
	v_fma_f64 v[67:68], -v[43:44], v[31:32], v[17:18]
	s_delay_alu instid0(VALU_DEP_4)
	v_fma_f64 v[47:48], -v[45:46], v[62:63], v[56:57]
	v_mov_b32_e32 v56, s15
	ds_load_b128 v[37:40], v56 offset:32
	ds_load_b64 v[73:74], v55 offset:120
	v_fma_f64 v[29:30], -v[43:44], v[29:30], v[51:52]
	s_add_i32 s15, s12, 60
	s_delay_alu instid0(SALU_CYCLE_1) | instskip(NEXT) | instid1(SALU_CYCLE_1)
	s_add_i32 s19, s4, s15
	s_lshl_b32 s19, s19, 3
	s_delay_alu instid0(SALU_CYCLE_1) | instskip(SKIP_1) | instid1(SALU_CYCLE_1)
	v_mov_b32_e32 v89, s19
	s_add_i32 s19, s12, 0x50
	s_add_i32 s22, s4, s19
	s_delay_alu instid0(SALU_CYCLE_1) | instskip(NEXT) | instid1(SALU_CYCLE_1)
	s_lshl_b32 s21, s22, 3
	v_mov_b32_e32 v91, s21
	s_add_i32 s21, s12, 0x64
	s_delay_alu instid0(SALU_CYCLE_1) | instskip(SKIP_3) | instid1(SALU_CYCLE_1)
	s_add_i32 s22, s4, s21
	s_waitcnt lgkmcnt(1)
	v_fma_f64 v[33:34], -v[45:46], v[37:38], v[49:50]
	s_lshl_b32 s22, s22, 3
	v_mov_b32_e32 v92, s22
	s_add_i32 s22, s12, 0x78
	s_delay_alu instid0(SALU_CYCLE_1) | instskip(NEXT) | instid1(SALU_CYCLE_1)
	s_add_i32 s23, s4, s22
	s_lshl_b32 s23, s23, 3
	v_mul_f64 v[51:52], v[25:26], v[47:48]
	v_fma_f64 v[69:70], -v[45:46], v[39:40], v[29:30]
	s_delay_alu instid0(VALU_DEP_2)
	v_fma_f64 v[71:72], -v[51:52], v[27:28], v[33:34]
	ds_load_2addr_b64 v[17:20], v55 offset0:7 offset1:8
	ds_load_b128 v[25:28], v56 offset:48
	ds_load_2addr_b64 v[29:32], v89 offset0:5 offset1:6
	ds_load_b128 v[33:36], v54 offset:672
	;; [unrolled: 2-line block ×4, first 2 shown]
	s_waitcnt lgkmcnt(7)
	v_fma_f64 v[17:18], -v[43:44], v[17:18], v[65:66]
	s_waitcnt lgkmcnt(6)
	v_fma_f64 v[21:22], -v[45:46], v[25:26], v[67:68]
	;; [unrolled: 2-line block ×3, first 2 shown]
	v_fma_f64 v[65:66], -v[43:44], v[19:20], v[13:14]
	s_waitcnt lgkmcnt(4)
	v_mul_f64 v[75:76], v[33:34], v[71:72]
	v_fma_f64 v[33:34], -v[41:42], v[23:24], v[15:16]
	v_fma_f64 v[67:68], -v[45:46], v[27:28], v[17:18]
	;; [unrolled: 1-line block ×3, first 2 shown]
	s_delay_alu instid0(VALU_DEP_4)
	v_fma_f64 v[35:36], -v[75:76], v[35:36], v[25:26]
	ds_load_b128 v[13:16], v90 offset:80
	ds_load_2addr_b64 v[17:20], v89 offset0:7 offset1:8
	ds_load_b128 v[21:24], v91 offset:48
	ds_load_b128 v[25:28], v90 offset:96
	ds_load_2addr_b64 v[29:32], v89 offset0:9 offset1:10
	ds_load_b64 v[77:78], v89 offset:120
	s_waitcnt lgkmcnt(5)
	v_fma_f64 v[9:10], -v[41:42], v[13:14], v[9:10]
	v_fma_f64 v[13:14], -v[43:44], v[57:58], v[33:34]
	;; [unrolled: 1-line block ×3, first 2 shown]
	s_waitcnt lgkmcnt(4)
	v_fma_f64 v[17:18], -v[51:52], v[17:18], v[67:68]
	s_waitcnt lgkmcnt(3)
	v_fma_f64 v[21:22], -v[75:76], v[21:22], v[69:70]
	v_fma_f64 v[69:70], -v[41:42], v[15:16], v[11:12]
	s_waitcnt lgkmcnt(2)
	v_fma_f64 v[5:6], -v[41:42], v[25:26], v[5:6]
	v_fma_f64 v[27:28], -v[41:42], v[27:28], v[7:8]
	v_mul_f64 v[79:80], v[37:38], v[35:36]
	v_fma_f64 v[71:72], -v[43:44], v[59:60], v[9:10]
	v_fma_f64 v[81:82], -v[45:46], v[49:50], v[13:14]
	;; [unrolled: 1-line block ×5, first 2 shown]
	ds_load_2addr_b64 v[9:12], v55 offset0:11 offset1:12
	ds_load_b128 v[13:16], v56 offset:80
	ds_load_b128 v[17:20], v91 offset:64
	ds_load_2addr_b64 v[21:24], v92 offset0:7 offset1:8
	ds_load_2addr_b64 v[33:36], v54 offset0:126 offset1:147
	;; [unrolled: 1-line block ×3, first 2 shown]
	ds_load_b128 v[47:50], v91 offset:80
	ds_load_b128 v[56:59], v56 offset:96
	ds_load_2addr_b64 v[65:68], v55 offset0:13 offset1:14
	s_waitcnt lgkmcnt(8)
	v_fma_f64 v[9:10], -v[43:44], v[9:10], v[69:70]
	s_waitcnt lgkmcnt(7)
	v_fma_f64 v[13:14], -v[45:46], v[13:14], v[71:72]
	v_fma_f64 v[25:26], -v[51:52], v[29:30], v[81:82]
	s_waitcnt lgkmcnt(6)
	v_fma_f64 v[17:18], -v[75:76], v[17:18], v[83:84]
	s_waitcnt lgkmcnt(5)
	v_fma_f64 v[21:22], -v[79:80], v[21:22], v[85:86]
	v_mov_b32_e32 v85, s23
	s_add_i32 s23, s12, 0x8c
	v_fma_f64 v[29:30], -v[43:44], v[11:12], v[5:6]
	s_add_i32 s24, s4, s23
	s_delay_alu instid0(SALU_CYCLE_1) | instskip(NEXT) | instid1(SALU_CYCLE_1)
	s_lshl_b32 s24, s24, 3
	v_mov_b32_e32 v86, s24
	ds_load_2addr_b64 v[69:72], v85 offset0:7 offset1:8
	ds_load_b64 v[83:84], v92 offset:120
	s_or_b32 s24, s4, 8
	s_delay_alu instid0(SALU_CYCLE_1)
	s_mul_i32 s25, s24, 0xa8
	s_mul_i32 s24, s24, 20
	s_waitcnt lgkmcnt(6)
	v_mul_f64 v[81:82], v[33:34], v[87:88]
	v_fma_f64 v[33:34], -v[45:46], v[15:16], v[9:10]
	v_fma_f64 v[31:32], -v[51:52], v[31:32], v[13:14]
	;; [unrolled: 1-line block ×4, first 2 shown]
	ds_load_b128 v[5:8], v90 offset:112
	ds_load_2addr_b64 v[9:12], v89 offset0:11 offset1:12
	ds_load_2addr_b64 v[13:16], v89 offset0:13 offset1:14
	s_waitcnt lgkmcnt(6)
	v_fma_f64 v[55:56], -v[45:46], v[56:57], v[29:30]
	s_waitcnt lgkmcnt(2)
	v_fma_f64 v[1:2], -v[41:42], v[5:6], v[1:2]
	v_fma_f64 v[21:22], -v[81:82], v[69:70], v[21:22]
	;; [unrolled: 1-line block ×3, first 2 shown]
	s_waitcnt lgkmcnt(1)
	v_fma_f64 v[9:10], -v[51:52], v[9:10], v[33:34]
	v_fma_f64 v[33:34], -v[75:76], v[47:48], v[31:32]
	v_fma_f64 v[37:38], -v[79:80], v[37:38], v[19:20]
	v_fma_f64 v[47:48], -v[81:82], v[71:72], v[17:18]
	v_fma_f64 v[71:72], -v[41:42], v[7:8], v[3:4]
	v_fma_f64 v[55:56], -v[51:52], v[11:12], v[55:56]
	v_fma_f64 v[67:68], -v[43:44], v[67:68], v[1:2]
	v_mul_f64 v[65:66], v[35:36], v[21:22]
	ds_load_2addr_b64 v[17:20], v85 offset0:9 offset1:10
	ds_load_b128 v[21:24], v86 offset:64
	ds_load_b128 v[25:28], v86 offset:80
	ds_load_2addr_b64 v[29:32], v85 offset0:11 offset1:12
	v_fma_f64 v[57:58], -v[45:46], v[58:59], v[5:6]
	v_fma_f64 v[59:60], -v[75:76], v[49:50], v[9:10]
	v_mov_b32_e32 v9, s25
	ds_load_b128 v[1:4], v91 offset:96
	ds_load_2addr_b64 v[5:8], v92 offset0:11 offset1:12
	ds_load_b128 v[9:12], v9
	v_fma_f64 v[69:70], -v[79:80], v[39:40], v[33:34]
	s_waitcnt lgkmcnt(6)
	v_fma_f64 v[17:18], -v[81:82], v[17:18], v[37:38]
	s_or_b32 s25, s4, 9
	s_delay_alu instid0(SALU_CYCLE_1) | instskip(SKIP_3) | instid1(SALU_CYCLE_1)
	s_mul_i32 s26, s25, 0xa8
	s_mul_i32 s25, s25, 20
	v_mov_b32_e32 v33, s26
	s_add_i32 s26, s4, s24
	s_lshl_b32 s26, s26, 3
	s_waitcnt lgkmcnt(2)
	v_fma_f64 v[1:2], -v[75:76], v[1:2], v[55:56]
	v_fma_f64 v[61:62], -v[45:46], v[61:62], v[67:68]
	;; [unrolled: 1-line block ×3, first 2 shown]
	ds_load_2addr_b64 v[33:36], v33 offset1:1
	ds_load_2addr_b64 v[37:40], v92 offset0:13 offset1:14
	ds_load_b128 v[47:50], v91 offset:112
	v_fma_f64 v[13:14], -v[51:52], v[13:14], v[57:58]
	v_mov_b32_e32 v57, s26
	s_add_i32 s26, s4, s25
	s_delay_alu instid0(SALU_CYCLE_1)
	s_lshl_b32 s26, s26, 3
	s_waitcnt lgkmcnt(4)
	v_fma_f64 v[5:6], -v[79:80], v[5:6], v[59:60]
	v_fma_f64 v[19:20], -v[81:82], v[19:20], v[69:70]
	;; [unrolled: 1-line block ×5, first 2 shown]
	s_waitcnt lgkmcnt(3)
	v_mul_f64 v[55:56], v[9:10], v[21:22]
	v_fma_f64 v[9:10], -v[43:44], v[73:74], v[71:72]
	v_fma_f64 v[13:14], -v[75:76], v[3:4], v[13:14]
	ds_load_b128 v[1:4], v57 offset:80
	v_fma_f64 v[5:6], -v[81:82], v[29:30], v[5:6]
	v_fma_f64 v[19:20], -v[65:66], v[25:26], v[19:20]
	;; [unrolled: 1-line block ×5, first 2 shown]
	s_waitcnt lgkmcnt(1)
	v_fma_f64 v[17:18], -v[75:76], v[47:48], v[15:16]
	v_fma_f64 v[21:22], -v[79:80], v[37:38], v[13:14]
	v_mov_b32_e32 v47, s26
	s_add_i32 s26, s4, s27
	s_delay_alu instid0(SALU_CYCLE_1)
	s_lshl_b32 s26, s26, 3
	v_fma_f64 v[25:26], -v[65:66], v[27:28], v[5:6]
	s_waitcnt lgkmcnt(0)
	v_fma_f64 v[1:2], -v[55:56], v[1:2], v[19:20]
	v_mul_f64 v[29:30], v[33:34], v[11:12]
	v_fma_f64 v[19:20], -v[51:52], v[77:78], v[9:10]
	ds_load_2addr_b64 v[5:8], v85 offset0:13 offset1:14
	ds_load_b128 v[9:12], v86 offset:96
	ds_load_b128 v[13:16], v86 offset:112
	ds_load_b64 v[31:32], v85 offset:120
	v_fma_f64 v[33:34], -v[79:80], v[39:40], v[17:18]
	v_fma_f64 v[37:38], -v[55:56], v[3:4], v[25:26]
	s_waitcnt lgkmcnt(3)
	v_fma_f64 v[5:6], -v[81:82], v[5:6], v[21:22]
	s_waitcnt lgkmcnt(2)
	v_fma_f64 v[9:10], -v[65:66], v[9:10], v[23:24]
	v_mov_b32_e32 v21, s28
	s_or_b32 s28, s4, 11
	s_delay_alu instid0(SALU_CYCLE_1)
	s_mul_i32 s29, s28, 0xa8
	s_mul_i32 s28, s28, 20
	v_fma_f64 v[35:36], -v[29:30], v[35:36], v[1:2]
	v_fma_f64 v[39:40], -v[75:76], v[49:50], v[19:20]
	ds_load_b128 v[1:4], v57 offset:96
	ds_load_2addr_b64 v[17:20], v47 offset0:11 offset1:12
	ds_load_b128 v[21:24], v21
	ds_load_b128 v[25:28], v57 offset:112
	v_fma_f64 v[7:8], -v[81:82], v[7:8], v[33:34]
	v_fma_f64 v[5:6], -v[65:66], v[11:12], v[5:6]
	s_waitcnt lgkmcnt(3)
	v_fma_f64 v[1:2], -v[55:56], v[1:2], v[9:10]
	s_waitcnt lgkmcnt(2)
	;; [unrolled: 2-line block ×3, first 2 shown]
	v_mul_f64 v[17:18], v[21:22], v[35:36]
	v_fma_f64 v[11:12], -v[79:80], v[83:84], v[39:40]
	v_mov_b32_e32 v35, s26
	v_fma_f64 v[13:14], -v[65:66], v[13:14], v[7:8]
	s_add_i32 s26, s4, s28
	s_delay_alu instid0(SALU_CYCLE_1)
	s_lshl_b32 s26, s26, 3
	v_fma_f64 v[21:22], -v[55:56], v[3:4], v[5:6]
	v_fma_f64 v[19:20], -v[29:30], v[19:20], v[1:2]
	v_fma_f64 v[23:24], -v[17:18], v[23:24], v[9:10]
	v_fma_f64 v[31:32], -v[81:82], v[31:32], v[11:12]
	v_mov_b32_e32 v9, s29
	ds_load_2addr_b64 v[1:4], v47 offset0:13 offset1:14
	ds_load_b128 v[5:8], v35 offset:96
	ds_load_2addr_b64 v[9:12], v9 offset1:1
	ds_load_b64 v[33:34], v47 offset:120
	s_waitcnt lgkmcnt(4)
	v_fma_f64 v[13:14], -v[55:56], v[25:26], v[13:14]
	s_waitcnt lgkmcnt(3)
	v_fma_f64 v[1:2], -v[29:30], v[1:2], v[21:22]
	;; [unrolled: 2-line block ×3, first 2 shown]
	s_waitcnt lgkmcnt(1)
	v_mul_f64 v[19:20], v[9:10], v[23:24]
	v_fma_f64 v[9:10], -v[65:66], v[15:16], v[31:32]
	v_mov_b32_e32 v31, s26
	s_add_i32 s26, s12, 0xf0
	s_delay_alu instid0(SALU_CYCLE_1)
	s_add_i32 s29, s4, s26
	v_fma_f64 v[21:22], -v[29:30], v[3:4], v[13:14]
	s_lshl_b32 s29, s29, 3
	v_fma_f64 v[23:24], -v[17:18], v[7:8], v[1:2]
	v_fma_f64 v[25:26], -v[19:20], v[11:12], v[5:6]
	;; [unrolled: 1-line block ×3, first 2 shown]
	ds_load_b128 v[1:4], v35 offset:112
	ds_load_2addr_b64 v[5:8], v31 offset0:13 offset1:14
	ds_load_b128 v[9:12], v54 offset:2016
	ds_load_b128 v[13:16], v54 offset:2352
	s_waitcnt lgkmcnt(3)
	v_fma_f64 v[1:2], -v[17:18], v[1:2], v[21:22]
	s_waitcnt lgkmcnt(2)
	v_fma_f64 v[5:6], -v[19:20], v[5:6], v[23:24]
	s_waitcnt lgkmcnt(1)
	v_mul_f64 v[9:10], v[9:10], v[25:26]
	v_fma_f64 v[21:22], -v[29:30], v[33:34], v[27:28]
	s_delay_alu instid0(VALU_DEP_4) | instskip(SKIP_1) | instid1(VALU_DEP_4)
	v_fma_f64 v[23:24], -v[19:20], v[7:8], v[1:2]
	v_mov_b32_e32 v1, s29
	v_fma_f64 v[11:12], -v[9:10], v[11:12], v[5:6]
	s_delay_alu instid0(VALU_DEP_4)
	v_fma_f64 v[21:22], -v[17:18], v[3:4], v[21:22]
	v_mov_b32_e32 v5, s8
	s_add_i32 s8, s12, 0x104
	ds_load_b128 v[1:4], v1 offset:112
	ds_load_2addr_b64 v[5:8], v5 offset1:1
	ds_load_b64 v[25:26], v31 offset:120
	s_add_i32 s29, s4, s8
	s_addk_i32 s12, 0x118
	s_lshl_b32 s29, s29, 3
	s_add_i32 s4, s4, 16
	v_mov_b32_e32 v27, s29
	s_mul_i32 s29, s9, 0xa8
	s_mul_i32 s9, s9, 20
	ds_load_b64 v[27:28], v27 offset:120
	s_waitcnt lgkmcnt(3)
	v_fma_f64 v[1:2], -v[9:10], v[1:2], v[23:24]
	s_waitcnt lgkmcnt(2)
	v_mul_f64 v[5:6], v[5:6], v[11:12]
	s_waitcnt lgkmcnt(1)
	v_fma_f64 v[11:12], -v[19:20], v[25:26], v[21:22]
	s_delay_alu instid0(VALU_DEP_2) | instskip(NEXT) | instid1(VALU_DEP_2)
	v_fma_f64 v[1:2], -v[5:6], v[7:8], v[1:2]
	v_fma_f64 v[3:4], -v[9:10], v[3:4], v[11:12]
	v_mov_b32_e32 v7, s29
	v_add_lshl_u32 v11, s15, v0, 3
	v_add_lshl_u32 v12, s19, v0, 3
	ds_load_b64 v[7:8], v7
	v_mul_f64 v[1:2], v[13:14], v[1:2]
	s_waitcnt lgkmcnt(1)
	v_fma_f64 v[3:4], -v[5:6], v[27:28], v[3:4]
	v_add_lshl_u32 v13, s21, v0, 3
	v_add_lshl_u32 v14, s22, v0, 3
	s_delay_alu instid0(VALU_DEP_3) | instskip(SKIP_1) | instid1(VALU_DEP_1)
	v_fma_f64 v[3:4], -v[1:2], v[15:16], v[3:4]
	s_waitcnt lgkmcnt(0)
	v_mul_f64 v[3:4], v[7:8], v[3:4]
	v_add_lshl_u32 v7, s13, v0, 3
	v_add_lshl_u32 v8, s14, v0, 3
	ds_store_b64 v53, v[41:42]
	ds_store_b64 v7, v[43:44] offset:3200
	ds_store_b64 v8, v[45:46] offset:3200
	;; [unrolled: 1-line block ×6, first 2 shown]
	v_add_lshl_u32 v7, s23, v0, 3
	v_add_lshl_u32 v8, s24, v0, 3
	;; [unrolled: 1-line block ×5, first 2 shown]
	ds_store_b64 v7, v[65:66] offset:3200
	ds_store_b64 v8, v[55:56] offset:3200
	;; [unrolled: 1-line block ×5, first 2 shown]
	v_add_lshl_u32 v7, s26, v0, 3
	v_add_lshl_u32 v8, s8, v0, 3
	;; [unrolled: 1-line block ×4, first 2 shown]
	ds_store_b64 v7, v[9:10] offset:3200
	ds_store_b64 v8, v[5:6] offset:3200
	;; [unrolled: 1-line block ×4, first 2 shown]
.LBB89_49:
	s_cmp_ge_i32 s4, s20
	s_cbranch_scc1 .LBB89_60
; %bb.50:
	v_lshl_add_u32 v3, v0, 3, 0xc80
	s_add_i32 s8, s4, -1
	s_lshl_b32 s9, s4, 3
	s_mov_b32 s12, 0
	s_mov_b32 s13, s4
	s_branch .LBB89_52
.LBB89_51:                              ;   in Loop: Header=BB89_52 Depth=1
	s_mul_i32 s14, s4, 0xa8
	s_delay_alu instid0(SALU_CYCLE_1)
	v_dual_mov_b32 v5, s14 :: v_dual_add_nc_u32 v4, 0xc80, v4
	s_add_i32 s4, s4, 1
	s_add_i32 s12, s12, 1
	;; [unrolled: 1-line block ×3, first 2 shown]
	s_cmp_ge_i32 s4, s20
	ds_load_b64 v[5:6], v5
	s_waitcnt lgkmcnt(0)
	v_mul_f64 v[1:2], v[5:6], v[1:2]
	v_add_nc_u16 v5, s13, 1
	s_delay_alu instid0(VALU_DEP_1)
	v_readfirstlane_b32 s13, v5
	ds_store_b64 v4, v[1:2]
	s_cbranch_scc1 .LBB89_60
.LBB89_52:                              ; =>This Loop Header: Depth=1
                                        ;     Child Loop BB89_55 Depth 2
                                        ;     Child Loop BB89_59 Depth 2
	s_mul_i32 s14, s4, 20
	s_cmp_eq_u32 s4, 0
	v_add_lshl_u32 v4, s14, v0, 3
	ds_load_b64 v[1:2], v4 offset:3200
	s_cbranch_scc1 .LBB89_51
; %bb.53:                               ;   in Loop: Header=BB89_52 Depth=1
	s_add_i32 s14, s8, s12
	s_delay_alu instid0(SALU_CYCLE_1)
	s_cmp_lt_u32 s14, 7
	s_cbranch_scc1 .LBB89_57
; %bb.54:                               ;   in Loop: Header=BB89_52 Depth=1
	v_mov_b32_e32 v5, v3
	s_and_b32 s14, s4, -8
	s_mov_b32 s15, 0
	s_mov_b32 s19, s9
	s_set_inst_prefetch_distance 0x1
	.p2align	6
.LBB89_55:                              ;   Parent Loop BB89_52 Depth=1
                                        ; =>  This Inner Loop Header: Depth=2
	v_mov_b32_e32 v14, s19
	s_add_i32 s15, s15, 8
	s_addk_i32 s19, 0x500
	s_cmp_lg_u32 s14, s15
	ds_load_2addr_b64 v[6:9], v5 offset1:20
	ds_load_2addr_b64 v[10:13], v14 offset1:20
	s_waitcnt lgkmcnt(0)
	v_fma_f64 v[1:2], -v[6:7], v[10:11], v[1:2]
	s_delay_alu instid0(VALU_DEP_1) | instskip(SKIP_4) | instid1(VALU_DEP_1)
	v_fma_f64 v[1:2], -v[8:9], v[12:13], v[1:2]
	ds_load_2addr_b64 v[6:9], v5 offset0:40 offset1:60
	ds_load_2addr_b64 v[10:13], v14 offset0:40 offset1:60
	s_waitcnt lgkmcnt(0)
	v_fma_f64 v[1:2], -v[6:7], v[10:11], v[1:2]
	v_fma_f64 v[1:2], -v[8:9], v[12:13], v[1:2]
	ds_load_2addr_b64 v[6:9], v5 offset0:80 offset1:100
	ds_load_2addr_b64 v[10:13], v14 offset0:80 offset1:100
	s_waitcnt lgkmcnt(0)
	v_fma_f64 v[1:2], -v[6:7], v[10:11], v[1:2]
	s_delay_alu instid0(VALU_DEP_1)
	v_fma_f64 v[1:2], -v[8:9], v[12:13], v[1:2]
	ds_load_2addr_b64 v[6:9], v5 offset0:120 offset1:140
	ds_load_2addr_b64 v[10:13], v14 offset0:120 offset1:140
	v_add_nc_u32_e32 v5, 0x500, v5
	s_waitcnt lgkmcnt(0)
	v_fma_f64 v[1:2], -v[6:7], v[10:11], v[1:2]
	s_delay_alu instid0(VALU_DEP_1)
	v_fma_f64 v[1:2], -v[8:9], v[12:13], v[1:2]
	s_cbranch_scc1 .LBB89_55
; %bb.56:                               ;   in Loop: Header=BB89_52 Depth=1
	s_set_inst_prefetch_distance 0x2
	s_and_b32 s15, s4, 7
	s_delay_alu instid0(SALU_CYCLE_1)
	s_cmp_eq_u32 s15, 0
	s_cbranch_scc0 .LBB89_58
	s_branch .LBB89_51
.LBB89_57:                              ;   in Loop: Header=BB89_52 Depth=1
	s_mov_b32 s14, 0
	s_and_b32 s15, s4, 7
	s_delay_alu instid0(SALU_CYCLE_1)
	s_cmp_eq_u32 s15, 0
	s_cbranch_scc1 .LBB89_51
.LBB89_58:                              ;   in Loop: Header=BB89_52 Depth=1
	s_and_b32 s15, s13, 7
	s_mulk_i32 s14, 0xa0
.LBB89_59:                              ;   Parent Loop BB89_52 Depth=1
                                        ; =>  This Inner Loop Header: Depth=2
	s_delay_alu instid0(SALU_CYCLE_1)
	s_add_i32 s19, s9, s14
	v_add_nc_u32_e32 v5, s14, v3
	v_mov_b32_e32 v7, s19
	s_add_i32 s15, s15, -1
	s_addk_i32 s14, 0xa0
	s_cmp_lg_u32 s15, 0
	ds_load_b64 v[5:6], v5
	ds_load_b64 v[7:8], v7
	s_waitcnt lgkmcnt(0)
	v_fma_f64 v[1:2], -v[5:6], v[7:8], v[1:2]
	s_cbranch_scc1 .LBB89_59
	s_branch .LBB89_51
.LBB89_60:
	s_waitcnt vmcnt(0) lgkmcnt(0)
	s_waitcnt_vscnt null, 0x0
	; wave barrier
	s_waitcnt lgkmcnt(0)
	buffer_gl0_inv
	s_and_saveexec_b32 s4, s18
	s_cbranch_execz .LBB89_67
; %bb.61:
	s_cmp_lt_i32 s6, 8
	s_mov_b32 s4, 0
	s_cbranch_scc1 .LBB89_64
; %bb.62:
	v_mad_i64_i32 v[1:2], null, s16, v0, 0
	v_lshl_add_u32 v3, v0, 3, 0xc80
	s_lshl_b32 s4, s20, 3
	s_delay_alu instid0(VALU_DEP_2) | instskip(NEXT) | instid1(VALU_DEP_1)
	v_lshlrev_b64 v[1:2], 3, v[1:2]
	v_add_co_u32 v1, vcc_lo, s5, v1
	s_delay_alu instid0(VALU_DEP_2)
	v_add_co_ci_u32_e32 v2, vcc_lo, s7, v2, vcc_lo
	s_and_b32 s5, s4, 0xc0
	s_mov_b32 s4, 0
	s_mov_b64 s[6:7], 0
	.p2align	6
.LBB89_63:                              ; =>This Inner Loop Header: Depth=1
	ds_load_2addr_b64 v[4:7], v3 offset1:20
	ds_load_2addr_b64 v[8:11], v3 offset0:40 offset1:60
	ds_load_2addr_b64 v[12:15], v3 offset0:80 offset1:100
	;; [unrolled: 1-line block ×3, first 2 shown]
	v_add_co_u32 v20, vcc_lo, v1, s6
	v_add_co_ci_u32_e32 v21, vcc_lo, s7, v2, vcc_lo
	s_add_i32 s4, s4, 8
	v_add_nc_u32_e32 v3, 0x500, v3
	s_add_u32 s6, s6, 64
	s_addc_u32 s7, s7, 0
	s_cmp_lg_u32 s5, s6
	s_waitcnt lgkmcnt(3)
	global_store_b128 v[20:21], v[4:7], off
	s_waitcnt lgkmcnt(2)
	global_store_b128 v[20:21], v[8:11], off offset:16
	s_waitcnt lgkmcnt(1)
	global_store_b128 v[20:21], v[12:15], off offset:32
	;; [unrolled: 2-line block ×3, first 2 shown]
	s_cbranch_scc1 .LBB89_63
.LBB89_64:
	s_and_b32 s6, s20, 7
	s_mov_b32 s5, 0
	s_cmp_eq_u32 s6, 0
	s_cbranch_scc1 .LBB89_67
; %bb.65:
	v_lshlrev_b32_e32 v2, 3, v0
	s_lshl_b64 s[8:9], s[10:11], 3
	s_lshl_b64 s[10:11], s[4:5], 3
	s_delay_alu instid0(SALU_CYCLE_1) | instskip(NEXT) | instid1(VALU_DEP_1)
	s_add_u32 s2, s2, s10
	v_add_co_u32 v3, s5, s8, v2
	s_delay_alu instid0(VALU_DEP_1) | instskip(SKIP_3) | instid1(VALU_DEP_1)
	v_add_co_ci_u32_e64 v4, null, s9, 0, s5
	s_addc_u32 s3, s3, s11
	s_add_u32 s0, s2, s0
	s_addc_u32 s1, s3, s1
	v_mul_lo_u32 v4, v4, s16
	v_mad_u64_u32 v[0:1], null, v3, s16, s[0:1]
	v_mul_lo_u32 v3, v3, s17
	s_mul_i32 s0, s4, 0xa0
	s_delay_alu instid0(SALU_CYCLE_1) | instskip(NEXT) | instid1(VALU_DEP_2)
	v_add3_u32 v2, s0, v2, 0xc80
	v_add3_u32 v1, v4, v1, v3
.LBB89_66:                              ; =>This Inner Loop Header: Depth=1
	ds_load_b64 v[3:4], v2
	v_add_nc_u32_e32 v2, 0xa0, v2
	s_add_i32 s6, s6, -1
	s_delay_alu instid0(SALU_CYCLE_1)
	s_cmp_lg_u32 s6, 0
	s_waitcnt lgkmcnt(0)
	global_store_b64 v[0:1], v[3:4], off
	v_add_co_u32 v0, vcc_lo, v0, 8
	v_add_co_ci_u32_e32 v1, vcc_lo, 0, v1, vcc_lo
	s_cbranch_scc1 .LBB89_66
.LBB89_67:
	s_nop 0
	s_sendmsg sendmsg(MSG_DEALLOC_VGPRS)
	s_endpgm
	.section	.rodata,"a",@progbits
	.p2align	6, 0x0
	.amdhsa_kernel _ZL38rocblas_trsm_small_left_device_sharedBILi20ELi20ELb1EddPKPKdPKPdEv13rocblas_fill_18rocblas_operation_17rocblas_diagonal_iiT3_T4_lilT5_lili
		.amdhsa_group_segment_fixed_size 6400
		.amdhsa_private_segment_fixed_size 0
		.amdhsa_kernarg_size 360
		.amdhsa_user_sgpr_count 14
		.amdhsa_user_sgpr_dispatch_ptr 0
		.amdhsa_user_sgpr_queue_ptr 0
		.amdhsa_user_sgpr_kernarg_segment_ptr 1
		.amdhsa_user_sgpr_dispatch_id 0
		.amdhsa_user_sgpr_private_segment_size 0
		.amdhsa_wavefront_size32 1
		.amdhsa_uses_dynamic_stack 0
		.amdhsa_enable_private_segment 0
		.amdhsa_system_sgpr_workgroup_id_x 1
		.amdhsa_system_sgpr_workgroup_id_y 0
		.amdhsa_system_sgpr_workgroup_id_z 1
		.amdhsa_system_sgpr_workgroup_info 0
		.amdhsa_system_vgpr_workitem_id 0
		.amdhsa_next_free_vgpr 128
		.amdhsa_next_free_sgpr 37
		.amdhsa_reserve_vcc 1
		.amdhsa_float_round_mode_32 0
		.amdhsa_float_round_mode_16_64 0
		.amdhsa_float_denorm_mode_32 3
		.amdhsa_float_denorm_mode_16_64 3
		.amdhsa_dx10_clamp 1
		.amdhsa_ieee_mode 1
		.amdhsa_fp16_overflow 0
		.amdhsa_workgroup_processor_mode 1
		.amdhsa_memory_ordered 1
		.amdhsa_forward_progress 0
		.amdhsa_shared_vgpr_count 0
		.amdhsa_exception_fp_ieee_invalid_op 0
		.amdhsa_exception_fp_denorm_src 0
		.amdhsa_exception_fp_ieee_div_zero 0
		.amdhsa_exception_fp_ieee_overflow 0
		.amdhsa_exception_fp_ieee_underflow 0
		.amdhsa_exception_fp_ieee_inexact 0
		.amdhsa_exception_int_div_zero 0
	.end_amdhsa_kernel
	.section	.text._ZL38rocblas_trsm_small_left_device_sharedBILi20ELi20ELb1EddPKPKdPKPdEv13rocblas_fill_18rocblas_operation_17rocblas_diagonal_iiT3_T4_lilT5_lili,"axG",@progbits,_ZL38rocblas_trsm_small_left_device_sharedBILi20ELi20ELb1EddPKPKdPKPdEv13rocblas_fill_18rocblas_operation_17rocblas_diagonal_iiT3_T4_lilT5_lili,comdat
.Lfunc_end89:
	.size	_ZL38rocblas_trsm_small_left_device_sharedBILi20ELi20ELb1EddPKPKdPKPdEv13rocblas_fill_18rocblas_operation_17rocblas_diagonal_iiT3_T4_lilT5_lili, .Lfunc_end89-_ZL38rocblas_trsm_small_left_device_sharedBILi20ELi20ELb1EddPKPKdPKPdEv13rocblas_fill_18rocblas_operation_17rocblas_diagonal_iiT3_T4_lilT5_lili
                                        ; -- End function
	.section	.AMDGPU.csdata,"",@progbits
; Kernel info:
; codeLenInByte = 17344
; NumSgprs: 39
; NumVgprs: 128
; ScratchSize: 0
; MemoryBound: 0
; FloatMode: 240
; IeeeMode: 1
; LDSByteSize: 6400 bytes/workgroup (compile time only)
; SGPRBlocks: 4
; VGPRBlocks: 15
; NumSGPRsForWavesPerEU: 39
; NumVGPRsForWavesPerEU: 128
; Occupancy: 5
; WaveLimiterHint : 1
; COMPUTE_PGM_RSRC2:SCRATCH_EN: 0
; COMPUTE_PGM_RSRC2:USER_SGPR: 14
; COMPUTE_PGM_RSRC2:TRAP_HANDLER: 0
; COMPUTE_PGM_RSRC2:TGID_X_EN: 1
; COMPUTE_PGM_RSRC2:TGID_Y_EN: 0
; COMPUTE_PGM_RSRC2:TGID_Z_EN: 1
; COMPUTE_PGM_RSRC2:TIDIG_COMP_CNT: 0
	.section	.text._ZL30rocblas_trsm_small_left_deviceILi20ELi20ELb1EddPKPKdPKPdEv13rocblas_fill_18rocblas_operation_17rocblas_diagonal_iiT3_T4_lilT5_lili,"axG",@progbits,_ZL30rocblas_trsm_small_left_deviceILi20ELi20ELb1EddPKPKdPKPdEv13rocblas_fill_18rocblas_operation_17rocblas_diagonal_iiT3_T4_lilT5_lili,comdat
	.globl	_ZL30rocblas_trsm_small_left_deviceILi20ELi20ELb1EddPKPKdPKPdEv13rocblas_fill_18rocblas_operation_17rocblas_diagonal_iiT3_T4_lilT5_lili ; -- Begin function _ZL30rocblas_trsm_small_left_deviceILi20ELi20ELb1EddPKPKdPKPdEv13rocblas_fill_18rocblas_operation_17rocblas_diagonal_iiT3_T4_lilT5_lili
	.p2align	8
	.type	_ZL30rocblas_trsm_small_left_deviceILi20ELi20ELb1EddPKPKdPKPdEv13rocblas_fill_18rocblas_operation_17rocblas_diagonal_iiT3_T4_lilT5_lili,@function
_ZL30rocblas_trsm_small_left_deviceILi20ELi20ELb1EddPKPKdPKPdEv13rocblas_fill_18rocblas_operation_17rocblas_diagonal_iiT3_T4_lilT5_lili: ; @_ZL30rocblas_trsm_small_left_deviceILi20ELi20ELb1EddPKPKdPKPdEv13rocblas_fill_18rocblas_operation_17rocblas_diagonal_iiT3_T4_lilT5_lili
; %bb.0:
	s_load_b128 s[16:19], s[0:1], 0x40
	s_mov_b32 s2, s15
	s_mov_b32 s3, 0
	s_clause 0x1
	s_load_b128 s[8:11], s[0:1], 0x4
	s_load_b64 s[20:21], s[0:1], 0x28
	s_lshl_b64 s[24:25], s[2:3], 3
	s_mov_b32 s15, exec_lo
	s_waitcnt lgkmcnt(0)
	s_add_u32 s12, s16, s24
	s_addc_u32 s13, s17, s25
	s_load_b128 s[4:7], s[0:1], 0x18
	s_load_b64 s[12:13], s[12:13], 0x0
	s_min_i32 s2, s10, 20
	s_delay_alu instid0(SALU_CYCLE_1)
	s_add_i32 s16, s2, -1
	v_cmpx_gt_i32_e64 s2, v0
	s_cbranch_execz .LBB90_10
; %bb.1:
	s_load_b32 s22, s[0:1], 0x30
	v_lshlrev_b32_e32 v3, 3, v0
	s_waitcnt lgkmcnt(0)
	s_ashr_i32 s23, s22, 31
	s_add_u32 s6, s6, s24
	s_addc_u32 s7, s7, s25
	s_cmp_lt_u32 s16, 3
	s_load_b64 s[6:7], s[6:7], 0x0
	s_cbranch_scc1 .LBB90_4
; %bb.2:
	s_lshl_b64 s[24:25], s[20:21], 3
	v_mov_b32_e32 v4, v3
	s_waitcnt lgkmcnt(0)
	s_add_u32 s3, s6, s24
	s_addc_u32 s17, s7, s25
	v_add_co_u32 v1, s3, s3, v3
	s_delay_alu instid0(VALU_DEP_1)
	v_add_co_ci_u32_e64 v2, null, s17, 0, s3
	s_and_b32 s3, s2, -4
	s_mul_hi_i32 s17, s22, 24
	s_mul_i32 s30, s22, 24
	s_lshl_b64 s[24:25], s[22:23], 5
	s_lshl_b64 s[26:27], s[22:23], 4
	;; [unrolled: 1-line block ×3, first 2 shown]
	s_mov_b32 s31, 0
	.p2align	6
.LBB90_3:                               ; =>This Inner Loop Header: Depth=1
	v_add_co_u32 v5, vcc_lo, v1, s28
	v_add_co_ci_u32_e32 v6, vcc_lo, s29, v2, vcc_lo
	v_add_co_u32 v7, vcc_lo, v1, s26
	v_add_co_ci_u32_e32 v8, vcc_lo, s27, v2, vcc_lo
	;; [unrolled: 2-line block ×3, first 2 shown]
	s_clause 0x3
	global_load_b64 v[11:12], v[1:2], off
	global_load_b64 v[5:6], v[5:6], off
	;; [unrolled: 1-line block ×4, first 2 shown]
	v_add_co_u32 v1, vcc_lo, v1, s24
	v_add_co_ci_u32_e32 v2, vcc_lo, s25, v2, vcc_lo
	s_add_i32 s31, s31, 4
	s_waitcnt vmcnt(2)
	ds_store_2addr_b64 v4, v[11:12], v[5:6] offset1:20
	s_waitcnt vmcnt(0)
	ds_store_2addr_b64 v4, v[7:8], v[9:10] offset0:40 offset1:60
	v_add_nc_u32_e32 v4, 0x280, v4
	s_cmp_eq_u32 s3, s31
	s_cbranch_scc0 .LBB90_3
.LBB90_4:
	s_and_b32 s17, s2, 3
	s_delay_alu instid0(SALU_CYCLE_1)
	s_cmp_eq_u32 s17, 0
	s_cbranch_scc1 .LBB90_7
; %bb.5:
	s_mul_i32 s24, s23, s3
	s_mul_hi_u32 s25, s22, s3
	s_lshl_b64 s[20:21], s[20:21], 3
	s_add_i32 s25, s25, s24
	s_mul_i32 s24, s22, s3
	s_mulk_i32 s3, 0xa0
	s_lshl_b64 s[24:25], s[24:25], 3
	v_lshl_add_u32 v4, v0, 3, s3
	s_add_u32 s3, s24, s20
	s_addc_u32 s20, s25, s21
	s_waitcnt lgkmcnt(0)
	s_add_u32 s3, s6, s3
	s_addc_u32 s6, s7, s20
	v_add_co_u32 v1, s3, s3, v3
	s_delay_alu instid0(VALU_DEP_1)
	v_add_co_ci_u32_e64 v2, null, s6, 0, s3
	s_lshl_b64 s[6:7], s[22:23], 3
.LBB90_6:                               ; =>This Inner Loop Header: Depth=1
	global_load_b64 v[5:6], v[1:2], off
	v_add_co_u32 v1, vcc_lo, v1, s6
	v_add_co_ci_u32_e32 v2, vcc_lo, s7, v2, vcc_lo
	s_add_i32 s17, s17, -1
	s_delay_alu instid0(SALU_CYCLE_1)
	s_cmp_lg_u32 s17, 0
	s_waitcnt vmcnt(0)
	ds_store_b64 v4, v[5:6]
	v_add_nc_u32_e32 v4, 0xa0, v4
	s_cbranch_scc1 .LBB90_6
.LBB90_7:
	v_mul_u32_u24_e32 v3, 21, v0
	v_mov_b32_e32 v1, 0
	v_mov_b32_e32 v2, 0x3ff00000
	s_cmpk_lg_i32 s9, 0x84
	s_delay_alu instid0(VALU_DEP_3)
	v_lshlrev_b32_e32 v3, 3, v3
	s_cbranch_scc0 .LBB90_9
; %bb.8:
	ds_load_b64 v[1:2], v3
	s_waitcnt lgkmcnt(0)
	v_div_scale_f64 v[4:5], null, v[1:2], v[1:2], 1.0
	s_delay_alu instid0(VALU_DEP_1) | instskip(SKIP_2) | instid1(VALU_DEP_1)
	v_rcp_f64_e32 v[6:7], v[4:5]
	s_waitcnt_depctr 0xfff
	v_fma_f64 v[8:9], -v[4:5], v[6:7], 1.0
	v_fma_f64 v[6:7], v[6:7], v[8:9], v[6:7]
	s_delay_alu instid0(VALU_DEP_1) | instskip(NEXT) | instid1(VALU_DEP_1)
	v_fma_f64 v[8:9], -v[4:5], v[6:7], 1.0
	v_fma_f64 v[6:7], v[6:7], v[8:9], v[6:7]
	v_div_scale_f64 v[8:9], vcc_lo, 1.0, v[1:2], 1.0
	s_delay_alu instid0(VALU_DEP_1) | instskip(NEXT) | instid1(VALU_DEP_1)
	v_mul_f64 v[10:11], v[8:9], v[6:7]
	v_fma_f64 v[4:5], -v[4:5], v[10:11], v[8:9]
	s_delay_alu instid0(VALU_DEP_1) | instskip(NEXT) | instid1(VALU_DEP_1)
	v_div_fmas_f64 v[4:5], v[4:5], v[6:7], v[10:11]
	v_div_fixup_f64 v[1:2], v[4:5], v[1:2], 1.0
.LBB90_9:
	ds_store_b64 v3, v[1:2]
.LBB90_10:
	s_or_b32 exec_lo, exec_lo, s15
	s_load_b32 s3, s[0:1], 0x68
	s_waitcnt lgkmcnt(0)
	s_mul_i32 s6, s14, 0xffffffec
	s_delay_alu instid0(SALU_CYCLE_1) | instskip(SKIP_2) | instid1(SALU_CYCLE_1)
	s_add_i32 s6, s6, s11
	; wave barrier
	buffer_gl0_inv
	s_add_i32 s3, s3, -1
	s_cmp_ge_u32 s14, s3
	s_cselect_b32 s3, s6, 20
	s_delay_alu instid0(SALU_CYCLE_1)
	v_cmp_gt_i32_e32 vcc_lo, s3, v0
	s_mov_b32 s3, -1
	s_and_saveexec_b32 s6, vcc_lo
	s_cbranch_execz .LBB90_54
; %bb.11:
	s_load_b32 s0, s[0:1], 0x50
	v_mad_u64_u32 v[1:2], null, s14, 20, v[0:1]
	s_waitcnt lgkmcnt(0)
	s_delay_alu instid0(VALU_DEP_1) | instskip(SKIP_1) | instid1(SALU_CYCLE_1)
	v_mad_i64_i32 v[2:3], null, s0, v1, 0
	s_lshl_b64 s[0:1], s[18:19], 3
	s_add_u32 s6, s12, s0
	s_addc_u32 s7, s13, s1
	s_cmpk_eq_i32 s8, 0x6f
	s_delay_alu instid0(VALU_DEP_1) | instskip(NEXT) | instid1(VALU_DEP_1)
	v_lshlrev_b64 v[42:43], 3, v[2:3]
	v_add_co_u32 v40, vcc_lo, s6, v42
	s_delay_alu instid0(VALU_DEP_2)
	v_add_co_ci_u32_e32 v41, vcc_lo, s7, v43, vcc_lo
	s_cbranch_scc1 .LBB90_34
; %bb.12:
	s_cmp_gt_i32 s10, 19
	s_mov_b32 s6, s16
	s_cbranch_scc0 .LBB90_14
; %bb.13:
	s_ashr_i32 s17, s16, 31
	s_mov_b32 s3, 0
	s_lshl_b64 s[6:7], s[16:17], 3
	s_delay_alu instid0(SALU_CYCLE_1) | instskip(SKIP_2) | instid1(SALU_CYCLE_1)
	v_add_co_u32 v28, vcc_lo, v40, s6
	v_add_co_ci_u32_e32 v29, vcc_lo, s7, v41, vcc_lo
	s_lshl_b64 s[6:7], s[2:3], 3
	v_add_co_u32 v38, vcc_lo, v40, s6
	global_load_b64 v[12:13], v[28:29], off
	v_add_co_ci_u32_e32 v39, vcc_lo, s7, v41, vcc_lo
	s_clause 0x4
	global_load_b64 v[24:25], v[38:39], off offset:-16
	global_load_b128 v[0:3], v[38:39], off offset:-32
	global_load_b128 v[8:11], v[38:39], off offset:-48
	global_load_b128 v[16:19], v[38:39], off offset:-64
	global_load_b128 v[4:7], v[38:39], off offset:-160
	s_mul_i32 s6, s16, 0xa8
	global_load_b128 v[34:37], v[38:39], off offset:-80
	s_add_i32 s3, s6, 0xffffff58
	s_waitcnt vmcnt(6)
	v_mul_f64 v[20:21], v[12:13], s[4:5]
	v_mov_b32_e32 v12, s6
	ds_load_b64 v[22:23], v12
	v_mov_b32_e32 v12, s3
	s_mul_i32 s3, s2, 20
	s_delay_alu instid0(SALU_CYCLE_1) | instskip(SKIP_2) | instid1(SALU_CYCLE_1)
	s_add_i32 s3, s3, s16
	ds_load_2addr_b64 v[12:15], v12 offset1:1
	s_lshl_b32 s3, s3, 3
	s_add_i32 s7, s3, 0xfffffe20
	s_add_i32 s18, s3, 0xfffff550
	;; [unrolled: 1-line block ×9, first 2 shown]
	s_waitcnt lgkmcnt(1)
	v_mul_f64 v[30:31], v[22:23], v[20:21]
	v_mov_b32_e32 v20, s7
	s_add_i32 s7, s6, 0xfffffeb0
	ds_load_b64 v[26:27], v20
	v_mov_b32_e32 v20, s7
	s_add_i32 s7, s3, 0xfffffd78
	ds_load_2addr_b64 v[20:23], v20 offset1:1
	s_waitcnt lgkmcnt(2)
	v_mul_f64 v[14:15], v[30:31], v[14:15]
	s_waitcnt lgkmcnt(1)
	v_mul_f64 v[32:33], v[30:31], v[26:27]
	s_waitcnt vmcnt(5)
	s_delay_alu instid0(VALU_DEP_2) | instskip(SKIP_2) | instid1(VALU_DEP_3)
	v_fma_f64 v[14:15], v[24:25], s[4:5], -v[14:15]
	v_mov_b32_e32 v24, s7
	s_waitcnt vmcnt(4)
	v_fma_f64 v[2:3], v[2:3], s[4:5], -v[32:33]
	s_add_i32 s7, s6, 0xfffffe08
	s_delay_alu instid0(SALU_CYCLE_1)
	v_mov_b32_e32 v48, s7
	ds_load_2addr_b64 v[44:47], v24 offset1:1
	global_load_b128 v[24:27], v[38:39], off offset:-96
	s_add_i32 s7, s3, 0xfffffce0
	ds_load_2addr_b64 v[48:51], v48 offset1:1
	s_waitcnt lgkmcnt(1)
	v_mul_f64 v[46:47], v[30:31], v[46:47]
	v_mul_f64 v[32:33], v[12:13], v[14:15]
	v_mov_b32_e32 v12, s7
	s_add_i32 s7, s3, 0xfffffcd0
	s_delay_alu instid0(SALU_CYCLE_1)
	v_mov_b32_e32 v14, s7
	s_add_i32 s7, s3, 0xfffffc38
	ds_load_b64 v[12:13], v12
	ds_load_2addr_b64 v[52:55], v14 offset1:1
	v_fma_f64 v[46:47], v[0:1], s[4:5], -v[46:47]
	v_mov_b32_e32 v0, s7
	s_add_i32 s7, s3, 0xfffffba0
	v_fma_f64 v[22:23], -v[32:33], v[22:23], v[2:3]
	ds_load_2addr_b64 v[0:3], v0 offset1:1
	s_waitcnt lgkmcnt(2)
	v_mul_f64 v[56:57], v[30:31], v[12:13]
	global_load_b128 v[12:15], v[38:39], off offset:-112
	s_waitcnt lgkmcnt(0)
	v_mul_f64 v[58:59], v[30:31], v[2:3]
	v_fma_f64 v[44:45], -v[32:33], v[44:45], v[46:47]
	v_mul_f64 v[2:3], v[20:21], v[22:23]
	v_mov_b32_e32 v20, s7
	s_waitcnt vmcnt(5)
	v_fma_f64 v[10:11], v[10:11], s[4:5], -v[56:57]
	s_add_i32 s7, s3, 0xfffffb00
	ds_load_b64 v[20:21], v20
	v_fma_f64 v[8:9], v[8:9], s[4:5], -v[58:59]
	s_waitcnt lgkmcnt(0)
	v_mul_f64 v[46:47], v[30:31], v[20:21]
	v_mov_b32_e32 v20, s7
	s_add_i32 s7, s6, 0xfffffd60
	v_fma_f64 v[44:45], -v[2:3], v[50:51], v[44:45]
	ds_load_b64 v[50:51], v20
	global_load_b128 v[20:23], v[38:39], off offset:-128
	v_fma_f64 v[10:11], -v[32:33], v[54:55], v[10:11]
	s_waitcnt lgkmcnt(0)
	v_mul_f64 v[56:57], v[30:31], v[50:51]
	v_fma_f64 v[58:59], -v[32:33], v[0:1], v[8:9]
	v_mov_b32_e32 v8, s8
	s_add_i32 s8, s3, 0xfffffc28
	v_mov_b32_e32 v9, s9
	s_waitcnt vmcnt(5)
	v_fma_f64 v[18:19], v[18:19], s[4:5], -v[46:47]
	s_add_i32 s9, s3, 0xfffffad0
	v_mul_f64 v[0:1], v[48:49], v[44:45]
	v_mov_b32_e32 v44, s7
	s_add_i32 s7, s6, 0xfffffcb8
	v_fma_f64 v[60:61], -v[2:3], v[52:53], v[10:11]
	v_mov_b32_e32 v10, s8
	ds_load_b64 v[62:63], v8
	ds_load_b64 v[64:65], v9
	ds_load_2addr_b64 v[8:11], v10 offset1:1
	ds_load_2addr_b64 v[44:47], v44 offset1:1
	s_add_i32 s8, s3, 0xfffffb88
	v_mov_b32_e32 v48, s7
	v_mov_b32_e32 v52, s8
	s_add_i32 s7, s3, 0xfffff9c0
	s_add_i32 s8, s3, 0xfffffaf0
	ds_load_2addr_b64 v[48:51], v48 offset1:1
	ds_load_2addr_b64 v[52:55], v52 offset1:1
	v_fma_f64 v[68:69], v[16:17], s[4:5], -v[56:57]
	v_mov_b32_e32 v16, s7
	v_mov_b32_e32 v56, s8
	s_waitcnt lgkmcnt(5)
	v_mul_f64 v[66:67], v[30:31], v[62:63]
	s_add_i32 s7, s3, 0xfffffae0
	s_waitcnt lgkmcnt(4)
	v_fma_f64 v[64:65], -v[32:33], v[64:65], v[18:19]
	s_waitcnt lgkmcnt(3)
	v_fma_f64 v[10:11], -v[2:3], v[10:11], v[58:59]
	ds_load_b64 v[70:71], v16
	ds_load_2addr_b64 v[56:59], v56 offset1:1
	global_load_b128 v[16:19], v[38:39], off offset:-144
	v_mov_b32_e32 v38, s7
	s_add_i32 s7, s3, 0xfffff920
	s_add_i32 s8, s3, 0xfffffa58
	s_waitcnt lgkmcnt(4)
	v_fma_f64 v[46:47], -v[0:1], v[46:47], v[60:61]
	ds_load_2addr_b64 v[60:63], v38 offset1:1
	s_waitcnt lgkmcnt(2)
	v_mul_f64 v[70:71], v[30:31], v[70:71]
	s_waitcnt lgkmcnt(1)
	v_fma_f64 v[58:59], -v[32:33], v[58:59], v[68:69]
	s_waitcnt vmcnt(4)
	v_fma_f64 v[66:67], v[36:37], s[4:5], -v[66:67]
	v_mov_b32_e32 v36, s7
	v_fma_f64 v[54:55], -v[2:3], v[54:55], v[64:65]
	v_fma_f64 v[8:9], -v[0:1], v[8:9], v[10:11]
	v_mov_b32_e32 v37, s8
	s_add_i32 s7, s3, 0xfffffa48
	s_add_i32 s8, s3, 0xfffff9b0
	v_mul_f64 v[10:11], v[44:45], v[46:47]
	ds_load_b64 v[44:45], v36
	ds_load_b64 v[46:47], v37
	v_mov_b32_e32 v36, s7
	s_add_i32 s7, s3, 0xfffff878
	v_fma_f64 v[34:35], v[34:35], s[4:5], -v[70:71]
	ds_load_2addr_b64 v[36:39], v36 offset1:1
	v_fma_f64 v[58:59], -v[2:3], v[56:57], v[58:59]
	s_waitcnt lgkmcnt(2)
	v_mul_f64 v[68:69], v[30:31], v[44:45]
	s_waitcnt lgkmcnt(1)
	v_fma_f64 v[70:71], -v[32:33], v[46:47], v[66:67]
	v_mov_b32_e32 v44, s7
	v_fma_f64 v[72:73], -v[0:1], v[52:53], v[54:55]
	s_add_i32 s7, s3, 0xfffffb78
	s_delay_alu instid0(SALU_CYCLE_1) | instskip(SKIP_1) | instid1(SALU_CYCLE_1)
	v_mov_b32_e32 v54, s7
	s_add_i32 s7, s3, 0xfffff9a0
	v_mov_b32_e32 v64, s7
	s_add_i32 s7, s3, 0xfffff7e0
	v_fma_f64 v[8:9], -v[10:11], v[50:51], v[8:9]
	v_mov_b32_e32 v50, s8
	ds_load_2addr_b64 v[44:47], v44 offset1:1
	ds_load_2addr_b64 v[50:53], v50 offset1:1
	;; [unrolled: 1-line block ×3, first 2 shown]
	s_add_i32 s8, s3, 0xfffff918
	ds_load_2addr_b64 v[64:67], v64 offset1:1
	s_waitcnt vmcnt(3)
	v_fma_f64 v[26:27], v[26:27], s[4:5], -v[68:69]
	s_waitcnt lgkmcnt(4)
	v_fma_f64 v[38:39], -v[2:3], v[38:39], v[70:71]
	s_waitcnt lgkmcnt(3)
	v_mul_f64 v[74:75], v[30:31], v[46:47]
	s_waitcnt lgkmcnt(2)
	v_fma_f64 v[34:35], -v[32:33], v[52:53], v[34:35]
	v_fma_f64 v[52:53], -v[0:1], v[62:63], v[58:59]
	s_waitcnt lgkmcnt(1)
	v_fma_f64 v[56:57], -v[10:11], v[56:57], v[72:73]
	v_dual_mov_b32 v46, s7 :: v_dual_mov_b32 v47, s8
	ds_load_b64 v[58:59], v46
	ds_load_b64 v[62:63], v47
	s_add_i32 s7, s3, 0xfffff908
	s_add_i32 s8, s3, 0xfffffa38
	v_mov_b32_e32 v46, s7
	s_add_i32 s7, s3, 0xfffff738
	v_mul_f64 v[8:9], v[48:49], v[8:9]
	ds_load_2addr_b64 v[46:49], v46 offset1:1
	s_waitcnt lgkmcnt(2)
	v_mul_f64 v[68:69], v[30:31], v[58:59]
	s_waitcnt lgkmcnt(1)
	v_fma_f64 v[62:63], -v[32:33], v[62:63], v[26:27]
	v_fma_f64 v[38:39], -v[0:1], v[36:37], v[38:39]
	v_fma_f64 v[70:71], v[24:25], s[4:5], -v[74:75]
	v_fma_f64 v[72:73], -v[2:3], v[50:51], v[34:35]
	v_fma_f64 v[74:75], -v[10:11], v[60:61], v[52:53]
	v_mov_b32_e32 v24, s7
	s_add_i32 s7, s6, 0xfffffc10
	v_mov_b32_e32 v34, s8
	v_mov_b32_e32 v50, s9
	s_add_i32 s8, s3, 0xfffff728
	ds_load_2addr_b64 v[24:27], v24 offset1:1
	v_mov_b32_e32 v58, s8
	s_add_i32 s8, s3, 0xfffff7d0
	s_add_i32 s9, s3, 0xfffff990
	v_fma_f64 v[76:77], -v[8:9], v[54:55], v[56:57]
	v_mov_b32_e32 v54, s7
	ds_load_2addr_b64 v[34:37], v34 offset1:1
	ds_load_2addr_b64 v[50:53], v50 offset1:1
	ds_load_b64 v[78:79], v54
	s_add_i32 s7, s3, 0xfffffa28
	s_delay_alu instid0(SALU_CYCLE_1)
	v_mov_b32_e32 v54, s7
	s_add_i32 s7, s3, 0xfffff6a0
	ds_load_2addr_b64 v[54:57], v54 offset1:1
	ds_load_2addr_b64 v[58:61], v58 offset1:1
	s_waitcnt lgkmcnt(5)
	v_mul_f64 v[26:27], v[30:31], v[26:27]
	s_waitcnt vmcnt(2)
	v_fma_f64 v[80:81], v[14:15], s[4:5], -v[68:69]
	v_fma_f64 v[48:49], -v[2:3], v[48:49], v[62:63]
	s_waitcnt lgkmcnt(4)
	v_fma_f64 v[82:83], -v[10:11], v[36:37], v[38:39]
	v_fma_f64 v[44:45], -v[32:33], v[44:45], v[70:71]
	;; [unrolled: 1-line block ×3, first 2 shown]
	s_waitcnt lgkmcnt(3)
	v_fma_f64 v[52:53], -v[8:9], v[52:53], v[74:75]
	v_mov_b32_e32 v36, s7
	s_add_i32 s7, s3, 0xfffff868
	s_delay_alu instid0(SALU_CYCLE_1)
	v_dual_mov_b32 v37, s8 :: v_dual_mov_b32 v66, s7
	s_add_i32 s7, s3, 0xfffff858
	s_add_i32 s8, s3, 0xfffff7c0
	v_mov_b32_e32 v70, s7
	s_add_i32 s7, s3, 0xfffff5f8
	v_mov_b32_e32 v74, s8
	s_add_i32 s8, s3, 0xfffff8f8
	s_waitcnt lgkmcnt(2)
	v_mul_f64 v[14:15], v[78:79], v[76:77]
	ds_load_b64 v[78:79], v36
	ds_load_2addr_b64 v[36:39], v37 offset1:1
	ds_load_2addr_b64 v[66:69], v66 offset1:1
	;; [unrolled: 1-line block ×4, first 2 shown]
	v_fma_f64 v[12:13], v[12:13], s[4:5], -v[26:27]
	s_waitcnt lgkmcnt(4)
	v_mul_f64 v[86:87], v[30:31], v[78:79]
	s_waitcnt lgkmcnt(3)
	v_fma_f64 v[26:27], -v[32:33], v[38:39], v[80:81]
	v_fma_f64 v[34:35], -v[8:9], v[34:35], v[82:83]
	s_waitcnt lgkmcnt(2)
	v_fma_f64 v[38:39], -v[2:3], v[68:69], v[44:45]
	v_fma_f64 v[68:69], -v[0:1], v[46:47], v[48:49]
	;; [unrolled: 1-line block ×3, first 2 shown]
	v_mov_b32_e32 v44, s7
	s_add_i32 s7, s6, 0xfffffb68
	v_mov_b32_e32 v48, s8
	v_mov_b32_e32 v62, s9
	;; [unrolled: 1-line block ×3, first 2 shown]
	ds_load_2addr_b64 v[44:47], v44 offset1:1
	s_add_i32 s7, s3, 0xfffff980
	s_add_i32 s8, s3, 0xfffff8e8
	;; [unrolled: 1-line block ×3, first 2 shown]
	v_mov_b32_e32 v82, s8
	s_add_i32 s8, s3, 0xfffff690
	v_fma_f64 v[52:53], -v[14:15], v[50:51], v[52:53]
	ds_load_2addr_b64 v[48:51], v48 offset1:1
	ds_load_2addr_b64 v[62:65], v62 offset1:1
	ds_load_b64 v[90:91], v78
	v_mov_b32_e32 v78, s7
	s_add_i32 s7, s3, 0xfffff560
	ds_load_2addr_b64 v[78:81], v78 offset1:1
	ds_load_2addr_b64 v[82:85], v82 offset1:1
	s_waitcnt lgkmcnt(5)
	v_mul_f64 v[46:47], v[30:31], v[46:47]
	v_fma_f64 v[92:93], -v[32:33], v[24:25], v[12:13]
	s_waitcnt vmcnt(1)
	v_fma_f64 v[86:87], v[22:23], s[4:5], -v[86:87]
	v_fma_f64 v[26:27], -v[2:3], v[36:37], v[26:27]
	v_mov_b32_e32 v22, s7
	v_fma_f64 v[56:57], -v[14:15], v[56:57], v[34:35]
	v_fma_f64 v[38:39], -v[0:1], v[66:67], v[38:39]
	s_waitcnt lgkmcnt(4)
	v_fma_f64 v[50:51], -v[10:11], v[50:51], v[68:69]
	s_waitcnt lgkmcnt(3)
	v_fma_f64 v[64:65], -v[8:9], v[64:65], v[88:89]
	v_mov_b32_e32 v23, s8
	s_add_i32 s7, s3, 0xfffff680
	s_add_i32 s8, s3, 0xfffff848
	v_mov_b32_e32 v34, s7
	s_add_i32 s7, s3, 0xfffff4b8
	s_waitcnt lgkmcnt(2)
	v_mul_f64 v[12:13], v[90:91], v[52:53]
	ds_load_b64 v[52:53], v22
	ds_load_2addr_b64 v[22:25], v23 offset1:1
	ds_load_2addr_b64 v[34:37], v34 offset1:1
	v_fma_f64 v[20:21], v[20:21], s[4:5], -v[46:47]
	v_fma_f64 v[60:61], -v[2:3], v[60:61], v[92:93]
	s_waitcnt lgkmcnt(2)
	v_mul_f64 v[52:53], v[30:31], v[52:53]
	s_waitcnt lgkmcnt(1)
	v_fma_f64 v[66:67], -v[32:33], v[24:25], v[86:87]
	v_fma_f64 v[68:69], -v[0:1], v[76:77], v[26:27]
	;; [unrolled: 1-line block ×5, first 2 shown]
	v_mov_b32_e32 v24, s7
	s_add_i32 s7, s6, 0xfffffac0
	s_addk_i32 s6, 0xfa18
	v_mov_b32_e32 v46, s7
	s_add_i32 s7, s3, 0xfffff4a8
	ds_load_2addr_b64 v[24:27], v24 offset1:1
	v_fma_f64 v[54:55], -v[12:13], v[54:55], v[56:57]
	ds_load_b64 v[56:57], v46
	v_mov_b32_e32 v46, s7
	s_add_i32 s7, s3, 0xfffff838
	ds_load_2addr_b64 v[46:49], v46 offset1:1
	v_fma_f64 v[44:45], -v[32:33], v[44:45], v[20:21]
	v_mov_b32_e32 v20, s17
	v_fma_f64 v[96:97], -v[0:1], v[58:59], v[60:61]
	v_dual_mov_b32 v21, s18 :: v_dual_mov_b32 v58, s9
	s_add_i32 s9, s3, 0xfffff5d8
	ds_load_b64 v[102:103], v20
	s_waitcnt lgkmcnt(3)
	v_mul_f64 v[26:27], v[30:31], v[26:27]
	s_waitcnt vmcnt(0)
	v_fma_f64 v[92:93], v[18:19], s[4:5], -v[52:53]
	v_fma_f64 v[94:95], -v[2:3], v[22:23], v[66:67]
	v_fma_f64 v[98:99], -v[10:11], v[74:75], v[68:69]
	;; [unrolled: 1-line block ×5, first 2 shown]
	v_mov_b32_e32 v50, s15
	v_mov_b32_e32 v62, s8
	ds_load_2addr_b64 v[20:23], v21 offset1:1
	ds_load_2addr_b64 v[50:53], v50 offset1:1
	s_add_i32 s8, s3, 0xfffff708
	v_mov_b32_e32 v66, s7
	s_add_i32 s7, s3, 0xfffff8d8
	v_mov_b32_e32 v74, s8
	;; [unrolled: 2-line block ×3, first 2 shown]
	s_waitcnt lgkmcnt(4)
	v_mul_f64 v[18:19], v[56:57], v[54:55]
	v_mov_b32_e32 v54, s14
	ds_load_2addr_b64 v[54:57], v54 offset1:1
	ds_load_2addr_b64 v[58:61], v58 offset1:1
	;; [unrolled: 1-line block ×3, first 2 shown]
	s_waitcnt lgkmcnt(5)
	v_mul_f64 v[102:103], v[30:31], v[102:103]
	s_add_i32 s14, s3, 0xfffff540
	v_mov_b32_e32 v84, s9
	v_mov_b32_e32 v88, s14
	ds_load_2addr_b64 v[66:69], v66 offset1:1
	ds_load_2addr_b64 v[70:73], v70 offset1:1
	;; [unrolled: 1-line block ×5, first 2 shown]
	s_add_i32 s18, s3, 0xfffff498
	s_add_i32 s15, s3, 0xfffff530
	;; [unrolled: 1-line block ×6, first 2 shown]
	v_fma_f64 v[16:17], v[16:17], s[4:5], -v[26:27]
	s_waitcnt lgkmcnt(9)
	v_fma_f64 v[22:23], -v[32:33], v[22:23], v[92:93]
	s_waitcnt lgkmcnt(8)
	v_fma_f64 v[26:27], -v[2:3], v[52:53], v[44:45]
	v_fma_f64 v[44:45], -v[0:1], v[36:37], v[94:95]
	s_waitcnt lgkmcnt(7)
	v_fma_f64 v[52:53], -v[10:11], v[56:57], v[96:97]
	s_waitcnt lgkmcnt(6)
	;; [unrolled: 2-line block ×3, first 2 shown]
	v_fma_f64 v[60:61], -v[14:15], v[64:65], v[38:39]
	v_fma_f64 v[64:65], -v[12:13], v[82:83], v[100:101]
	v_mov_b32_e32 v36, s7
	s_add_i32 s7, s3, 0xfffff400
	v_fma_f64 v[82:83], -v[18:19], v[78:79], v[80:81]
	v_dual_mov_b32 v78, s6 :: v_dual_mov_b32 v79, s8
	ds_load_2addr_b64 v[36:39], v36 offset1:1
	ds_load_b64 v[92:93], v78
	ds_load_2addr_b64 v[78:81], v79 offset1:1
	s_add_i32 s6, s3, 0xfffff410
	v_fma_f64 v[6:7], v[6:7], s[4:5], -v[102:103]
	s_add_i32 s8, s3, 0xfffff6f8
	v_fma_f64 v[94:95], -v[32:33], v[24:25], v[16:17]
	v_fma_f64 v[96:97], -v[2:3], v[20:21], v[22:23]
	;; [unrolled: 1-line block ×7, first 2 shown]
	s_waitcnt lgkmcnt(2)
	v_fma_f64 v[38:39], -v[18:19], v[38:39], v[64:65]
	s_waitcnt lgkmcnt(0)
	v_mul_f64 v[62:63], v[30:31], v[80:81]
	v_mov_b32_e32 v20, s6
	s_add_i32 s6, s3, 0xfffff670
	v_mov_b32_e32 v54, s7
	v_mov_b32_e32 v24, s6
	ds_load_2addr_b64 v[20:23], v20 offset1:1
	ds_load_2addr_b64 v[24:27], v24 offset1:1
	s_add_i32 s6, s3, 0xfffff660
	v_mul_f64 v[16:17], v[92:93], v[82:83]
	v_mov_b32_e32 v50, s6
	s_mul_i32 s6, s2, 0xa8
	ds_load_2addr_b64 v[50:53], v50 offset1:1
	ds_load_2addr_b64 v[54:57], v54 offset1:1
	s_add_i32 s7, s6, 0xfffff8c8
	v_mov_b32_e32 v82, s17
	s_waitcnt lgkmcnt(3)
	v_fma_f64 v[22:23], -v[32:33], v[22:23], v[6:7]
	v_fma_f64 v[48:49], -v[2:3], v[48:49], v[94:95]
	;; [unrolled: 1-line block ×4, first 2 shown]
	s_waitcnt lgkmcnt(2)
	v_fma_f64 v[26:27], -v[8:9], v[26:27], v[34:35]
	v_fma_f64 v[34:35], -v[14:15], v[76:77], v[44:45]
	;; [unrolled: 1-line block ×5, first 2 shown]
	v_fma_f64 v[38:39], v[4:5], s[4:5], -v[62:63]
	v_mov_b32_e32 v4, s7
	s_add_i32 s7, s6, 0xfffff820
	ds_load_b64 v[60:61], v4
	v_mov_b32_e32 v4, s7
	s_add_i32 s7, s6, 0xfffff778
	s_delay_alu instid0(SALU_CYCLE_1)
	v_mov_b32_e32 v72, s7
	s_add_i32 s7, s3, 0xfffff790
	ds_load_2addr_b64 v[4:7], v4 offset1:1
	v_mov_b32_e32 v62, s7
	s_add_i32 s7, s3, 0xfffff488
	v_fma_f64 v[20:21], -v[2:3], v[20:21], v[22:23]
	v_mov_b32_e32 v86, s7
	s_add_i32 s7, s3, 0xfffff3f0
	v_fma_f64 v[48:49], -v[0:1], v[46:47], v[48:49]
	v_fma_f64 v[94:95], -v[10:11], v[88:89], v[64:65]
	;; [unrolled: 1-line block ×7, first 2 shown]
	v_mov_b32_e32 v24, s18
	v_mov_b32_e32 v58, s8
	;; [unrolled: 1-line block ×6, first 2 shown]
	s_add_i32 s8, s3, 0xfffff358
	s_add_i32 s11, s3, 0xfffff478
	v_mov_b32_e32 v90, s8
	s_add_i32 s8, s3, 0xfffff3e0
	s_add_i32 s9, s3, 0xfffff510
	s_waitcnt lgkmcnt(1)
	v_mul_f64 v[22:23], v[60:61], v[36:37]
	v_fma_f64 v[38:39], -v[32:33], v[78:79], v[38:39]
	ds_load_2addr_b64 v[24:27], v24 offset1:1
	ds_load_2addr_b64 v[34:37], v34 offset1:1
	;; [unrolled: 1-line block ×6, first 2 shown]
	v_mov_b32_e32 v78, s14
	ds_load_2addr_b64 v[70:73], v72 offset1:1
	ds_load_2addr_b64 v[74:77], v74 offset1:1
	;; [unrolled: 1-line block ×6, first 2 shown]
	s_add_i32 s14, s3, 0xfffff348
	v_fma_f64 v[20:21], -v[0:1], v[56:57], v[20:21]
	s_waitcnt lgkmcnt(11)
	v_fma_f64 v[26:27], -v[10:11], v[26:27], v[48:49]
	s_waitcnt lgkmcnt(10)
	;; [unrolled: 2-line block ×3, first 2 shown]
	v_fma_f64 v[46:47], -v[14:15], v[46:47], v[96:97]
	v_fma_f64 v[48:49], -v[12:13], v[52:53], v[98:99]
	s_waitcnt lgkmcnt(8)
	v_fma_f64 v[52:53], -v[18:19], v[60:61], v[100:101]
	s_waitcnt lgkmcnt(7)
	v_fma_f64 v[56:57], -v[16:17], v[64:65], v[102:103]
	v_fma_f64 v[6:7], -v[22:23], v[6:7], v[104:105]
	s_waitcnt lgkmcnt(6)
	v_fma_f64 v[38:39], -v[2:3], v[68:69], v[38:39]
	v_fma_f64 v[54:55], -v[10:11], v[54:55], v[20:21]
	;; [unrolled: 1-line block ×8, first 2 shown]
	v_mov_b32_e32 v44, s8
	s_add_i32 s8, s3, 0xfffff5a8
	v_mul_f64 v[20:21], v[4:5], v[6:7]
	v_fma_f64 v[38:39], -v[0:1], v[66:67], v[38:39]
	v_mov_b32_e32 v4, s7
	s_add_i32 s7, s3, 0xfffff650
	s_delay_alu instid0(SALU_CYCLE_1) | instskip(SKIP_3) | instid1(SALU_CYCLE_1)
	v_mov_b32_e32 v24, s7
	ds_load_2addr_b64 v[4:7], v4 offset1:1
	ds_load_2addr_b64 v[24:27], v24 offset1:1
	s_add_i32 s7, s3, 0xfffff640
	v_mov_b32_e32 v34, s7
	s_add_i32 s7, s6, 0xfffff6d0
	ds_load_2addr_b64 v[34:37], v34 offset1:1
	ds_load_2addr_b64 v[44:47], v44 offset1:1
	s_waitcnt lgkmcnt(6)
	v_fma_f64 v[56:57], -v[12:13], v[84:85], v[64:65]
	v_fma_f64 v[58:59], -v[18:19], v[80:81], v[68:69]
	s_waitcnt lgkmcnt(3)
	v_fma_f64 v[6:7], -v[8:9], v[6:7], v[54:55]
	v_fma_f64 v[54:55], -v[14:15], v[88:89], v[60:61]
	;; [unrolled: 3-line block ×3, first 2 shown]
	v_mov_b32_e32 v60, s14
	v_fma_f64 v[50:51], -v[20:21], v[72:73], v[52:53]
	v_fma_f64 v[38:39], -v[10:11], v[92:93], v[38:39]
	v_mov_b32_e32 v52, s8
	s_add_i32 s8, s3, 0xfffff500
	s_delay_alu instid0(SALU_CYCLE_1)
	v_mov_b32_e32 v68, s8
	s_add_i32 s8, s3, 0xfffff4f0
	v_fma_f64 v[82:83], -v[18:19], v[82:83], v[56:57]
	v_fma_f64 v[84:85], -v[16:17], v[78:79], v[58:59]
	v_mov_b32_e32 v56, s7
	s_add_i32 s7, s3, 0xfffff598
	s_delay_alu instid0(SALU_CYCLE_1)
	v_mov_b32_e32 v64, s7
	s_add_i32 s7, s3, 0xfffff3d0
	v_fma_f64 v[4:5], -v[14:15], v[4:5], v[6:7]
	v_fma_f64 v[80:81], -v[12:13], v[86:87], v[54:55]
	;; [unrolled: 1-line block ×4, first 2 shown]
	v_mov_b32_e32 v24, s11
	v_mov_b32_e32 v48, s9
	s_add_i32 s9, s3, 0xfffff468
	s_add_i32 s11, s3, 0xfffff338
	v_mov_b32_e32 v72, s9
	v_mov_b32_e32 v76, s11
	v_mul_f64 v[6:7], v[70:71], v[50:51]
	v_fma_f64 v[38:39], -v[8:9], v[90:91], v[38:39]
	ds_load_2addr_b64 v[24:27], v24 offset1:1
	ds_load_2addr_b64 v[48:51], v48 offset1:1
	;; [unrolled: 1-line block ×9, first 2 shown]
	s_add_i32 s9, s3, 0xfffff458
	s_add_i32 s11, s3, 0xfffff328
	s_waitcnt lgkmcnt(9)
	v_fma_f64 v[4:5], -v[12:13], v[46:47], v[4:5]
	s_waitcnt lgkmcnt(8)
	v_fma_f64 v[26:27], -v[18:19], v[26:27], v[80:81]
	;; [unrolled: 2-line block ×4, first 2 shown]
	v_fma_f64 v[36:37], -v[20:21], v[36:37], v[86:87]
	s_waitcnt lgkmcnt(5)
	v_fma_f64 v[54:55], -v[6:7], v[58:59], v[88:89]
	s_waitcnt lgkmcnt(4)
	v_fma_f64 v[38:39], -v[14:15], v[62:63], v[38:39]
	v_fma_f64 v[58:59], -v[18:19], v[44:45], v[4:5]
	;; [unrolled: 1-line block ×6, first 2 shown]
	v_mov_b32_e32 v24, s7
	s_add_i32 s7, s6, 0xfffff628
	s_delay_alu instid0(SALU_CYCLE_1)
	v_mov_b32_e32 v34, s7
	ds_load_2addr_b64 v[24:27], v24 offset1:1
	ds_load_2addr_b64 v[34:37], v34 offset1:1
	v_mul_f64 v[4:5], v[56:57], v[54:55]
	v_fma_f64 v[38:39], -v[12:13], v[60:61], v[38:39]
	s_add_i32 s7, s3, 0xfffff3c0
	v_mov_b32_e32 v56, s11
	v_mov_b32_e32 v44, s7
	s_add_i32 s7, s6, 0xfffff580
	ds_load_2addr_b64 v[44:47], v44 offset1:1
	s_waitcnt lgkmcnt(2)
	v_fma_f64 v[26:27], -v[16:17], v[26:27], v[58:59]
	v_fma_f64 v[54:55], -v[22:23], v[74:75], v[62:63]
	;; [unrolled: 1-line block ×4, first 2 shown]
	s_waitcnt lgkmcnt(1)
	v_fma_f64 v[36:37], -v[4:5], v[36:37], v[52:53]
	v_fma_f64 v[38:39], -v[18:19], v[78:79], v[38:39]
	v_mov_b32_e32 v52, s7
	s_add_i32 s7, s6, 0xfffff4d8
	s_delay_alu instid0(SALU_CYCLE_1)
	v_mov_b32_e32 v60, s7
	s_add_i32 s7, s3, 0xfffff448
	v_fma_f64 v[24:25], -v[22:23], v[24:25], v[26:27]
	v_fma_f64 v[72:73], -v[20:21], v[72:73], v[54:55]
	;; [unrolled: 1-line block ×4, first 2 shown]
	v_mov_b32_e32 v48, s8
	v_mov_b32_e32 v64, s7
	s_add_i32 s7, s3, 0xfffff3b0
	s_add_i32 s8, s3, 0xfffff318
	s_delay_alu instid0(SALU_CYCLE_1)
	v_mov_b32_e32 v68, s8
	s_add_i32 s8, s3, 0xfffff308
	v_mul_f64 v[26:27], v[34:35], v[36:37]
	v_fma_f64 v[38:39], -v[16:17], v[76:77], v[38:39]
	v_mov_b32_e32 v34, s9
	ds_load_2addr_b64 v[34:37], v34 offset1:1
	ds_load_2addr_b64 v[48:51], v48 offset1:1
	;; [unrolled: 1-line block ×7, first 2 shown]
	s_waitcnt lgkmcnt(7)
	v_fma_f64 v[24:25], -v[20:21], v[46:47], v[24:25]
	s_waitcnt lgkmcnt(6)
	v_fma_f64 v[36:37], -v[6:7], v[36:37], v[72:73]
	;; [unrolled: 2-line block ×5, first 2 shown]
	v_fma_f64 v[54:55], -v[6:7], v[44:45], v[24:25]
	v_fma_f64 v[58:59], -v[4:5], v[34:35], v[36:37]
	;; [unrolled: 1-line block ×3, first 2 shown]
	v_mov_b32_e32 v34, s7
	s_add_i32 s7, s3, 0xfffff3a0
	s_addk_i32 s3, 0xf2f8
	v_mov_b32_e32 v44, s7
	s_add_i32 s7, s6, 0xfffff430
	ds_load_2addr_b64 v[34:37], v34 offset1:1
	ds_load_2addr_b64 v[44:47], v44 offset1:1
	v_mul_f64 v[24:25], v[52:53], v[50:51]
	v_fma_f64 v[38:39], -v[20:21], v[56:57], v[38:39]
	v_mov_b32_e32 v52, s8
	v_mov_b32_e32 v56, s3
	s_add_i32 s3, s6, 0xfffff388
	s_waitcnt lgkmcnt(1)
	v_fma_f64 v[36:37], -v[4:5], v[36:37], v[54:55]
	v_fma_f64 v[50:51], -v[26:27], v[66:67], v[58:59]
	;; [unrolled: 1-line block ×4, first 2 shown]
	s_delay_alu instid0(VALU_DEP_4) | instskip(NEXT) | instid1(VALU_DEP_4)
	v_fma_f64 v[34:35], -v[26:27], v[34:35], v[36:37]
	v_fma_f64 v[62:63], -v[24:25], v[64:65], v[50:51]
	s_delay_alu instid0(VALU_DEP_4) | instskip(NEXT) | instid1(VALU_DEP_4)
	v_mul_f64 v[36:37], v[60:61], v[48:49]
	v_fma_f64 v[38:39], -v[4:5], v[68:69], v[38:39]
	v_mov_b32_e32 v48, s7
	ds_load_2addr_b64 v[48:51], v48 offset1:1
	ds_load_2addr_b64 v[52:55], v52 offset1:1
	;; [unrolled: 1-line block ×3, first 2 shown]
	s_waitcnt lgkmcnt(3)
	v_fma_f64 v[34:35], -v[24:25], v[46:47], v[34:35]
	s_waitcnt lgkmcnt(2)
	v_fma_f64 v[46:47], -v[36:37], v[50:51], v[62:63]
	;; [unrolled: 2-line block ×3, first 2 shown]
	s_delay_alu instid0(VALU_DEP_3) | instskip(SKIP_2) | instid1(VALU_DEP_4)
	v_fma_f64 v[50:51], -v[36:37], v[44:45], v[34:35]
	v_mov_b32_e32 v44, s3
	s_add_i32 s3, s6, 0xfffff2e0
	v_mul_f64 v[34:35], v[48:49], v[46:47]
	ds_load_2addr_b64 v[44:47], v44 offset1:1
	v_fma_f64 v[38:39], -v[24:25], v[52:53], v[38:39]
	s_waitcnt lgkmcnt(0)
	v_fma_f64 v[46:47], -v[34:35], v[46:47], v[50:51]
	s_delay_alu instid0(VALU_DEP_2) | instskip(NEXT) | instid1(VALU_DEP_2)
	v_fma_f64 v[38:39], -v[36:37], v[58:59], v[38:39]
	v_mul_f64 v[46:47], v[44:45], v[46:47]
	v_mov_b32_e32 v44, s3
	s_delay_alu instid0(VALU_DEP_3) | instskip(SKIP_1) | instid1(SALU_CYCLE_1)
	v_fma_f64 v[38:39], -v[34:35], v[56:57], v[38:39]
	s_ashr_i32 s3, s2, 31
	s_lshl_b64 s[6:7], s[2:3], 3
	ds_load_2addr_b64 v[48:51], v44 offset1:1
	s_waitcnt lgkmcnt(0)
	v_fma_f64 v[38:39], -v[46:47], v[50:51], v[38:39]
	s_delay_alu instid0(VALU_DEP_1)
	v_mul_f64 v[44:45], v[48:49], v[38:39]
	v_add_co_u32 v38, vcc_lo, v40, s6
	v_add_co_ci_u32_e32 v39, vcc_lo, s7, v41, vcc_lo
	s_sub_i32 s6, s2, 21
	s_clause 0xa
	global_store_b64 v[28:29], v[30:31], off
	global_store_b64 v[38:39], v[32:33], off offset:-16
	global_store_b128 v[38:39], v[0:3], off offset:-32
	global_store_b128 v[38:39], v[8:11], off offset:-48
	;; [unrolled: 1-line block ×9, first 2 shown]
.LBB90_14:
	s_cmp_gt_i32 s6, -1
	s_cbranch_scc0 .LBB90_33
; %bb.15:
	s_cmp_lt_u32 s6, 15
	s_cbranch_scc1 .LBB90_20
; %bb.16:
	s_mov_b32 s7, 0
	s_delay_alu instid0(SALU_CYCLE_1)
	s_lshl_b64 s[8:9], s[6:7], 3
	s_cmp_le_i32 s16, s6
	v_add_co_u32 v12, vcc_lo, v40, s8
	v_add_co_ci_u32_e32 v13, vcc_lo, s9, v41, vcc_lo
	s_clause 0x7
	global_load_b128 v[0:3], v[12:13], off offset:-8
	global_load_b128 v[4:7], v[12:13], off offset:-24
	global_load_b128 v[8:11], v[12:13], off offset:-40
	global_load_b128 v[20:23], v[12:13], off offset:-56
	global_load_b128 v[34:37], v[12:13], off offset:-72
	global_load_b128 v[44:47], v[12:13], off offset:-88
	global_load_b128 v[48:51], v[12:13], off offset:-104
	global_load_b128 v[52:55], v[12:13], off offset:-120
	s_waitcnt vmcnt(7)
	v_mul_f64 v[14:15], v[2:3], s[4:5]
	v_mul_f64 v[32:33], v[0:1], s[4:5]
	s_waitcnt vmcnt(6)
	v_mul_f64 v[18:19], v[6:7], s[4:5]
	v_mul_f64 v[30:31], v[4:5], s[4:5]
	;; [unrolled: 3-line block ×8, first 2 shown]
	s_cbranch_scc1 .LBB90_19
; %bb.17:
	s_mul_i32 s3, s6, 0xa0
	s_lshl_b32 s7, s2, 3
	s_ashr_i32 s17, s16, 31
	s_add_i32 s3, s3, s7
	s_lshl_b64 s[8:9], s[16:17], 3
	s_addk_i32 s3, 0xf698
	s_add_u32 s7, s12, s8
	s_addc_u32 s8, s13, s9
	s_add_u32 s7, s7, s0
	s_addc_u32 s8, s8, s1
	v_add_co_u32 v34, vcc_lo, s7, v42
	v_add_co_ci_u32_e32 v35, vcc_lo, s8, v43, vcc_lo
	s_mov_b32 s7, s16
.LBB90_18:                              ; =>This Inner Loop Header: Depth=1
	global_load_b64 v[72:73], v[34:35], off
	v_add_nc_u32_e64 v36, 0x800, s3
	v_add_nc_u32_e64 v44, 0x400, s3
	v_mov_b32_e32 v68, s3
	v_add_co_u32 v34, vcc_lo, v34, -8
	ds_load_2addr_b64 v[36:39], v36 offset0:24 offset1:44
	ds_load_2addr_b64 v[44:47], v44 offset0:112 offset1:132
	;; [unrolled: 1-line block ×7, first 2 shown]
	ds_load_2addr_b64 v[68:71], v68 offset1:20
	v_add_co_ci_u32_e32 v35, vcc_lo, -1, v35, vcc_lo
	s_add_i32 s7, s7, -1
	s_add_i32 s3, s3, -8
	s_cmp_gt_i32 s7, s6
	s_waitcnt vmcnt(0) lgkmcnt(7)
	v_fma_f64 v[14:15], -v[72:73], v[38:39], v[14:15]
	v_fma_f64 v[32:33], -v[72:73], v[36:37], v[32:33]
	s_waitcnt lgkmcnt(6)
	v_fma_f64 v[18:19], -v[72:73], v[46:47], v[18:19]
	v_fma_f64 v[30:31], -v[72:73], v[44:45], v[30:31]
	s_waitcnt lgkmcnt(5)
	;; [unrolled: 3-line block ×7, first 2 shown]
	v_fma_f64 v[8:9], -v[72:73], v[70:71], v[8:9]
	v_fma_f64 v[16:17], -v[72:73], v[68:69], v[16:17]
	s_cbranch_scc1 .LBB90_18
.LBB90_19:
	s_mul_i32 s3, s6, 0xa8
	s_delay_alu instid0(SALU_CYCLE_1)
	s_add_i32 s11, s3, 0xfffffc38
	v_mov_b32_e32 v34, s3
	s_add_i32 s7, s3, 0xffffff58
	s_add_i32 s9, s3, 0xfffffba0
	;; [unrolled: 1-line block ×3, first 2 shown]
	ds_load_b64 v[38:39], v34
	v_mov_b32_e32 v34, s7
	s_add_i32 s7, s3, 0xfffffec0
	ds_load_2addr_b64 v[34:37], v34 offset1:1
	s_waitcnt lgkmcnt(1)
	v_mul_f64 v[14:15], v[38:39], v[14:15]
	s_waitcnt lgkmcnt(0)
	s_delay_alu instid0(VALU_DEP_1)
	v_fma_f64 v[32:33], -v[14:15], v[36:37], v[32:33]
	v_mov_b32_e32 v36, s7
	s_add_i32 s7, s3, 0xfffffeb0
	ds_load_b64 v[44:45], v36
	v_mov_b32_e32 v36, s7
	s_add_i32 s7, s3, 0xfffffe18
	ds_load_2addr_b64 v[36:39], v36 offset1:1
	s_waitcnt lgkmcnt(1)
	v_fma_f64 v[48:49], -v[14:15], v[44:45], v[18:19]
	v_mul_f64 v[18:19], v[34:35], v[32:33]
	v_mov_b32_e32 v32, s7
	s_add_i32 s7, s3, 0xfffffe08
	s_delay_alu instid0(SALU_CYCLE_1)
	v_mov_b32_e32 v44, s7
	s_add_i32 s7, s3, 0xfffffd80
	ds_load_2addr_b64 v[32:35], v32 offset1:1
	ds_load_2addr_b64 v[44:47], v44 offset1:1
	s_waitcnt lgkmcnt(1)
	v_fma_f64 v[30:31], -v[14:15], v[34:35], v[30:31]
	v_fma_f64 v[34:35], -v[18:19], v[38:39], v[48:49]
	v_mov_b32_e32 v38, s7
	s_add_i32 s7, s3, 0xfffffd70
	s_delay_alu instid0(SALU_CYCLE_1)
	v_mov_b32_e32 v48, s7
	s_add_i32 s7, s3, 0xfffffcd8
	ds_load_b64 v[38:39], v38
	ds_load_2addr_b64 v[48:51], v48 offset1:1
	s_waitcnt lgkmcnt(1)
	v_fma_f64 v[38:39], -v[14:15], v[38:39], v[2:3]
	v_fma_f64 v[52:53], -v[18:19], v[32:33], v[30:31]
	v_mov_b32_e32 v30, s7
	s_add_i32 s7, s3, 0xfffffc40
	ds_load_2addr_b64 v[30:33], v30 offset1:1
	v_mul_f64 v[2:3], v[36:37], v[34:35]
	v_mov_b32_e32 v36, s7
	s_add_i32 s7, s3, 0xfffffd60
	ds_load_b64 v[36:37], v36
	s_waitcnt lgkmcnt(1)
	v_fma_f64 v[28:29], -v[14:15], v[32:33], v[28:29]
	v_fma_f64 v[32:33], -v[18:19], v[50:51], v[38:39]
	s_waitcnt lgkmcnt(0)
	v_fma_f64 v[50:51], -v[14:15], v[36:37], v[0:1]
	v_fma_f64 v[34:35], -v[2:3], v[46:47], v[52:53]
	s_delay_alu instid0(VALU_DEP_4)
	v_fma_f64 v[52:53], -v[18:19], v[30:31], v[28:29]
	v_dual_mov_b32 v28, s9 :: v_dual_mov_b32 v29, s11
	v_mov_b32_e32 v30, s8
	s_add_i32 s8, s3, 0xfffffc28
	s_add_i32 s9, s3, 0xfffffad8
	;; [unrolled: 1-line block ×3, first 2 shown]
	v_fma_f64 v[48:49], -v[2:3], v[48:49], v[32:33]
	v_mov_b32_e32 v32, s7
	s_add_i32 s7, s3, 0xfffffcb8
	s_delay_alu instid0(SALU_CYCLE_1)
	v_mov_b32_e32 v36, s7
	s_add_i32 s7, s3, 0xfffffb00
	v_mul_f64 v[0:1], v[44:45], v[34:35]
	ds_load_b64 v[54:55], v28
	ds_load_b64 v[56:57], v29
	ds_load_2addr_b64 v[28:31], v30 offset1:1
	ds_load_2addr_b64 v[32:35], v32 offset1:1
	v_mov_b32_e32 v44, s8
	s_add_i32 s8, s3, 0xfffffb90
	ds_load_2addr_b64 v[36:39], v36 offset1:1
	ds_load_2addr_b64 v[44:47], v44 offset1:1
	s_waitcnt lgkmcnt(5)
	v_fma_f64 v[26:27], -v[14:15], v[54:55], v[26:27]
	s_waitcnt lgkmcnt(4)
	v_fma_f64 v[56:57], -v[18:19], v[56:57], v[50:51]
	;; [unrolled: 2-line block ×4, first 2 shown]
	v_dual_mov_b32 v48, s7 :: v_dual_mov_b32 v49, s8
	s_add_i32 s7, s3, 0xfffffb80
	ds_load_b64 v[58:59], v48
	ds_load_2addr_b64 v[48:51], v49 offset1:1
	v_mov_b32_e32 v52, s7
	s_add_i32 s7, s3, 0xfffffa60
	s_add_i32 s8, s3, 0xfffffaf8
	ds_load_2addr_b64 v[52:55], v52 offset1:1
	s_waitcnt lgkmcnt(3)
	v_fma_f64 v[46:47], -v[2:3], v[46:47], v[56:57]
	v_fma_f64 v[30:31], -v[0:1], v[28:29], v[30:31]
	s_waitcnt lgkmcnt(2)
	v_fma_f64 v[58:59], -v[14:15], v[58:59], v[6:7]
	s_waitcnt lgkmcnt(1)
	v_fma_f64 v[50:51], -v[18:19], v[50:51], v[26:27]
	v_dual_mov_b32 v26, s7 :: v_dual_mov_b32 v27, s8
	s_add_i32 s7, s3, 0xfffffae8
	s_add_i32 s8, s3, 0xfffffa50
	v_mul_f64 v[6:7], v[32:33], v[34:35]
	ds_load_b64 v[32:33], v26
	ds_load_b64 v[34:35], v27
	v_mov_b32_e32 v26, s7
	s_add_i32 s7, s3, 0xfffff9c0
	ds_load_2addr_b64 v[26:29], v26 offset1:1
	s_waitcnt lgkmcnt(2)
	v_fma_f64 v[24:25], -v[14:15], v[32:33], v[24:25]
	s_waitcnt lgkmcnt(1)
	v_fma_f64 v[34:35], -v[18:19], v[34:35], v[58:59]
	v_fma_f64 v[56:57], -v[2:3], v[48:49], v[50:51]
	;; [unrolled: 1-line block ×4, first 2 shown]
	v_mov_b32_e32 v30, s7
	s_add_i32 s7, s3, 0xfffffc18
	s_delay_alu instid0(SALU_CYCLE_1)
	v_dual_mov_b32 v31, s8 :: v_dual_mov_b32 v44, s7
	ds_load_b64 v[60:61], v30
	ds_load_2addr_b64 v[30:33], v31 offset1:1
	ds_load_2addr_b64 v[44:47], v44 offset1:1
	s_add_i32 s7, s3, 0xfffffa40
	s_add_i32 s8, s3, 0xfffff9b8
	v_mov_b32_e32 v48, s7
	s_add_i32 s7, s3, 0xfffff918
	ds_load_2addr_b64 v[48:51], v48 offset1:1
	s_waitcnt lgkmcnt(3)
	v_fma_f64 v[60:61], -v[14:15], v[60:61], v[4:5]
	s_waitcnt lgkmcnt(2)
	v_fma_f64 v[24:25], -v[18:19], v[32:33], v[24:25]
	v_fma_f64 v[28:29], -v[2:3], v[28:29], v[34:35]
	;; [unrolled: 1-line block ×3, first 2 shown]
	s_waitcnt lgkmcnt(1)
	v_fma_f64 v[46:47], -v[6:7], v[46:47], v[58:59]
	v_mov_b32_e32 v32, s7
	s_add_i32 s7, s3, 0xfffff9a8
	v_mul_f64 v[4:5], v[36:37], v[38:39]
	v_mov_b32_e32 v36, s8
	s_add_i32 s8, s3, 0xfffffc10
	ds_load_2addr_b64 v[32:35], v32 offset1:1
	ds_load_b64 v[56:57], v36
	v_mov_b32_e32 v36, s7
	s_add_i32 s7, s3, 0xfffff880
	ds_load_2addr_b64 v[36:39], v36 offset1:1
	s_waitcnt lgkmcnt(2)
	v_fma_f64 v[34:35], -v[14:15], v[34:35], v[22:23]
	s_waitcnt lgkmcnt(1)
	v_fma_f64 v[56:57], -v[18:19], v[56:57], v[60:61]
	v_fma_f64 v[30:31], -v[2:3], v[30:31], v[24:25]
	;; [unrolled: 1-line block ×4, first 2 shown]
	v_mov_b32_e32 v22, s7
	s_add_i32 s7, s3, 0xfffffb70
	s_delay_alu instid0(SALU_CYCLE_1)
	v_dual_mov_b32 v23, s9 :: v_dual_mov_b32 v26, s7
	s_add_i32 s7, s3, 0xfffffac8
	ds_load_b64 v[60:61], v22
	s_add_i32 s9, s3, 0xfffff870
	v_fma_f64 v[54:55], -v[4:5], v[44:45], v[46:47]
	v_mov_b32_e32 v44, s8
	ds_load_2addr_b64 v[22:25], v23 offset1:1
	ds_load_2addr_b64 v[26:29], v26 offset1:1
	ds_load_b64 v[62:63], v44
	s_add_i32 s8, s3, 0xfffff7d8
	v_mov_b32_e32 v44, s7
	s_add_i32 s7, s3, 0xfffff908
	ds_load_2addr_b64 v[44:47], v44 offset1:1
	s_waitcnt lgkmcnt(4)
	v_fma_f64 v[66:67], -v[14:15], v[60:61], v[10:11]
	v_fma_f64 v[68:69], -v[18:19], v[32:33], v[34:35]
	;; [unrolled: 1-line block ×4, first 2 shown]
	s_waitcnt lgkmcnt(3)
	v_fma_f64 v[24:25], -v[6:7], v[24:25], v[58:59]
	s_waitcnt lgkmcnt(2)
	v_fma_f64 v[72:73], -v[4:5], v[28:29], v[52:53]
	v_mov_b32_e32 v28, s8
	v_mov_b32_e32 v32, s9
	v_mov_b32_e32 v50, s7
	ds_load_2addr_b64 v[28:31], v28 offset1:1
	ds_load_2addr_b64 v[32:35], v32 offset1:1
	;; [unrolled: 1-line block ×3, first 2 shown]
	s_add_i32 s7, s3, 0xfffff8f8
	s_add_i32 s9, s3, 0xfffff7c8
	;; [unrolled: 1-line block ×3, first 2 shown]
	s_waitcnt lgkmcnt(4)
	v_mul_f64 v[10:11], v[62:63], v[54:55]
	v_mov_b32_e32 v54, s7
	s_add_i32 s7, s3, 0xfffff740
	v_mov_b32_e32 v62, s9
	s_add_i32 s9, s3, 0xfffff998
	;; [unrolled: 2-line block ×3, first 2 shown]
	ds_load_2addr_b64 v[54:57], v54 offset1:1
	ds_load_2addr_b64 v[58:61], v58 offset1:1
	ds_load_2addr_b64 v[62:65], v62 offset1:1
	s_waitcnt lgkmcnt(5)
	v_fma_f64 v[30:31], -v[14:15], v[30:31], v[20:21]
	v_mov_b32_e32 v20, s7
	s_waitcnt lgkmcnt(4)
	v_fma_f64 v[74:75], -v[18:19], v[34:35], v[66:67]
	s_add_i32 s7, s3, 0xfffffa30
	v_dual_mov_b32 v21, s9 :: v_dual_mov_b32 v34, s8
	ds_load_b64 v[76:77], v20
	s_add_i32 s8, s3, 0xfffff988
	s_add_i32 s9, s3, 0xfffff7b8
	v_mov_b32_e32 v66, s8
	s_waitcnt lgkmcnt(4)
	v_fma_f64 v[52:53], -v[2:3], v[52:53], v[68:69]
	v_fma_f64 v[38:39], -v[0:1], v[36:37], v[38:39]
	v_fma_f64 v[48:49], -v[6:7], v[48:49], v[70:71]
	v_fma_f64 v[70:71], -v[4:5], v[22:23], v[24:25]
	v_mov_b32_e32 v24, s7
	s_add_i32 s7, s3, 0xfffffa20
	s_add_i32 s8, s3, 0xfffff850
	v_fma_f64 v[72:73], -v[10:11], v[26:27], v[72:73]
	ds_load_2addr_b64 v[20:23], v21 offset1:1
	ds_load_2addr_b64 v[24:27], v24 offset1:1
	ds_load_b64 v[78:79], v34
	s_waitcnt lgkmcnt(3)
	v_fma_f64 v[76:77], -v[14:15], v[76:77], v[8:9]
	v_mov_b32_e32 v34, s7
	s_add_i32 s7, s3, 0xfffff730
	ds_load_2addr_b64 v[34:37], v34 offset1:1
	ds_load_2addr_b64 v[66:69], v66 offset1:1
	v_fma_f64 v[80:81], -v[18:19], v[28:29], v[30:31]
	v_fma_f64 v[74:75], -v[2:3], v[32:33], v[74:75]
	v_fma_f64 v[50:51], -v[0:1], v[50:51], v[52:53]
	s_waitcnt lgkmcnt(4)
	v_fma_f64 v[22:23], -v[6:7], v[22:23], v[38:39]
	s_waitcnt lgkmcnt(3)
	v_fma_f64 v[38:39], -v[4:5], v[26:27], v[48:49]
	v_fma_f64 v[52:53], -v[10:11], v[46:47], v[70:71]
	v_mov_b32_e32 v26, s7
	s_add_i32 s7, s3, 0xfffff698
	s_delay_alu instid0(SALU_CYCLE_1)
	v_mov_b32_e32 v30, s7
	s_add_i32 s7, s3, 0xfffff720
	ds_load_2addr_b64 v[26:29], v26 offset1:1
	v_mov_b32_e32 v46, s7
	s_add_i32 s7, s3, 0xfffffac0
	ds_load_2addr_b64 v[30:33], v30 offset1:1
	s_waitcnt lgkmcnt(4)
	v_mul_f64 v[8:9], v[78:79], v[72:73]
	ds_load_2addr_b64 v[46:49], v46 offset1:1
	v_fma_f64 v[64:65], -v[2:3], v[64:65], v[80:81]
	s_waitcnt lgkmcnt(2)
	v_fma_f64 v[28:29], -v[18:19], v[28:29], v[76:77]
	v_fma_f64 v[60:61], -v[0:1], v[60:61], v[74:75]
	s_waitcnt lgkmcnt(1)
	v_fma_f64 v[16:17], -v[14:15], v[32:33], v[16:17]
	v_mov_b32_e32 v32, s7
	s_add_i32 s7, s3, 0xfffff8e8
	ds_load_b64 v[32:33], v32
	v_fma_f64 v[50:51], -v[6:7], v[56:57], v[50:51]
	v_fma_f64 v[20:21], -v[4:5], v[20:21], v[22:23]
	;; [unrolled: 1-line block ×7, first 2 shown]
	v_mov_b32_e32 v28, s8
	v_fma_f64 v[16:17], -v[18:19], v[30:31], v[16:17]
	s_add_i32 s8, s3, 0xfffff840
	v_fma_f64 v[76:77], -v[4:5], v[54:55], v[50:51]
	v_fma_f64 v[20:21], -v[10:11], v[68:69], v[20:21]
	;; [unrolled: 1-line block ×3, first 2 shown]
	s_waitcnt lgkmcnt(0)
	v_mul_f64 v[22:23], v[32:33], v[24:25]
	v_mov_b32_e32 v24, s9
	v_dual_mov_b32 v32, s7 :: v_dual_mov_b32 v33, s11
	ds_load_2addr_b64 v[24:27], v24 offset1:1
	ds_load_2addr_b64 v[28:31], v28 offset1:1
	;; [unrolled: 1-line block ×4, first 2 shown]
	s_add_i32 s7, s3, 0xfffff8d8
	s_delay_alu instid0(SALU_CYCLE_1)
	v_dual_mov_b32 v33, s8 :: v_dual_mov_b32 v32, s7
	s_add_i32 s7, s3, 0xfffff978
	s_add_i32 s8, s3, 0xfffffa18
	;; [unrolled: 1-line block ×4, first 2 shown]
	v_mov_b32_e32 v62, s9
	v_fma_f64 v[44:45], -v[0:1], v[48:49], v[44:45]
	v_mov_b32_e32 v68, s11
	ds_load_2addr_b64 v[54:57], v32 offset1:1
	ds_load_2addr_b64 v[58:61], v33 offset1:1
	;; [unrolled: 1-line block ×4, first 2 shown]
	s_add_i32 s9, s3, 0xfffff798
	s_add_i32 s11, s3, 0xfffff668
	s_waitcnt lgkmcnt(7)
	v_fma_f64 v[26:27], -v[6:7], v[26:27], v[72:73]
	s_waitcnt lgkmcnt(6)
	v_fma_f64 v[48:49], -v[4:5], v[30:31], v[74:75]
	;; [unrolled: 2-line block ×3, first 2 shown]
	v_fma_f64 v[20:21], -v[8:9], v[66:67], v[20:21]
	s_waitcnt lgkmcnt(4)
	v_fma_f64 v[16:17], -v[2:3], v[52:53], v[16:17]
	v_mov_b32_e32 v30, s7
	v_mov_b32_e32 v52, s8
	ds_load_2addr_b64 v[30:33], v30 offset1:1
	ds_load_b64 v[52:53], v52
	s_add_i32 s7, s3, 0xfffff710
	s_add_i32 s8, s3, 0xfffff830
	v_fma_f64 v[34:35], -v[22:23], v[34:35], v[78:79]
	v_fma_f64 v[44:45], -v[6:7], v[46:47], v[44:45]
	;; [unrolled: 1-line block ×5, first 2 shown]
	s_waitcnt lgkmcnt(1)
	v_fma_f64 v[38:39], -v[22:23], v[32:33], v[20:21]
	v_fma_f64 v[16:17], -v[0:1], v[50:51], v[16:17]
	v_mov_b32_e32 v24, s7
	s_add_i32 s7, s3, 0xfffff700
	v_mov_b32_e32 v48, s11
	v_mov_b32_e32 v32, s7
	s_add_i32 s7, s3, 0xfffff970
	ds_load_2addr_b64 v[24:27], v24 offset1:1
	s_waitcnt lgkmcnt(1)
	v_mul_f64 v[20:21], v[52:53], v[34:35]
	ds_load_2addr_b64 v[32:35], v32 offset1:1
	s_waitcnt lgkmcnt(1)
	v_fma_f64 v[26:27], -v[4:5], v[26:27], v[44:45]
	v_fma_f64 v[44:45], -v[10:11], v[64:65], v[46:47]
	v_fma_f64 v[28:29], -v[8:9], v[60:61], v[28:29]
	v_fma_f64 v[36:37], -v[22:23], v[56:57], v[36:37]
	v_fma_f64 v[16:17], -v[6:7], v[70:71], v[16:17]
	v_fma_f64 v[30:31], -v[20:21], v[30:31], v[38:39]
	v_mov_b32_e32 v38, s7
	s_add_i32 s7, s3, 0xfffff8c8
	ds_load_b64 v[38:39], v38
	v_fma_f64 v[24:25], -v[10:11], v[24:25], v[26:27]
	v_fma_f64 v[64:65], -v[8:9], v[62:63], v[44:45]
	;; [unrolled: 1-line block ×4, first 2 shown]
	v_mov_b32_e32 v28, s9
	v_fma_f64 v[16:17], -v[4:5], v[68:69], v[16:17]
	v_mov_b32_e32 v36, s8
	v_mov_b32_e32 v44, s7
	s_add_i32 s7, s3, 0xfffff820
	s_add_i32 s8, s3, 0xfffff788
	v_mov_b32_e32 v52, s7
	s_add_i32 s7, s3, 0xfffff6f0
	s_add_i32 s9, s3, 0xfffff658
	v_mov_b32_e32 v56, s8
	v_mov_b32_e32 v60, s9
	s_add_i32 s8, s3, 0xfffff648
	s_waitcnt lgkmcnt(0)
	v_mul_f64 v[26:27], v[38:39], v[30:31]
	ds_load_2addr_b64 v[28:31], v28 offset1:1
	ds_load_2addr_b64 v[36:39], v36 offset1:1
	;; [unrolled: 1-line block ×7, first 2 shown]
	v_fma_f64 v[24:25], -v[8:9], v[34:35], v[24:25]
	s_waitcnt lgkmcnt(6)
	v_fma_f64 v[30:31], -v[22:23], v[30:31], v[64:65]
	s_waitcnt lgkmcnt(5)
	;; [unrolled: 2-line block ×3, first 2 shown]
	v_fma_f64 v[16:17], -v[10:11], v[50:51], v[16:17]
	v_fma_f64 v[38:39], -v[26:27], v[46:47], v[70:71]
	v_fma_f64 v[46:47], -v[22:23], v[32:33], v[24:25]
	v_fma_f64 v[50:51], -v[20:21], v[28:29], v[30:31]
	v_fma_f64 v[36:37], -v[26:27], v[36:37], v[34:35]
	v_mov_b32_e32 v28, s7
	s_add_i32 s7, s3, 0xfffff6e0
	v_fma_f64 v[16:17], -v[8:9], v[48:49], v[16:17]
	v_mov_b32_e32 v32, s7
	s_add_i32 s7, s3, 0xfffff778
	ds_load_2addr_b64 v[28:31], v28 offset1:1
	ds_load_2addr_b64 v[32:35], v32 offset1:1
	v_mul_f64 v[24:25], v[44:45], v[38:39]
	v_mov_b32_e32 v44, s8
	s_waitcnt lgkmcnt(1)
	v_fma_f64 v[30:31], -v[20:21], v[30:31], v[46:47]
	v_fma_f64 v[38:39], -v[26:27], v[58:59], v[50:51]
	;; [unrolled: 1-line block ×4, first 2 shown]
	s_delay_alu instid0(VALU_DEP_4) | instskip(NEXT) | instid1(VALU_DEP_4)
	v_fma_f64 v[28:29], -v[26:27], v[28:29], v[30:31]
	v_fma_f64 v[54:55], -v[24:25], v[56:57], v[38:39]
	s_delay_alu instid0(VALU_DEP_4) | instskip(NEXT) | instid1(VALU_DEP_4)
	v_fma_f64 v[16:17], -v[20:21], v[60:61], v[16:17]
	v_mul_f64 v[30:31], v[52:53], v[36:37]
	v_mov_b32_e32 v36, s7
	s_add_i32 s7, s3, 0xfffff638
	ds_load_2addr_b64 v[36:39], v36 offset1:1
	ds_load_2addr_b64 v[44:47], v44 offset1:1
	v_mov_b32_e32 v48, s7
	s_add_i32 s7, s3, 0xfffff6d0
	s_addk_i32 s3, 0xf628
	ds_load_2addr_b64 v[48:51], v48 offset1:1
	s_waitcnt lgkmcnt(3)
	v_fma_f64 v[28:29], -v[24:25], v[34:35], v[28:29]
	s_waitcnt lgkmcnt(1)
	v_fma_f64 v[16:17], -v[26:27], v[46:47], v[16:17]
	v_fma_f64 v[34:35], -v[30:31], v[38:39], v[54:55]
	s_delay_alu instid0(VALU_DEP_3) | instskip(SKIP_2) | instid1(SALU_CYCLE_1)
	v_fma_f64 v[38:39], -v[30:31], v[32:33], v[28:29]
	v_mov_b32_e32 v32, s7
	s_ashr_i32 s7, s6, 31
	s_lshl_b64 s[8:9], s[6:7], 3
	s_add_i32 s6, s6, -16
	s_delay_alu instid0(VALU_DEP_4) | instskip(NEXT) | instid1(VALU_DEP_4)
	v_fma_f64 v[16:17], -v[24:25], v[44:45], v[16:17]
	v_mul_f64 v[28:29], v[36:37], v[34:35]
	ds_load_2addr_b64 v[32:35], v32 offset1:1
	s_waitcnt lgkmcnt(1)
	v_fma_f64 v[16:17], -v[30:31], v[50:51], v[16:17]
	s_waitcnt lgkmcnt(0)
	v_fma_f64 v[34:35], -v[28:29], v[34:35], v[38:39]
	s_delay_alu instid0(VALU_DEP_2) | instskip(NEXT) | instid1(VALU_DEP_2)
	v_fma_f64 v[16:17], -v[28:29], v[48:49], v[16:17]
	v_mul_f64 v[34:35], v[32:33], v[34:35]
	v_mov_b32_e32 v32, s3
	ds_load_2addr_b64 v[36:39], v32 offset1:1
	s_waitcnt lgkmcnt(0)
	v_fma_f64 v[16:17], -v[34:35], v[38:39], v[16:17]
	s_delay_alu instid0(VALU_DEP_1)
	v_mul_f64 v[32:33], v[36:37], v[16:17]
	v_add_co_u32 v16, vcc_lo, v40, s8
	v_add_co_ci_u32_e32 v17, vcc_lo, s9, v41, vcc_lo
	s_clause 0x8
	global_store_b64 v[16:17], v[18:19], off offset:-8
	global_store_b128 v[16:17], v[0:3], off offset:-24
	global_store_b128 v[16:17], v[4:7], off offset:-40
	;; [unrolled: 1-line block ×6, first 2 shown]
	global_store_b64 v[12:13], v[14:15], off
	global_store_b128 v[16:17], v[32:35], off offset:-120
.LBB90_20:
	s_cmp_lt_i32 s6, 0
	s_cbranch_scc1 .LBB90_33
; %bb.21:
	s_bitcmp1_b32 s6, 0
	s_mov_b32 s8, s6
	s_cselect_b32 s3, -1, 0
	s_delay_alu instid0(SALU_CYCLE_1)
	s_and_b32 vcc_lo, exec_lo, s3
	s_cbranch_vccnz .LBB90_26
; %bb.22:
	s_mov_b32 s7, 0
	s_delay_alu instid0(SALU_CYCLE_1)
	s_lshl_b64 s[8:9], s[6:7], 3
	s_cmp_le_i32 s16, s6
	v_add_co_u32 v0, vcc_lo, v40, s8
	v_add_co_ci_u32_e32 v1, vcc_lo, s9, v41, vcc_lo
	global_load_b64 v[2:3], v[0:1], off
	s_waitcnt vmcnt(0)
	v_mul_f64 v[2:3], v[2:3], s[4:5]
	s_cbranch_scc1 .LBB90_25
; %bb.23:
	s_mul_i32 s3, s6, 0xa0
	s_lshl_b32 s7, s2, 3
	s_ashr_i32 s17, s16, 31
	s_add_i32 s3, s3, s7
	s_lshl_b64 s[8:9], s[16:17], 3
	s_add_i32 s3, s3, -8
	s_add_u32 s7, s12, s8
	s_addc_u32 s8, s13, s9
	s_add_u32 s7, s7, s0
	s_addc_u32 s8, s8, s1
	v_add_co_u32 v4, vcc_lo, s7, v42
	v_add_co_ci_u32_e32 v5, vcc_lo, s8, v43, vcc_lo
	s_mov_b32 s7, s16
.LBB90_24:                              ; =>This Inner Loop Header: Depth=1
	global_load_b64 v[6:7], v[4:5], off
	v_mov_b32_e32 v8, s3
	v_add_co_u32 v4, vcc_lo, v4, -8
	v_add_co_ci_u32_e32 v5, vcc_lo, -1, v5, vcc_lo
	ds_load_b64 v[8:9], v8
	s_add_i32 s7, s7, -1
	s_add_i32 s3, s3, -8
	s_cmp_gt_i32 s7, s6
	s_waitcnt vmcnt(0) lgkmcnt(0)
	v_fma_f64 v[2:3], -v[6:7], v[8:9], v[2:3]
	s_cbranch_scc1 .LBB90_24
.LBB90_25:
	s_mul_i32 s3, s6, 0xa8
	s_add_i32 s8, s6, -1
	v_mov_b32_e32 v4, s3
	ds_load_b64 v[4:5], v4
	s_waitcnt lgkmcnt(0)
	v_mul_f64 v[2:3], v[4:5], v[2:3]
	global_store_b64 v[0:1], v[2:3], off
.LBB90_26:
	s_cmp_eq_u32 s6, 0
	s_mov_b32 s9, 0
	s_cbranch_scc1 .LBB90_33
; %bb.27:
	s_mul_i32 s3, s8, 0xa0
	s_lshl_b32 s6, s2, 3
	s_ashr_i32 s17, s16, 31
	s_add_i32 s11, s3, s6
	s_lshl_b64 s[6:7], s[16:17], 3
	s_add_i32 s3, s11, -8
	s_add_u32 s6, s12, s6
	s_addc_u32 s7, s13, s7
	s_add_u32 s6, s6, s0
	s_addc_u32 s7, s7, s1
	v_add_co_u32 v0, vcc_lo, s6, v42
	v_add_co_ci_u32_e32 v1, vcc_lo, s7, v43, vcc_lo
	s_add_i32 s6, s11, 0xffffff58
	s_branch .LBB90_29
.LBB90_28:                              ;   in Loop: Header=BB90_29 Depth=1
	s_addk_i32 s7, 0xff58
	s_addk_i32 s3, 0xfec0
	v_mov_b32_e32 v6, s7
	s_add_i32 s7, s8, -2
	s_addk_i32 s6, 0xfec0
	s_cmp_lt_i32 s8, 2
	s_mov_b32 s8, s7
	ds_load_b64 v[6:7], v6
	s_waitcnt lgkmcnt(0)
	v_mul_f64 v[4:5], v[6:7], v[4:5]
	global_store_b64 v[2:3], v[4:5], off offset:-8
	s_cbranch_scc1 .LBB90_33
.LBB90_29:                              ; =>This Loop Header: Depth=1
                                        ;     Child Loop BB90_30 Depth 2
                                        ;     Child Loop BB90_32 Depth 2
	s_lshl_b64 s[14:15], s[8:9], 3
	s_delay_alu instid0(VALU_DEP_1)
	v_dual_mov_b32 v5, v1 :: v_dual_mov_b32 v4, v0
	v_add_co_u32 v2, vcc_lo, v40, s14
	v_add_co_ci_u32_e32 v3, vcc_lo, s15, v41, vcc_lo
	s_cmp_le_i32 s16, s8
	s_mov_b32 s7, s3
	s_mov_b32 s11, s16
	global_load_b64 v[2:3], v[2:3], off
	s_waitcnt vmcnt(0)
	v_mul_f64 v[2:3], v[2:3], s[4:5]
	s_cbranch_scc1 .LBB90_31
.LBB90_30:                              ;   Parent Loop BB90_29 Depth=1
                                        ; =>  This Inner Loop Header: Depth=2
	global_load_b64 v[6:7], v[4:5], off
	v_mov_b32_e32 v8, s7
	v_add_co_u32 v4, vcc_lo, v4, -8
	v_add_co_ci_u32_e32 v5, vcc_lo, -1, v5, vcc_lo
	ds_load_b64 v[8:9], v8
	s_add_i32 s11, s11, -1
	s_add_i32 s7, s7, -8
	s_cmp_gt_i32 s11, s8
	s_waitcnt vmcnt(0) lgkmcnt(0)
	v_fma_f64 v[2:3], -v[6:7], v[8:9], v[2:3]
	s_cbranch_scc1 .LBB90_30
.LBB90_31:                              ;   in Loop: Header=BB90_29 Depth=1
	s_add_i32 s14, s8, -1
	s_mov_b32 s15, s9
	s_mul_i32 s7, s8, 0xa8
	s_lshl_b64 s[14:15], s[14:15], 3
	v_mov_b32_e32 v6, s7
	v_add_co_u32 v4, vcc_lo, v40, s14
	v_add_co_ci_u32_e32 v5, vcc_lo, s15, v41, vcc_lo
	ds_load_b64 v[6:7], v6
	s_ashr_i32 s15, s8, 31
	s_mov_b32 s14, s8
	global_load_b64 v[4:5], v[4:5], off
	s_lshl_b64 s[14:15], s[14:15], 3
	s_cmp_lt_i32 s16, s8
	s_mov_b32 s11, s6
	s_waitcnt lgkmcnt(0)
	v_mul_f64 v[8:9], v[6:7], v[2:3]
	v_add_co_u32 v2, vcc_lo, v40, s14
	v_add_co_ci_u32_e32 v3, vcc_lo, s15, v41, vcc_lo
	v_dual_mov_b32 v7, v1 :: v_dual_mov_b32 v6, v0
	s_mov_b32 s14, s2
	global_store_b64 v[2:3], v[8:9], off
	s_waitcnt vmcnt(0)
	v_mul_f64 v[4:5], v[4:5], s[4:5]
	s_cbranch_scc1 .LBB90_28
.LBB90_32:                              ;   Parent Loop BB90_29 Depth=1
                                        ; =>  This Inner Loop Header: Depth=2
	global_load_b64 v[8:9], v[6:7], off
	v_mov_b32_e32 v10, s11
	v_add_co_u32 v6, vcc_lo, v6, -8
	v_add_co_ci_u32_e32 v7, vcc_lo, -1, v7, vcc_lo
	ds_load_b64 v[10:11], v10
	s_add_i32 s14, s14, -1
	s_add_i32 s11, s11, -8
	s_cmp_gt_i32 s14, s8
	s_waitcnt vmcnt(0) lgkmcnt(0)
	v_fma_f64 v[4:5], -v[8:9], v[10:11], v[4:5]
	s_cbranch_scc1 .LBB90_32
	s_branch .LBB90_28
.LBB90_33:
	s_mov_b32 s3, 0
.LBB90_34:
	s_delay_alu instid0(SALU_CYCLE_1)
	s_and_b32 vcc_lo, exec_lo, s3
	s_cbranch_vccz .LBB90_54
; %bb.35:
	s_cmp_gt_i32 s10, 19
	s_mov_b32 s6, 0
	s_cselect_b32 s3, -1, 0
	s_delay_alu instid0(SALU_CYCLE_1)
	s_and_b32 vcc_lo, exec_lo, s3
	s_cbranch_vccz .LBB90_37
; %bb.36:
	s_clause 0x3
	global_load_b128 v[0:3], v[40:41], off
	global_load_b128 v[26:29], v[40:41], off offset:16
	global_load_b128 v[8:11], v[40:41], off offset:32
	;; [unrolled: 1-line block ×3, first 2 shown]
	v_mov_b32_e32 v48, 0
	s_mov_b32 s6, 20
	ds_load_b128 v[14:17], v48
	ds_load_b128 v[22:25], v48 offset:16
	s_waitcnt vmcnt(3)
	v_mul_f64 v[0:1], v[0:1], s[4:5]
	s_waitcnt lgkmcnt(1)
	s_delay_alu instid0(VALU_DEP_1)
	v_mul_f64 v[0:1], v[14:15], v[0:1]
	global_load_b128 v[12:15], v[40:41], off offset:64
	v_mul_f64 v[16:17], v[0:1], v[16:17]
	s_waitcnt lgkmcnt(0)
	v_mul_f64 v[30:31], v[0:1], v[22:23]
	v_mul_f64 v[38:39], v[0:1], v[24:25]
	s_delay_alu instid0(VALU_DEP_3)
	v_fma_f64 v[2:3], v[2:3], s[4:5], -v[16:17]
	global_load_b128 v[16:19], v[40:41], off offset:80
	ds_load_2addr_b64 v[34:37], v48 offset0:21 offset1:22
	ds_load_2addr_b64 v[20:23], v48 offset0:23 offset1:24
	s_waitcnt vmcnt(4)
	v_fma_f64 v[30:31], v[26:27], s[4:5], -v[30:31]
	v_fma_f64 v[44:45], v[28:29], s[4:5], -v[38:39]
	s_waitcnt lgkmcnt(1)
	v_mul_f64 v[2:3], v[34:35], v[2:3]
	ds_load_b128 v[24:27], v48 offset:32
	ds_load_b128 v[32:35], v48 offset:48
	s_waitcnt lgkmcnt(1)
	v_mul_f64 v[46:47], v[0:1], v[24:25]
	v_mul_f64 v[26:27], v[0:1], v[26:27]
	s_waitcnt lgkmcnt(0)
	v_mul_f64 v[32:33], v[0:1], v[32:33]
	v_mul_f64 v[69:70], v[0:1], v[34:35]
	v_fma_f64 v[24:25], -v[2:3], v[36:37], v[30:31]
	global_load_b128 v[28:31], v[40:41], off offset:96
	ds_load_b128 v[36:39], v48 offset:336
	ds_load_2addr_b64 v[49:52], v48 offset0:37 offset1:38
	v_fma_f64 v[20:21], -v[2:3], v[20:21], v[44:45]
	s_waitcnt vmcnt(4)
	v_fma_f64 v[46:47], v[8:9], s[4:5], -v[46:47]
	v_fma_f64 v[10:11], v[10:11], s[4:5], -v[26:27]
	s_waitcnt vmcnt(3)
	v_fma_f64 v[4:5], v[4:5], s[4:5], -v[32:33]
	s_waitcnt lgkmcnt(1)
	v_mul_f64 v[8:9], v[36:37], v[24:25]
	s_delay_alu instid0(VALU_DEP_4) | instskip(NEXT) | instid1(VALU_DEP_2)
	v_fma_f64 v[65:66], -v[2:3], v[22:23], v[46:47]
	v_fma_f64 v[67:68], -v[8:9], v[38:39], v[20:21]
	global_load_b128 v[20:23], v[40:41], off offset:112
	ds_load_2addr_b64 v[24:27], v48 offset0:25 offset1:26
	ds_load_b128 v[36:39], v48 offset:352
	ds_load_2addr_b64 v[44:47], v48 offset0:63 offset1:64
	ds_load_2addr_b64 v[53:56], v48 offset0:65 offset1:66
	ds_load_b128 v[57:60], v48 offset:368
	ds_load_2addr_b64 v[61:64], v48 offset0:27 offset1:28
	s_waitcnt lgkmcnt(5)
	v_fma_f64 v[24:25], -v[2:3], v[24:25], v[10:11]
	s_waitcnt lgkmcnt(4)
	v_fma_f64 v[36:37], -v[8:9], v[36:37], v[65:66]
	s_waitcnt lgkmcnt(3)
	v_mul_f64 v[10:11], v[44:45], v[67:68]
	ds_load_b128 v[32:35], v48 offset:64
	ds_load_b128 v[65:68], v48 offset:80
	v_fma_f64 v[44:45], v[6:7], s[4:5], -v[69:70]
	v_fma_f64 v[69:70], -v[2:3], v[26:27], v[4:5]
	v_fma_f64 v[71:72], -v[8:9], v[38:39], v[24:25]
	global_load_b128 v[24:27], v[40:41], off offset:128
	s_waitcnt lgkmcnt(1)
	v_mul_f64 v[32:33], v[0:1], v[32:33]
	v_mul_f64 v[34:35], v[0:1], v[34:35]
	s_waitcnt lgkmcnt(0)
	v_mul_f64 v[65:66], v[0:1], v[65:66]
	v_mul_f64 v[89:90], v[0:1], v[67:68]
	v_fma_f64 v[46:47], -v[10:11], v[46:47], v[36:37]
	ds_load_b128 v[4:7], v48 offset:672
	ds_load_b128 v[36:39], v48 offset:688
	v_fma_f64 v[53:54], -v[10:11], v[53:54], v[71:72]
	s_waitcnt vmcnt(4)
	v_fma_f64 v[12:13], v[12:13], s[4:5], -v[32:33]
	v_fma_f64 v[32:33], -v[2:3], v[61:62], v[44:45]
	v_fma_f64 v[44:45], -v[8:9], v[57:58], v[69:70]
	v_fma_f64 v[81:82], v[14:15], s[4:5], -v[34:35]
	s_waitcnt lgkmcnt(1)
	v_mul_f64 v[4:5], v[4:5], v[46:47]
	v_fma_f64 v[83:84], -v[2:3], v[63:64], v[12:13]
	v_fma_f64 v[85:86], -v[8:9], v[59:60], v[32:33]
	;; [unrolled: 1-line block ×3, first 2 shown]
	global_load_b128 v[12:15], v[40:41], off offset:144
	v_fma_f64 v[6:7], -v[4:5], v[6:7], v[53:54]
	ds_load_2addr_b64 v[32:35], v48 offset0:29 offset1:30
	ds_load_b128 v[44:47], v48 offset:384
	ds_load_2addr_b64 v[53:56], v48 offset0:67 offset1:68
	ds_load_2addr_b64 v[57:60], v48 offset0:105 offset1:106
	;; [unrolled: 1-line block ×4, first 2 shown]
	ds_load_b128 v[73:76], v48 offset:400
	ds_load_2addr_b64 v[77:80], v48 offset0:31 offset1:32
	s_waitcnt lgkmcnt(7)
	v_fma_f64 v[32:33], -v[2:3], v[32:33], v[81:82]
	s_waitcnt vmcnt(4)
	v_fma_f64 v[16:17], v[16:17], s[4:5], -v[65:66]
	s_waitcnt lgkmcnt(6)
	v_fma_f64 v[44:45], -v[8:9], v[44:45], v[83:84]
	s_waitcnt lgkmcnt(5)
	v_fma_f64 v[53:54], -v[10:11], v[53:54], v[85:86]
	v_fma_f64 v[36:37], -v[4:5], v[36:37], v[87:88]
	ds_load_b128 v[65:68], v48 offset:96
	ds_load_b128 v[81:84], v48 offset:112
	s_waitcnt lgkmcnt(6)
	v_mul_f64 v[6:7], v[57:58], v[6:7]
	s_waitcnt lgkmcnt(1)
	v_mul_f64 v[57:58], v[0:1], v[65:66]
	v_fma_f64 v[65:66], v[18:19], s[4:5], -v[89:90]
	v_mul_f64 v[67:68], v[0:1], v[67:68]
	s_waitcnt lgkmcnt(0)
	v_mul_f64 v[81:82], v[0:1], v[81:82]
	v_mul_f64 v[109:110], v[0:1], v[83:84]
	v_fma_f64 v[87:88], -v[8:9], v[46:47], v[32:33]
	v_fma_f64 v[85:86], -v[2:3], v[34:35], v[16:17]
	;; [unrolled: 1-line block ×5, first 2 shown]
	ds_load_b128 v[16:19], v48 offset:704
	ds_load_b128 v[32:35], v48 offset:1008
	;; [unrolled: 1-line block ×3, first 2 shown]
	ds_load_2addr_b64 v[44:47], v48 offset0:117 offset1:118
	v_fma_f64 v[69:70], -v[10:11], v[69:70], v[87:88]
	s_waitcnt vmcnt(3)
	v_fma_f64 v[28:29], v[28:29], s[4:5], -v[57:58]
	v_fma_f64 v[57:58], -v[2:3], v[77:78], v[65:66]
	v_fma_f64 v[65:66], -v[8:9], v[73:74], v[85:86]
	s_waitcnt lgkmcnt(3)
	v_fma_f64 v[55:56], -v[4:5], v[16:17], v[55:56]
	v_fma_f64 v[53:54], -v[6:7], v[61:62], v[53:54]
	v_fma_f64 v[97:98], v[30:31], s[4:5], -v[67:68]
	s_waitcnt lgkmcnt(2)
	v_mul_f64 v[16:17], v[32:33], v[59:60]
	v_fma_f64 v[18:19], -v[4:5], v[18:19], v[69:70]
	v_fma_f64 v[99:100], -v[2:3], v[79:80], v[28:29]
	;; [unrolled: 1-line block ×6, first 2 shown]
	ds_load_2addr_b64 v[28:31], v48 offset0:33 offset1:34
	ds_load_b128 v[32:35], v48 offset:416
	ds_load_2addr_b64 v[53:56], v48 offset0:71 offset1:72
	ds_load_2addr_b64 v[57:60], v48 offset0:109 offset1:110
	ds_load_b128 v[61:64], v48 offset:1024
	ds_load_2addr_b64 v[65:68], v48 offset0:147 offset1:148
	;; [unrolled: 3-line block ×4, first 2 shown]
	s_waitcnt lgkmcnt(11)
	v_fma_f64 v[28:29], -v[2:3], v[28:29], v[97:98]
	s_waitcnt lgkmcnt(8)
	v_fma_f64 v[57:58], -v[6:7], v[57:58], v[18:19]
	s_waitcnt vmcnt(2)
	v_fma_f64 v[20:21], v[20:21], s[4:5], -v[81:82]
	v_fma_f64 v[32:33], -v[8:9], v[32:33], v[99:100]
	v_fma_f64 v[53:54], -v[10:11], v[53:54], v[101:102]
	;; [unrolled: 1-line block ×3, first 2 shown]
	s_waitcnt lgkmcnt(7)
	v_fma_f64 v[61:62], -v[16:17], v[61:62], v[105:106]
	ds_load_b128 v[81:84], v48 offset:128
	ds_load_b128 v[97:100], v48 offset:144
	s_waitcnt lgkmcnt(8)
	v_mul_f64 v[18:19], v[65:66], v[107:108]
	s_waitcnt lgkmcnt(1)
	v_mul_f64 v[65:66], v[0:1], v[81:82]
	v_fma_f64 v[81:82], v[22:23], s[4:5], -v[109:110]
	v_fma_f64 v[103:104], -v[8:9], v[34:35], v[28:29]
	v_fma_f64 v[57:58], -v[16:17], v[63:64], v[57:58]
	v_mul_f64 v[63:64], v[0:1], v[83:84]
	v_fma_f64 v[101:102], -v[2:3], v[30:31], v[20:21]
	v_fma_f64 v[55:56], -v[10:11], v[55:56], v[32:33]
	;; [unrolled: 1-line block ×4, first 2 shown]
	ds_load_b128 v[20:23], v48 offset:736
	ds_load_b128 v[28:31], v48 offset:1344
	ds_load_b128 v[32:35], v48 offset:1360
	ds_load_b128 v[36:39], v48 offset:752
	v_fma_f64 v[61:62], -v[18:19], v[67:68], v[61:62]
	s_waitcnt vmcnt(1)
	v_fma_f64 v[24:25], v[24:25], s[4:5], -v[65:66]
	v_fma_f64 v[65:66], -v[2:3], v[93:94], v[81:82]
	s_waitcnt lgkmcnt(4)
	v_mul_f64 v[93:94], v[0:1], v[97:98]
	v_fma_f64 v[81:82], -v[10:11], v[85:86], v[103:104]
	v_fma_f64 v[57:58], -v[18:19], v[69:70], v[57:58]
	v_fma_f64 v[97:98], v[26:27], s[4:5], -v[63:64]
	v_fma_f64 v[67:68], -v[8:9], v[89:90], v[101:102]
	s_waitcnt lgkmcnt(3)
	v_fma_f64 v[55:56], -v[4:5], v[20:21], v[55:56]
	v_fma_f64 v[53:54], -v[6:7], v[77:78], v[53:54]
	;; [unrolled: 1-line block ×3, first 2 shown]
	s_waitcnt lgkmcnt(2)
	v_mul_f64 v[20:21], v[28:29], v[61:62]
	v_fma_f64 v[95:96], -v[2:3], v[95:96], v[24:25]
	v_fma_f64 v[101:102], -v[8:9], v[91:92], v[65:66]
	;; [unrolled: 1-line block ×9, first 2 shown]
	ds_load_b128 v[22:25], v48 offset:448
	ds_load_2addr_b64 v[26:29], v48 offset0:75 offset1:76
	ds_load_2addr_b64 v[53:56], v48 offset0:113 offset1:114
	ds_load_b128 v[57:60], v48 offset:1056
	ds_load_2addr_b64 v[61:64], v48 offset0:151 offset1:152
	ds_load_2addr_b64 v[65:68], v48 offset0:189 offset1:190
	;; [unrolled: 1-line block ×4, first 2 shown]
	ds_load_b128 v[77:80], v48 offset:1072
	ds_load_2addr_b64 v[81:84], v48 offset0:115 offset1:116
	ds_load_2addr_b64 v[85:88], v48 offset0:77 offset1:78
	ds_load_b128 v[89:92], v48 offset:464
	s_waitcnt vmcnt(0)
	v_fma_f64 v[12:13], v[12:13], s[4:5], -v[93:94]
	s_waitcnt lgkmcnt(11)
	v_fma_f64 v[93:94], -v[8:9], v[22:23], v[95:96]
	s_waitcnt lgkmcnt(10)
	v_fma_f64 v[26:27], -v[10:11], v[26:27], v[101:102]
	;; [unrolled: 2-line block ×3, first 2 shown]
	v_fma_f64 v[95:96], -v[8:9], v[24:25], v[49:50]
	v_fma_f64 v[36:37], -v[4:5], v[36:37], v[103:104]
	s_waitcnt lgkmcnt(8)
	v_fma_f64 v[57:58], -v[16:17], v[57:58], v[107:108]
	s_waitcnt lgkmcnt(7)
	v_fma_f64 v[61:62], -v[18:19], v[61:62], v[109:110]
	v_fma_f64 v[32:33], -v[20:21], v[32:33], v[111:112]
	s_waitcnt lgkmcnt(6)
	v_mul_f64 v[22:23], v[65:66], v[30:31]
	v_mul_f64 v[30:31], v[0:1], v[99:100]
	v_fma_f64 v[65:66], -v[2:3], v[51:52], v[12:13]
	v_fma_f64 v[93:94], -v[10:11], v[28:29], v[93:94]
	v_fma_f64 v[97:98], -v[4:5], v[38:39], v[26:27]
	v_fma_f64 v[59:60], -v[16:17], v[59:60], v[53:54]
	s_waitcnt lgkmcnt(1)
	v_fma_f64 v[85:86], -v[10:11], v[85:86], v[95:96]
	v_fma_f64 v[99:100], -v[6:7], v[55:56], v[36:37]
	;; [unrolled: 1-line block ×5, first 2 shown]
	v_fma_f64 v[67:68], v[14:15], s[4:5], -v[30:31]
	ds_load_b128 v[12:15], v48 offset:768
	ds_load_b128 v[24:27], v48 offset:1376
	;; [unrolled: 1-line block ×3, first 2 shown]
	ds_load_2addr_b64 v[32:35], v48 offset0:39 offset1:79
	ds_load_b128 v[36:39], v48 offset:1392
	ds_load_2addr_b64 v[49:52], v48 offset0:197 offset1:198
	ds_load_b128 v[53:56], v48 offset:784
	s_waitcnt lgkmcnt(7)
	v_fma_f64 v[65:66], -v[8:9], v[89:90], v[65:66]
	v_fma_f64 v[81:82], -v[6:7], v[81:82], v[97:98]
	;; [unrolled: 1-line block ×3, first 2 shown]
	s_waitcnt lgkmcnt(6)
	v_fma_f64 v[89:90], -v[4:5], v[12:13], v[93:94]
	v_fma_f64 v[77:78], -v[16:17], v[77:78], v[99:100]
	s_waitcnt lgkmcnt(5)
	v_fma_f64 v[24:25], -v[20:21], v[24:25], v[57:58]
	v_fma_f64 v[57:58], -v[22:23], v[69:70], v[61:62]
	;; [unrolled: 1-line block ×3, first 2 shown]
	s_waitcnt lgkmcnt(4)
	v_mul_f64 v[12:13], v[28:29], v[63:64]
	s_waitcnt lgkmcnt(3)
	v_fma_f64 v[28:29], -v[2:3], v[32:33], v[67:68]
	v_fma_f64 v[32:33], -v[10:11], v[87:88], v[65:66]
	;; [unrolled: 1-line block ×10, first 2 shown]
	ds_load_b128 v[24:27], v48 offset:1088
	ds_load_2addr_b64 v[28:31], v48 offset0:155 offset1:156
	ds_load_2addr_b64 v[57:60], v48 offset0:193 offset1:194
	ds_load_b128 v[61:64], v48 offset:1696
	ds_load_2addr_b64 v[65:68], v48 offset0:231 offset1:232
	ds_load_2addr_b64 v[69:72], v48 offset0:233 offset1:234
	;; [unrolled: 3-line block ×3, first 2 shown]
	ds_load_b128 v[85:88], v48 offset:1104
	s_waitcnt lgkmcnt(10)
	v_fma_f64 v[32:33], -v[4:5], v[53:54], v[32:33]
	s_waitcnt lgkmcnt(8)
	v_fma_f64 v[28:29], -v[18:19], v[28:29], v[93:94]
	;; [unrolled: 2-line block ×3, first 2 shown]
	v_fma_f64 v[24:25], -v[16:17], v[24:25], v[89:90]
	v_fma_f64 v[36:37], -v[20:21], v[36:37], v[95:96]
	s_waitcnt lgkmcnt(6)
	v_fma_f64 v[57:58], -v[12:13], v[61:62], v[99:100]
	s_waitcnt lgkmcnt(5)
	v_mul_f64 v[14:15], v[65:66], v[101:102]
	v_fma_f64 v[34:35], -v[10:11], v[34:35], v[91:92]
	v_fma_f64 v[65:66], -v[16:17], v[26:27], v[44:45]
	;; [unrolled: 1-line block ×9, first 2 shown]
	ds_load_b128 v[24:27], v48 offset:1408
	ds_load_b128 v[28:31], v48 offset:2016
	ds_load_2addr_b64 v[32:35], v48 offset0:119 offset1:159
	ds_load_b128 v[36:39], v48 offset:2032
	ds_load_b128 v[44:47], v48 offset:1424
	s_waitcnt lgkmcnt(5)
	v_fma_f64 v[61:62], -v[16:17], v[85:86], v[61:62]
	v_fma_f64 v[63:64], -v[18:19], v[81:82], v[65:66]
	;; [unrolled: 1-line block ×5, first 2 shown]
	s_waitcnt lgkmcnt(4)
	v_fma_f64 v[65:66], -v[20:21], v[24:25], v[89:90]
	s_waitcnt lgkmcnt(3)
	v_mul_f64 v[24:25], v[28:29], v[57:58]
	s_waitcnt lgkmcnt(2)
	v_fma_f64 v[28:29], -v[6:7], v[32:33], v[55:56]
	v_mov_b32_e32 v57, 0x898
	v_fma_f64 v[69:70], -v[18:19], v[83:84], v[61:62]
	v_fma_f64 v[73:74], -v[20:21], v[26:27], v[63:64]
	v_fma_f64 v[75:76], -v[12:13], v[75:76], v[67:68]
	v_fma_f64 v[71:72], -v[14:15], v[71:72], v[59:60]
	v_fma_f64 v[77:78], -v[22:23], v[79:80], v[65:66]
	v_fma_f64 v[79:80], -v[24:25], v[30:31], v[53:54]
	v_fma_f64 v[81:82], -v[16:17], v[87:88], v[28:29]
	v_mov_b32_e32 v53, 0x888
	ds_load_b128 v[26:29], v48 offset:1728
	ds_load_2addr_b64 v[30:33], v48 offset0:235 offset1:236
	ds_load_2addr_b64 v[53:56], v53 offset1:1
	s_waitcnt lgkmcnt(3)
	v_fma_f64 v[44:45], -v[20:21], v[44:45], v[69:70]
	v_fma_f64 v[49:50], -v[22:23], v[49:50], v[73:74]
	ds_load_2addr_b64 v[57:60], v57 offset1:1
	ds_load_2addr_b64 v[61:64], v48 offset0:237 offset1:238
	ds_load_b128 v[65:68], v48 offset:1744
	v_fma_f64 v[36:37], -v[24:25], v[36:37], v[71:72]
	s_waitcnt lgkmcnt(5)
	v_fma_f64 v[69:70], -v[12:13], v[26:27], v[77:78]
	s_waitcnt lgkmcnt(4)
	;; [unrolled: 2-line block ×3, first 2 shown]
	v_mul_f64 v[26:27], v[53:54], v[79:80]
	v_fma_f64 v[34:35], -v[18:19], v[34:35], v[81:82]
	v_fma_f64 v[53:54], -v[22:23], v[51:52], v[44:45]
	;; [unrolled: 1-line block ×7, first 2 shown]
	ds_load_b128 v[28:31], v48 offset:2048
	ds_load_b128 v[32:35], v48 offset:2352
	ds_load_2addr_b64 v[36:39], v48 offset0:199 offset1:239
	ds_load_b128 v[44:47], v48 offset:2368
	ds_load_b128 v[49:52], v48 offset:2064
	s_waitcnt lgkmcnt(5)
	v_fma_f64 v[53:54], -v[12:13], v[65:66], v[53:54]
	v_fma_f64 v[61:62], -v[14:15], v[61:62], v[71:72]
	s_waitcnt lgkmcnt(4)
	v_fma_f64 v[65:66], -v[24:25], v[28:29], v[69:70]
	v_fma_f64 v[57:58], -v[26:27], v[57:58], v[73:74]
	s_waitcnt lgkmcnt(3)
	v_mul_f64 v[28:29], v[32:33], v[55:56]
	s_waitcnt lgkmcnt(2)
	v_fma_f64 v[32:33], -v[22:23], v[36:37], v[75:76]
	v_fma_f64 v[53:54], -v[14:15], v[63:64], v[53:54]
	;; [unrolled: 1-line block ×3, first 2 shown]
	v_mov_b32_e32 v30, 0x8a8
	v_fma_f64 v[59:60], -v[26:27], v[59:60], v[65:66]
	v_add_nc_u32_e64 v65, 0x800, 0
	v_fma_f64 v[57:58], -v[28:29], v[34:35], v[57:58]
	v_fma_f64 v[61:62], -v[12:13], v[67:68], v[32:33]
	v_mov_b32_e32 v34, 0x9d8
	ds_load_2addr_b64 v[30:33], v30 offset1:1
	ds_load_2addr_b64 v[34:37], v34 offset1:1
	s_waitcnt lgkmcnt(2)
	v_fma_f64 v[49:50], -v[24:25], v[49:50], v[53:54]
	v_fma_f64 v[44:45], -v[28:29], v[44:45], v[59:60]
	s_waitcnt lgkmcnt(1)
	v_fma_f64 v[53:54], -v[26:27], v[30:31], v[55:56]
	s_waitcnt lgkmcnt(0)
	v_mul_f64 v[30:31], v[34:35], v[57:58]
	v_fma_f64 v[34:35], -v[14:15], v[38:39], v[61:62]
	v_fma_f64 v[57:58], -v[26:27], v[32:33], v[49:50]
	s_delay_alu instid0(VALU_DEP_4)
	v_fma_f64 v[59:60], -v[28:29], v[46:47], v[53:54]
	v_mov_b32_e32 v53, 0xb28
	v_fma_f64 v[61:62], -v[30:31], v[36:37], v[44:45]
	v_fma_f64 v[63:64], -v[24:25], v[51:52], v[34:35]
	v_mov_b32_e32 v36, 0x9e8
	ds_load_b128 v[32:35], v48 offset:2384
	ds_load_2addr_b64 v[36:39], v36 offset1:1
	ds_load_b128 v[44:47], v48 offset:2688
	ds_load_2addr_b64 v[49:52], v65 offset0:23 offset1:63
	ds_load_2addr_b64 v[53:56], v53 offset1:1
	s_waitcnt lgkmcnt(4)
	v_fma_f64 v[57:58], -v[28:29], v[32:33], v[57:58]
	s_waitcnt lgkmcnt(3)
	v_fma_f64 v[36:37], -v[30:31], v[36:37], v[59:60]
	s_waitcnt lgkmcnt(2)
	v_mul_f64 v[32:33], v[44:45], v[61:62]
	s_waitcnt lgkmcnt(1)
	v_fma_f64 v[44:45], -v[26:27], v[49:50], v[63:64]
	s_delay_alu instid0(VALU_DEP_4) | instskip(NEXT) | instid1(VALU_DEP_3)
	v_fma_f64 v[38:39], -v[30:31], v[38:39], v[57:58]
	v_fma_f64 v[49:50], -v[32:33], v[46:47], v[36:37]
	s_delay_alu instid0(VALU_DEP_3)
	v_fma_f64 v[57:58], -v[28:29], v[34:35], v[44:45]
	ds_load_b128 v[34:37], v48 offset:2704
	ds_load_b128 v[44:47], v48 offset:3024
	s_waitcnt lgkmcnt(1)
	v_fma_f64 v[38:39], -v[32:33], v[34:35], v[38:39]
	v_mul_f64 v[34:35], v[53:54], v[49:50]
	v_fma_f64 v[48:49], -v[30:31], v[51:52], v[57:58]
	s_delay_alu instid0(VALU_DEP_2) | instskip(NEXT) | instid1(VALU_DEP_2)
	v_fma_f64 v[50:51], -v[34:35], v[55:56], v[38:39]
	v_fma_f64 v[48:49], -v[32:33], v[36:37], v[48:49]
	ds_load_2addr_b64 v[36:39], v65 offset0:103 offset1:143
	s_clause 0x7
	global_store_b128 v[40:41], v[0:3], off
	global_store_b128 v[40:41], v[8:11], off offset:16
	global_store_b128 v[40:41], v[4:7], off offset:32
	;; [unrolled: 1-line block ×7, first 2 shown]
	s_waitcnt lgkmcnt(1)
	v_mul_f64 v[44:45], v[44:45], v[50:51]
	s_waitcnt lgkmcnt(0)
	v_fma_f64 v[36:37], -v[34:35], v[36:37], v[48:49]
	s_delay_alu instid0(VALU_DEP_1) | instskip(NEXT) | instid1(VALU_DEP_1)
	v_fma_f64 v[36:37], -v[44:45], v[46:47], v[36:37]
	v_mul_f64 v[46:47], v[38:39], v[36:37]
	s_clause 0x1
	global_store_b128 v[40:41], v[32:35], off offset:128
	global_store_b128 v[40:41], v[44:47], off offset:144
.LBB90_37:
	s_cmp_lt_i32 s6, s2
	s_cbranch_scc0 .LBB90_54
; %bb.38:
	s_add_i32 s7, s6, 15
	s_delay_alu instid0(SALU_CYCLE_1)
	s_cmp_ge_u32 s7, s2
	s_cbranch_scc1 .LBB90_43
; %bb.39:
	s_lshl_b32 s8, s6, 3
	s_delay_alu instid0(SALU_CYCLE_1)
	v_add_co_u32 v20, vcc_lo, v40, s8
	v_add_co_ci_u32_e32 v21, vcc_lo, 0, v41, vcc_lo
	s_and_not1_b32 vcc_lo, exec_lo, s3
	s_mov_b32 s3, 0
	s_clause 0x7
	global_load_b128 v[0:3], v[20:21], off
	global_load_b128 v[8:11], v[20:21], off offset:16
	global_load_b128 v[12:15], v[20:21], off offset:32
	;; [unrolled: 1-line block ×7, first 2 shown]
	s_waitcnt vmcnt(7)
	v_mul_f64 v[0:1], v[0:1], s[4:5]
	v_mul_f64 v[6:7], v[2:3], s[4:5]
	s_waitcnt vmcnt(6)
	v_mul_f64 v[2:3], v[8:9], s[4:5]
	v_mul_f64 v[4:5], v[10:11], s[4:5]
	;; [unrolled: 3-line block ×8, first 2 shown]
	s_cbranch_vccnz .LBB90_42
; %bb.40:
	v_dual_mov_b32 v8, v40 :: v_dual_mov_b32 v9, v41
.LBB90_41:                              ; =>This Inner Loop Header: Depth=1
	global_load_b64 v[18:19], v[8:9], off
	v_mov_b32_e32 v70, s8
	v_add_co_u32 v8, vcc_lo, v8, 8
	v_add_co_ci_u32_e32 v9, vcc_lo, 0, v9, vcc_lo
	ds_load_b128 v[10:13], v70
	ds_load_b128 v[14:17], v70 offset:16
	ds_load_b128 v[50:53], v70 offset:32
	;; [unrolled: 1-line block ×7, first 2 shown]
	s_add_i32 s3, s3, 1
	s_addk_i32 s8, 0xa0
	s_cmp_lt_u32 s3, s6
	s_waitcnt vmcnt(0) lgkmcnt(7)
	v_fma_f64 v[0:1], -v[18:19], v[10:11], v[0:1]
	v_fma_f64 v[6:7], -v[18:19], v[12:13], v[6:7]
	s_waitcnt lgkmcnt(6)
	v_fma_f64 v[2:3], -v[18:19], v[14:15], v[2:3]
	v_fma_f64 v[4:5], -v[18:19], v[16:17], v[4:5]
	s_waitcnt lgkmcnt(5)
	;; [unrolled: 3-line block ×7, first 2 shown]
	v_fma_f64 v[24:25], -v[18:19], v[70:71], v[24:25]
	v_fma_f64 v[22:23], -v[18:19], v[72:73], v[22:23]
	s_cbranch_scc1 .LBB90_41
.LBB90_42:
	s_mul_i32 s3, s6, 0xa8
	s_or_b32 s8, s6, 8
	v_mov_b32_e32 v54, s3
	s_mulk_i32 s8, 0xa8
	s_or_b32 s9, s6, 10
	s_or_b32 s10, s6, 11
	s_mulk_i32 s9, 0xa8
	ds_load_b128 v[8:11], v54
	ds_load_b128 v[12:15], v54 offset:16
	s_mulk_i32 s10, 0xa8
	s_delay_alu instid0(SALU_CYCLE_1) | instskip(SKIP_2) | instid1(VALU_DEP_1)
	v_mov_b32_e32 v89, s10
	s_waitcnt lgkmcnt(1)
	v_mul_f64 v[0:1], v[8:9], v[0:1]
	v_fma_f64 v[6:7], -v[0:1], v[10:11], v[6:7]
	ds_load_2addr_b64 v[16:19], v54 offset0:21 offset1:22
	ds_load_2addr_b64 v[8:11], v54 offset0:23 offset1:24
	s_waitcnt lgkmcnt(2)
	v_fma_f64 v[12:13], -v[0:1], v[12:13], v[2:3]
	v_fma_f64 v[52:53], -v[0:1], v[14:15], v[4:5]
	s_waitcnt lgkmcnt(1)
	v_mul_f64 v[2:3], v[16:17], v[6:7]
	s_delay_alu instid0(VALU_DEP_1)
	v_fma_f64 v[50:51], -v[2:3], v[18:19], v[12:13]
	ds_load_b128 v[16:19], v54 offset:32
	ds_load_b128 v[12:15], v54 offset:336
	;; [unrolled: 1-line block ×3, first 2 shown]
	ds_load_2addr_b64 v[55:58], v54 offset0:33 offset1:34
	s_waitcnt lgkmcnt(3)
	v_fma_f64 v[16:17], -v[0:1], v[16:17], v[46:47]
	v_fma_f64 v[46:47], -v[2:3], v[8:9], v[52:53]
	v_fma_f64 v[18:19], -v[0:1], v[18:19], v[44:45]
	s_waitcnt lgkmcnt(1)
	v_fma_f64 v[4:5], -v[0:1], v[4:5], v[36:37]
	v_mul_f64 v[8:9], v[12:13], v[50:51]
	v_fma_f64 v[67:68], -v[2:3], v[10:11], v[16:17]
	s_delay_alu instid0(VALU_DEP_2)
	v_fma_f64 v[69:70], -v[8:9], v[14:15], v[46:47]
	ds_load_2addr_b64 v[10:13], v54 offset0:25 offset1:26
	ds_load_b128 v[14:17], v54 offset:352
	ds_load_2addr_b64 v[44:47], v54 offset0:63 offset1:64
	ds_load_2addr_b64 v[50:53], v54 offset0:65 offset1:66
	ds_load_b128 v[59:62], v54 offset:368
	ds_load_2addr_b64 v[63:66], v54 offset0:27 offset1:28
	s_waitcnt lgkmcnt(5)
	v_fma_f64 v[18:19], -v[2:3], v[10:11], v[18:19]
	s_waitcnt lgkmcnt(4)
	v_fma_f64 v[14:15], -v[8:9], v[14:15], v[67:68]
	v_fma_f64 v[67:68], -v[2:3], v[12:13], v[4:5]
	s_waitcnt lgkmcnt(3)
	v_mul_f64 v[10:11], v[44:45], v[69:70]
	v_fma_f64 v[44:45], -v[0:1], v[6:7], v[34:35]
	v_fma_f64 v[69:70], -v[8:9], v[16:17], v[18:19]
	s_waitcnt lgkmcnt(1)
	s_delay_alu instid0(VALU_DEP_4) | instskip(NEXT) | instid1(VALU_DEP_4)
	v_fma_f64 v[59:60], -v[8:9], v[59:60], v[67:68]
	v_fma_f64 v[46:47], -v[10:11], v[46:47], v[14:15]
	ds_load_b128 v[4:7], v54 offset:64
	ds_load_b128 v[12:15], v54 offset:672
	;; [unrolled: 1-line block ×4, first 2 shown]
	s_waitcnt lgkmcnt(4)
	v_fma_f64 v[44:45], -v[2:3], v[63:64], v[44:45]
	v_fma_f64 v[50:51], -v[10:11], v[50:51], v[69:70]
	s_waitcnt lgkmcnt(3)
	v_fma_f64 v[48:49], -v[0:1], v[4:5], v[48:49]
	v_fma_f64 v[6:7], -v[0:1], v[6:7], v[38:39]
	;; [unrolled: 1-line block ×3, first 2 shown]
	s_waitcnt lgkmcnt(0)
	v_fma_f64 v[79:80], -v[0:1], v[34:35], v[32:33]
	v_mul_f64 v[4:5], v[12:13], v[46:47]
	v_fma_f64 v[75:76], -v[8:9], v[61:62], v[44:45]
	v_fma_f64 v[38:39], -v[2:3], v[65:66], v[48:49]
	s_delay_alu instid0(VALU_DEP_3)
	v_fma_f64 v[77:78], -v[4:5], v[14:15], v[50:51]
	ds_load_2addr_b64 v[12:15], v54 offset0:29 offset1:30
	ds_load_b128 v[44:47], v54 offset:384
	ds_load_2addr_b64 v[48:51], v54 offset0:67 offset1:68
	ds_load_2addr_b64 v[59:62], v54 offset0:105 offset1:126
	;; [unrolled: 1-line block ×3, first 2 shown]
	ds_load_b128 v[67:70], v54 offset:400
	ds_load_2addr_b64 v[71:74], v54 offset0:31 offset1:32
	v_fma_f64 v[16:17], -v[4:5], v[16:17], v[52:53]
	s_waitcnt lgkmcnt(6)
	v_fma_f64 v[12:13], -v[2:3], v[12:13], v[6:7]
	v_fma_f64 v[52:53], -v[2:3], v[14:15], v[79:80]
	s_waitcnt lgkmcnt(5)
	v_fma_f64 v[38:39], -v[8:9], v[44:45], v[38:39]
	s_waitcnt lgkmcnt(4)
	v_fma_f64 v[44:45], -v[10:11], v[48:49], v[75:76]
	v_fma_f64 v[48:49], -v[0:1], v[36:37], v[30:31]
	s_waitcnt lgkmcnt(3)
	v_mul_f64 v[6:7], v[59:60], v[77:78]
	ds_load_b128 v[32:35], v54 offset:848
	ds_load_b128 v[75:78], v54 offset:864
	v_fma_f64 v[46:47], -v[8:9], v[46:47], v[12:13]
	s_waitcnt lgkmcnt(3)
	v_fma_f64 v[52:53], -v[8:9], v[67:68], v[52:53]
	v_fma_f64 v[50:51], -v[10:11], v[50:51], v[38:39]
	;; [unrolled: 1-line block ×3, first 2 shown]
	s_waitcnt lgkmcnt(2)
	v_fma_f64 v[71:72], -v[2:3], v[71:72], v[48:49]
	s_waitcnt lgkmcnt(1)
	v_fma_f64 v[59:60], -v[6:7], v[32:33], v[16:17]
	ds_load_b128 v[12:15], v54 offset:96
	ds_load_b128 v[16:19], v54 offset:704
	;; [unrolled: 1-line block ×4, first 2 shown]
	v_fma_f64 v[63:64], -v[10:11], v[63:64], v[46:47]
	v_fma_f64 v[52:53], -v[10:11], v[65:66], v[52:53]
	s_waitcnt lgkmcnt(3)
	v_fma_f64 v[28:29], -v[0:1], v[12:13], v[28:29]
	s_waitcnt lgkmcnt(2)
	v_fma_f64 v[16:17], -v[4:5], v[16:17], v[50:51]
	v_fma_f64 v[34:35], -v[6:7], v[34:35], v[44:45]
	ds_load_2addr_b64 v[44:47], v54 offset0:127 offset1:128
	ds_load_b128 v[48:51], v54 offset:912
	v_fma_f64 v[79:80], -v[0:1], v[14:15], v[26:27]
	v_fma_f64 v[71:72], -v[8:9], v[69:70], v[71:72]
	s_waitcnt lgkmcnt(2)
	v_fma_f64 v[83:84], -v[0:1], v[36:37], v[24:25]
	v_fma_f64 v[38:39], -v[0:1], v[38:39], v[22:23]
	v_mov_b32_e32 v22, s8
	s_or_b32 s8, s6, 9
	s_add_i32 s6, s6, 16
	s_mulk_i32 s8, 0xa8
	v_mul_f64 v[12:13], v[61:62], v[59:60]
	v_fma_f64 v[18:19], -v[4:5], v[18:19], v[63:64]
	v_fma_f64 v[30:31], -v[4:5], v[30:31], v[52:53]
	;; [unrolled: 1-line block ×4, first 2 shown]
	ds_load_b128 v[14:17], v54 offset:416
	ds_load_2addr_b64 v[26:29], v54 offset0:71 offset1:72
	ds_load_2addr_b64 v[59:62], v54 offset0:135 offset1:147
	;; [unrolled: 1-line block ×3, first 2 shown]
	ds_load_b128 v[67:70], v54 offset:432
	v_fma_f64 v[55:56], -v[2:3], v[55:56], v[79:80]
	v_fma_f64 v[57:58], -v[2:3], v[57:58], v[83:84]
	s_waitcnt lgkmcnt(3)
	v_fma_f64 v[87:88], -v[10:11], v[26:27], v[71:72]
	v_fma_f64 v[34:35], -v[12:13], v[44:45], v[34:35]
	;; [unrolled: 1-line block ×6, first 2 shown]
	s_waitcnt lgkmcnt(0)
	v_fma_f64 v[67:68], -v[8:9], v[67:68], v[57:58]
	v_fma_f64 v[32:33], -v[4:5], v[32:33], v[87:88]
	v_mov_b32_e32 v87, s9
	v_mul_f64 v[14:15], v[61:62], v[34:35]
	v_fma_f64 v[61:62], -v[10:11], v[28:29], v[85:86]
	v_mov_b32_e32 v85, s8
	ds_load_b128 v[24:27], v54 offset:880
	ds_load_2addr_b64 v[34:37], v54 offset0:129 offset1:130
	ds_load_b128 v[44:47], v54 offset:1184
	ds_load_2addr_b64 v[71:74], v54 offset0:131 offset1:132
	;; [unrolled: 2-line block ×3, first 2 shown]
	v_fma_f64 v[63:64], -v[10:11], v[63:64], v[55:56]
	s_waitcnt lgkmcnt(5)
	v_fma_f64 v[83:84], -v[6:7], v[24:25], v[30:31]
	s_waitcnt lgkmcnt(4)
	v_fma_f64 v[34:35], -v[12:13], v[34:35], v[18:19]
	ds_load_b128 v[16:19], v54 offset:736
	v_fma_f64 v[26:27], -v[6:7], v[26:27], v[32:33]
	s_waitcnt lgkmcnt(4)
	v_fma_f64 v[44:45], -v[14:15], v[44:45], v[52:53]
	ds_load_b64 v[52:53], v22
	ds_load_2addr_b64 v[22:25], v54 offset0:35 offset1:75
	ds_load_b128 v[28:31], v54 offset:752
	ds_load_b64 v[85:86], v85
	ds_load_b64 v[87:88], v87
	;; [unrolled: 1-line block ×3, first 2 shown]
	s_waitcnt lgkmcnt(6)
	v_fma_f64 v[61:62], -v[4:5], v[16:17], v[61:62]
	s_waitcnt lgkmcnt(4)
	v_fma_f64 v[22:23], -v[2:3], v[22:23], v[38:39]
	v_fma_f64 v[18:19], -v[4:5], v[18:19], v[63:64]
	;; [unrolled: 1-line block ×5, first 2 shown]
	v_mul_f64 v[16:17], v[52:53], v[44:45]
	ds_load_b128 v[32:35], v54 offset:1200
	ds_load_2addr_b64 v[36:39], v54 offset0:169 offset1:170
	ds_load_b128 v[44:47], v54 offset:1216
	ds_load_b128 v[55:58], v54 offset:1232
	v_fma_f64 v[52:53], -v[10:11], v[65:66], v[67:68]
	v_fma_f64 v[61:62], -v[6:7], v[75:76], v[61:62]
	;; [unrolled: 1-line block ×4, first 2 shown]
	s_waitcnt lgkmcnt(3)
	v_fma_f64 v[32:33], -v[14:15], v[32:33], v[83:84]
	v_fma_f64 v[65:66], -v[14:15], v[34:35], v[26:27]
	s_waitcnt lgkmcnt(2)
	v_fma_f64 v[36:37], -v[16:17], v[36:37], v[91:92]
	v_fma_f64 v[52:53], -v[4:5], v[28:29], v[52:53]
	;; [unrolled: 1-line block ×5, first 2 shown]
	v_mul_f64 v[18:19], v[85:86], v[36:37]
	ds_load_2addr_b64 v[22:25], v54 offset0:171 offset1:172
	ds_load_b128 v[26:29], v54 offset:1520
	ds_load_b128 v[32:35], v54 offset:1536
	ds_load_2addr_b64 v[36:39], v54 offset0:173 offset1:174
	v_fma_f64 v[48:49], -v[6:7], v[48:49], v[52:53]
	v_fma_f64 v[52:53], -v[12:13], v[79:80], v[63:64]
	s_waitcnt lgkmcnt(5)
	v_fma_f64 v[44:45], -v[14:15], v[44:45], v[61:62]
	s_waitcnt lgkmcnt(3)
	v_fma_f64 v[22:23], -v[16:17], v[22:23], v[65:66]
	v_fma_f64 v[30:31], -v[4:5], v[30:31], v[69:70]
	s_waitcnt lgkmcnt(2)
	v_fma_f64 v[26:27], -v[18:19], v[26:27], v[67:68]
	v_fma_f64 v[48:49], -v[12:13], v[81:82], v[48:49]
	;; [unrolled: 1-line block ×6, first 2 shown]
	v_mul_f64 v[22:23], v[87:88], v[26:27]
	ds_load_2addr_b64 v[24:27], v54 offset0:211 offset1:212
	ds_load_b128 v[28:31], v54 offset:1552
	v_fma_f64 v[48:49], -v[14:15], v[55:56], v[48:49]
	s_waitcnt lgkmcnt(2)
	v_fma_f64 v[36:37], -v[16:17], v[36:37], v[46:47]
	v_fma_f64 v[32:33], -v[18:19], v[32:33], v[44:45]
	;; [unrolled: 1-line block ×3, first 2 shown]
	s_waitcnt lgkmcnt(1)
	v_fma_f64 v[24:25], -v[22:23], v[24:25], v[52:53]
	v_fma_f64 v[48:49], -v[16:17], v[38:39], v[48:49]
	v_fma_f64 v[50:51], -v[18:19], v[34:35], v[36:37]
	v_fma_f64 v[26:27], -v[22:23], v[26:27], v[32:33]
	v_fma_f64 v[52:53], -v[14:15], v[57:58], v[44:45]
	ds_load_2addr_b64 v[32:35], v54 offset0:213 offset1:214
	ds_load_b128 v[36:39], v54 offset:1856
	ds_load_2addr_b64 v[44:47], v54 offset0:175 offset1:215
	v_mul_f64 v[24:25], v[89:90], v[24:25]
	s_waitcnt lgkmcnt(3)
	v_fma_f64 v[48:49], -v[18:19], v[28:29], v[48:49]
	s_waitcnt lgkmcnt(2)
	v_fma_f64 v[32:33], -v[22:23], v[32:33], v[50:51]
	;; [unrolled: 2-line block ×3, first 2 shown]
	s_delay_alu instid0(VALU_DEP_4)
	v_fma_f64 v[36:37], -v[24:25], v[36:37], v[26:27]
	ds_load_2addr_b64 v[26:29], v54 offset0:252 offset1:255
	v_fma_f64 v[52:53], -v[22:23], v[34:35], v[48:49]
	v_fma_f64 v[38:39], -v[24:25], v[38:39], v[32:33]
	s_waitcnt lgkmcnt(0)
	v_mul_f64 v[32:33], v[26:27], v[36:37]
	v_fma_f64 v[26:27], -v[18:19], v[30:31], v[44:45]
	ds_load_b128 v[34:37], v54 offset:1872
	ds_load_2addr_b64 v[48:51], v54 offset0:253 offset1:254
	s_waitcnt lgkmcnt(1)
	v_fma_f64 v[30:31], -v[24:25], v[34:35], v[52:53]
	s_waitcnt lgkmcnt(0)
	v_fma_f64 v[34:35], -v[32:33], v[48:49], v[38:39]
	v_fma_f64 v[26:27], -v[22:23], v[46:47], v[26:27]
	v_add_nc_u32_e64 v38, 0x800, s3
	s_mul_i32 s3, s7, 0xa8
	ds_load_2addr_b64 v[44:47], v38 offset0:17 offset1:38
	v_fma_f64 v[30:31], -v[32:33], v[50:51], v[30:31]
	s_waitcnt lgkmcnt(0)
	v_mul_f64 v[34:35], v[44:45], v[34:35]
	v_fma_f64 v[26:27], -v[24:25], v[36:37], v[26:27]
	ds_load_b128 v[36:39], v54 offset:2192
	ds_load_b64 v[44:45], v54 offset:2360
	s_waitcnt lgkmcnt(1)
	v_fma_f64 v[30:31], -v[34:35], v[36:37], v[30:31]
	v_fma_f64 v[28:29], -v[32:33], v[28:29], v[26:27]
	s_delay_alu instid0(VALU_DEP_2) | instskip(NEXT) | instid1(VALU_DEP_2)
	v_mul_f64 v[26:27], v[46:47], v[30:31]
	v_fma_f64 v[28:29], -v[34:35], v[38:39], v[28:29]
	v_mov_b32_e32 v30, s3
	ds_load_b64 v[30:31], v30
	s_waitcnt lgkmcnt(1)
	v_fma_f64 v[28:29], -v[26:27], v[44:45], v[28:29]
	s_waitcnt lgkmcnt(0)
	s_delay_alu instid0(VALU_DEP_1)
	v_mul_f64 v[28:29], v[30:31], v[28:29]
	s_clause 0x7
	global_store_b128 v[20:21], v[0:3], off
	global_store_b128 v[20:21], v[8:11], off offset:16
	global_store_b128 v[20:21], v[4:7], off offset:32
	;; [unrolled: 1-line block ×7, first 2 shown]
.LBB90_43:
	s_cmp_ge_i32 s6, s2
	s_cbranch_scc1 .LBB90_54
; %bb.44:
	s_add_i32 s3, s6, -1
	s_lshl_b32 s8, s6, 3
	s_add_u32 s0, s12, s0
	s_addc_u32 s1, s13, s1
	v_add_co_u32 v8, vcc_lo, s0, v42
	v_add_co_ci_u32_e32 v9, vcc_lo, s1, v43, vcc_lo
	s_mov_b32 s1, 0
	s_delay_alu instid0(VALU_DEP_2) | instskip(NEXT) | instid1(VALU_DEP_2)
	v_add_co_u32 v0, vcc_lo, v8, 56
	v_add_co_ci_u32_e32 v1, vcc_lo, 0, v9, vcc_lo
	s_mov_b32 s10, s6
	s_mov_b32 s9, 0
	s_branch .LBB90_46
.LBB90_45:                              ;   in Loop: Header=BB90_46 Depth=1
	s_mul_i32 s0, s6, 0xa8
	s_add_i32 s6, s6, 1
	v_mov_b32_e32 v6, s0
	s_add_i32 s9, s9, 1
	s_add_i32 s8, s8, 8
	s_cmp_ge_i32 s6, s2
	ds_load_b64 v[6:7], v6
	s_waitcnt lgkmcnt(0)
	v_mul_f64 v[4:5], v[6:7], v[4:5]
	v_add_nc_u16 v6, s10, 1
	s_delay_alu instid0(VALU_DEP_1)
	v_readfirstlane_b32 s10, v6
	global_store_b64 v[2:3], v[4:5], off
	s_cbranch_scc1 .LBB90_54
.LBB90_46:                              ; =>This Loop Header: Depth=1
                                        ;     Child Loop BB90_49 Depth 2
                                        ;     Child Loop BB90_53 Depth 2
	s_ashr_i32 s7, s6, 31
	s_delay_alu instid0(SALU_CYCLE_1)
	s_lshl_b64 s[12:13], s[6:7], 3
	s_cmp_eq_u32 s6, 0
	v_add_co_u32 v2, vcc_lo, v40, s12
	v_add_co_ci_u32_e32 v3, vcc_lo, s13, v41, vcc_lo
	global_load_b64 v[4:5], v[2:3], off
	s_waitcnt vmcnt(0)
	v_mul_f64 v[4:5], v[4:5], s[4:5]
	s_cbranch_scc1 .LBB90_45
; %bb.47:                               ;   in Loop: Header=BB90_46 Depth=1
	s_add_i32 s0, s3, s9
	s_delay_alu instid0(SALU_CYCLE_1)
	s_cmp_lt_u32 s0, 7
	s_cbranch_scc1 .LBB90_51
; %bb.48:                               ;   in Loop: Header=BB90_46 Depth=1
	v_dual_mov_b32 v7, v1 :: v_dual_mov_b32 v6, v0
	s_and_b32 s0, s6, -8
	s_mov_b32 s7, 0
	s_mov_b32 s11, s8
	s_set_inst_prefetch_distance 0x1
	.p2align	6
.LBB90_49:                              ;   Parent Loop BB90_46 Depth=1
                                        ; =>  This Inner Loop Header: Depth=2
	s_clause 0x3
	global_load_b128 v[10:13], v[6:7], off offset:-56
	global_load_b128 v[14:17], v[6:7], off offset:-40
	;; [unrolled: 1-line block ×4, first 2 shown]
	v_mov_b32_e32 v30, s11
	v_add_co_u32 v6, vcc_lo, v6, 64
	v_add_co_ci_u32_e32 v7, vcc_lo, 0, v7, vcc_lo
	ds_load_2addr_b64 v[26:29], v30 offset1:20
	s_add_i32 s7, s7, 8
	s_addk_i32 s11, 0x500
	s_cmp_lg_u32 s0, s7
	s_waitcnt vmcnt(3) lgkmcnt(0)
	v_fma_f64 v[4:5], -v[10:11], v[26:27], v[4:5]
	s_delay_alu instid0(VALU_DEP_1) | instskip(SKIP_3) | instid1(VALU_DEP_1)
	v_fma_f64 v[4:5], -v[12:13], v[28:29], v[4:5]
	ds_load_2addr_b64 v[10:13], v30 offset0:40 offset1:60
	s_waitcnt vmcnt(2) lgkmcnt(0)
	v_fma_f64 v[4:5], -v[14:15], v[10:11], v[4:5]
	v_fma_f64 v[4:5], -v[16:17], v[12:13], v[4:5]
	ds_load_2addr_b64 v[10:13], v30 offset0:80 offset1:100
	s_waitcnt vmcnt(1) lgkmcnt(0)
	v_fma_f64 v[4:5], -v[18:19], v[10:11], v[4:5]
	s_delay_alu instid0(VALU_DEP_1) | instskip(SKIP_3) | instid1(VALU_DEP_1)
	v_fma_f64 v[4:5], -v[20:21], v[12:13], v[4:5]
	ds_load_2addr_b64 v[10:13], v30 offset0:120 offset1:140
	s_waitcnt vmcnt(0) lgkmcnt(0)
	v_fma_f64 v[4:5], -v[22:23], v[10:11], v[4:5]
	v_fma_f64 v[4:5], -v[24:25], v[12:13], v[4:5]
	s_cbranch_scc1 .LBB90_49
; %bb.50:                               ;   in Loop: Header=BB90_46 Depth=1
	s_set_inst_prefetch_distance 0x2
	s_and_b32 s7, s6, 7
	s_delay_alu instid0(SALU_CYCLE_1)
	s_cmp_eq_u32 s7, 0
	s_cbranch_scc0 .LBB90_52
	s_branch .LBB90_45
.LBB90_51:                              ;   in Loop: Header=BB90_46 Depth=1
	s_mov_b32 s0, 0
	s_and_b32 s7, s6, 7
	s_delay_alu instid0(SALU_CYCLE_1)
	s_cmp_eq_u32 s7, 0
	s_cbranch_scc1 .LBB90_45
.LBB90_52:                              ;   in Loop: Header=BB90_46 Depth=1
	s_lshl_b64 s[12:13], s[0:1], 3
	s_and_b32 s7, s10, 7
	v_add_co_u32 v6, vcc_lo, v8, s12
	v_add_co_ci_u32_e32 v7, vcc_lo, s13, v9, vcc_lo
	s_mulk_i32 s0, 0xa0
.LBB90_53:                              ;   Parent Loop BB90_46 Depth=1
                                        ; =>  This Inner Loop Header: Depth=2
	global_load_b64 v[10:11], v[6:7], off
	s_add_i32 s11, s8, s0
	v_add_co_u32 v6, vcc_lo, v6, 8
	v_mov_b32_e32 v12, s11
	v_add_co_ci_u32_e32 v7, vcc_lo, 0, v7, vcc_lo
	s_add_i32 s7, s7, -1
	s_addk_i32 s0, 0xa0
	ds_load_b64 v[12:13], v12
	s_cmp_lg_u32 s7, 0
	s_waitcnt vmcnt(0) lgkmcnt(0)
	v_fma_f64 v[4:5], -v[10:11], v[12:13], v[4:5]
	s_cbranch_scc1 .LBB90_53
	s_branch .LBB90_45
.LBB90_54:
	s_nop 0
	s_sendmsg sendmsg(MSG_DEALLOC_VGPRS)
	s_endpgm
	.section	.rodata,"a",@progbits
	.p2align	6, 0x0
	.amdhsa_kernel _ZL30rocblas_trsm_small_left_deviceILi20ELi20ELb1EddPKPKdPKPdEv13rocblas_fill_18rocblas_operation_17rocblas_diagonal_iiT3_T4_lilT5_lili
		.amdhsa_group_segment_fixed_size 3200
		.amdhsa_private_segment_fixed_size 0
		.amdhsa_kernarg_size 360
		.amdhsa_user_sgpr_count 14
		.amdhsa_user_sgpr_dispatch_ptr 0
		.amdhsa_user_sgpr_queue_ptr 0
		.amdhsa_user_sgpr_kernarg_segment_ptr 1
		.amdhsa_user_sgpr_dispatch_id 0
		.amdhsa_user_sgpr_private_segment_size 0
		.amdhsa_wavefront_size32 1
		.amdhsa_uses_dynamic_stack 0
		.amdhsa_enable_private_segment 0
		.amdhsa_system_sgpr_workgroup_id_x 1
		.amdhsa_system_sgpr_workgroup_id_y 0
		.amdhsa_system_sgpr_workgroup_id_z 1
		.amdhsa_system_sgpr_workgroup_info 0
		.amdhsa_system_vgpr_workitem_id 0
		.amdhsa_next_free_vgpr 113
		.amdhsa_next_free_sgpr 32
		.amdhsa_reserve_vcc 1
		.amdhsa_float_round_mode_32 0
		.amdhsa_float_round_mode_16_64 0
		.amdhsa_float_denorm_mode_32 3
		.amdhsa_float_denorm_mode_16_64 3
		.amdhsa_dx10_clamp 1
		.amdhsa_ieee_mode 1
		.amdhsa_fp16_overflow 0
		.amdhsa_workgroup_processor_mode 1
		.amdhsa_memory_ordered 1
		.amdhsa_forward_progress 0
		.amdhsa_shared_vgpr_count 0
		.amdhsa_exception_fp_ieee_invalid_op 0
		.amdhsa_exception_fp_denorm_src 0
		.amdhsa_exception_fp_ieee_div_zero 0
		.amdhsa_exception_fp_ieee_overflow 0
		.amdhsa_exception_fp_ieee_underflow 0
		.amdhsa_exception_fp_ieee_inexact 0
		.amdhsa_exception_int_div_zero 0
	.end_amdhsa_kernel
	.section	.text._ZL30rocblas_trsm_small_left_deviceILi20ELi20ELb1EddPKPKdPKPdEv13rocblas_fill_18rocblas_operation_17rocblas_diagonal_iiT3_T4_lilT5_lili,"axG",@progbits,_ZL30rocblas_trsm_small_left_deviceILi20ELi20ELb1EddPKPKdPKPdEv13rocblas_fill_18rocblas_operation_17rocblas_diagonal_iiT3_T4_lilT5_lili,comdat
.Lfunc_end90:
	.size	_ZL30rocblas_trsm_small_left_deviceILi20ELi20ELb1EddPKPKdPKPdEv13rocblas_fill_18rocblas_operation_17rocblas_diagonal_iiT3_T4_lilT5_lili, .Lfunc_end90-_ZL30rocblas_trsm_small_left_deviceILi20ELi20ELb1EddPKPKdPKPdEv13rocblas_fill_18rocblas_operation_17rocblas_diagonal_iiT3_T4_lilT5_lili
                                        ; -- End function
	.section	.AMDGPU.csdata,"",@progbits
; Kernel info:
; codeLenInByte = 16420
; NumSgprs: 34
; NumVgprs: 113
; ScratchSize: 0
; MemoryBound: 1
; FloatMode: 240
; IeeeMode: 1
; LDSByteSize: 3200 bytes/workgroup (compile time only)
; SGPRBlocks: 4
; VGPRBlocks: 14
; NumSGPRsForWavesPerEU: 34
; NumVGPRsForWavesPerEU: 113
; Occupancy: 10
; WaveLimiterHint : 1
; COMPUTE_PGM_RSRC2:SCRATCH_EN: 0
; COMPUTE_PGM_RSRC2:USER_SGPR: 14
; COMPUTE_PGM_RSRC2:TRAP_HANDLER: 0
; COMPUTE_PGM_RSRC2:TGID_X_EN: 1
; COMPUTE_PGM_RSRC2:TGID_Y_EN: 0
; COMPUTE_PGM_RSRC2:TGID_Z_EN: 1
; COMPUTE_PGM_RSRC2:TIDIG_COMP_CNT: 0
	.section	.text._ZL31rocblas_trsm_small_right_deviceIddPKPKdPKPdLi20EEv13rocblas_fill_18rocblas_operation_17rocblas_diagonal_iiT0_T1_lilT2_lili,"axG",@progbits,_ZL31rocblas_trsm_small_right_deviceIddPKPKdPKPdLi20EEv13rocblas_fill_18rocblas_operation_17rocblas_diagonal_iiT0_T1_lilT2_lili,comdat
	.globl	_ZL31rocblas_trsm_small_right_deviceIddPKPKdPKPdLi20EEv13rocblas_fill_18rocblas_operation_17rocblas_diagonal_iiT0_T1_lilT2_lili ; -- Begin function _ZL31rocblas_trsm_small_right_deviceIddPKPKdPKPdLi20EEv13rocblas_fill_18rocblas_operation_17rocblas_diagonal_iiT0_T1_lilT2_lili
	.p2align	8
	.type	_ZL31rocblas_trsm_small_right_deviceIddPKPKdPKPdLi20EEv13rocblas_fill_18rocblas_operation_17rocblas_diagonal_iiT0_T1_lilT2_lili,@function
_ZL31rocblas_trsm_small_right_deviceIddPKPKdPKPdLi20EEv13rocblas_fill_18rocblas_operation_17rocblas_diagonal_iiT0_T1_lilT2_lili: ; @_ZL31rocblas_trsm_small_right_deviceIddPKPKdPKPdLi20EEv13rocblas_fill_18rocblas_operation_17rocblas_diagonal_iiT0_T1_lilT2_lili
; %bb.0:
	s_load_b128 s[16:19], s[0:1], 0x40
	s_mov_b32 s12, s15
	s_mov_b32 s13, 0
	s_clause 0x1
	s_load_b32 s28, s[0:1], 0x10
	s_load_b128 s[4:7], s[0:1], 0x0
	s_lshl_b64 s[22:23], s[12:13], 3
	s_mov_b32 s12, exec_lo
	s_waitcnt lgkmcnt(0)
	s_add_u32 s2, s16, s22
	s_addc_u32 s3, s17, s23
	s_clause 0x1
	s_load_b128 s[8:11], s[0:1], 0x18
	s_load_b64 s[16:17], s[0:1], 0x28
	s_load_b64 s[2:3], s[2:3], 0x0
	s_min_i32 s29, s28, 20
	s_delay_alu instid0(SALU_CYCLE_1)
	s_add_i32 s30, s29, -1
	v_cmpx_gt_i32_e64 s29, v0
	s_cbranch_execz .LBB91_9
; %bb.1:
	s_load_b32 s20, s[0:1], 0x30
	s_waitcnt lgkmcnt(0)
	s_ashr_i32 s21, s20, 31
	s_add_u32 s10, s10, s22
	s_addc_u32 s11, s11, s23
	s_cmp_lt_u32 s30, 3
	s_load_b64 s[10:11], s[10:11], 0x0
	s_cbranch_scc1 .LBB91_4
; %bb.2:
	v_lshlrev_b32_e32 v3, 3, v0
	s_lshl_b64 s[22:23], s[16:17], 3
	s_mul_i32 s31, s20, 24
	s_waitcnt lgkmcnt(0)
	s_add_u32 s13, s10, s22
	s_addc_u32 s15, s11, s23
	v_add_co_u32 v1, s13, s13, v3
	s_delay_alu instid0(VALU_DEP_1)
	v_add_co_ci_u32_e64 v2, null, s15, 0, s13
	s_and_b32 s13, s29, -4
	s_mul_hi_i32 s15, s20, 24
	s_lshl_b64 s[22:23], s[20:21], 5
	s_lshl_b64 s[24:25], s[20:21], 4
	s_lshl_b64 s[26:27], s[20:21], 3
	s_mov_b32 s33, 0
	.p2align	6
.LBB91_3:                               ; =>This Inner Loop Header: Depth=1
	v_add_co_u32 v4, vcc_lo, v1, s26
	v_add_co_ci_u32_e32 v5, vcc_lo, s27, v2, vcc_lo
	v_add_co_u32 v6, vcc_lo, v1, s24
	v_add_co_ci_u32_e32 v7, vcc_lo, s25, v2, vcc_lo
	;; [unrolled: 2-line block ×3, first 2 shown]
	s_clause 0x3
	global_load_b64 v[10:11], v[1:2], off
	global_load_b64 v[4:5], v[4:5], off
	global_load_b64 v[6:7], v[6:7], off
	global_load_b64 v[8:9], v[8:9], off
	v_add_co_u32 v1, vcc_lo, v1, s22
	v_add_co_ci_u32_e32 v2, vcc_lo, s23, v2, vcc_lo
	s_add_i32 s33, s33, 4
	s_waitcnt vmcnt(2)
	ds_store_2addr_b64 v3, v[10:11], v[4:5] offset1:20
	s_waitcnt vmcnt(0)
	ds_store_2addr_b64 v3, v[6:7], v[8:9] offset0:40 offset1:60
	v_add_nc_u32_e32 v3, 0x280, v3
	s_cmp_eq_u32 s13, s33
	s_cbranch_scc0 .LBB91_3
.LBB91_4:
	s_and_b32 s15, s29, 3
	s_delay_alu instid0(SALU_CYCLE_1)
	s_cmp_eq_u32 s15, 0
	s_cbranch_scc1 .LBB91_7
; %bb.5:
	s_mul_i32 s22, s21, s13
	s_mul_hi_u32 s23, s20, s13
	s_lshl_b64 s[16:17], s[16:17], 3
	s_add_i32 s23, s23, s22
	s_mul_i32 s22, s20, s13
	s_mulk_i32 s13, 0xa0
	s_lshl_b64 s[22:23], s[22:23], 3
	v_lshlrev_b32_e32 v1, 3, v0
	v_lshl_add_u32 v3, v0, 3, s13
	s_add_u32 s13, s22, s16
	s_addc_u32 s16, s23, s17
	s_waitcnt lgkmcnt(0)
	s_add_u32 s10, s10, s13
	s_addc_u32 s11, s11, s16
	v_add_co_u32 v1, s10, s10, v1
	s_delay_alu instid0(VALU_DEP_1)
	v_add_co_ci_u32_e64 v2, null, s11, 0, s10
	s_lshl_b64 s[10:11], s[20:21], 3
.LBB91_6:                               ; =>This Inner Loop Header: Depth=1
	global_load_b64 v[4:5], v[1:2], off
	v_add_co_u32 v1, vcc_lo, v1, s10
	v_add_co_ci_u32_e32 v2, vcc_lo, s11, v2, vcc_lo
	s_add_i32 s15, s15, -1
	s_delay_alu instid0(SALU_CYCLE_1)
	s_cmp_lg_u32 s15, 0
	s_waitcnt vmcnt(0)
	ds_store_b64 v3, v[4:5]
	v_add_nc_u32_e32 v3, 0xa0, v3
	s_cbranch_scc1 .LBB91_6
.LBB91_7:
	s_cmpk_eq_i32 s6, 0x84
	s_cbranch_scc0 .LBB91_9
; %bb.8:
	v_mul_u32_u24_e32 v2, 21, v0
	v_mov_b32_e32 v1, 0
	s_delay_alu instid0(VALU_DEP_2)
	v_dual_mov_b32 v2, 0x3ff00000 :: v_dual_lshlrev_b32 v3, 3, v2
	ds_store_b64 v3, v[1:2]
.LBB91_9:
	s_or_b32 exec_lo, exec_lo, s12
	s_clause 0x1
	s_load_b32 s6, s[0:1], 0x68
	s_load_b32 s0, s[0:1], 0x50
	s_waitcnt lgkmcnt(0)
	s_lshl_b64 s[10:11], s[18:19], 3
	s_mul_i32 s13, s14, 0xffffffec
	s_add_u32 s1, s2, s10
	s_addc_u32 s12, s3, s11
	s_add_i32 s13, s13, s7
	s_mul_i32 s16, s14, 0xa0
	s_mul_hi_i32 s17, s14, 0xa0
	s_mov_b32 s22, 0
	s_add_i32 s6, s6, -1
	s_delay_alu instid0(SALU_CYCLE_1)
	s_cmp_ge_u32 s14, s6
	s_cselect_b32 s6, s13, 20
	s_add_u32 s18, s1, s16
	s_addc_u32 s19, s12, s17
	v_cmp_gt_i32_e32 vcc_lo, s6, v0
	s_cmp_gt_i32 s28, 0
	s_cselect_b32 s1, -1, 0
	s_delay_alu instid0(SALU_CYCLE_1) | instskip(NEXT) | instid1(SALU_CYCLE_1)
	s_and_b32 s20, vcc_lo, s1
	s_and_saveexec_b32 s21, s20
	s_cbranch_execz .LBB91_16
; %bb.10:
	s_ashr_i32 s1, s0, 31
	s_cmp_lt_u32 s28, 4
	s_cbranch_scc1 .LBB91_13
; %bb.11:
	v_lshlrev_b32_e32 v1, 3, v0
	v_lshl_add_u32 v3, v0, 3, 0xc80
	s_and_b32 s22, s28, 0x7ffffffc
	s_mul_hi_i32 s23, s0, 24
	s_mul_i32 s24, s0, 24
	v_add_co_u32 v1, s6, s18, v1
	s_delay_alu instid0(VALU_DEP_1)
	v_add_co_ci_u32_e64 v2, null, s19, 0, s6
	s_lshl_b64 s[6:7], s[0:1], 5
	s_lshl_b64 s[12:13], s[0:1], 4
	;; [unrolled: 1-line block ×3, first 2 shown]
	s_mov_b32 s25, 0
	s_set_inst_prefetch_distance 0x1
	.p2align	6
.LBB91_12:                              ; =>This Inner Loop Header: Depth=1
	v_add_co_u32 v4, vcc_lo, v1, s14
	v_add_co_ci_u32_e32 v5, vcc_lo, s15, v2, vcc_lo
	v_add_co_u32 v6, vcc_lo, v1, s12
	v_add_co_ci_u32_e32 v7, vcc_lo, s13, v2, vcc_lo
	;; [unrolled: 2-line block ×3, first 2 shown]
	s_clause 0x3
	global_load_b64 v[10:11], v[1:2], off
	global_load_b64 v[4:5], v[4:5], off
	;; [unrolled: 1-line block ×4, first 2 shown]
	v_add_co_u32 v1, vcc_lo, v1, s6
	v_add_co_ci_u32_e32 v2, vcc_lo, s7, v2, vcc_lo
	s_add_i32 s25, s25, 4
	s_delay_alu instid0(SALU_CYCLE_1)
	s_cmp_lg_u32 s22, s25
	s_waitcnt vmcnt(3)
	v_mul_f64 v[10:11], v[10:11], s[8:9]
	s_waitcnt vmcnt(2)
	v_mul_f64 v[4:5], v[4:5], s[8:9]
	;; [unrolled: 2-line block ×4, first 2 shown]
	ds_store_2addr_b64 v3, v[10:11], v[4:5] offset1:20
	ds_store_2addr_b64 v3, v[6:7], v[8:9] offset0:40 offset1:60
	v_add_nc_u32_e32 v3, 0x280, v3
	s_cbranch_scc1 .LBB91_12
.LBB91_13:
	s_set_inst_prefetch_distance 0x2
	s_and_b32 s12, s28, 3
	s_delay_alu instid0(SALU_CYCLE_1)
	s_cmp_eq_u32 s12, 0
	s_cbranch_scc1 .LBB91_16
; %bb.14:
	s_mul_hi_i32 s7, s0, s22
	s_mul_i32 s6, s0, s22
	v_lshlrev_b32_e32 v1, 3, v0
	s_lshl_b64 s[6:7], s[6:7], 3
	s_mul_i32 s13, s22, 0xa0
	s_add_u32 s6, s6, s16
	s_addc_u32 s7, s7, s17
	s_add_u32 s6, s6, s10
	s_addc_u32 s7, s7, s11
	s_add_u32 s6, s2, s6
	v_add3_u32 v3, s13, v1, 0xc80
	s_addc_u32 s7, s3, s7
	v_add_co_u32 v1, s6, s6, v1
	s_delay_alu instid0(VALU_DEP_1)
	v_add_co_ci_u32_e64 v2, null, s7, 0, s6
	s_lshl_b64 s[6:7], s[0:1], 3
.LBB91_15:                              ; =>This Inner Loop Header: Depth=1
	global_load_b64 v[4:5], v[1:2], off
	v_add_co_u32 v1, vcc_lo, v1, s6
	v_add_co_ci_u32_e32 v2, vcc_lo, s7, v2, vcc_lo
	s_add_i32 s12, s12, -1
	s_delay_alu instid0(SALU_CYCLE_1)
	s_cmp_lg_u32 s12, 0
	s_waitcnt vmcnt(0)
	v_mul_f64 v[4:5], v[4:5], s[8:9]
	ds_store_b64 v3, v[4:5]
	v_add_nc_u32_e32 v3, 0xa0, v3
	s_cbranch_scc1 .LBB91_15
.LBB91_16:
	s_or_b32 exec_lo, exec_lo, s21
	s_cmpk_eq_i32 s5, 0x6f
	s_waitcnt lgkmcnt(0)
	s_cselect_b32 s1, -1, 0
	s_cmpk_eq_i32 s4, 0x79
	; wave barrier
	buffer_gl0_inv
	s_cselect_b32 s6, -1, 0
	s_cmpk_lg_i32 s4, 0x79
	s_cselect_b32 s5, -1, 0
	s_and_b32 s6, s6, s1
	s_delay_alu instid0(SALU_CYCLE_1)
	s_and_not1_b32 vcc_lo, exec_lo, s6
	s_mov_b32 s6, -1
	s_cbranch_vccz .LBB91_80
; %bb.17:
	s_cmpk_lg_i32 s4, 0x7a
	s_cselect_b32 s4, -1, 0
	s_xor_b32 s1, s1, -1
	s_delay_alu instid0(SALU_CYCLE_1)
	s_or_b32 s4, s4, s1
	s_cmp_gt_i32 s28, 3
	s_cselect_b32 s1, -1, 0
	s_and_b32 vcc_lo, exec_lo, s4
	s_mov_b32 s4, -1
	s_cbranch_vccz .LBB91_59
; %bb.18:
	s_and_not1_b32 vcc_lo, exec_lo, s5
	s_cbranch_vccnz .LBB91_38
; %bb.19:
	s_and_not1_b32 vcc_lo, exec_lo, s1
	s_mov_b32 s6, 0
	s_cbranch_vccnz .LBB91_26
; %bb.20:
	v_lshl_add_u32 v9, v0, 3, 0xc80
	s_mov_b32 s4, 0
	s_mov_b32 s5, 0
.LBB91_21:                              ; =>This Loop Header: Depth=1
                                        ;     Child Loop BB91_23 Depth 2
	s_delay_alu instid0(SALU_CYCLE_1) | instskip(NEXT) | instid1(SALU_CYCLE_1)
	s_mul_i32 s7, s5, 20
	s_add_i32 s6, s7, 40
	v_add_lshl_u32 v11, s7, v0, 3
	v_add_lshl_u32 v10, s6, v0, 3
	s_add_i32 s6, s7, 20
	s_cmp_eq_u32 s5, 0
	v_add_lshl_u32 v12, s6, v0, 3
	s_delay_alu instid0(VALU_DEP_2)
	v_add_nc_u32_e32 v1, 0x800, v10
	ds_load_b64 v[7:8], v11 offset:3200
	ds_load_b64 v[5:6], v12 offset:3200
	ds_load_2addr_b64 v[1:4], v1 offset0:144 offset1:164
	s_cbranch_scc1 .LBB91_24
; %bb.22:                               ;   in Loop: Header=BB91_21 Depth=1
	v_mov_b32_e32 v13, v9
	s_mov_b32 s7, 0
	s_mov_b32 s8, s4
.LBB91_23:                              ;   Parent Loop BB91_21 Depth=1
                                        ; =>  This Inner Loop Header: Depth=2
	s_delay_alu instid0(SALU_CYCLE_1)
	v_mov_b32_e32 v28, s8
	s_add_i32 s7, s7, 4
	s_addk_i32 s8, 0x280
	s_cmp_ge_u32 s7, s5
	ds_load_2addr_b64 v[14:17], v13 offset1:20
	ds_load_b128 v[18:21], v28
	ds_load_b128 v[22:25], v28 offset:16
	s_waitcnt lgkmcnt(1)
	v_fma_f64 v[18:19], -v[14:15], v[18:19], v[7:8]
	v_fma_f64 v[20:21], -v[14:15], v[20:21], v[5:6]
	s_waitcnt lgkmcnt(0)
	v_fma_f64 v[22:23], -v[14:15], v[22:23], v[1:2]
	v_fma_f64 v[14:15], -v[14:15], v[24:25], v[3:4]
	ds_load_b128 v[1:4], v28 offset:160
	ds_load_b128 v[5:8], v28 offset:176
	s_waitcnt lgkmcnt(1)
	v_fma_f64 v[18:19], -v[16:17], v[1:2], v[18:19]
	v_fma_f64 v[20:21], -v[16:17], v[3:4], v[20:21]
	s_waitcnt lgkmcnt(0)
	v_fma_f64 v[22:23], -v[16:17], v[5:6], v[22:23]
	v_fma_f64 v[24:25], -v[16:17], v[7:8], v[14:15]
	ds_load_2addr_b64 v[1:4], v13 offset0:40 offset1:60
	ds_load_b128 v[5:8], v28 offset:320
	ds_load_b128 v[14:17], v28 offset:336
	v_add_nc_u32_e32 v13, 0x280, v13
	s_waitcnt lgkmcnt(1)
	v_fma_f64 v[5:6], -v[1:2], v[5:6], v[18:19]
	v_fma_f64 v[26:27], -v[1:2], v[7:8], v[20:21]
	s_waitcnt lgkmcnt(0)
	v_fma_f64 v[22:23], -v[1:2], v[14:15], v[22:23]
	v_fma_f64 v[24:25], -v[1:2], v[16:17], v[24:25]
	ds_load_b128 v[14:17], v28 offset:480
	ds_load_b128 v[18:21], v28 offset:496
	s_waitcnt lgkmcnt(1)
	v_fma_f64 v[7:8], -v[3:4], v[14:15], v[5:6]
	v_fma_f64 v[5:6], -v[3:4], v[16:17], v[26:27]
	s_waitcnt lgkmcnt(0)
	v_fma_f64 v[1:2], -v[3:4], v[18:19], v[22:23]
	v_fma_f64 v[3:4], -v[3:4], v[20:21], v[24:25]
	s_cbranch_scc0 .LBB91_23
.LBB91_24:                              ;   in Loop: Header=BB91_21 Depth=1
	s_mul_i32 s7, s5, 0xa8
	s_delay_alu instid0(SALU_CYCLE_1)
	v_dual_mov_b32 v33, s7 :: v_dual_add_nc_u32 v12, 0xc80, v12
	s_add_i32 s6, s6, s5
	v_add_nc_u32_e32 v11, 0xc80, v11
	s_lshl_b32 s6, s6, 3
	v_add_nc_u32_e32 v10, 0xc80, v10
	ds_load_b128 v[13:16], v33
	ds_load_b128 v[17:20], v33 offset:16
	s_add_i32 s4, s4, 32
	s_waitcnt lgkmcnt(1)
	v_div_scale_f64 v[21:22], null, v[13:14], v[13:14], v[7:8]
	v_div_scale_f64 v[27:28], vcc_lo, v[7:8], v[13:14], v[7:8]
	s_delay_alu instid0(VALU_DEP_2) | instskip(SKIP_2) | instid1(VALU_DEP_1)
	v_rcp_f64_e32 v[23:24], v[21:22]
	s_waitcnt_depctr 0xfff
	v_fma_f64 v[25:26], -v[21:22], v[23:24], 1.0
	v_fma_f64 v[23:24], v[23:24], v[25:26], v[23:24]
	s_delay_alu instid0(VALU_DEP_1) | instskip(NEXT) | instid1(VALU_DEP_1)
	v_fma_f64 v[25:26], -v[21:22], v[23:24], 1.0
	v_fma_f64 v[23:24], v[23:24], v[25:26], v[23:24]
	s_delay_alu instid0(VALU_DEP_1) | instskip(NEXT) | instid1(VALU_DEP_1)
	v_mul_f64 v[25:26], v[27:28], v[23:24]
	v_fma_f64 v[21:22], -v[21:22], v[25:26], v[27:28]
	s_delay_alu instid0(VALU_DEP_1) | instskip(NEXT) | instid1(VALU_DEP_1)
	v_div_fmas_f64 v[21:22], v[21:22], v[23:24], v[25:26]
	v_div_fixup_f64 v[21:22], v[21:22], v[13:14], v[7:8]
	s_delay_alu instid0(VALU_DEP_1)
	v_fma_f64 v[23:24], -v[21:22], v[15:16], v[5:6]
	ds_load_2addr_b64 v[5:8], v33 offset0:21 offset1:22
	ds_load_b128 v[13:16], v33 offset:336
	s_waitcnt lgkmcnt(2)
	v_fma_f64 v[1:2], -v[21:22], v[17:18], v[1:2]
	v_fma_f64 v[3:4], -v[21:22], v[19:20], v[3:4]
	s_waitcnt lgkmcnt(1)
	v_div_scale_f64 v[25:26], null, v[5:6], v[5:6], v[23:24]
	v_div_scale_f64 v[31:32], vcc_lo, v[23:24], v[5:6], v[23:24]
	s_delay_alu instid0(VALU_DEP_2) | instskip(SKIP_2) | instid1(VALU_DEP_1)
	v_rcp_f64_e32 v[27:28], v[25:26]
	s_waitcnt_depctr 0xfff
	v_fma_f64 v[29:30], -v[25:26], v[27:28], 1.0
	v_fma_f64 v[27:28], v[27:28], v[29:30], v[27:28]
	s_delay_alu instid0(VALU_DEP_1) | instskip(NEXT) | instid1(VALU_DEP_1)
	v_fma_f64 v[29:30], -v[25:26], v[27:28], 1.0
	v_fma_f64 v[27:28], v[27:28], v[29:30], v[27:28]
	s_delay_alu instid0(VALU_DEP_1) | instskip(NEXT) | instid1(VALU_DEP_1)
	v_mul_f64 v[29:30], v[31:32], v[27:28]
	v_fma_f64 v[25:26], -v[25:26], v[29:30], v[31:32]
	s_delay_alu instid0(VALU_DEP_1) | instskip(NEXT) | instid1(VALU_DEP_1)
	v_div_fmas_f64 v[25:26], v[25:26], v[27:28], v[29:30]
	v_div_fixup_f64 v[5:6], v[25:26], v[5:6], v[23:24]
	s_delay_alu instid0(VALU_DEP_1) | instskip(SKIP_1) | instid1(VALU_DEP_1)
	v_fma_f64 v[1:2], -v[5:6], v[7:8], v[1:2]
	s_waitcnt lgkmcnt(0)
	v_div_scale_f64 v[7:8], null, v[13:14], v[13:14], v[1:2]
	v_div_scale_f64 v[25:26], vcc_lo, v[1:2], v[13:14], v[1:2]
	s_delay_alu instid0(VALU_DEP_2) | instskip(SKIP_2) | instid1(VALU_DEP_1)
	v_rcp_f64_e32 v[17:18], v[7:8]
	s_waitcnt_depctr 0xfff
	v_fma_f64 v[23:24], -v[7:8], v[17:18], 1.0
	v_fma_f64 v[17:18], v[17:18], v[23:24], v[17:18]
	s_delay_alu instid0(VALU_DEP_1) | instskip(NEXT) | instid1(VALU_DEP_1)
	v_fma_f64 v[23:24], -v[7:8], v[17:18], 1.0
	v_fma_f64 v[17:18], v[17:18], v[23:24], v[17:18]
	s_delay_alu instid0(VALU_DEP_1) | instskip(NEXT) | instid1(VALU_DEP_1)
	v_mul_f64 v[23:24], v[25:26], v[17:18]
	v_fma_f64 v[7:8], -v[7:8], v[23:24], v[25:26]
	s_delay_alu instid0(VALU_DEP_1)
	v_div_fmas_f64 v[7:8], v[7:8], v[17:18], v[23:24]
	v_mov_b32_e32 v17, s6
	s_add_i32 s6, s5, 4
	s_add_i32 s5, s5, 7
	ds_load_b64 v[17:18], v17 offset:24
	ds_load_b64 v[19:20], v33 offset:504
	s_cmp_ge_i32 s5, s29
	s_waitcnt lgkmcnt(1)
	v_fma_f64 v[3:4], -v[5:6], v[17:18], v[3:4]
	v_div_fixup_f64 v[1:2], v[7:8], v[13:14], v[1:2]
	s_delay_alu instid0(VALU_DEP_1) | instskip(SKIP_1) | instid1(VALU_DEP_1)
	v_fma_f64 v[3:4], -v[1:2], v[15:16], v[3:4]
	s_waitcnt lgkmcnt(0)
	v_div_scale_f64 v[7:8], null, v[19:20], v[19:20], v[3:4]
	s_delay_alu instid0(VALU_DEP_1) | instskip(SKIP_2) | instid1(VALU_DEP_1)
	v_rcp_f64_e32 v[13:14], v[7:8]
	s_waitcnt_depctr 0xfff
	v_fma_f64 v[15:16], -v[7:8], v[13:14], 1.0
	v_fma_f64 v[13:14], v[13:14], v[15:16], v[13:14]
	s_delay_alu instid0(VALU_DEP_1) | instskip(NEXT) | instid1(VALU_DEP_1)
	v_fma_f64 v[15:16], -v[7:8], v[13:14], 1.0
	v_fma_f64 v[13:14], v[13:14], v[15:16], v[13:14]
	v_div_scale_f64 v[15:16], vcc_lo, v[3:4], v[19:20], v[3:4]
	s_delay_alu instid0(VALU_DEP_1) | instskip(NEXT) | instid1(VALU_DEP_1)
	v_mul_f64 v[17:18], v[15:16], v[13:14]
	v_fma_f64 v[7:8], -v[7:8], v[17:18], v[15:16]
	s_delay_alu instid0(VALU_DEP_1) | instskip(NEXT) | instid1(VALU_DEP_1)
	v_div_fmas_f64 v[7:8], v[7:8], v[13:14], v[17:18]
	v_div_fixup_f64 v[3:4], v[7:8], v[19:20], v[3:4]
	ds_store_b64 v11, v[21:22]
	ds_store_b64 v12, v[5:6]
	ds_store_2addr_b64 v10, v[1:2], v[3:4] offset1:20
	s_cbranch_scc1 .LBB91_26
; %bb.25:                               ;   in Loop: Header=BB91_21 Depth=1
	s_mov_b32 s5, s6
	s_branch .LBB91_21
.LBB91_26:
	s_cmp_ge_i32 s6, s29
	s_cbranch_scc1 .LBB91_37
; %bb.27:
	v_lshl_add_u32 v3, v0, 3, 0xc80
	s_add_i32 s4, s6, -1
	s_lshl_b32 s5, s6, 3
	s_mov_b32 s7, 0
	s_mov_b32 s8, s6
	s_branch .LBB91_29
.LBB91_28:                              ;   in Loop: Header=BB91_29 Depth=1
	s_mul_i32 s9, s6, 0xa8
	s_delay_alu instid0(SALU_CYCLE_1)
	v_dual_mov_b32 v5, s9 :: v_dual_add_nc_u32 v4, 0xc80, v4
	s_add_i32 s6, s6, 1
	s_add_i32 s7, s7, 1
	;; [unrolled: 1-line block ×3, first 2 shown]
	s_cmp_ge_i32 s6, s29
	ds_load_b64 v[5:6], v5
	s_waitcnt lgkmcnt(0)
	v_div_scale_f64 v[7:8], null, v[5:6], v[5:6], v[1:2]
	s_delay_alu instid0(VALU_DEP_1) | instskip(SKIP_2) | instid1(VALU_DEP_1)
	v_rcp_f64_e32 v[9:10], v[7:8]
	s_waitcnt_depctr 0xfff
	v_fma_f64 v[11:12], -v[7:8], v[9:10], 1.0
	v_fma_f64 v[9:10], v[9:10], v[11:12], v[9:10]
	s_delay_alu instid0(VALU_DEP_1) | instskip(NEXT) | instid1(VALU_DEP_1)
	v_fma_f64 v[11:12], -v[7:8], v[9:10], 1.0
	v_fma_f64 v[9:10], v[9:10], v[11:12], v[9:10]
	v_div_scale_f64 v[11:12], vcc_lo, v[1:2], v[5:6], v[1:2]
	s_delay_alu instid0(VALU_DEP_1) | instskip(NEXT) | instid1(VALU_DEP_1)
	v_mul_f64 v[13:14], v[11:12], v[9:10]
	v_fma_f64 v[7:8], -v[7:8], v[13:14], v[11:12]
	s_delay_alu instid0(VALU_DEP_1) | instskip(NEXT) | instid1(VALU_DEP_1)
	v_div_fmas_f64 v[7:8], v[7:8], v[9:10], v[13:14]
	v_div_fixup_f64 v[1:2], v[7:8], v[5:6], v[1:2]
	v_add_nc_u16 v5, s8, 1
	s_delay_alu instid0(VALU_DEP_1)
	v_readfirstlane_b32 s8, v5
	ds_store_b64 v4, v[1:2]
	s_cbranch_scc1 .LBB91_37
.LBB91_29:                              ; =>This Loop Header: Depth=1
                                        ;     Child Loop BB91_32 Depth 2
                                        ;     Child Loop BB91_36 Depth 2
	s_mul_i32 s9, s6, 20
	s_cmp_eq_u32 s6, 0
	v_add_lshl_u32 v4, s9, v0, 3
	ds_load_b64 v[1:2], v4 offset:3200
	s_cbranch_scc1 .LBB91_28
; %bb.30:                               ;   in Loop: Header=BB91_29 Depth=1
	s_add_i32 s9, s4, s7
	s_delay_alu instid0(SALU_CYCLE_1)
	s_cmp_lt_u32 s9, 7
	s_cbranch_scc1 .LBB91_34
; %bb.31:                               ;   in Loop: Header=BB91_29 Depth=1
	v_mov_b32_e32 v5, v3
	s_and_b32 s9, s6, -8
	s_mov_b32 s12, 0
	s_mov_b32 s13, s5
	s_set_inst_prefetch_distance 0x1
	.p2align	6
.LBB91_32:                              ;   Parent Loop BB91_29 Depth=1
                                        ; =>  This Inner Loop Header: Depth=2
	v_mov_b32_e32 v14, s13
	s_add_i32 s12, s12, 8
	s_addk_i32 s13, 0x500
	s_cmp_eq_u32 s9, s12
	ds_load_2addr_b64 v[6:9], v5 offset1:20
	ds_load_2addr_b64 v[10:13], v14 offset1:20
	s_waitcnt lgkmcnt(0)
	v_fma_f64 v[1:2], -v[6:7], v[10:11], v[1:2]
	s_delay_alu instid0(VALU_DEP_1) | instskip(SKIP_4) | instid1(VALU_DEP_1)
	v_fma_f64 v[1:2], -v[8:9], v[12:13], v[1:2]
	ds_load_2addr_b64 v[6:9], v5 offset0:40 offset1:60
	ds_load_2addr_b64 v[10:13], v14 offset0:40 offset1:60
	s_waitcnt lgkmcnt(0)
	v_fma_f64 v[1:2], -v[6:7], v[10:11], v[1:2]
	v_fma_f64 v[1:2], -v[8:9], v[12:13], v[1:2]
	ds_load_2addr_b64 v[6:9], v5 offset0:80 offset1:100
	ds_load_2addr_b64 v[10:13], v14 offset0:80 offset1:100
	s_waitcnt lgkmcnt(0)
	v_fma_f64 v[1:2], -v[6:7], v[10:11], v[1:2]
	s_delay_alu instid0(VALU_DEP_1)
	v_fma_f64 v[1:2], -v[8:9], v[12:13], v[1:2]
	ds_load_2addr_b64 v[6:9], v5 offset0:120 offset1:140
	ds_load_2addr_b64 v[10:13], v14 offset0:120 offset1:140
	v_add_nc_u32_e32 v5, 0x500, v5
	s_waitcnt lgkmcnt(0)
	v_fma_f64 v[1:2], -v[6:7], v[10:11], v[1:2]
	s_delay_alu instid0(VALU_DEP_1)
	v_fma_f64 v[1:2], -v[8:9], v[12:13], v[1:2]
	s_cbranch_scc0 .LBB91_32
; %bb.33:                               ;   in Loop: Header=BB91_29 Depth=1
	s_set_inst_prefetch_distance 0x2
	s_and_b32 s12, s6, 7
	s_delay_alu instid0(SALU_CYCLE_1)
	s_cmp_eq_u32 s12, 0
	s_cbranch_scc0 .LBB91_35
	s_branch .LBB91_28
.LBB91_34:                              ;   in Loop: Header=BB91_29 Depth=1
	s_mov_b32 s9, 0
	s_and_b32 s12, s6, 7
	s_delay_alu instid0(SALU_CYCLE_1)
	s_cmp_eq_u32 s12, 0
	s_cbranch_scc1 .LBB91_28
.LBB91_35:                              ;   in Loop: Header=BB91_29 Depth=1
	s_and_b32 s12, s8, 7
	s_mulk_i32 s9, 0xa0
.LBB91_36:                              ;   Parent Loop BB91_29 Depth=1
                                        ; =>  This Inner Loop Header: Depth=2
	s_delay_alu instid0(SALU_CYCLE_1)
	s_add_i32 s13, s5, s9
	v_add_nc_u32_e32 v5, s9, v3
	v_mov_b32_e32 v7, s13
	s_add_i32 s12, s12, -1
	s_addk_i32 s9, 0xa0
	s_cmp_lg_u32 s12, 0
	ds_load_b64 v[5:6], v5
	ds_load_b64 v[7:8], v7
	s_waitcnt lgkmcnt(0)
	v_fma_f64 v[1:2], -v[5:6], v[7:8], v[1:2]
	s_cbranch_scc1 .LBB91_36
	s_branch .LBB91_28
.LBB91_37:
	s_mov_b32 s4, 0
.LBB91_38:
	s_delay_alu instid0(SALU_CYCLE_1)
	s_and_b32 vcc_lo, exec_lo, s4
	s_cbranch_vccz .LBB91_58
; %bb.39:
	s_and_not1_b32 vcc_lo, exec_lo, s1
	s_mov_b32 s6, s30
	s_cbranch_vccnz .LBB91_45
; %bb.40:
	v_lshlrev_b32_e32 v1, 3, v0
	s_mul_i32 s4, s29, 0xa0
	s_mov_b32 s5, s30
	s_delay_alu instid0(VALU_DEP_1) | instskip(SKIP_1) | instid1(SALU_CYCLE_1)
	v_add3_u32 v9, s4, v1, 0xa00
	s_mul_i32 s4, s29, 0xa8
	s_addk_i32 s4, 0xfd60
.LBB91_41:                              ; =>This Loop Header: Depth=1
                                        ;     Child Loop BB91_42 Depth 2
	s_mul_i32 s8, s5, 20
	s_delay_alu instid0(VALU_DEP_1)
	v_mov_b32_e32 v13, v9
	s_sub_i32 s6, s8, 40
	s_sub_i32 s7, s8, 20
	v_add_lshl_u32 v10, s6, v0, 3
	v_add_lshl_u32 v11, s8, v0, 3
	;; [unrolled: 1-line block ×3, first 2 shown]
	s_cmp_le_i32 s30, s5
	s_mov_b32 s9, s4
	v_add_nc_u32_e32 v1, 0x800, v10
	s_mov_b32 s12, s30
	ds_load_b64 v[7:8], v11 offset:3200
	ds_load_b64 v[5:6], v12 offset:3200
	ds_load_2addr_b64 v[1:4], v1 offset0:124 offset1:144
	s_cbranch_scc1 .LBB91_43
.LBB91_42:                              ;   Parent Loop BB91_41 Depth=1
                                        ; =>  This Inner Loop Header: Depth=2
	v_mov_b32_e32 v26, s9
	s_add_i32 s12, s12, -4
	s_addk_i32 s9, 0xfd80
	s_cmp_le_i32 s12, s5
	ds_load_2addr_b64 v[14:17], v13 offset0:40 offset1:60
	ds_load_2addr_b64 v[18:21], v26 offset0:62 offset1:63
	;; [unrolled: 1-line block ×3, first 2 shown]
	s_waitcnt lgkmcnt(1)
	v_fma_f64 v[20:21], -v[16:17], v[20:21], v[7:8]
	v_fma_f64 v[18:19], -v[16:17], v[18:19], v[5:6]
	s_waitcnt lgkmcnt(0)
	v_fma_f64 v[24:25], -v[16:17], v[24:25], v[3:4]
	v_fma_f64 v[16:17], -v[16:17], v[22:23], v[1:2]
	ds_load_2addr_b64 v[1:4], v26 offset0:42 offset1:43
	ds_load_2addr_b64 v[5:8], v26 offset0:40 offset1:41
	s_waitcnt lgkmcnt(1)
	v_fma_f64 v[20:21], -v[14:15], v[3:4], v[20:21]
	v_fma_f64 v[18:19], -v[14:15], v[1:2], v[18:19]
	s_waitcnt lgkmcnt(0)
	v_fma_f64 v[22:23], -v[14:15], v[7:8], v[24:25]
	v_fma_f64 v[24:25], -v[14:15], v[5:6], v[16:17]
	ds_load_2addr_b64 v[1:4], v13 offset1:20
	ds_load_2addr_b64 v[5:8], v26 offset0:22 offset1:23
	ds_load_2addr_b64 v[14:17], v26 offset0:20 offset1:21
	v_add_nc_u32_e32 v13, 0xfffffd80, v13
	s_waitcnt lgkmcnt(1)
	v_fma_f64 v[7:8], -v[3:4], v[7:8], v[20:21]
	v_fma_f64 v[18:19], -v[3:4], v[5:6], v[18:19]
	s_waitcnt lgkmcnt(0)
	v_fma_f64 v[20:21], -v[3:4], v[16:17], v[22:23]
	v_fma_f64 v[22:23], -v[3:4], v[14:15], v[24:25]
	ds_load_2addr_b64 v[3:6], v26 offset0:2 offset1:3
	ds_load_2addr_b64 v[14:17], v26 offset1:1
	s_waitcnt lgkmcnt(1)
	v_fma_f64 v[7:8], -v[1:2], v[5:6], v[7:8]
	v_fma_f64 v[5:6], -v[1:2], v[3:4], v[18:19]
	s_waitcnt lgkmcnt(0)
	v_fma_f64 v[3:4], -v[1:2], v[16:17], v[20:21]
	v_fma_f64 v[1:2], -v[1:2], v[14:15], v[22:23]
	s_cbranch_scc0 .LBB91_42
.LBB91_43:                              ;   in Loop: Header=BB91_41 Depth=1
	s_add_i32 s9, s5, s8
	s_sub_i32 s4, s4, 32
	s_lshl_b32 s9, s9, 3
	s_delay_alu instid0(SALU_CYCLE_1) | instskip(NEXT) | instid1(SALU_CYCLE_1)
	s_add_i32 s9, s9, -8
	v_dual_mov_b32 v14, s9 :: v_dual_add_nc_u32 v11, 0xc80, v11
	s_mul_i32 s9, s5, 0xa8
	s_delay_alu instid0(SALU_CYCLE_1) | instskip(NEXT) | instid1(SALU_CYCLE_1)
	s_add_i32 s12, s9, 0xffffff58
	v_dual_mov_b32 v18, s12 :: v_dual_add_nc_u32 v13, 0xc80, v10
	ds_load_2addr_b64 v[14:17], v14 offset1:1
	s_add_i32 s12, s5, -3
	v_add_nc_u32_e32 v10, 0xbe0, v10
	s_add_i32 s8, s8, s12
	ds_load_b64 v[18:19], v18
	s_lshl_b32 s8, s8, 3
	v_add_nc_u32_e32 v12, 0xc80, v12
	s_add_i32 s7, s7, s12
	s_add_i32 s6, s6, s12
	s_lshl_b32 s7, s7, 3
	s_lshl_b32 s6, s6, 3
	s_waitcnt lgkmcnt(1)
	v_div_scale_f64 v[20:21], null, v[16:17], v[16:17], v[7:8]
	v_div_scale_f64 v[26:27], vcc_lo, v[7:8], v[16:17], v[7:8]
	s_delay_alu instid0(VALU_DEP_2) | instskip(SKIP_2) | instid1(VALU_DEP_1)
	v_rcp_f64_e32 v[22:23], v[20:21]
	s_waitcnt_depctr 0xfff
	v_fma_f64 v[24:25], -v[20:21], v[22:23], 1.0
	v_fma_f64 v[22:23], v[22:23], v[24:25], v[22:23]
	s_delay_alu instid0(VALU_DEP_1) | instskip(NEXT) | instid1(VALU_DEP_1)
	v_fma_f64 v[24:25], -v[20:21], v[22:23], 1.0
	v_fma_f64 v[22:23], v[22:23], v[24:25], v[22:23]
	s_delay_alu instid0(VALU_DEP_1) | instskip(NEXT) | instid1(VALU_DEP_1)
	v_mul_f64 v[24:25], v[26:27], v[22:23]
	v_fma_f64 v[20:21], -v[20:21], v[24:25], v[26:27]
	s_delay_alu instid0(VALU_DEP_1) | instskip(NEXT) | instid1(VALU_DEP_1)
	v_div_fmas_f64 v[20:21], v[20:21], v[22:23], v[24:25]
	v_div_fixup_f64 v[20:21], v[20:21], v[16:17], v[7:8]
	s_delay_alu instid0(VALU_DEP_1) | instskip(SKIP_1) | instid1(VALU_DEP_1)
	v_fma_f64 v[22:23], -v[20:21], v[14:15], v[5:6]
	s_waitcnt lgkmcnt(0)
	v_div_scale_f64 v[5:6], null, v[18:19], v[18:19], v[22:23]
	v_div_scale_f64 v[16:17], vcc_lo, v[22:23], v[18:19], v[22:23]
	s_delay_alu instid0(VALU_DEP_2) | instskip(SKIP_2) | instid1(VALU_DEP_1)
	v_rcp_f64_e32 v[7:8], v[5:6]
	s_waitcnt_depctr 0xfff
	v_fma_f64 v[14:15], -v[5:6], v[7:8], 1.0
	v_fma_f64 v[7:8], v[7:8], v[14:15], v[7:8]
	s_delay_alu instid0(VALU_DEP_1) | instskip(NEXT) | instid1(VALU_DEP_1)
	v_fma_f64 v[14:15], -v[5:6], v[7:8], 1.0
	v_fma_f64 v[7:8], v[7:8], v[14:15], v[7:8]
	s_delay_alu instid0(VALU_DEP_1) | instskip(NEXT) | instid1(VALU_DEP_1)
	v_mul_f64 v[14:15], v[16:17], v[7:8]
	v_fma_f64 v[5:6], -v[5:6], v[14:15], v[16:17]
	s_delay_alu instid0(VALU_DEP_1)
	v_div_fmas_f64 v[24:25], v[5:6], v[7:8], v[14:15]
	v_dual_mov_b32 v5, s8 :: v_dual_mov_b32 v14, s7
	ds_load_2addr_b64 v[5:8], v5 offset1:1
	ds_load_2addr_b64 v[14:17], v14 offset1:1
	s_waitcnt lgkmcnt(1)
	v_fma_f64 v[3:4], -v[20:21], v[7:8], v[3:4]
	v_fma_f64 v[1:2], -v[20:21], v[5:6], v[1:2]
	v_div_fixup_f64 v[7:8], v[24:25], v[18:19], v[22:23]
	s_waitcnt lgkmcnt(0)
	s_delay_alu instid0(VALU_DEP_1) | instskip(SKIP_2) | instid1(VALU_DEP_4)
	v_fma_f64 v[3:4], -v[7:8], v[16:17], v[3:4]
	v_mov_b32_e32 v16, s6
	s_add_i32 s6, s9, 0xfffffe08
	v_fma_f64 v[1:2], -v[7:8], v[14:15], v[1:2]
	v_mov_b32_e32 v22, s6
	s_add_i32 s6, s5, -4
	ds_load_2addr_b64 v[16:19], v16 offset1:1
	s_cmp_lt_i32 s5, 7
	ds_load_b64 v[22:23], v22
	s_waitcnt lgkmcnt(1)
	v_div_scale_f64 v[24:25], null, v[18:19], v[18:19], v[3:4]
	v_div_scale_f64 v[30:31], vcc_lo, v[3:4], v[18:19], v[3:4]
	s_delay_alu instid0(VALU_DEP_2) | instskip(SKIP_2) | instid1(VALU_DEP_1)
	v_rcp_f64_e32 v[26:27], v[24:25]
	s_waitcnt_depctr 0xfff
	v_fma_f64 v[28:29], -v[24:25], v[26:27], 1.0
	v_fma_f64 v[26:27], v[26:27], v[28:29], v[26:27]
	s_delay_alu instid0(VALU_DEP_1) | instskip(NEXT) | instid1(VALU_DEP_1)
	v_fma_f64 v[28:29], -v[24:25], v[26:27], 1.0
	v_fma_f64 v[26:27], v[26:27], v[28:29], v[26:27]
	s_delay_alu instid0(VALU_DEP_1) | instskip(NEXT) | instid1(VALU_DEP_1)
	v_mul_f64 v[28:29], v[30:31], v[26:27]
	v_fma_f64 v[24:25], -v[24:25], v[28:29], v[30:31]
	s_delay_alu instid0(VALU_DEP_1) | instskip(NEXT) | instid1(VALU_DEP_1)
	v_div_fmas_f64 v[5:6], v[24:25], v[26:27], v[28:29]
	v_div_fixup_f64 v[3:4], v[5:6], v[18:19], v[3:4]
	s_delay_alu instid0(VALU_DEP_1) | instskip(SKIP_1) | instid1(VALU_DEP_1)
	v_fma_f64 v[1:2], -v[3:4], v[16:17], v[1:2]
	s_waitcnt lgkmcnt(0)
	v_div_scale_f64 v[5:6], null, v[22:23], v[22:23], v[1:2]
	s_delay_alu instid0(VALU_DEP_1) | instskip(SKIP_2) | instid1(VALU_DEP_1)
	v_rcp_f64_e32 v[14:15], v[5:6]
	s_waitcnt_depctr 0xfff
	v_fma_f64 v[16:17], -v[5:6], v[14:15], 1.0
	v_fma_f64 v[14:15], v[14:15], v[16:17], v[14:15]
	s_delay_alu instid0(VALU_DEP_1) | instskip(NEXT) | instid1(VALU_DEP_1)
	v_fma_f64 v[16:17], -v[5:6], v[14:15], 1.0
	v_fma_f64 v[14:15], v[14:15], v[16:17], v[14:15]
	v_div_scale_f64 v[16:17], vcc_lo, v[1:2], v[22:23], v[1:2]
	s_delay_alu instid0(VALU_DEP_1) | instskip(NEXT) | instid1(VALU_DEP_1)
	v_mul_f64 v[18:19], v[16:17], v[14:15]
	v_fma_f64 v[5:6], -v[5:6], v[18:19], v[16:17]
	s_delay_alu instid0(VALU_DEP_1) | instskip(NEXT) | instid1(VALU_DEP_1)
	v_div_fmas_f64 v[5:6], v[5:6], v[14:15], v[18:19]
	v_div_fixup_f64 v[1:2], v[5:6], v[22:23], v[1:2]
	ds_store_b64 v11, v[20:21]
	ds_store_b64 v12, v[7:8]
	;; [unrolled: 1-line block ×4, first 2 shown]
	s_cbranch_scc1 .LBB91_45
; %bb.44:                               ;   in Loop: Header=BB91_41 Depth=1
	s_mov_b32 s5, s6
	s_branch .LBB91_41
.LBB91_45:
	s_cmp_lt_i32 s6, 0
	s_cbranch_scc1 .LBB91_58
; %bb.46:
	s_bitcmp1_b32 s6, 0
	s_cselect_b32 s4, -1, 0
	s_delay_alu instid0(SALU_CYCLE_1)
	s_and_b32 vcc_lo, exec_lo, s4
	s_mov_b32 s4, s6
	s_cbranch_vccnz .LBB91_51
; %bb.47:
	s_mul_i32 s4, s6, 20
	s_cmp_le_i32 s30, s6
	v_add_lshl_u32 v3, s4, v0, 3
	ds_load_b64 v[1:2], v3 offset:3200
	s_cbranch_scc1 .LBB91_50
; %bb.48:
	v_lshlrev_b32_e32 v4, 3, v0
	s_mul_i32 s4, s29, 0xa0
	s_lshl_b32 s5, s6, 3
	s_delay_alu instid0(SALU_CYCLE_1) | instskip(NEXT) | instid1(VALU_DEP_1)
	s_add_i32 s5, s4, s5
	v_add3_u32 v4, s4, v4, 0xbe0
	s_add_i32 s4, s5, 0xffffff60
	s_mov_b32 s5, s30
.LBB91_49:                              ; =>This Inner Loop Header: Depth=1
	v_mov_b32_e32 v7, s4
	s_add_i32 s5, s5, -1
	s_addk_i32 s4, 0xff60
	s_cmp_gt_i32 s5, s6
	ds_load_b64 v[5:6], v4
	ds_load_b64 v[7:8], v7
	v_add_nc_u32_e32 v4, 0xffffff60, v4
	s_waitcnt lgkmcnt(0)
	v_fma_f64 v[1:2], -v[5:6], v[7:8], v[1:2]
	s_cbranch_scc1 .LBB91_49
.LBB91_50:
	s_mul_i32 s4, s6, 0xa8
	s_delay_alu instid0(SALU_CYCLE_1) | instskip(SKIP_4) | instid1(VALU_DEP_1)
	v_dual_mov_b32 v4, s4 :: v_dual_add_nc_u32 v3, 0xc80, v3
	s_add_i32 s4, s6, -1
	ds_load_b64 v[4:5], v4
	s_waitcnt lgkmcnt(0)
	v_div_scale_f64 v[6:7], null, v[4:5], v[4:5], v[1:2]
	v_rcp_f64_e32 v[8:9], v[6:7]
	s_waitcnt_depctr 0xfff
	v_fma_f64 v[10:11], -v[6:7], v[8:9], 1.0
	s_delay_alu instid0(VALU_DEP_1) | instskip(NEXT) | instid1(VALU_DEP_1)
	v_fma_f64 v[8:9], v[8:9], v[10:11], v[8:9]
	v_fma_f64 v[10:11], -v[6:7], v[8:9], 1.0
	s_delay_alu instid0(VALU_DEP_1) | instskip(SKIP_1) | instid1(VALU_DEP_1)
	v_fma_f64 v[8:9], v[8:9], v[10:11], v[8:9]
	v_div_scale_f64 v[10:11], vcc_lo, v[1:2], v[4:5], v[1:2]
	v_mul_f64 v[12:13], v[10:11], v[8:9]
	s_delay_alu instid0(VALU_DEP_1) | instskip(NEXT) | instid1(VALU_DEP_1)
	v_fma_f64 v[6:7], -v[6:7], v[12:13], v[10:11]
	v_div_fmas_f64 v[6:7], v[6:7], v[8:9], v[12:13]
	s_delay_alu instid0(VALU_DEP_1)
	v_div_fixup_f64 v[1:2], v[6:7], v[4:5], v[1:2]
	ds_store_b64 v3, v[1:2]
.LBB91_51:
	s_cmp_eq_u32 s6, 0
	s_cbranch_scc1 .LBB91_58
; %bb.52:
	v_lshlrev_b32_e32 v1, 3, v0
	s_mul_i32 s5, s29, 0xa0
	s_lshl_b32 s6, s4, 3
	s_delay_alu instid0(SALU_CYCLE_1) | instskip(NEXT) | instid1(VALU_DEP_1)
	s_add_i32 s6, s5, s6
	v_add3_u32 v5, s5, v1, 0xbe0
	s_add_i32 s5, s6, 0xffffff60
	s_addk_i32 s6, 0xff58
	s_branch .LBB91_54
.LBB91_53:                              ;   in Loop: Header=BB91_54 Depth=1
	s_addk_i32 s7, 0xff58
	s_add_i32 s5, s5, -16
	v_mov_b32_e32 v1, s7
	s_add_i32 s7, s4, -2
	s_add_i32 s6, s6, -16
	s_cmp_lt_i32 s4, 2
	s_mov_b32 s4, s7
	ds_load_b64 v[1:2], v1
	s_waitcnt lgkmcnt(0)
	v_div_scale_f64 v[7:8], null, v[1:2], v[1:2], v[3:4]
	s_delay_alu instid0(VALU_DEP_1) | instskip(SKIP_2) | instid1(VALU_DEP_1)
	v_rcp_f64_e32 v[9:10], v[7:8]
	s_waitcnt_depctr 0xfff
	v_fma_f64 v[11:12], -v[7:8], v[9:10], 1.0
	v_fma_f64 v[9:10], v[9:10], v[11:12], v[9:10]
	s_delay_alu instid0(VALU_DEP_1) | instskip(NEXT) | instid1(VALU_DEP_1)
	v_fma_f64 v[11:12], -v[7:8], v[9:10], 1.0
	v_fma_f64 v[9:10], v[9:10], v[11:12], v[9:10]
	v_div_scale_f64 v[11:12], vcc_lo, v[3:4], v[1:2], v[3:4]
	s_delay_alu instid0(VALU_DEP_1) | instskip(NEXT) | instid1(VALU_DEP_1)
	v_mul_f64 v[13:14], v[11:12], v[9:10]
	v_fma_f64 v[7:8], -v[7:8], v[13:14], v[11:12]
	s_delay_alu instid0(VALU_DEP_1) | instskip(NEXT) | instid1(VALU_DEP_1)
	v_div_fmas_f64 v[7:8], v[7:8], v[9:10], v[13:14]
	v_div_fixup_f64 v[1:2], v[7:8], v[1:2], v[3:4]
	ds_store_b64 v6, v[1:2]
	s_cbranch_scc1 .LBB91_58
.LBB91_54:                              ; =>This Loop Header: Depth=1
                                        ;     Child Loop BB91_55 Depth 2
                                        ;     Child Loop BB91_57 Depth 2
	s_mul_i32 s7, s4, 20
	v_mov_b32_e32 v4, v5
	v_add_lshl_u32 v3, s7, v0, 3
	s_cmp_le_i32 s30, s4
	s_mov_b32 s7, s5
	s_mov_b32 s8, s30
	ds_load_b64 v[1:2], v3 offset:3200
	s_cbranch_scc1 .LBB91_56
.LBB91_55:                              ;   Parent Loop BB91_54 Depth=1
                                        ; =>  This Inner Loop Header: Depth=2
	v_mov_b32_e32 v8, s7
	s_add_i32 s8, s8, -1
	s_addk_i32 s7, 0xff60
	s_cmp_le_i32 s8, s4
	ds_load_b64 v[6:7], v4
	ds_load_b64 v[8:9], v8
	v_add_nc_u32_e32 v4, 0xffffff60, v4
	s_waitcnt lgkmcnt(0)
	v_fma_f64 v[1:2], -v[6:7], v[8:9], v[1:2]
	s_cbranch_scc0 .LBB91_55
.LBB91_56:                              ;   in Loop: Header=BB91_54 Depth=1
	s_mul_i32 s7, s4, 0xa8
	v_add_nc_u32_e32 v7, 0xc80, v3
	v_mov_b32_e32 v3, s7
	s_cmp_lt_i32 s30, s4
	s_mov_b32 s8, s6
	s_mov_b32 s9, s29
	v_add_nc_u32_e32 v6, 0xffffff60, v7
	ds_load_b64 v[8:9], v3
	ds_load_b64 v[3:4], v6
	s_waitcnt lgkmcnt(1)
	v_div_scale_f64 v[10:11], null, v[8:9], v[8:9], v[1:2]
	s_delay_alu instid0(VALU_DEP_1) | instskip(SKIP_2) | instid1(VALU_DEP_1)
	v_rcp_f64_e32 v[12:13], v[10:11]
	s_waitcnt_depctr 0xfff
	v_fma_f64 v[14:15], -v[10:11], v[12:13], 1.0
	v_fma_f64 v[12:13], v[12:13], v[14:15], v[12:13]
	s_delay_alu instid0(VALU_DEP_1) | instskip(NEXT) | instid1(VALU_DEP_1)
	v_fma_f64 v[14:15], -v[10:11], v[12:13], 1.0
	v_fma_f64 v[12:13], v[12:13], v[14:15], v[12:13]
	v_div_scale_f64 v[14:15], vcc_lo, v[1:2], v[8:9], v[1:2]
	s_delay_alu instid0(VALU_DEP_1) | instskip(NEXT) | instid1(VALU_DEP_1)
	v_mul_f64 v[16:17], v[14:15], v[12:13]
	v_fma_f64 v[10:11], -v[10:11], v[16:17], v[14:15]
	s_delay_alu instid0(VALU_DEP_1) | instskip(NEXT) | instid1(VALU_DEP_1)
	v_div_fmas_f64 v[10:11], v[10:11], v[12:13], v[16:17]
	v_div_fixup_f64 v[8:9], v[10:11], v[8:9], v[1:2]
	v_mov_b32_e32 v1, v5
	ds_store_b64 v7, v[8:9]
	s_cbranch_scc1 .LBB91_53
.LBB91_57:                              ;   Parent Loop BB91_54 Depth=1
                                        ; =>  This Inner Loop Header: Depth=2
	v_mov_b32_e32 v2, s8
	s_add_i32 s9, s9, -1
	s_addk_i32 s8, 0xff60
	s_cmp_gt_i32 s9, s4
	ds_load_b64 v[7:8], v1
	ds_load_b64 v[9:10], v2
	v_add_nc_u32_e32 v1, 0xffffff60, v1
	s_waitcnt lgkmcnt(0)
	v_fma_f64 v[3:4], -v[7:8], v[9:10], v[3:4]
	s_cbranch_scc1 .LBB91_57
	s_branch .LBB91_53
.LBB91_58:
	s_mov_b32 s4, 0
.LBB91_59:
	s_delay_alu instid0(SALU_CYCLE_1)
	s_and_not1_b32 vcc_lo, exec_lo, s4
	s_cbranch_vccnz .LBB91_79
; %bb.60:
	s_and_not1_b32 vcc_lo, exec_lo, s1
	s_mov_b32 s5, s30
	s_cbranch_vccnz .LBB91_66
; %bb.61:
	v_lshlrev_b32_e32 v1, 3, v0
	s_mul_i32 s1, s29, 0xa0
	s_mul_i32 s4, s29, 0xa8
	s_delay_alu instid0(VALU_DEP_1)
	v_add3_u32 v9, s1, v1, 0xa00
	s_add_i32 s1, s4, 0xfffffd60
	s_mov_b32 s4, s30
.LBB91_62:                              ; =>This Loop Header: Depth=1
                                        ;     Child Loop BB91_63 Depth 2
	s_delay_alu instid0(SALU_CYCLE_1) | instskip(NEXT) | instid1(VALU_DEP_1)
	s_mul_i32 s5, s4, 20
	v_mov_b32_e32 v14, v9
	s_sub_i32 s7, s5, 20
	v_add_lshl_u32 v10, s5, v0, 3
	s_sub_i32 s6, s5, 40
	v_add_lshl_u32 v11, s7, v0, 3
	;; [unrolled: 2-line block ×3, first 2 shown]
	v_add_lshl_u32 v13, s5, v0, 3
	ds_load_b64 v[7:8], v10 offset:3200
	ds_load_b64 v[5:6], v11 offset:3200
	;; [unrolled: 1-line block ×4, first 2 shown]
	s_cmp_le_i32 s30, s4
	s_mov_b32 s7, s1
	s_mov_b32 s8, s30
	s_cbranch_scc1 .LBB91_64
.LBB91_63:                              ;   Parent Loop BB91_62 Depth=1
                                        ; =>  This Inner Loop Header: Depth=2
	v_mov_b32_e32 v47, s7
	s_add_i32 s8, s8, -4
	s_sub_i32 s7, s7, 32
	s_cmp_le_i32 s8, s4
	ds_load_2addr_b64 v[15:18], v14 offset0:40 offset1:60
	ds_load_2addr_b64 v[19:22], v47 offset0:62 offset1:63
	;; [unrolled: 1-line block ×8, first 2 shown]
	ds_load_2addr_b64 v[47:50], v47 offset1:1
	s_waitcnt lgkmcnt(7)
	v_fma_f64 v[7:8], -v[17:18], v[21:22], v[7:8]
	s_waitcnt lgkmcnt(6)
	v_fma_f64 v[5:6], -v[17:18], v[25:26], v[5:6]
	;; [unrolled: 2-line block ×4, first 2 shown]
	s_delay_alu instid0(VALU_DEP_4) | instskip(NEXT) | instid1(VALU_DEP_4)
	v_fma_f64 v[7:8], -v[15:16], v[19:20], v[7:8]
	v_fma_f64 v[5:6], -v[15:16], v[23:24], v[5:6]
	s_delay_alu instid0(VALU_DEP_4) | instskip(NEXT) | instid1(VALU_DEP_4)
	v_fma_f64 v[17:18], -v[15:16], v[27:28], v[3:4]
	v_fma_f64 v[15:16], -v[15:16], v[31:32], v[1:2]
	ds_load_2addr_b64 v[1:4], v14 offset1:20
	v_add_nc_u32_e32 v14, 0xfffffd80, v14
	s_waitcnt lgkmcnt(0)
	v_fma_f64 v[7:8], -v[3:4], v[37:38], v[7:8]
	v_fma_f64 v[5:6], -v[3:4], v[41:42], v[5:6]
	;; [unrolled: 1-line block ×4, first 2 shown]
	s_delay_alu instid0(VALU_DEP_4) | instskip(NEXT) | instid1(VALU_DEP_4)
	v_fma_f64 v[7:8], -v[1:2], v[35:36], v[7:8]
	v_fma_f64 v[5:6], -v[1:2], v[39:40], v[5:6]
	s_delay_alu instid0(VALU_DEP_4) | instskip(NEXT) | instid1(VALU_DEP_4)
	v_fma_f64 v[3:4], -v[1:2], v[43:44], v[17:18]
	v_fma_f64 v[1:2], -v[1:2], v[47:48], v[15:16]
	s_cbranch_scc0 .LBB91_63
.LBB91_64:                              ;   in Loop: Header=BB91_62 Depth=1
	s_mul_i32 s7, s4, 0xa8
	s_delay_alu instid0(SALU_CYCLE_1)
	v_dual_mov_b32 v14, s7 :: v_dual_add_nc_u32 v11, 0xc80, v11
	s_add_i32 s8, s7, 0xffffff58
	v_add_nc_u32_e32 v13, 0xc80, v13
	s_add_i32 s6, s6, s4
	s_add_i32 s5, s4, s5
	ds_load_b64 v[18:19], v14
	v_mov_b32_e32 v14, s8
	s_lshl_b32 s6, s6, 3
	v_add_nc_u32_e32 v10, 0xc80, v10
	s_lshl_b32 s5, s5, 3
	s_addk_i32 s1, 0xfd80
	ds_load_2addr_b64 v[14:17], v14 offset1:1
	s_add_i32 s5, s5, -8
	s_waitcnt lgkmcnt(1)
	v_div_scale_f64 v[20:21], null, v[18:19], v[18:19], v[7:8]
	v_div_scale_f64 v[26:27], vcc_lo, v[7:8], v[18:19], v[7:8]
	s_delay_alu instid0(VALU_DEP_2) | instskip(SKIP_2) | instid1(VALU_DEP_1)
	v_rcp_f64_e32 v[22:23], v[20:21]
	s_waitcnt_depctr 0xfff
	v_fma_f64 v[24:25], -v[20:21], v[22:23], 1.0
	v_fma_f64 v[22:23], v[22:23], v[24:25], v[22:23]
	s_delay_alu instid0(VALU_DEP_1) | instskip(NEXT) | instid1(VALU_DEP_1)
	v_fma_f64 v[24:25], -v[20:21], v[22:23], 1.0
	v_fma_f64 v[22:23], v[22:23], v[24:25], v[22:23]
	s_delay_alu instid0(VALU_DEP_1) | instskip(NEXT) | instid1(VALU_DEP_1)
	v_mul_f64 v[24:25], v[26:27], v[22:23]
	v_fma_f64 v[20:21], -v[20:21], v[24:25], v[26:27]
	s_delay_alu instid0(VALU_DEP_1) | instskip(NEXT) | instid1(VALU_DEP_1)
	v_div_fmas_f64 v[20:21], v[20:21], v[22:23], v[24:25]
	v_div_fixup_f64 v[22:23], v[20:21], v[18:19], v[7:8]
	s_waitcnt lgkmcnt(0)
	s_delay_alu instid0(VALU_DEP_1) | instskip(NEXT) | instid1(VALU_DEP_1)
	v_fma_f64 v[16:17], -v[22:23], v[16:17], v[5:6]
	v_div_scale_f64 v[5:6], null, v[14:15], v[14:15], v[16:17]
	v_div_scale_f64 v[20:21], vcc_lo, v[16:17], v[14:15], v[16:17]
	s_delay_alu instid0(VALU_DEP_2) | instskip(SKIP_2) | instid1(VALU_DEP_1)
	v_rcp_f64_e32 v[7:8], v[5:6]
	s_waitcnt_depctr 0xfff
	v_fma_f64 v[18:19], -v[5:6], v[7:8], 1.0
	v_fma_f64 v[7:8], v[7:8], v[18:19], v[7:8]
	s_delay_alu instid0(VALU_DEP_1) | instskip(NEXT) | instid1(VALU_DEP_1)
	v_fma_f64 v[18:19], -v[5:6], v[7:8], 1.0
	v_fma_f64 v[7:8], v[7:8], v[18:19], v[7:8]
	s_delay_alu instid0(VALU_DEP_1) | instskip(NEXT) | instid1(VALU_DEP_1)
	v_mul_f64 v[18:19], v[20:21], v[7:8]
	v_fma_f64 v[5:6], -v[5:6], v[18:19], v[20:21]
	s_delay_alu instid0(VALU_DEP_1)
	v_div_fmas_f64 v[18:19], v[5:6], v[7:8], v[18:19]
	v_mov_b32_e32 v5, s6
	s_add_i32 s6, s7, 0xfffffeb0
	v_add_nc_u32_e32 v12, 0xc80, v12
	ds_load_b64 v[20:21], v5
	v_mov_b32_e32 v5, s6
	ds_load_2addr_b64 v[5:8], v5 offset1:1
	s_waitcnt lgkmcnt(1)
	v_fma_f64 v[3:4], -v[22:23], v[20:21], v[3:4]
	v_div_fixup_f64 v[24:25], v[18:19], v[14:15], v[16:17]
	s_waitcnt lgkmcnt(0)
	s_delay_alu instid0(VALU_DEP_1) | instskip(NEXT) | instid1(VALU_DEP_1)
	v_fma_f64 v[3:4], -v[24:25], v[7:8], v[3:4]
	v_div_scale_f64 v[7:8], null, v[5:6], v[5:6], v[3:4]
	v_div_scale_f64 v[18:19], vcc_lo, v[3:4], v[5:6], v[3:4]
	s_delay_alu instid0(VALU_DEP_2) | instskip(SKIP_2) | instid1(VALU_DEP_1)
	v_rcp_f64_e32 v[14:15], v[7:8]
	s_waitcnt_depctr 0xfff
	v_fma_f64 v[16:17], -v[7:8], v[14:15], 1.0
	v_fma_f64 v[14:15], v[14:15], v[16:17], v[14:15]
	s_delay_alu instid0(VALU_DEP_1) | instskip(NEXT) | instid1(VALU_DEP_1)
	v_fma_f64 v[16:17], -v[7:8], v[14:15], 1.0
	v_fma_f64 v[26:27], v[14:15], v[16:17], v[14:15]
	v_mov_b32_e32 v14, s5
	s_add_i32 s5, s7, 0xfffffe08
	ds_load_2addr_b64 v[14:17], v14 offset1:1
	v_mul_f64 v[28:29], v[18:19], v[26:27]
	s_delay_alu instid0(VALU_DEP_1)
	v_fma_f64 v[7:8], -v[7:8], v[28:29], v[18:19]
	v_mov_b32_e32 v18, s5
	s_add_i32 s5, s4, -4
	s_cmp_lt_i32 s4, 7
	ds_load_2addr_b64 v[18:21], v18 offset1:1
	s_waitcnt lgkmcnt(1)
	v_fma_f64 v[1:2], -v[22:23], v[16:17], v[1:2]
	v_div_fmas_f64 v[7:8], v[7:8], v[26:27], v[28:29]
	s_delay_alu instid0(VALU_DEP_2) | instskip(NEXT) | instid1(VALU_DEP_2)
	v_fma_f64 v[1:2], -v[24:25], v[14:15], v[1:2]
	v_div_fixup_f64 v[3:4], v[7:8], v[5:6], v[3:4]
	s_waitcnt lgkmcnt(0)
	s_delay_alu instid0(VALU_DEP_1) | instskip(NEXT) | instid1(VALU_DEP_1)
	v_fma_f64 v[1:2], -v[3:4], v[20:21], v[1:2]
	v_div_scale_f64 v[5:6], null, v[18:19], v[18:19], v[1:2]
	s_delay_alu instid0(VALU_DEP_1) | instskip(SKIP_2) | instid1(VALU_DEP_1)
	v_rcp_f64_e32 v[7:8], v[5:6]
	s_waitcnt_depctr 0xfff
	v_fma_f64 v[14:15], -v[5:6], v[7:8], 1.0
	v_fma_f64 v[7:8], v[7:8], v[14:15], v[7:8]
	s_delay_alu instid0(VALU_DEP_1) | instskip(NEXT) | instid1(VALU_DEP_1)
	v_fma_f64 v[14:15], -v[5:6], v[7:8], 1.0
	v_fma_f64 v[7:8], v[7:8], v[14:15], v[7:8]
	v_div_scale_f64 v[14:15], vcc_lo, v[1:2], v[18:19], v[1:2]
	s_delay_alu instid0(VALU_DEP_1) | instskip(NEXT) | instid1(VALU_DEP_1)
	v_mul_f64 v[16:17], v[14:15], v[7:8]
	v_fma_f64 v[5:6], -v[5:6], v[16:17], v[14:15]
	s_delay_alu instid0(VALU_DEP_1) | instskip(NEXT) | instid1(VALU_DEP_1)
	v_div_fmas_f64 v[5:6], v[5:6], v[7:8], v[16:17]
	v_div_fixup_f64 v[1:2], v[5:6], v[18:19], v[1:2]
	ds_store_b64 v10, v[22:23]
	ds_store_b64 v11, v[24:25]
	;; [unrolled: 1-line block ×4, first 2 shown]
	s_cbranch_scc1 .LBB91_66
; %bb.65:                               ;   in Loop: Header=BB91_62 Depth=1
	s_mov_b32 s4, s5
	s_branch .LBB91_62
.LBB91_66:
	s_cmp_lt_i32 s5, 0
	s_cbranch_scc1 .LBB91_79
; %bb.67:
	s_bitcmp1_b32 s5, 0
	s_cselect_b32 s1, -1, 0
	s_delay_alu instid0(SALU_CYCLE_1)
	s_and_b32 vcc_lo, exec_lo, s1
	s_mov_b32 s1, s5
	s_cbranch_vccnz .LBB91_72
; %bb.68:
	s_mul_i32 s1, s5, 20
	s_cmp_le_i32 s30, s5
	v_add_lshl_u32 v3, s1, v0, 3
	ds_load_b64 v[1:2], v3 offset:3200
	s_cbranch_scc1 .LBB91_71
; %bb.69:
	v_lshlrev_b32_e32 v4, 3, v0
	s_mul_i32 s6, s29, 0xa0
	s_mul_i32 s1, s5, 0xa0
	s_lshl_b32 s4, s29, 3
	s_delay_alu instid0(SALU_CYCLE_1)
	s_add_i32 s1, s1, s4
	v_add3_u32 v4, s6, v4, 0xbe0
	s_add_i32 s1, s1, -8
	s_mov_b32 s4, s30
.LBB91_70:                              ; =>This Inner Loop Header: Depth=1
	v_mov_b32_e32 v7, s1
	s_add_i32 s4, s4, -1
	s_add_i32 s1, s1, -8
	s_cmp_gt_i32 s4, s5
	ds_load_b64 v[5:6], v4
	ds_load_b64 v[7:8], v7
	v_add_nc_u32_e32 v4, 0xffffff60, v4
	s_waitcnt lgkmcnt(0)
	v_fma_f64 v[1:2], -v[5:6], v[7:8], v[1:2]
	s_cbranch_scc1 .LBB91_70
.LBB91_71:
	s_mul_i32 s1, s5, 0xa8
	s_delay_alu instid0(SALU_CYCLE_1) | instskip(SKIP_4) | instid1(VALU_DEP_1)
	v_dual_mov_b32 v4, s1 :: v_dual_add_nc_u32 v3, 0xc80, v3
	s_add_i32 s1, s5, -1
	ds_load_b64 v[4:5], v4
	s_waitcnt lgkmcnt(0)
	v_div_scale_f64 v[6:7], null, v[4:5], v[4:5], v[1:2]
	v_rcp_f64_e32 v[8:9], v[6:7]
	s_waitcnt_depctr 0xfff
	v_fma_f64 v[10:11], -v[6:7], v[8:9], 1.0
	s_delay_alu instid0(VALU_DEP_1) | instskip(NEXT) | instid1(VALU_DEP_1)
	v_fma_f64 v[8:9], v[8:9], v[10:11], v[8:9]
	v_fma_f64 v[10:11], -v[6:7], v[8:9], 1.0
	s_delay_alu instid0(VALU_DEP_1) | instskip(SKIP_1) | instid1(VALU_DEP_1)
	v_fma_f64 v[8:9], v[8:9], v[10:11], v[8:9]
	v_div_scale_f64 v[10:11], vcc_lo, v[1:2], v[4:5], v[1:2]
	v_mul_f64 v[12:13], v[10:11], v[8:9]
	s_delay_alu instid0(VALU_DEP_1) | instskip(NEXT) | instid1(VALU_DEP_1)
	v_fma_f64 v[6:7], -v[6:7], v[12:13], v[10:11]
	v_div_fmas_f64 v[6:7], v[6:7], v[8:9], v[12:13]
	s_delay_alu instid0(VALU_DEP_1)
	v_div_fixup_f64 v[1:2], v[6:7], v[4:5], v[1:2]
	ds_store_b64 v3, v[1:2]
.LBB91_72:
	s_cmp_eq_u32 s5, 0
	s_cbranch_scc1 .LBB91_79
; %bb.73:
	v_lshlrev_b32_e32 v1, 3, v0
	s_mul_i32 s6, s29, 0xa0
	s_mul_i32 s4, s1, 0xa0
	s_lshl_b32 s5, s29, 3
	s_delay_alu instid0(SALU_CYCLE_1)
	s_add_i32 s5, s4, s5
	v_add3_u32 v5, s6, v1, 0xbe0
	s_add_i32 s4, s5, -8
	s_addk_i32 s5, 0xff58
	s_branch .LBB91_75
.LBB91_74:                              ;   in Loop: Header=BB91_75 Depth=1
	s_addk_i32 s6, 0xff58
	s_delay_alu instid0(SALU_CYCLE_1)
	v_dual_mov_b32 v2, s6 :: v_dual_add_nc_u32 v1, 0xc80, v6
	s_add_i32 s6, s1, -2
	s_addk_i32 s4, 0xfec0
	s_addk_i32 s5, 0xfec0
	s_cmp_lt_i32 s1, 2
	ds_load_b64 v[6:7], v2
	s_mov_b32 s1, s6
	s_waitcnt lgkmcnt(0)
	v_div_scale_f64 v[8:9], null, v[6:7], v[6:7], v[3:4]
	s_delay_alu instid0(VALU_DEP_1) | instskip(SKIP_2) | instid1(VALU_DEP_1)
	v_rcp_f64_e32 v[10:11], v[8:9]
	s_waitcnt_depctr 0xfff
	v_fma_f64 v[12:13], -v[8:9], v[10:11], 1.0
	v_fma_f64 v[10:11], v[10:11], v[12:13], v[10:11]
	s_delay_alu instid0(VALU_DEP_1) | instskip(NEXT) | instid1(VALU_DEP_1)
	v_fma_f64 v[12:13], -v[8:9], v[10:11], 1.0
	v_fma_f64 v[10:11], v[10:11], v[12:13], v[10:11]
	v_div_scale_f64 v[12:13], vcc_lo, v[3:4], v[6:7], v[3:4]
	s_delay_alu instid0(VALU_DEP_1) | instskip(NEXT) | instid1(VALU_DEP_1)
	v_mul_f64 v[14:15], v[12:13], v[10:11]
	v_fma_f64 v[8:9], -v[8:9], v[14:15], v[12:13]
	s_delay_alu instid0(VALU_DEP_1) | instskip(NEXT) | instid1(VALU_DEP_1)
	v_div_fmas_f64 v[8:9], v[8:9], v[10:11], v[14:15]
	v_div_fixup_f64 v[2:3], v[8:9], v[6:7], v[3:4]
	ds_store_b64 v1, v[2:3]
	s_cbranch_scc1 .LBB91_79
.LBB91_75:                              ; =>This Loop Header: Depth=1
                                        ;     Child Loop BB91_76 Depth 2
                                        ;     Child Loop BB91_78 Depth 2
	s_mul_i32 s7, s1, 20
	v_mov_b32_e32 v4, v5
	v_add_lshl_u32 v3, s7, v0, 3
	s_cmp_le_i32 s30, s1
	s_mov_b32 s6, s4
	s_mov_b32 s8, s30
	ds_load_b64 v[1:2], v3 offset:3200
	s_cbranch_scc1 .LBB91_77
.LBB91_76:                              ;   Parent Loop BB91_75 Depth=1
                                        ; =>  This Inner Loop Header: Depth=2
	v_mov_b32_e32 v8, s6
	s_add_i32 s8, s8, -1
	s_add_i32 s6, s6, -8
	s_cmp_le_i32 s8, s1
	ds_load_b64 v[6:7], v4
	ds_load_b64 v[8:9], v8
	v_add_nc_u32_e32 v4, 0xffffff60, v4
	s_waitcnt lgkmcnt(0)
	v_fma_f64 v[1:2], -v[6:7], v[8:9], v[1:2]
	s_cbranch_scc0 .LBB91_76
.LBB91_77:                              ;   in Loop: Header=BB91_75 Depth=1
	s_mul_i32 s6, s1, 0xa8
	v_add_nc_u32_e32 v7, 0xc80, v3
	v_mov_b32_e32 v3, s6
	s_sub_i32 s7, s7, 20
	s_cmp_lt_i32 s30, s1
	v_add_lshl_u32 v6, s7, v0, 3
	s_mov_b32 s7, s5
	ds_load_b64 v[8:9], v3
	s_mov_b32 s8, s29
	ds_load_b64 v[3:4], v6 offset:3200
	s_waitcnt lgkmcnt(1)
	v_div_scale_f64 v[10:11], null, v[8:9], v[8:9], v[1:2]
	s_delay_alu instid0(VALU_DEP_1) | instskip(SKIP_2) | instid1(VALU_DEP_1)
	v_rcp_f64_e32 v[12:13], v[10:11]
	s_waitcnt_depctr 0xfff
	v_fma_f64 v[14:15], -v[10:11], v[12:13], 1.0
	v_fma_f64 v[12:13], v[12:13], v[14:15], v[12:13]
	s_delay_alu instid0(VALU_DEP_1) | instskip(NEXT) | instid1(VALU_DEP_1)
	v_fma_f64 v[14:15], -v[10:11], v[12:13], 1.0
	v_fma_f64 v[12:13], v[12:13], v[14:15], v[12:13]
	v_div_scale_f64 v[14:15], vcc_lo, v[1:2], v[8:9], v[1:2]
	s_delay_alu instid0(VALU_DEP_1) | instskip(NEXT) | instid1(VALU_DEP_1)
	v_mul_f64 v[16:17], v[14:15], v[12:13]
	v_fma_f64 v[10:11], -v[10:11], v[16:17], v[14:15]
	s_delay_alu instid0(VALU_DEP_1) | instskip(NEXT) | instid1(VALU_DEP_1)
	v_div_fmas_f64 v[10:11], v[10:11], v[12:13], v[16:17]
	v_div_fixup_f64 v[8:9], v[10:11], v[8:9], v[1:2]
	v_mov_b32_e32 v1, v5
	ds_store_b64 v7, v[8:9]
	s_cbranch_scc1 .LBB91_74
.LBB91_78:                              ;   Parent Loop BB91_75 Depth=1
                                        ; =>  This Inner Loop Header: Depth=2
	v_mov_b32_e32 v2, s7
	s_add_i32 s8, s8, -1
	s_add_i32 s7, s7, -8
	s_cmp_gt_i32 s8, s1
	ds_load_b64 v[7:8], v1
	ds_load_b64 v[9:10], v2
	v_add_nc_u32_e32 v1, 0xffffff60, v1
	s_waitcnt lgkmcnt(0)
	v_fma_f64 v[3:4], -v[7:8], v[9:10], v[3:4]
	s_cbranch_scc1 .LBB91_78
	s_branch .LBB91_74
.LBB91_79:
	s_mov_b32 s6, 0
.LBB91_80:
	s_delay_alu instid0(SALU_CYCLE_1)
	s_and_not1_b32 vcc_lo, exec_lo, s6
	s_cbranch_vccnz .LBB91_99
; %bb.81:
	s_cmp_lt_i32 s28, 4
	s_mov_b32 s5, 0
	s_cbranch_scc1 .LBB91_88
; %bb.82:
	v_lshl_add_u32 v9, v0, 3, 0xc80
	s_mov_b32 s1, 0
	s_mov_b32 s4, 0
.LBB91_83:                              ; =>This Loop Header: Depth=1
                                        ;     Child Loop BB91_85 Depth 2
	s_delay_alu instid0(SALU_CYCLE_1) | instskip(NEXT) | instid1(SALU_CYCLE_1)
	s_mul_i32 s5, s4, 20
	s_add_i32 s7, s5, 20
	v_add_lshl_u32 v10, s5, v0, 3
	s_add_i32 s6, s5, 40
	v_add_lshl_u32 v11, s7, v0, 3
	s_add_i32 s5, s5, 60
	v_add_lshl_u32 v12, s6, v0, 3
	v_add_lshl_u32 v13, s5, v0, 3
	ds_load_b64 v[7:8], v10 offset:3200
	ds_load_b64 v[5:6], v11 offset:3200
	;; [unrolled: 1-line block ×4, first 2 shown]
	s_cmp_eq_u32 s4, 0
	s_cbranch_scc1 .LBB91_86
; %bb.84:                               ;   in Loop: Header=BB91_83 Depth=1
	v_mov_b32_e32 v14, v9
	s_mov_b32 s8, 0
	s_mov_b32 s9, s1
.LBB91_85:                              ;   Parent Loop BB91_83 Depth=1
                                        ; =>  This Inner Loop Header: Depth=2
	s_delay_alu instid0(SALU_CYCLE_1)
	v_mov_b32_e32 v47, s9
	s_add_i32 s8, s8, 4
	s_add_i32 s9, s9, 32
	s_cmp_ge_u32 s8, s4
	ds_load_2addr_b64 v[15:18], v14 offset1:20
	ds_load_b128 v[19:22], v47
	ds_load_b128 v[23:26], v47 offset:160
	ds_load_b128 v[27:30], v47 offset:320
	;; [unrolled: 1-line block ×7, first 2 shown]
	s_waitcnt lgkmcnt(7)
	v_fma_f64 v[7:8], -v[15:16], v[19:20], v[7:8]
	s_waitcnt lgkmcnt(6)
	v_fma_f64 v[5:6], -v[15:16], v[23:24], v[5:6]
	;; [unrolled: 2-line block ×4, first 2 shown]
	s_delay_alu instid0(VALU_DEP_4) | instskip(NEXT) | instid1(VALU_DEP_4)
	v_fma_f64 v[7:8], -v[17:18], v[21:22], v[7:8]
	v_fma_f64 v[5:6], -v[17:18], v[25:26], v[5:6]
	s_delay_alu instid0(VALU_DEP_4) | instskip(NEXT) | instid1(VALU_DEP_4)
	v_fma_f64 v[3:4], -v[17:18], v[29:30], v[3:4]
	v_fma_f64 v[1:2], -v[17:18], v[33:34], v[1:2]
	ds_load_2addr_b64 v[15:18], v14 offset0:40 offset1:60
	v_add_nc_u32_e32 v14, 0x280, v14
	s_waitcnt lgkmcnt(0)
	v_fma_f64 v[7:8], -v[15:16], v[35:36], v[7:8]
	v_fma_f64 v[5:6], -v[15:16], v[39:40], v[5:6]
	;; [unrolled: 1-line block ×4, first 2 shown]
	s_delay_alu instid0(VALU_DEP_4) | instskip(NEXT) | instid1(VALU_DEP_4)
	v_fma_f64 v[7:8], -v[17:18], v[37:38], v[7:8]
	v_fma_f64 v[5:6], -v[17:18], v[41:42], v[5:6]
	s_delay_alu instid0(VALU_DEP_4) | instskip(NEXT) | instid1(VALU_DEP_4)
	v_fma_f64 v[3:4], -v[17:18], v[45:46], v[3:4]
	v_fma_f64 v[1:2], -v[17:18], v[49:50], v[1:2]
	s_cbranch_scc0 .LBB91_85
.LBB91_86:                              ;   in Loop: Header=BB91_83 Depth=1
	s_mul_i32 s8, s4, 0xa8
	s_delay_alu instid0(SALU_CYCLE_1)
	v_dual_mov_b32 v14, s8 :: v_dual_add_nc_u32 v11, 0xc80, v11
	s_add_i32 s7, s7, s4
	s_add_i32 s6, s6, s4
	s_lshl_b32 s7, s7, 3
	v_add_nc_u32_e32 v13, 0xc80, v13
	ds_load_2addr_b64 v[14:17], v14 offset1:42
	s_lshl_b32 s6, s6, 3
	s_add_i32 s5, s5, s4
	v_add_nc_u32_e32 v10, 0xc80, v10
	s_lshl_b32 s5, s5, 3
	v_add_nc_u32_e32 v12, 0xc80, v12
	s_addk_i32 s1, 0x280
	s_waitcnt lgkmcnt(0)
	v_div_scale_f64 v[18:19], null, v[14:15], v[14:15], v[7:8]
	v_div_scale_f64 v[24:25], vcc_lo, v[7:8], v[14:15], v[7:8]
	s_delay_alu instid0(VALU_DEP_2) | instskip(SKIP_2) | instid1(VALU_DEP_1)
	v_rcp_f64_e32 v[20:21], v[18:19]
	s_waitcnt_depctr 0xfff
	v_fma_f64 v[22:23], -v[18:19], v[20:21], 1.0
	v_fma_f64 v[20:21], v[20:21], v[22:23], v[20:21]
	s_delay_alu instid0(VALU_DEP_1) | instskip(NEXT) | instid1(VALU_DEP_1)
	v_fma_f64 v[22:23], -v[18:19], v[20:21], 1.0
	v_fma_f64 v[20:21], v[20:21], v[22:23], v[20:21]
	s_delay_alu instid0(VALU_DEP_1) | instskip(NEXT) | instid1(VALU_DEP_1)
	v_mul_f64 v[22:23], v[24:25], v[20:21]
	v_fma_f64 v[18:19], -v[18:19], v[22:23], v[24:25]
	s_delay_alu instid0(VALU_DEP_1) | instskip(NEXT) | instid1(VALU_DEP_1)
	v_div_fmas_f64 v[18:19], v[18:19], v[20:21], v[22:23]
	v_div_fixup_f64 v[7:8], v[18:19], v[14:15], v[7:8]
	v_mov_b32_e32 v14, s7
	ds_load_b128 v[18:21], v14
	v_mov_b32_e32 v14, s6
	ds_load_b128 v[22:25], v14
	s_waitcnt lgkmcnt(1)
	v_fma_f64 v[5:6], -v[7:8], v[18:19], v[5:6]
	s_waitcnt lgkmcnt(0)
	v_fma_f64 v[3:4], -v[7:8], v[22:23], v[3:4]
	s_delay_alu instid0(VALU_DEP_2) | instskip(SKIP_1) | instid1(VALU_DEP_2)
	v_div_scale_f64 v[14:15], null, v[20:21], v[20:21], v[5:6]
	v_div_scale_f64 v[28:29], vcc_lo, v[5:6], v[20:21], v[5:6]
	v_rcp_f64_e32 v[18:19], v[14:15]
	s_waitcnt_depctr 0xfff
	v_fma_f64 v[26:27], -v[14:15], v[18:19], 1.0
	s_delay_alu instid0(VALU_DEP_1) | instskip(NEXT) | instid1(VALU_DEP_1)
	v_fma_f64 v[18:19], v[18:19], v[26:27], v[18:19]
	v_fma_f64 v[26:27], -v[14:15], v[18:19], 1.0
	s_delay_alu instid0(VALU_DEP_1) | instskip(NEXT) | instid1(VALU_DEP_1)
	v_fma_f64 v[18:19], v[18:19], v[26:27], v[18:19]
	v_mul_f64 v[26:27], v[28:29], v[18:19]
	s_delay_alu instid0(VALU_DEP_1) | instskip(NEXT) | instid1(VALU_DEP_1)
	v_fma_f64 v[14:15], -v[14:15], v[26:27], v[28:29]
	v_div_fmas_f64 v[14:15], v[14:15], v[18:19], v[26:27]
	s_delay_alu instid0(VALU_DEP_1) | instskip(NEXT) | instid1(VALU_DEP_1)
	v_div_fixup_f64 v[14:15], v[14:15], v[20:21], v[5:6]
	v_fma_f64 v[22:23], -v[14:15], v[24:25], v[3:4]
	s_delay_alu instid0(VALU_DEP_1) | instskip(SKIP_1) | instid1(VALU_DEP_2)
	v_div_scale_f64 v[3:4], null, v[16:17], v[16:17], v[22:23]
	v_div_scale_f64 v[20:21], vcc_lo, v[22:23], v[16:17], v[22:23]
	v_rcp_f64_e32 v[5:6], v[3:4]
	s_waitcnt_depctr 0xfff
	v_fma_f64 v[18:19], -v[3:4], v[5:6], 1.0
	s_delay_alu instid0(VALU_DEP_1) | instskip(NEXT) | instid1(VALU_DEP_1)
	v_fma_f64 v[5:6], v[5:6], v[18:19], v[5:6]
	v_fma_f64 v[18:19], -v[3:4], v[5:6], 1.0
	s_delay_alu instid0(VALU_DEP_1) | instskip(SKIP_3) | instid1(SALU_CYCLE_1)
	v_fma_f64 v[24:25], v[5:6], v[18:19], v[5:6]
	v_mov_b32_e32 v18, s5
	s_add_i32 s5, s4, 4
	s_add_i32 s4, s4, 7
	s_cmp_ge_i32 s4, s29
	s_delay_alu instid0(VALU_DEP_2) | instskip(NEXT) | instid1(VALU_DEP_1)
	v_mul_f64 v[26:27], v[20:21], v[24:25]
	v_fma_f64 v[28:29], -v[3:4], v[26:27], v[20:21]
	ds_load_b128 v[3:6], v18
	ds_load_b128 v[18:21], v18 offset:16
	s_waitcnt lgkmcnt(1)
	v_fma_f64 v[1:2], -v[7:8], v[3:4], v[1:2]
	v_div_fmas_f64 v[3:4], v[28:29], v[24:25], v[26:27]
	s_delay_alu instid0(VALU_DEP_2) | instskip(NEXT) | instid1(VALU_DEP_2)
	v_fma_f64 v[1:2], -v[14:15], v[5:6], v[1:2]
	v_div_fixup_f64 v[3:4], v[3:4], v[16:17], v[22:23]
	s_waitcnt lgkmcnt(0)
	s_delay_alu instid0(VALU_DEP_1) | instskip(NEXT) | instid1(VALU_DEP_1)
	v_fma_f64 v[1:2], -v[3:4], v[18:19], v[1:2]
	v_div_scale_f64 v[5:6], null, v[20:21], v[20:21], v[1:2]
	s_delay_alu instid0(VALU_DEP_1) | instskip(SKIP_2) | instid1(VALU_DEP_1)
	v_rcp_f64_e32 v[16:17], v[5:6]
	s_waitcnt_depctr 0xfff
	v_fma_f64 v[18:19], -v[5:6], v[16:17], 1.0
	v_fma_f64 v[16:17], v[16:17], v[18:19], v[16:17]
	s_delay_alu instid0(VALU_DEP_1) | instskip(NEXT) | instid1(VALU_DEP_1)
	v_fma_f64 v[18:19], -v[5:6], v[16:17], 1.0
	v_fma_f64 v[16:17], v[16:17], v[18:19], v[16:17]
	v_div_scale_f64 v[18:19], vcc_lo, v[1:2], v[20:21], v[1:2]
	s_delay_alu instid0(VALU_DEP_1) | instskip(NEXT) | instid1(VALU_DEP_1)
	v_mul_f64 v[22:23], v[18:19], v[16:17]
	v_fma_f64 v[5:6], -v[5:6], v[22:23], v[18:19]
	s_delay_alu instid0(VALU_DEP_1) | instskip(NEXT) | instid1(VALU_DEP_1)
	v_div_fmas_f64 v[5:6], v[5:6], v[16:17], v[22:23]
	v_div_fixup_f64 v[1:2], v[5:6], v[20:21], v[1:2]
	ds_store_b64 v10, v[7:8]
	ds_store_b64 v11, v[14:15]
	;; [unrolled: 1-line block ×4, first 2 shown]
	s_cbranch_scc1 .LBB91_88
; %bb.87:                               ;   in Loop: Header=BB91_83 Depth=1
	s_mov_b32 s4, s5
	s_branch .LBB91_83
.LBB91_88:
	s_cmp_ge_i32 s5, s29
	s_cbranch_scc1 .LBB91_99
; %bb.89:
	v_lshl_add_u32 v1, v0, 3, 0xc80
	s_add_i32 s1, s5, -1
	s_mul_i32 s4, s5, 0xa0
	s_mov_b32 s6, 0
	s_mov_b32 s7, s5
	s_branch .LBB91_91
.LBB91_90:                              ;   in Loop: Header=BB91_91 Depth=1
	s_mul_i32 s8, s5, 0xa8
	s_delay_alu instid0(SALU_CYCLE_1)
	v_dual_mov_b32 v5, s8 :: v_dual_add_nc_u32 v4, 0xc80, v6
	s_add_i32 s5, s5, 1
	s_add_i32 s6, s6, 1
	s_addk_i32 s4, 0xa0
	s_cmp_ge_i32 s5, s29
	ds_load_b64 v[5:6], v5
	s_waitcnt lgkmcnt(0)
	v_div_scale_f64 v[7:8], null, v[5:6], v[5:6], v[2:3]
	s_delay_alu instid0(VALU_DEP_1) | instskip(SKIP_2) | instid1(VALU_DEP_1)
	v_rcp_f64_e32 v[9:10], v[7:8]
	s_waitcnt_depctr 0xfff
	v_fma_f64 v[11:12], -v[7:8], v[9:10], 1.0
	v_fma_f64 v[9:10], v[9:10], v[11:12], v[9:10]
	s_delay_alu instid0(VALU_DEP_1) | instskip(NEXT) | instid1(VALU_DEP_1)
	v_fma_f64 v[11:12], -v[7:8], v[9:10], 1.0
	v_fma_f64 v[9:10], v[9:10], v[11:12], v[9:10]
	v_div_scale_f64 v[11:12], vcc_lo, v[2:3], v[5:6], v[2:3]
	s_delay_alu instid0(VALU_DEP_1) | instskip(NEXT) | instid1(VALU_DEP_1)
	v_mul_f64 v[13:14], v[11:12], v[9:10]
	v_fma_f64 v[7:8], -v[7:8], v[13:14], v[11:12]
	s_delay_alu instid0(VALU_DEP_1) | instskip(NEXT) | instid1(VALU_DEP_1)
	v_div_fmas_f64 v[7:8], v[7:8], v[9:10], v[13:14]
	v_div_fixup_f64 v[2:3], v[7:8], v[5:6], v[2:3]
	v_add_nc_u16 v5, s7, 1
	s_delay_alu instid0(VALU_DEP_1)
	v_readfirstlane_b32 s7, v5
	ds_store_b64 v4, v[2:3]
	s_cbranch_scc1 .LBB91_99
.LBB91_91:                              ; =>This Loop Header: Depth=1
                                        ;     Child Loop BB91_94 Depth 2
                                        ;     Child Loop BB91_98 Depth 2
	s_mul_i32 s8, s5, 20
	s_cmp_eq_u32 s5, 0
	v_add_lshl_u32 v6, s8, v0, 3
	ds_load_b64 v[2:3], v6 offset:3200
	s_cbranch_scc1 .LBB91_90
; %bb.92:                               ;   in Loop: Header=BB91_91 Depth=1
	s_add_i32 s8, s1, s6
	s_delay_alu instid0(SALU_CYCLE_1)
	s_cmp_lt_u32 s8, 7
	s_cbranch_scc1 .LBB91_96
; %bb.93:                               ;   in Loop: Header=BB91_91 Depth=1
	v_mov_b32_e32 v4, v1
	s_and_b32 s8, s5, -8
	s_mov_b32 s9, 0
	s_mov_b32 s12, s4
	s_set_inst_prefetch_distance 0x1
	.p2align	6
.LBB91_94:                              ;   Parent Loop BB91_91 Depth=1
                                        ; =>  This Inner Loop Header: Depth=2
	v_mov_b32_e32 v5, s12
	s_add_i32 s9, s9, 8
	s_add_i32 s12, s12, 64
	s_cmp_eq_u32 s8, s9
	ds_load_2addr_b64 v[7:10], v4 offset1:20
	ds_load_b128 v[11:14], v5
	ds_load_b128 v[15:18], v5 offset:16
	s_waitcnt lgkmcnt(1)
	v_fma_f64 v[2:3], -v[7:8], v[11:12], v[2:3]
	s_delay_alu instid0(VALU_DEP_1) | instskip(SKIP_3) | instid1(VALU_DEP_1)
	v_fma_f64 v[2:3], -v[9:10], v[13:14], v[2:3]
	ds_load_2addr_b64 v[7:10], v4 offset0:40 offset1:60
	s_waitcnt lgkmcnt(0)
	v_fma_f64 v[2:3], -v[7:8], v[15:16], v[2:3]
	v_fma_f64 v[2:3], -v[9:10], v[17:18], v[2:3]
	ds_load_2addr_b64 v[7:10], v4 offset0:80 offset1:100
	ds_load_b128 v[11:14], v5 offset:32
	ds_load_b128 v[15:18], v5 offset:48
	s_waitcnt lgkmcnt(1)
	v_fma_f64 v[2:3], -v[7:8], v[11:12], v[2:3]
	s_delay_alu instid0(VALU_DEP_1) | instskip(SKIP_4) | instid1(VALU_DEP_1)
	v_fma_f64 v[2:3], -v[9:10], v[13:14], v[2:3]
	ds_load_2addr_b64 v[7:10], v4 offset0:120 offset1:140
	v_add_nc_u32_e32 v4, 0x500, v4
	s_waitcnt lgkmcnt(0)
	v_fma_f64 v[2:3], -v[7:8], v[15:16], v[2:3]
	v_fma_f64 v[2:3], -v[9:10], v[17:18], v[2:3]
	s_cbranch_scc0 .LBB91_94
; %bb.95:                               ;   in Loop: Header=BB91_91 Depth=1
	s_set_inst_prefetch_distance 0x2
	s_and_b32 s9, s5, 7
	s_delay_alu instid0(SALU_CYCLE_1)
	s_cmp_eq_u32 s9, 0
	s_cbranch_scc0 .LBB91_97
	s_branch .LBB91_90
.LBB91_96:                              ;   in Loop: Header=BB91_91 Depth=1
	s_mov_b32 s8, 0
	s_and_b32 s9, s5, 7
	s_delay_alu instid0(SALU_CYCLE_1)
	s_cmp_eq_u32 s9, 0
	s_cbranch_scc1 .LBB91_90
.LBB91_97:                              ;   in Loop: Header=BB91_91 Depth=1
	s_waitcnt lgkmcnt(0)
	s_delay_alu instid0(VALU_DEP_1)
	v_mad_u64_u32 v[4:5], null, 0xa0, s8, v[1:2]
	s_and_b32 s9, s7, 7
	s_lshl_b32 s8, s8, 3
.LBB91_98:                              ;   Parent Loop BB91_91 Depth=1
                                        ; =>  This Inner Loop Header: Depth=2
	s_delay_alu instid0(SALU_CYCLE_1)
	s_add_i32 s12, s4, s8
	s_add_i32 s9, s9, -1
	v_mov_b32_e32 v5, s12
	s_add_i32 s8, s8, 8
	s_cmp_lg_u32 s9, 0
	ds_load_b64 v[7:8], v4
	ds_load_b64 v[9:10], v5
	v_add_nc_u32_e32 v4, 0xa0, v4
	s_waitcnt lgkmcnt(0)
	v_fma_f64 v[2:3], -v[7:8], v[9:10], v[2:3]
	s_cbranch_scc1 .LBB91_98
	s_branch .LBB91_90
.LBB91_99:
	s_and_saveexec_b32 s1, s20
	s_cbranch_execz .LBB91_106
; %bb.100:
	v_lshlrev_b32_e32 v3, 3, v0
	s_ashr_i32 s1, s0, 31
	s_cmp_lt_u32 s28, 4
	s_mov_b32 s12, 0
	s_cbranch_scc1 .LBB91_103
; %bb.101:
	v_add_co_u32 v1, s4, s18, v3
	s_delay_alu instid0(VALU_DEP_1)
	v_add_co_ci_u32_e64 v2, null, s19, 0, s4
	v_lshl_add_u32 v0, v0, 3, 0xc80
	s_and_b32 s12, s28, 0x7ffffffc
	s_mul_hi_i32 s13, s0, 24
	s_mul_i32 s14, s0, 24
	s_lshl_b64 s[4:5], s[0:1], 5
	s_lshl_b64 s[6:7], s[0:1], 4
	;; [unrolled: 1-line block ×3, first 2 shown]
	s_mov_b32 s15, 0
	.p2align	6
.LBB91_102:                             ; =>This Inner Loop Header: Depth=1
	ds_load_2addr_b64 v[4:7], v0 offset1:20
	ds_load_2addr_b64 v[8:11], v0 offset0:40 offset1:60
	v_add_co_u32 v12, vcc_lo, v1, s8
	v_add_co_ci_u32_e32 v13, vcc_lo, s9, v2, vcc_lo
	v_add_co_u32 v14, vcc_lo, v1, s6
	v_add_co_ci_u32_e32 v15, vcc_lo, s7, v2, vcc_lo
	;; [unrolled: 2-line block ×3, first 2 shown]
	v_add_nc_u32_e32 v0, 0x280, v0
	s_add_i32 s15, s15, 4
	s_delay_alu instid0(SALU_CYCLE_1)
	s_cmp_lg_u32 s12, s15
	s_waitcnt lgkmcnt(1)
	global_store_b64 v[1:2], v[4:5], off
	v_add_co_u32 v1, vcc_lo, v1, s4
	v_add_co_ci_u32_e32 v2, vcc_lo, s5, v2, vcc_lo
	global_store_b64 v[12:13], v[6:7], off
	s_waitcnt lgkmcnt(0)
	s_clause 0x1
	global_store_b64 v[14:15], v[8:9], off
	global_store_b64 v[16:17], v[10:11], off
	s_cbranch_scc1 .LBB91_102
.LBB91_103:
	s_and_b32 s4, s28, 3
	s_delay_alu instid0(SALU_CYCLE_1)
	s_cmp_eq_u32 s4, 0
	s_cbranch_scc1 .LBB91_106
; %bb.104:
	s_mul_hi_i32 s7, s0, s12
	s_mul_i32 s6, s0, s12
	s_mul_i32 s5, s12, 0xa0
	s_lshl_b64 s[6:7], s[6:7], 3
	v_add3_u32 v2, s5, v3, 0xc80
	s_add_u32 s6, s6, s16
	s_addc_u32 s7, s7, s17
	s_add_u32 s6, s6, s10
	s_addc_u32 s7, s7, s11
	;; [unrolled: 2-line block ×3, first 2 shown]
	v_add_co_u32 v0, s2, s2, v3
	s_delay_alu instid0(VALU_DEP_1)
	v_add_co_ci_u32_e64 v1, null, s3, 0, s2
	s_lshl_b64 s[0:1], s[0:1], 3
.LBB91_105:                             ; =>This Inner Loop Header: Depth=1
	ds_load_b64 v[3:4], v2
	v_add_nc_u32_e32 v2, 0xa0, v2
	s_add_i32 s4, s4, -1
	s_delay_alu instid0(SALU_CYCLE_1)
	s_cmp_lg_u32 s4, 0
	s_waitcnt lgkmcnt(0)
	global_store_b64 v[0:1], v[3:4], off
	v_add_co_u32 v0, vcc_lo, v0, s0
	v_add_co_ci_u32_e32 v1, vcc_lo, s1, v1, vcc_lo
	s_cbranch_scc1 .LBB91_105
.LBB91_106:
	s_nop 0
	s_sendmsg sendmsg(MSG_DEALLOC_VGPRS)
	s_endpgm
	.section	.rodata,"a",@progbits
	.p2align	6, 0x0
	.amdhsa_kernel _ZL31rocblas_trsm_small_right_deviceIddPKPKdPKPdLi20EEv13rocblas_fill_18rocblas_operation_17rocblas_diagonal_iiT0_T1_lilT2_lili
		.amdhsa_group_segment_fixed_size 6400
		.amdhsa_private_segment_fixed_size 0
		.amdhsa_kernarg_size 360
		.amdhsa_user_sgpr_count 14
		.amdhsa_user_sgpr_dispatch_ptr 0
		.amdhsa_user_sgpr_queue_ptr 0
		.amdhsa_user_sgpr_kernarg_segment_ptr 1
		.amdhsa_user_sgpr_dispatch_id 0
		.amdhsa_user_sgpr_private_segment_size 0
		.amdhsa_wavefront_size32 1
		.amdhsa_uses_dynamic_stack 0
		.amdhsa_enable_private_segment 0
		.amdhsa_system_sgpr_workgroup_id_x 1
		.amdhsa_system_sgpr_workgroup_id_y 0
		.amdhsa_system_sgpr_workgroup_id_z 1
		.amdhsa_system_sgpr_workgroup_info 0
		.amdhsa_system_vgpr_workitem_id 0
		.amdhsa_next_free_vgpr 51
		.amdhsa_next_free_sgpr 34
		.amdhsa_reserve_vcc 1
		.amdhsa_float_round_mode_32 0
		.amdhsa_float_round_mode_16_64 0
		.amdhsa_float_denorm_mode_32 3
		.amdhsa_float_denorm_mode_16_64 3
		.amdhsa_dx10_clamp 1
		.amdhsa_ieee_mode 1
		.amdhsa_fp16_overflow 0
		.amdhsa_workgroup_processor_mode 1
		.amdhsa_memory_ordered 1
		.amdhsa_forward_progress 0
		.amdhsa_shared_vgpr_count 0
		.amdhsa_exception_fp_ieee_invalid_op 0
		.amdhsa_exception_fp_denorm_src 0
		.amdhsa_exception_fp_ieee_div_zero 0
		.amdhsa_exception_fp_ieee_overflow 0
		.amdhsa_exception_fp_ieee_underflow 0
		.amdhsa_exception_fp_ieee_inexact 0
		.amdhsa_exception_int_div_zero 0
	.end_amdhsa_kernel
	.section	.text._ZL31rocblas_trsm_small_right_deviceIddPKPKdPKPdLi20EEv13rocblas_fill_18rocblas_operation_17rocblas_diagonal_iiT0_T1_lilT2_lili,"axG",@progbits,_ZL31rocblas_trsm_small_right_deviceIddPKPKdPKPdLi20EEv13rocblas_fill_18rocblas_operation_17rocblas_diagonal_iiT0_T1_lilT2_lili,comdat
.Lfunc_end91:
	.size	_ZL31rocblas_trsm_small_right_deviceIddPKPKdPKPdLi20EEv13rocblas_fill_18rocblas_operation_17rocblas_diagonal_iiT0_T1_lilT2_lili, .Lfunc_end91-_ZL31rocblas_trsm_small_right_deviceIddPKPKdPKPdLi20EEv13rocblas_fill_18rocblas_operation_17rocblas_diagonal_iiT0_T1_lilT2_lili
                                        ; -- End function
	.section	.AMDGPU.csdata,"",@progbits
; Kernel info:
; codeLenInByte = 9036
; NumSgprs: 36
; NumVgprs: 51
; ScratchSize: 0
; MemoryBound: 0
; FloatMode: 240
; IeeeMode: 1
; LDSByteSize: 6400 bytes/workgroup (compile time only)
; SGPRBlocks: 4
; VGPRBlocks: 6
; NumSGPRsForWavesPerEU: 36
; NumVGPRsForWavesPerEU: 51
; Occupancy: 5
; WaveLimiterHint : 0
; COMPUTE_PGM_RSRC2:SCRATCH_EN: 0
; COMPUTE_PGM_RSRC2:USER_SGPR: 14
; COMPUTE_PGM_RSRC2:TRAP_HANDLER: 0
; COMPUTE_PGM_RSRC2:TGID_X_EN: 1
; COMPUTE_PGM_RSRC2:TGID_Y_EN: 0
; COMPUTE_PGM_RSRC2:TGID_Z_EN: 1
; COMPUTE_PGM_RSRC2:TIDIG_COMP_CNT: 0
	.section	.text._ZL38rocblas_trsm_small_left_device_sharedBILi24ELi24ELb0EddPKPKdPKPdEv13rocblas_fill_18rocblas_operation_17rocblas_diagonal_iiT3_T4_lilT5_lili,"axG",@progbits,_ZL38rocblas_trsm_small_left_device_sharedBILi24ELi24ELb0EddPKPKdPKPdEv13rocblas_fill_18rocblas_operation_17rocblas_diagonal_iiT3_T4_lilT5_lili,comdat
	.globl	_ZL38rocblas_trsm_small_left_device_sharedBILi24ELi24ELb0EddPKPKdPKPdEv13rocblas_fill_18rocblas_operation_17rocblas_diagonal_iiT3_T4_lilT5_lili ; -- Begin function _ZL38rocblas_trsm_small_left_device_sharedBILi24ELi24ELb0EddPKPKdPKPdEv13rocblas_fill_18rocblas_operation_17rocblas_diagonal_iiT3_T4_lilT5_lili
	.p2align	8
	.type	_ZL38rocblas_trsm_small_left_device_sharedBILi24ELi24ELb0EddPKPKdPKPdEv13rocblas_fill_18rocblas_operation_17rocblas_diagonal_iiT3_T4_lilT5_lili,@function
_ZL38rocblas_trsm_small_left_device_sharedBILi24ELi24ELb0EddPKPKdPKPdEv13rocblas_fill_18rocblas_operation_17rocblas_diagonal_iiT3_T4_lilT5_lili: ; @_ZL38rocblas_trsm_small_left_device_sharedBILi24ELi24ELb0EddPKPKdPKPdEv13rocblas_fill_18rocblas_operation_17rocblas_diagonal_iiT3_T4_lilT5_lili
; %bb.0:
	s_load_b128 s[16:19], s[0:1], 0x40
	s_mov_b32 s20, s15
	s_mov_b32 s21, 0
	s_clause 0x1
	s_load_b128 s[4:7], s[0:1], 0x4
	s_load_b64 s[12:13], s[0:1], 0x28
	s_lshl_b64 s[22:23], s[20:21], 3
	s_mov_b32 s15, exec_lo
	s_waitcnt lgkmcnt(0)
	s_add_u32 s2, s16, s22
	s_addc_u32 s3, s17, s23
	s_load_b128 s[8:11], s[0:1], 0x18
	s_load_b64 s[2:3], s[2:3], 0x0
	s_min_i32 s20, s6, 24
	s_delay_alu instid0(SALU_CYCLE_1)
	s_add_i32 s28, s20, -1
	v_cmpx_gt_i32_e64 s20, v0
	s_cbranch_execz .LBB92_10
; %bb.1:
	s_load_b32 s16, s[0:1], 0x30
	s_waitcnt lgkmcnt(0)
	s_ashr_i32 s17, s16, 31
	s_add_u32 s10, s10, s22
	s_addc_u32 s11, s11, s23
	s_cmp_lt_u32 s28, 3
	s_load_b64 s[10:11], s[10:11], 0x0
	s_cbranch_scc1 .LBB92_4
; %bb.2:
	v_lshlrev_b32_e32 v3, 3, v0
	s_lshl_b64 s[22:23], s[12:13], 3
	s_mul_hi_i32 s29, s16, 24
	s_waitcnt lgkmcnt(0)
	s_add_u32 s21, s10, s22
	s_addc_u32 s22, s11, s23
	v_add_co_u32 v1, s21, s21, v3
	s_delay_alu instid0(VALU_DEP_1)
	v_add_co_ci_u32_e64 v2, null, s22, 0, s21
	s_and_b32 s21, s20, -4
	s_mul_i32 s30, s16, 24
	s_lshl_b64 s[22:23], s[16:17], 5
	s_lshl_b64 s[24:25], s[16:17], 4
	;; [unrolled: 1-line block ×3, first 2 shown]
	s_mov_b32 s31, 0
	.p2align	6
.LBB92_3:                               ; =>This Inner Loop Header: Depth=1
	v_add_co_u32 v4, vcc_lo, v1, s26
	v_add_co_ci_u32_e32 v5, vcc_lo, s27, v2, vcc_lo
	v_add_co_u32 v6, vcc_lo, v1, s24
	v_add_co_ci_u32_e32 v7, vcc_lo, s25, v2, vcc_lo
	;; [unrolled: 2-line block ×3, first 2 shown]
	s_clause 0x3
	global_load_b64 v[10:11], v[1:2], off
	global_load_b64 v[4:5], v[4:5], off
	;; [unrolled: 1-line block ×4, first 2 shown]
	v_add_co_u32 v1, vcc_lo, v1, s22
	v_add_co_ci_u32_e32 v2, vcc_lo, s23, v2, vcc_lo
	s_add_i32 s31, s31, 4
	s_waitcnt vmcnt(2)
	ds_store_2addr_b64 v3, v[10:11], v[4:5] offset1:24
	s_waitcnt vmcnt(0)
	ds_store_2addr_b64 v3, v[6:7], v[8:9] offset0:48 offset1:72
	v_add_nc_u32_e32 v3, 0x300, v3
	s_cmp_eq_u32 s21, s31
	s_cbranch_scc0 .LBB92_3
.LBB92_4:
	s_and_b32 s22, s20, 3
	s_delay_alu instid0(SALU_CYCLE_1)
	s_cmp_eq_u32 s22, 0
	s_cbranch_scc1 .LBB92_7
; %bb.5:
	s_mul_i32 s23, s17, s21
	s_mul_hi_u32 s24, s16, s21
	s_lshl_b64 s[12:13], s[12:13], 3
	s_add_i32 s25, s24, s23
	s_mul_i32 s24, s16, s21
	v_lshlrev_b32_e32 v1, 3, v0
	s_lshl_b64 s[24:25], s[24:25], 3
	s_mulk_i32 s21, 0xc0
	s_add_u32 s12, s24, s12
	s_addc_u32 s13, s25, s13
	s_waitcnt lgkmcnt(0)
	s_add_u32 s10, s10, s12
	s_addc_u32 s11, s11, s13
	v_add_co_u32 v1, s10, s10, v1
	v_lshl_add_u32 v3, v0, 3, s21
	v_add_co_ci_u32_e64 v2, null, s11, 0, s10
	s_lshl_b64 s[10:11], s[16:17], 3
.LBB92_6:                               ; =>This Inner Loop Header: Depth=1
	global_load_b64 v[4:5], v[1:2], off
	v_add_co_u32 v1, vcc_lo, v1, s10
	v_add_co_ci_u32_e32 v2, vcc_lo, s11, v2, vcc_lo
	s_add_i32 s22, s22, -1
	s_delay_alu instid0(SALU_CYCLE_1)
	s_cmp_lg_u32 s22, 0
	s_waitcnt vmcnt(0)
	ds_store_b64 v3, v[4:5]
	v_add_nc_u32_e32 v3, 0xc0, v3
	s_cbranch_scc1 .LBB92_6
.LBB92_7:
	v_mul_u32_u24_e32 v3, 25, v0
	v_mov_b32_e32 v1, 0
	v_mov_b32_e32 v2, 0x3ff00000
	s_cmpk_lg_i32 s5, 0x84
	s_delay_alu instid0(VALU_DEP_3)
	v_lshlrev_b32_e32 v3, 3, v3
	s_cbranch_scc0 .LBB92_9
; %bb.8:
	ds_load_b64 v[1:2], v3
	s_waitcnt lgkmcnt(0)
	v_div_scale_f64 v[4:5], null, v[1:2], v[1:2], 1.0
	s_delay_alu instid0(VALU_DEP_1) | instskip(SKIP_2) | instid1(VALU_DEP_1)
	v_rcp_f64_e32 v[6:7], v[4:5]
	s_waitcnt_depctr 0xfff
	v_fma_f64 v[8:9], -v[4:5], v[6:7], 1.0
	v_fma_f64 v[6:7], v[6:7], v[8:9], v[6:7]
	s_delay_alu instid0(VALU_DEP_1) | instskip(NEXT) | instid1(VALU_DEP_1)
	v_fma_f64 v[8:9], -v[4:5], v[6:7], 1.0
	v_fma_f64 v[6:7], v[6:7], v[8:9], v[6:7]
	v_div_scale_f64 v[8:9], vcc_lo, 1.0, v[1:2], 1.0
	s_delay_alu instid0(VALU_DEP_1) | instskip(NEXT) | instid1(VALU_DEP_1)
	v_mul_f64 v[10:11], v[8:9], v[6:7]
	v_fma_f64 v[4:5], -v[4:5], v[10:11], v[8:9]
	s_delay_alu instid0(VALU_DEP_1) | instskip(NEXT) | instid1(VALU_DEP_1)
	v_div_fmas_f64 v[4:5], v[4:5], v[6:7], v[10:11]
	v_div_fixup_f64 v[1:2], v[4:5], v[1:2], 1.0
.LBB92_9:
	ds_store_b64 v3, v[1:2]
.LBB92_10:
	s_or_b32 exec_lo, exec_lo, s15
	s_clause 0x1
	s_load_b32 s5, s[0:1], 0x68
	s_load_b32 s16, s[0:1], 0x50
	s_lshl_b64 s[0:1], s[18:19], 3
	s_waitcnt lgkmcnt(0)
	s_mul_i32 s11, s14, 0xffffffe8
	s_mul_i32 s10, s14, 24
	s_ashr_i32 s17, s16, 31
	s_add_u32 s15, s2, s0
	s_addc_u32 s18, s3, s1
	s_add_i32 s5, s5, -1
	s_add_i32 s11, s11, s7
	s_mul_hi_i32 s13, s16, s10
	s_cmp_ge_u32 s14, s5
	s_mul_i32 s12, s16, s10
	s_cselect_b32 s14, s11, 24
	s_lshl_b64 s[12:13], s[12:13], 3
	s_ashr_i32 s11, s10, 31
	s_add_u32 s5, s15, s12
	s_addc_u32 s7, s18, s13
	v_cmp_gt_i32_e32 vcc_lo, s14, v0
	s_cmp_gt_i32 s6, 0
	s_mov_b32 s12, 0
	s_cselect_b32 s13, -1, 0
	s_delay_alu instid0(SALU_CYCLE_1) | instskip(NEXT) | instid1(SALU_CYCLE_1)
	s_and_b32 s18, vcc_lo, s13
	s_and_saveexec_b32 s19, s18
	s_cbranch_execz .LBB92_17
; %bb.11:
	s_cmp_lt_i32 s6, 8
	s_cbranch_scc1 .LBB92_14
; %bb.12:
	v_mad_i64_i32 v[1:2], null, s16, v0, 0
	v_lshl_or_b32 v3, v0, 3, 0x1200
	s_lshl_b32 s12, s20, 3
	s_mov_b64 s[14:15], 0
	s_and_b32 s13, s12, 0xc0
	s_mov_b32 s12, 0
	s_delay_alu instid0(VALU_DEP_2) | instskip(NEXT) | instid1(VALU_DEP_1)
	v_lshlrev_b64 v[1:2], 3, v[1:2]
	v_add_co_u32 v1, vcc_lo, s5, v1
	s_delay_alu instid0(VALU_DEP_2)
	v_add_co_ci_u32_e32 v2, vcc_lo, s7, v2, vcc_lo
	s_set_inst_prefetch_distance 0x1
	.p2align	6
.LBB92_13:                              ; =>This Inner Loop Header: Depth=1
	s_delay_alu instid0(VALU_DEP_2) | instskip(NEXT) | instid1(VALU_DEP_2)
	v_add_co_u32 v16, vcc_lo, v1, s14
	v_add_co_ci_u32_e32 v17, vcc_lo, s15, v2, vcc_lo
	s_add_i32 s12, s12, 8
	s_add_u32 s14, s14, 64
	s_addc_u32 s15, s15, 0
	s_clause 0x3
	global_load_b128 v[4:7], v[16:17], off
	global_load_b128 v[8:11], v[16:17], off offset:16
	global_load_b128 v[12:15], v[16:17], off offset:32
	;; [unrolled: 1-line block ×3, first 2 shown]
	s_cmp_lg_u32 s13, s14
	s_waitcnt vmcnt(3)
	v_mul_f64 v[4:5], v[4:5], s[8:9]
	v_mul_f64 v[6:7], v[6:7], s[8:9]
	s_waitcnt vmcnt(2)
	v_mul_f64 v[8:9], v[8:9], s[8:9]
	v_mul_f64 v[10:11], v[10:11], s[8:9]
	;; [unrolled: 3-line block ×4, first 2 shown]
	ds_store_2addr_b64 v3, v[4:5], v[6:7] offset1:24
	ds_store_2addr_b64 v3, v[8:9], v[10:11] offset0:48 offset1:72
	ds_store_2addr_b64 v3, v[12:13], v[14:15] offset0:96 offset1:120
	;; [unrolled: 1-line block ×3, first 2 shown]
	v_add_nc_u32_e32 v3, 0x600, v3
	s_cbranch_scc1 .LBB92_13
.LBB92_14:
	s_set_inst_prefetch_distance 0x2
	s_and_b32 s14, s20, 7
	s_mov_b32 s13, 0
	s_cmp_eq_u32 s14, 0
	s_cbranch_scc1 .LBB92_17
; %bb.15:
	v_lshlrev_b32_e32 v3, 3, v0
	s_lshl_b64 s[22:23], s[10:11], 3
	s_lshl_b64 s[24:25], s[12:13], 3
	s_mulk_i32 s12, 0xc0
	s_delay_alu instid0(VALU_DEP_1) | instskip(NEXT) | instid1(VALU_DEP_1)
	v_add_co_u32 v4, s13, s22, v3
	v_add_co_ci_u32_e64 v5, null, s23, 0, s13
	s_add_u32 s13, s2, s24
	s_addc_u32 s15, s3, s25
	s_add_u32 s22, s13, s0
	s_addc_u32 s23, s15, s1
	v_mul_lo_u32 v5, v5, s16
	v_mad_u64_u32 v[1:2], null, v4, s16, s[22:23]
	v_mul_lo_u32 v4, v4, s17
	v_add3_u32 v3, s12, v3, 0x1200
	s_delay_alu instid0(VALU_DEP_2)
	v_add3_u32 v2, v5, v2, v4
.LBB92_16:                              ; =>This Inner Loop Header: Depth=1
	global_load_b64 v[4:5], v[1:2], off
	v_add_co_u32 v1, vcc_lo, v1, 8
	v_add_co_ci_u32_e32 v2, vcc_lo, 0, v2, vcc_lo
	s_add_i32 s14, s14, -1
	s_delay_alu instid0(SALU_CYCLE_1)
	s_cmp_lg_u32 s14, 0
	s_waitcnt vmcnt(0)
	v_mul_f64 v[4:5], v[4:5], s[8:9]
	ds_store_b64 v3, v[4:5]
	v_add_nc_u32_e32 v3, 0xc0, v3
	s_cbranch_scc1 .LBB92_16
.LBB92_17:
	s_or_b32 exec_lo, exec_lo, s19
	s_cmpk_eq_i32 s4, 0x6f
	s_mov_b32 s4, -1
	s_waitcnt vmcnt(0) lgkmcnt(0)
	s_waitcnt_vscnt null, 0x0
	; wave barrier
	s_waitcnt lgkmcnt(0)
	buffer_gl0_inv
	s_cbranch_scc1 .LBB92_38
; %bb.18:
	s_cmp_gt_i32 s6, 23
	s_mov_b32 s8, 0
	s_cselect_b32 s4, -1, 0
	s_delay_alu instid0(SALU_CYCLE_1)
	s_and_b32 vcc_lo, exec_lo, s4
	s_cbranch_vccz .LBB92_20
; %bb.19:
	v_dual_mov_b32 v24, 0 :: v_dual_lshlrev_b32 v21, 3, v0
	v_add_nc_u32_e64 v125, 0x800, 0
	s_mov_b32 s8, 24
	s_delay_alu instid0(VALU_DEP_2)
	v_add_nc_u32_e32 v23, 0x1000, v21
	ds_load_2addr_b64 v[3:6], v24 offset1:50
	ds_load_2addr_b64 v[7:10], v23 offset0:64 offset1:88
	ds_load_b128 v[11:14], v24 offset:192
	ds_load_b128 v[15:18], v24 offset:384
	s_waitcnt lgkmcnt(2)
	v_mul_f64 v[1:2], v[3:4], v[7:8]
	s_waitcnt lgkmcnt(1)
	s_delay_alu instid0(VALU_DEP_1)
	v_fma_f64 v[3:4], -v[1:2], v[11:12], v[9:10]
	ds_load_2addr_b64 v[7:10], v23 offset0:112 offset1:136
	s_waitcnt lgkmcnt(0)
	v_fma_f64 v[7:8], -v[1:2], v[15:16], v[7:8]
	v_mul_f64 v[3:4], v[13:14], v[3:4]
	ds_load_b128 v[11:14], v24 offset:576
	ds_load_b128 v[25:28], v24 offset:592
	s_waitcnt lgkmcnt(1)
	v_fma_f64 v[11:12], -v[1:2], v[11:12], v[9:10]
	v_fma_f64 v[19:20], -v[3:4], v[17:18], v[7:8]
	ds_load_2addr_b64 v[7:10], v23 offset0:160 offset1:184
	ds_load_b128 v[15:18], v24 offset:768
	ds_load_b128 v[29:32], v24 offset:784
	s_waitcnt lgkmcnt(1)
	v_fma_f64 v[7:8], -v[1:2], v[15:16], v[7:8]
	v_fma_f64 v[15:16], -v[3:4], v[13:14], v[11:12]
	ds_load_b128 v[11:14], v24 offset:960
	ds_load_b128 v[33:36], v24 offset:976
	v_mul_f64 v[5:6], v[5:6], v[19:20]
	s_waitcnt lgkmcnt(1)
	v_fma_f64 v[11:12], -v[1:2], v[11:12], v[9:10]
	v_fma_f64 v[19:20], -v[3:4], v[17:18], v[7:8]
	s_delay_alu instid0(VALU_DEP_3)
	v_fma_f64 v[25:26], -v[5:6], v[25:26], v[15:16]
	ds_load_b128 v[7:10], v24 offset:1152
	ds_load_2addr_b64 v[15:18], v23 offset0:208 offset1:232
	v_fma_f64 v[37:38], -v[3:4], v[13:14], v[11:12]
	v_fma_f64 v[19:20], -v[5:6], v[29:30], v[19:20]
	s_waitcnt lgkmcnt(0)
	v_fma_f64 v[15:16], -v[1:2], v[7:8], v[15:16]
	v_mul_f64 v[7:8], v[27:28], v[25:26]
	ds_load_b128 v[11:14], v24 offset:1344
	ds_load_b128 v[26:29], v24 offset:1360
	v_add_nc_u32_e32 v25, 0x1800, v21
	v_fma_f64 v[53:54], -v[5:6], v[33:34], v[37:38]
	s_waitcnt lgkmcnt(1)
	v_fma_f64 v[49:50], -v[1:2], v[11:12], v[17:18]
	v_fma_f64 v[51:52], -v[3:4], v[9:10], v[15:16]
	v_fma_f64 v[19:20], -v[7:8], v[31:32], v[19:20]
	ds_load_b128 v[9:12], v24 offset:1536
	ds_load_2addr_b64 v[15:18], v25 offset1:24
	ds_load_b128 v[30:33], v24 offset:1168
	ds_load_2addr_b64 v[37:40], v24 offset0:100 offset1:150
	ds_load_b128 v[41:44], v24 offset:1184
	ds_load_b128 v[45:48], v24 offset:1552
	v_fma_f64 v[53:54], -v[7:8], v[35:36], v[53:54]
	s_waitcnt lgkmcnt(4)
	v_fma_f64 v[55:56], -v[1:2], v[9:10], v[15:16]
	v_fma_f64 v[57:58], -v[3:4], v[13:14], v[49:50]
	s_waitcnt lgkmcnt(3)
	v_fma_f64 v[30:31], -v[5:6], v[30:31], v[51:52]
	s_waitcnt lgkmcnt(2)
	v_mul_f64 v[9:10], v[37:38], v[19:20]
	ds_load_b128 v[13:16], v24 offset:1728
	ds_load_b128 v[34:37], v24 offset:992
	ds_load_b128 v[49:52], v24 offset:1744
	v_fma_f64 v[55:56], -v[3:4], v[11:12], v[55:56]
	s_waitcnt lgkmcnt(2)
	v_fma_f64 v[59:60], -v[1:2], v[13:14], v[17:18]
	v_fma_f64 v[26:27], -v[5:6], v[26:27], v[57:58]
	;; [unrolled: 1-line block ×3, first 2 shown]
	ds_load_b128 v[11:14], v24 offset:1920
	ds_load_2addr_b64 v[17:20], v25 offset0:48 offset1:72
	s_waitcnt lgkmcnt(3)
	v_fma_f64 v[32:33], -v[9:10], v[34:35], v[53:54]
	s_waitcnt lgkmcnt(0)
	v_fma_f64 v[53:54], -v[1:2], v[11:12], v[17:18]
	v_fma_f64 v[45:46], -v[5:6], v[45:46], v[55:56]
	;; [unrolled: 1-line block ×5, first 2 shown]
	v_mul_f64 v[11:12], v[36:37], v[32:33]
	ds_load_b128 v[15:18], v24 offset:2112
	ds_load_b128 v[26:29], v24 offset:1376
	ds_load_b128 v[30:33], v24 offset:1392
	ds_load_b128 v[34:37], v24 offset:2128
	v_fma_f64 v[69:70], -v[3:4], v[13:14], v[53:54]
	v_fma_f64 v[71:72], -v[7:8], v[47:48], v[45:46]
	s_waitcnt lgkmcnt(3)
	v_fma_f64 v[19:20], -v[1:2], v[15:16], v[19:20]
	v_fma_f64 v[49:50], -v[5:6], v[49:50], v[57:58]
	s_waitcnt lgkmcnt(2)
	v_fma_f64 v[26:27], -v[9:10], v[26:27], v[55:56]
	v_fma_f64 v[73:74], -v[11:12], v[43:44], v[41:42]
	ds_load_b128 v[13:16], v24 offset:2304
	ds_load_2addr_b64 v[41:44], v25 offset0:96 offset1:120
	ds_load_b128 v[45:48], v24 offset:1936
	ds_load_b128 v[53:56], v24 offset:1568
	;; [unrolled: 1-line block ×5, first 2 shown]
	s_waitcnt lgkmcnt(5)
	v_fma_f64 v[75:76], -v[1:2], v[13:14], v[41:42]
	s_waitcnt lgkmcnt(4)
	v_fma_f64 v[45:46], -v[5:6], v[45:46], v[69:70]
	v_fma_f64 v[77:78], -v[3:4], v[17:18], v[19:20]
	;; [unrolled: 1-line block ×3, first 2 shown]
	s_waitcnt lgkmcnt(3)
	v_fma_f64 v[53:54], -v[9:10], v[53:54], v[71:72]
	v_fma_f64 v[71:72], -v[11:12], v[28:29], v[26:27]
	v_mul_f64 v[13:14], v[39:40], v[73:74]
	ds_load_b128 v[17:20], v24 offset:2496
	ds_load_b128 v[26:29], v24 offset:1760
	;; [unrolled: 1-line block ×4, first 2 shown]
	v_fma_f64 v[75:76], -v[3:4], v[15:16], v[75:76]
	v_fma_f64 v[46:47], -v[7:8], v[47:48], v[45:46]
	s_waitcnt lgkmcnt(3)
	v_fma_f64 v[73:74], -v[1:2], v[17:18], v[43:44]
	v_fma_f64 v[34:35], -v[5:6], v[34:35], v[77:78]
	s_waitcnt lgkmcnt(2)
	v_fma_f64 v[26:27], -v[9:10], v[26:27], v[69:70]
	v_fma_f64 v[53:54], -v[11:12], v[55:56], v[53:54]
	ds_load_b128 v[15:18], v24 offset:2688
	ds_load_2addr_b64 v[42:45], v25 offset0:144 offset1:168
	v_fma_f64 v[30:31], -v[13:14], v[30:31], v[71:72]
	s_waitcnt lgkmcnt(0)
	v_fma_f64 v[42:43], -v[1:2], v[15:16], v[42:43]
	v_fma_f64 v[65:66], -v[5:6], v[65:66], v[75:76]
	;; [unrolled: 1-line block ×7, first 2 shown]
	v_mul_f64 v[15:16], v[32:33], v[30:31]
	ds_load_b128 v[26:29], v24 offset:2880
	ds_load_b128 v[30:33], v24 offset:2144
	;; [unrolled: 1-line block ×4, first 2 shown]
	v_fma_f64 v[85:86], -v[3:4], v[17:18], v[42:43]
	v_fma_f64 v[89:90], -v[7:8], v[67:68], v[65:66]
	;; [unrolled: 1-line block ×3, first 2 shown]
	s_waitcnt lgkmcnt(3)
	v_fma_f64 v[26:27], -v[1:2], v[26:27], v[44:45]
	v_fma_f64 v[87:88], -v[5:6], v[49:50], v[19:20]
	s_waitcnt lgkmcnt(2)
	v_fma_f64 v[30:31], -v[9:10], v[30:31], v[69:70]
	v_fma_f64 v[38:39], -v[13:14], v[38:39], v[61:62]
	;; [unrolled: 1-line block ×3, first 2 shown]
	ds_load_b128 v[17:20], v24 offset:3072
	ds_load_2addr_b64 v[42:45], v25 offset0:192 offset1:216
	ds_load_b128 v[46:49], v24 offset:2704
	ds_load_b128 v[57:60], v24 offset:2336
	;; [unrolled: 1-line block ×3, first 2 shown]
	ds_load_2addr_b64 v[65:68], v24 offset0:200 offset1:250
	ds_load_b128 v[69:72], v24 offset:1984
	ds_load_b128 v[73:76], v24 offset:2352
	ds_load_b128 v[77:80], v24 offset:2720
	ds_load_b128 v[81:84], v24 offset:3088
	s_waitcnt lgkmcnt(8)
	v_fma_f64 v[42:43], -v[1:2], v[17:18], v[42:43]
	s_waitcnt lgkmcnt(7)
	v_fma_f64 v[46:47], -v[5:6], v[46:47], v[85:86]
	;; [unrolled: 2-line block ×4, first 2 shown]
	v_fma_f64 v[95:96], -v[3:4], v[28:29], v[26:27]
	v_fma_f64 v[50:51], -v[7:8], v[51:52], v[87:88]
	v_fma_f64 v[97:98], -v[11:12], v[32:33], v[30:31]
	v_fma_f64 v[99:100], -v[15:16], v[40:41], v[38:39]
	ds_load_b128 v[26:29], v24 offset:3264
	ds_load_b128 v[30:33], v24 offset:2528
	;; [unrolled: 1-line block ×5, first 2 shown]
	s_waitcnt lgkmcnt(9)
	v_mul_f64 v[17:18], v[65:66], v[93:94]
	s_waitcnt lgkmcnt(4)
	v_fma_f64 v[65:66], -v[1:2], v[26:27], v[44:45]
	v_add_nc_u32_e32 v26, 0x1c00, v21
	v_fma_f64 v[19:20], -v[3:4], v[19:20], v[42:43]
	v_fma_f64 v[93:94], -v[7:8], v[48:49], v[46:47]
	ds_load_b128 v[42:45], v24 offset:3456
	ds_load_2addr_b64 v[46:49], v26 offset0:112 offset1:136
	v_fma_f64 v[52:53], -v[5:6], v[53:54], v[95:96]
	s_waitcnt lgkmcnt(5)
	v_fma_f64 v[30:31], -v[9:10], v[30:31], v[50:51]
	v_fma_f64 v[50:51], -v[11:12], v[59:60], v[57:58]
	;; [unrolled: 1-line block ×4, first 2 shown]
	s_waitcnt lgkmcnt(0)
	v_fma_f64 v[46:47], -v[1:2], v[42:43], v[46:47]
	v_fma_f64 v[38:39], -v[17:18], v[38:39], v[99:100]
	;; [unrolled: 1-line block ×11, first 2 shown]
	v_mul_f64 v[19:20], v[40:41], v[38:39]
	ds_load_b128 v[27:30], v24 offset:3648
	ds_load_b128 v[31:34], v24 offset:2912
	;; [unrolled: 1-line block ×6, first 2 shown]
	v_fma_f64 v[89:90], -v[5:6], v[89:90], v[59:60]
	v_fma_f64 v[111:112], -v[7:8], v[83:84], v[61:62]
	;; [unrolled: 1-line block ×3, first 2 shown]
	s_waitcnt lgkmcnt(5)
	v_fma_f64 v[48:49], -v[1:2], v[27:28], v[48:49]
	v_add_nc_u32_e32 v27, 0x2000, v21
	s_waitcnt lgkmcnt(4)
	v_fma_f64 v[31:32], -v[9:10], v[31:32], v[63:64]
	v_fma_f64 v[85:86], -v[13:14], v[85:86], v[77:78]
	;; [unrolled: 1-line block ×3, first 2 shown]
	s_waitcnt lgkmcnt(3)
	v_fma_f64 v[35:36], -v[17:18], v[35:36], v[81:82]
	v_fma_f64 v[117:118], -v[19:20], v[71:72], v[69:70]
	ds_load_b128 v[43:46], v24 offset:3840
	ds_load_2addr_b64 v[58:61], v27 offset0:32 offset1:56
	ds_load_b128 v[62:65], v24 offset:3472
	ds_load_b128 v[69:72], v24 offset:3104
	;; [unrolled: 1-line block ×9, first 2 shown]
	s_waitcnt lgkmcnt(9)
	v_fma_f64 v[43:44], -v[1:2], v[43:44], v[58:59]
	s_waitcnt lgkmcnt(8)
	v_fma_f64 v[58:59], -v[5:6], v[62:63], v[109:110]
	v_fma_f64 v[62:63], -v[7:8], v[91:92], v[89:90]
	s_waitcnt lgkmcnt(7)
	v_fma_f64 v[119:120], -v[9:10], v[69:70], v[111:112]
	;; [unrolled: 3-line block ×3, first 2 shown]
	v_fma_f64 v[121:122], -v[11:12], v[33:34], v[31:32]
	v_fma_f64 v[113:114], -v[15:16], v[87:88], v[85:86]
	s_waitcnt lgkmcnt(5)
	v_fma_f64 v[77:78], -v[17:18], v[77:78], v[115:116]
	v_fma_f64 v[36:37], -v[19:20], v[37:38], v[35:36]
	v_mul_f64 v[21:22], v[67:68], v[117:118]
	ds_load_b128 v[28:31], v24 offset:4032
	ds_load_b128 v[32:35], v24 offset:3296
	ds_load_b128 v[66:69], v24 offset:2560
	ds_load_b128 v[85:88], v24 offset:2576
	ds_load_b128 v[89:92], v24 offset:3312
	ds_load_b128 v[109:112], v24 offset:4048
	s_waitcnt lgkmcnt(5)
	v_fma_f64 v[28:29], -v[1:2], v[28:29], v[60:61]
	v_fma_f64 v[60:61], -v[3:4], v[45:46], v[43:44]
	;; [unrolled: 1-line block ×4, first 2 shown]
	s_waitcnt lgkmcnt(4)
	v_fma_f64 v[32:33], -v[9:10], v[32:33], v[62:63]
	v_fma_f64 v[58:59], -v[11:12], v[71:72], v[119:120]
	;; [unrolled: 1-line block ×4, first 2 shown]
	s_waitcnt lgkmcnt(3)
	v_fma_f64 v[64:65], -v[17:18], v[66:67], v[113:114]
	v_fma_f64 v[66:67], -v[19:20], v[79:80], v[77:78]
	;; [unrolled: 1-line block ×3, first 2 shown]
	ds_load_b128 v[36:39], v24 offset:4224
	ds_load_2addr_b64 v[43:46], v27 offset0:80 offset1:104
	v_fma_f64 v[72:73], -v[3:4], v[30:31], v[28:29]
	v_fma_f64 v[60:61], -v[5:6], v[105:106], v[60:61]
	;; [unrolled: 1-line block ×5, first 2 shown]
	s_waitcnt lgkmcnt(0)
	v_fma_f64 v[36:37], -v[1:2], v[36:37], v[43:44]
	v_fma_f64 v[97:98], -v[13:14], v[97:98], v[58:59]
	;; [unrolled: 1-line block ×6, first 2 shown]
	v_mul_f64 v[113:114], v[41:42], v[70:71]
	ds_load_b128 v[28:31], v24 offset:3680
	ds_load_b128 v[32:35], v24 offset:2944
	;; [unrolled: 1-line block ×6, first 2 shown]
	v_fma_f64 v[109:110], -v[5:6], v[109:110], v[72:73]
	v_fma_f64 v[107:108], -v[7:8], v[107:108], v[60:61]
	s_waitcnt lgkmcnt(5)
	v_fma_f64 v[28:29], -v[9:10], v[28:29], v[74:75]
	v_fma_f64 v[115:116], -v[11:12], v[103:104], v[76:77]
	;; [unrolled: 1-line block ×5, first 2 shown]
	s_waitcnt lgkmcnt(4)
	v_fma_f64 v[32:33], -v[17:18], v[32:33], v[101:102]
	v_fma_f64 v[119:120], -v[19:20], v[95:96], v[62:63]
	;; [unrolled: 1-line block ×3, first 2 shown]
	s_waitcnt lgkmcnt(3)
	v_fma_f64 v[40:41], -v[1:2], v[40:41], v[45:46]
	v_fma_f64 v[123:124], -v[113:114], v[83:84], v[66:67]
	ds_load_b128 v[36:39], v24 offset:4240
	ds_load_b128 v[59:62], v24 offset:3872
	;; [unrolled: 1-line block ×5, first 2 shown]
	ds_load_2addr_b64 v[75:78], v125 offset0:44 offset1:94
	ds_load_b128 v[79:82], v24 offset:2784
	ds_load_b128 v[83:86], v24 offset:3152
	ds_load_b128 v[93:96], v24 offset:3520
	ds_load_b128 v[97:100], v24 offset:3888
	ds_load_b128 v[101:104], v24 offset:4256
	v_fma_f64 v[44:45], -v[7:8], v[111:112], v[109:110]
	v_fma_f64 v[109:110], -v[11:12], v[30:31], v[28:29]
	s_waitcnt lgkmcnt(9)
	v_fma_f64 v[59:60], -v[9:10], v[59:60], v[107:108]
	v_fma_f64 v[36:37], -v[5:6], v[36:37], v[105:106]
	s_waitcnt lgkmcnt(8)
	;; [unrolled: 3-line block ×5, first 2 shown]
	v_mul_f64 v[117:118], v[75:76], v[123:124]
	v_fma_f64 v[75:76], -v[3:4], v[42:43], v[40:41]
	ds_load_b128 v[28:31], v24 offset:4064
	ds_load_b128 v[32:35], v24 offset:3328
	;; [unrolled: 1-line block ×5, first 2 shown]
	s_waitcnt lgkmcnt(4)
	v_fma_f64 v[28:29], -v[9:10], v[28:29], v[44:45]
	v_fma_f64 v[44:45], -v[13:14], v[51:52], v[109:110]
	;; [unrolled: 1-line block ×5, first 2 shown]
	s_waitcnt lgkmcnt(3)
	v_fma_f64 v[32:33], -v[17:18], v[32:33], v[91:92]
	v_fma_f64 v[59:60], -v[19:20], v[69:70], v[67:68]
	;; [unrolled: 1-line block ×4, first 2 shown]
	s_waitcnt lgkmcnt(2)
	v_fma_f64 v[40:41], -v[117:118], v[40:41], v[115:116]
	v_fma_f64 v[55:56], -v[5:6], v[55:56], v[75:76]
	;; [unrolled: 1-line block ×11, first 2 shown]
	v_mul_f64 v[91:92], v[42:43], v[40:41]
	v_fma_f64 v[55:56], -v[7:8], v[57:58], v[55:56]
	ds_load_b128 v[28:31], v24 offset:3712
	ds_load_b128 v[32:35], v24 offset:2976
	;; [unrolled: 1-line block ×6, first 2 shown]
	s_waitcnt lgkmcnt(6)
	v_fma_f64 v[97:98], -v[13:14], v[105:106], v[65:66]
	s_waitcnt lgkmcnt(5)
	v_fma_f64 v[28:29], -v[17:18], v[28:29], v[53:54]
	v_fma_f64 v[93:94], -v[11:12], v[103:104], v[63:64]
	;; [unrolled: 1-line block ×6, first 2 shown]
	s_waitcnt lgkmcnt(4)
	v_fma_f64 v[32:33], -v[117:118], v[32:33], v[73:74]
	v_fma_f64 v[103:104], -v[91:92], v[81:82], v[61:62]
	s_waitcnt lgkmcnt(3)
	v_fma_f64 v[36:37], -v[9:10], v[36:37], v[55:56]
	ds_load_b128 v[52:55], v24 offset:4272
	ds_load_b128 v[56:59], v24 offset:3904
	;; [unrolled: 1-line block ×8, first 2 shown]
	s_waitcnt lgkmcnt(7)
	v_fma_f64 v[52:53], -v[13:14], v[52:53], v[93:94]
	v_fma_f64 v[93:94], -v[15:16], v[107:108], v[97:98]
	s_waitcnt lgkmcnt(6)
	v_fma_f64 v[56:57], -v[17:18], v[56:57], v[99:100]
	v_fma_f64 v[97:98], -v[19:20], v[30:31], v[28:29]
	;; [unrolled: 3-line block ×4, first 2 shown]
	v_mul_f64 v[76:77], v[77:78], v[103:104]
	v_fma_f64 v[101:102], -v[11:12], v[38:39], v[36:37]
	ds_load_b128 v[28:31], v24 offset:4096
	ds_load_b128 v[32:35], v24 offset:3360
	;; [unrolled: 1-line block ×4, first 2 shown]
	v_fma_f64 v[52:53], -v[15:16], v[54:55], v[52:53]
	s_waitcnt lgkmcnt(3)
	v_fma_f64 v[28:29], -v[17:18], v[28:29], v[93:94]
	v_fma_f64 v[54:55], -v[19:20], v[58:59], v[56:57]
	;; [unrolled: 1-line block ×4, first 2 shown]
	s_waitcnt lgkmcnt(2)
	v_fma_f64 v[32:33], -v[117:118], v[32:33], v[95:96]
	v_fma_f64 v[58:59], -v[91:92], v[66:67], v[64:65]
	v_fma_f64 v[40:41], -v[76:77], v[40:41], v[99:100]
	v_fma_f64 v[48:49], -v[13:14], v[48:49], v[101:102]
	v_fma_f64 v[52:53], -v[17:18], v[83:84], v[52:53]
	v_fma_f64 v[60:61], -v[19:20], v[30:31], v[28:29]
	v_fma_f64 v[54:55], -v[21:22], v[79:80], v[54:55]
	v_fma_f64 v[62:63], -v[113:114], v[46:47], v[44:45]
	v_fma_f64 v[56:57], -v[117:118], v[72:73], v[56:57]
	v_fma_f64 v[64:65], -v[91:92], v[34:35], v[32:33]
	v_fma_f64 v[58:59], -v[76:77], v[68:69], v[58:59]
	v_mul_f64 v[78:79], v[42:43], v[40:41]
	v_fma_f64 v[48:49], -v[15:16], v[50:51], v[48:49]
	ds_load_b128 v[28:31], v24 offset:3744
	ds_load_b128 v[32:35], v24 offset:4480
	;; [unrolled: 1-line block ×4, first 2 shown]
	v_fma_f64 v[83:84], -v[19:20], v[85:86], v[52:53]
	s_waitcnt lgkmcnt(4)
	v_fma_f64 v[85:86], -v[21:22], v[87:88], v[60:61]
	v_fma_f64 v[80:81], -v[113:114], v[81:82], v[54:55]
	s_waitcnt lgkmcnt(3)
	v_fma_f64 v[28:29], -v[117:118], v[28:29], v[62:63]
	v_fma_f64 v[87:88], -v[91:92], v[74:75], v[56:57]
	;; [unrolled: 1-line block ×4, first 2 shown]
	s_waitcnt lgkmcnt(2)
	v_fma_f64 v[32:33], -v[17:18], v[32:33], v[48:49]
	ds_load_b128 v[48:51], v24 offset:4304
	ds_load_b128 v[52:55], v24 offset:3936
	;; [unrolled: 1-line block ×3, first 2 shown]
	ds_load_2addr_b64 v[60:63], v125 offset0:144 offset1:194
	ds_load_b128 v[64:67], v24 offset:3584
	ds_load_b128 v[68:71], v24 offset:3952
	;; [unrolled: 1-line block ×3, first 2 shown]
	s_waitcnt lgkmcnt(6)
	v_fma_f64 v[48:49], -v[21:22], v[48:49], v[83:84]
	v_fma_f64 v[82:83], -v[113:114], v[89:90], v[85:86]
	s_waitcnt lgkmcnt(5)
	v_fma_f64 v[52:53], -v[117:118], v[52:53], v[80:81]
	v_fma_f64 v[80:81], -v[91:92], v[30:31], v[28:29]
	;; [unrolled: 3-line block ×3, first 2 shown]
	s_waitcnt lgkmcnt(3)
	v_mul_f64 v[60:61], v[60:61], v[93:94]
	v_fma_f64 v[86:87], -v[19:20], v[34:35], v[32:33]
	ds_load_b128 v[28:31], v24 offset:4128
	ds_load_b128 v[32:35], v24 offset:3392
	;; [unrolled: 1-line block ×3, first 2 shown]
	v_fma_f64 v[48:49], -v[113:114], v[50:51], v[48:49]
	s_waitcnt lgkmcnt(2)
	v_fma_f64 v[28:29], -v[117:118], v[28:29], v[82:83]
	v_fma_f64 v[50:51], -v[91:92], v[54:55], v[52:53]
	;; [unrolled: 1-line block ×4, first 2 shown]
	s_waitcnt lgkmcnt(1)
	v_fma_f64 v[32:33], -v[60:61], v[32:33], v[84:85]
	v_fma_f64 v[44:45], -v[21:22], v[44:45], v[86:87]
	v_fma_f64 v[48:49], -v[117:118], v[72:73], v[48:49]
	v_fma_f64 v[54:55], -v[91:92], v[30:31], v[28:29]
	v_fma_f64 v[50:51], -v[76:77], v[68:69], v[50:51]
	v_fma_f64 v[56:57], -v[78:79], v[42:43], v[40:41]
	v_fma_f64 v[52:53], -v[60:61], v[64:65], v[52:53]
	v_mul_f64 v[68:69], v[34:35], v[32:33]
	v_fma_f64 v[58:59], -v[113:114], v[46:47], v[44:45]
	ds_load_b128 v[28:31], v24 offset:3776
	ds_load_b128 v[32:35], v24 offset:4512
	;; [unrolled: 1-line block ×4, first 2 shown]
	v_fma_f64 v[72:73], -v[91:92], v[74:75], v[48:49]
	s_waitcnt lgkmcnt(4)
	v_fma_f64 v[36:37], -v[76:77], v[36:37], v[54:55]
	v_fma_f64 v[70:71], -v[78:79], v[70:71], v[50:51]
	s_waitcnt lgkmcnt(3)
	v_fma_f64 v[28:29], -v[60:61], v[28:29], v[56:57]
	;; [unrolled: 3-line block ×3, first 2 shown]
	ds_load_b128 v[48:51], v24 offset:4336
	ds_load_b128 v[52:55], v24 offset:3968
	;; [unrolled: 1-line block ×4, first 2 shown]
	s_waitcnt lgkmcnt(3)
	v_fma_f64 v[48:49], -v[76:77], v[48:49], v[72:73]
	v_fma_f64 v[36:37], -v[78:79], v[38:39], v[36:37]
	s_waitcnt lgkmcnt(2)
	v_fma_f64 v[38:39], -v[60:61], v[52:53], v[70:71]
	v_fma_f64 v[52:53], -v[68:69], v[30:31], v[28:29]
	v_mul_f64 v[62:63], v[62:63], v[74:75]
	v_fma_f64 v[70:71], -v[91:92], v[34:35], v[32:33]
	ds_load_b128 v[28:31], v24 offset:4160
	ds_load_b128 v[32:35], v24 offset:4176
	v_fma_f64 v[48:49], -v[78:79], v[50:51], v[48:49]
	s_waitcnt lgkmcnt(1)
	v_fma_f64 v[28:29], -v[60:61], v[28:29], v[36:37]
	v_fma_f64 v[36:37], -v[68:69], v[54:55], v[38:39]
	;; [unrolled: 1-line block ×7, first 2 shown]
	v_mul_f64 v[52:53], v[42:43], v[38:39]
	v_fma_f64 v[40:41], -v[78:79], v[46:47], v[40:41]
	ds_load_b128 v[28:31], v24 offset:4544
	ds_load_b128 v[36:39], v24 offset:4560
	v_fma_f64 v[54:55], -v[68:69], v[66:67], v[44:45]
	s_waitcnt lgkmcnt(2)
	v_fma_f64 v[32:33], -v[62:63], v[32:33], v[48:49]
	v_add_nc_u32_e64 v44, 0xc00, 0
	v_fma_f64 v[56:57], -v[52:53], v[58:59], v[50:51]
	s_waitcnt lgkmcnt(1)
	v_fma_f64 v[28:29], -v[60:61], v[28:29], v[40:41]
	ds_load_b128 v[40:43], v24 offset:4368
	ds_load_2addr_b64 v[44:47], v44 offset0:116 offset1:166
	ds_load_b128 v[48:51], v24 offset:4384
	s_waitcnt lgkmcnt(2)
	v_fma_f64 v[40:41], -v[62:63], v[40:41], v[54:55]
	v_fma_f64 v[32:33], -v[52:53], v[34:35], v[32:33]
	s_waitcnt lgkmcnt(1)
	v_mul_f64 v[44:45], v[44:45], v[56:57]
	v_fma_f64 v[34:35], -v[68:69], v[30:31], v[28:29]
	ds_load_b128 v[28:31], v24 offset:4192
	v_fma_f64 v[40:41], -v[52:53], v[42:43], v[40:41]
	s_waitcnt lgkmcnt(0)
	v_fma_f64 v[28:29], -v[44:45], v[28:29], v[32:33]
	v_fma_f64 v[32:33], -v[62:63], v[36:37], v[34:35]
	s_delay_alu instid0(VALU_DEP_3) | instskip(NEXT) | instid1(VALU_DEP_3)
	v_fma_f64 v[36:37], -v[44:45], v[48:49], v[40:41]
	v_mul_f64 v[40:41], v[30:31], v[28:29]
	s_delay_alu instid0(VALU_DEP_3)
	v_fma_f64 v[38:39], -v[52:53], v[38:39], v[32:33]
	ds_load_b128 v[28:31], v24 offset:4576
	ds_load_b128 v[32:35], v24 offset:4592
	ds_store_2addr_b64 v23, v[1:2], v[3:4] offset0:64 offset1:88
	ds_store_2addr_b64 v23, v[5:6], v[7:8] offset0:112 offset1:136
	;; [unrolled: 1-line block ×4, first 2 shown]
	ds_store_2addr_b64 v25, v[17:18], v[19:20] offset1:24
	ds_store_2addr_b64 v25, v[21:22], v[113:114] offset0:48 offset1:72
	ds_store_2addr_b64 v25, v[117:118], v[91:92] offset0:96 offset1:120
	ds_store_2addr_b64 v25, v[76:77], v[78:79] offset0:144 offset1:168
	ds_store_2addr_b64 v25, v[60:61], v[68:69] offset0:192 offset1:216
	ds_store_2addr_b64 v26, v[62:63], v[52:53] offset0:112 offset1:136
	ds_store_2addr_b64 v27, v[44:45], v[40:41] offset0:32 offset1:56
	v_fma_f64 v[36:37], -v[40:41], v[50:51], v[36:37]
	s_waitcnt lgkmcnt(12)
	v_fma_f64 v[28:29], -v[44:45], v[28:29], v[38:39]
	s_delay_alu instid0(VALU_DEP_2) | instskip(NEXT) | instid1(VALU_DEP_2)
	v_mul_f64 v[36:37], v[46:47], v[36:37]
	v_fma_f64 v[28:29], -v[40:41], v[30:31], v[28:29]
	s_waitcnt lgkmcnt(11)
	s_delay_alu instid0(VALU_DEP_1) | instskip(NEXT) | instid1(VALU_DEP_1)
	v_fma_f64 v[28:29], -v[36:37], v[32:33], v[28:29]
	v_mul_f64 v[28:29], v[34:35], v[28:29]
	ds_store_2addr_b64 v27, v[36:37], v[28:29] offset0:80 offset1:104
.LBB92_20:
	s_cmp_lt_i32 s8, s20
	s_cbranch_scc0 .LBB92_37
; %bb.21:
	s_add_i32 s9, s8, 19
	s_delay_alu instid0(SALU_CYCLE_1)
	s_cmp_ge_u32 s9, s20
	s_cbranch_scc1 .LBB92_26
; %bb.22:
	s_mul_i32 s12, s8, 24
	s_and_not1_b32 vcc_lo, exec_lo, s4
	v_add_lshl_u32 v37, s12, v0, 3
	s_add_i32 s13, s12, 0x1c8
	s_delay_alu instid0(SALU_CYCLE_1) | instskip(NEXT) | instid1(VALU_DEP_2)
	v_add_lshl_u32 v38, s13, v0, 3
	v_add_nc_u32_e32 v1, 0x1000, v37
	v_add_nc_u32_e32 v2, 0x1800, v37
	ds_load_2addr_b64 v[33:36], v1 offset0:64 offset1:88
	ds_load_2addr_b64 v[29:32], v1 offset0:112 offset1:136
	;; [unrolled: 1-line block ×4, first 2 shown]
	ds_load_2addr_b64 v[17:20], v2 offset1:24
	ds_load_2addr_b64 v[13:16], v2 offset0:48 offset1:72
	ds_load_2addr_b64 v[9:12], v2 offset0:96 offset1:120
	;; [unrolled: 1-line block ×4, first 2 shown]
	ds_load_b64 v[47:48], v37 offset:8064
	ds_load_b64 v[45:46], v38 offset:4608
	s_cbranch_vccnz .LBB92_25
; %bb.23:
	v_lshl_or_b32 v38, v0, 3, 0x1200
	s_mul_i32 s4, s8, 0xc0
	s_mov_b32 s13, 0
.LBB92_24:                              ; =>This Inner Loop Header: Depth=1
	v_mov_b32_e32 v61, s4
	v_add_nc_u32_e64 v65, 0x400, s4
	v_add_nc_u32_e64 v81, 0x800, s4
	ds_load_b64 v[43:44], v38
	v_add_nc_u32_e32 v38, 0xc0, v38
	ds_load_2addr_b64 v[39:42], v61 offset1:24
	ds_load_2addr_b64 v[49:52], v61 offset0:48 offset1:72
	ds_load_2addr_b64 v[53:56], v61 offset0:96 offset1:120
	;; [unrolled: 1-line block ×9, first 2 shown]
	s_add_i32 s13, s13, 1
	s_add_i32 s4, s4, 8
	s_cmp_lt_u32 s13, s8
	s_waitcnt lgkmcnt(9)
	v_fma_f64 v[33:34], -v[43:44], v[39:40], v[33:34]
	v_fma_f64 v[35:36], -v[43:44], v[41:42], v[35:36]
	s_waitcnt lgkmcnt(8)
	v_fma_f64 v[29:30], -v[43:44], v[49:50], v[29:30]
	v_fma_f64 v[31:32], -v[43:44], v[51:52], v[31:32]
	;; [unrolled: 3-line block ×10, first 2 shown]
	s_cbranch_scc1 .LBB92_24
.LBB92_25:
	s_mul_i32 s13, s8, 0xc8
	s_delay_alu instid0(SALU_CYCLE_1) | instskip(SKIP_3) | instid1(SALU_CYCLE_1)
	v_dual_mov_b32 v50, s13 :: v_dual_add_nc_u32 v49, 0x1200, v37
	s_add_i32 s4, s12, 24
	s_mul_i32 s9, s9, 24
	s_add_i32 s14, s4, s8
	s_lshl_b32 s14, s14, 3
	ds_load_2addr_b64 v[37:40], v50 offset1:50
	s_waitcnt lgkmcnt(0)
	v_mul_f64 v[33:34], v[37:38], v[33:34]
	v_mov_b32_e32 v37, s14
	s_add_i32 s14, s12, 48
	ds_load_b128 v[41:44], v37
	ds_load_b64 v[79:80], v50 offset:3600
	s_add_i32 s15, s14, s8
	s_delay_alu instid0(SALU_CYCLE_1) | instskip(SKIP_4) | instid1(SALU_CYCLE_1)
	s_lshl_b32 s15, s15, 3
	s_waitcnt lgkmcnt(1)
	v_fma_f64 v[41:42], -v[33:34], v[41:42], v[35:36]
	v_mov_b32_e32 v35, s15
	s_add_i32 s15, s12, 0x48
	s_add_i32 s19, s15, s8
	s_delay_alu instid0(SALU_CYCLE_1) | instskip(SKIP_3) | instid1(SALU_CYCLE_1)
	s_lshl_b32 s19, s19, 3
	ds_load_b128 v[35:38], v35
	v_mov_b32_e32 v55, s19
	s_add_i32 s19, s12, 0x60
	s_or_b32 s21, s19, s8
	ds_load_b128 v[51:54], v55
	s_lshl_b32 s21, s21, 3
	s_waitcnt lgkmcnt(1)
	v_fma_f64 v[29:30], -v[33:34], v[35:36], v[29:30]
	s_waitcnt lgkmcnt(0)
	v_fma_f64 v[35:36], -v[33:34], v[51:52], v[31:32]
	v_mov_b32_e32 v51, s21
	s_add_i32 s21, s12, 0x78
	s_delay_alu instid0(SALU_CYCLE_1) | instskip(SKIP_2) | instid1(SALU_CYCLE_1)
	s_add_i32 s22, s21, s8
	v_mul_f64 v[81:82], v[43:44], v[41:42]
	s_lshl_b32 s22, s22, 3
	v_mov_b32_e32 v56, s22
	s_add_i32 s22, s12, 0x90
	s_delay_alu instid0(SALU_CYCLE_1) | instskip(NEXT) | instid1(SALU_CYCLE_1)
	s_add_i32 s23, s22, s8
	s_lshl_b32 s23, s23, 3
	s_delay_alu instid0(SALU_CYCLE_1) | instskip(SKIP_1) | instid1(SALU_CYCLE_1)
	v_mov_b32_e32 v59, s23
	s_add_i32 s23, s12, 0xa8
	s_add_i32 s24, s23, s8
	s_delay_alu instid0(SALU_CYCLE_1) | instskip(NEXT) | instid1(SALU_CYCLE_1)
	s_lshl_b32 s24, s24, 3
	v_mov_b32_e32 v67, s24
	s_add_i32 s24, s12, 0xc0
	s_delay_alu instid0(SALU_CYCLE_1) | instskip(NEXT) | instid1(SALU_CYCLE_1)
	s_or_b32 s25, s24, s8
	s_lshl_b32 s25, s25, 3
	s_delay_alu instid0(SALU_CYCLE_1) | instskip(SKIP_1) | instid1(SALU_CYCLE_1)
	v_mov_b32_e32 v73, s25
	s_add_i32 s25, s12, 0xd8
	s_add_i32 s26, s25, s8
	s_delay_alu instid0(SALU_CYCLE_1) | instskip(NEXT) | instid1(SALU_CYCLE_1)
	s_lshl_b32 s26, s26, 3
	v_mov_b32_e32 v75, s26
	s_add_i32 s26, s12, 0xf0
	s_delay_alu instid0(SALU_CYCLE_1) | instskip(NEXT) | instid1(SALU_CYCLE_1)
	s_add_i32 s27, s26, s8
	s_lshl_b32 s27, s27, 3
	s_delay_alu instid0(SALU_CYCLE_1) | instskip(SKIP_3) | instid1(SALU_CYCLE_1)
	v_mov_b32_e32 v101, s27
	s_add_i32 s27, s12, 0x108
	v_fma_f64 v[37:38], -v[81:82], v[37:38], v[29:30]
	s_add_i32 s29, s27, s8
	s_lshl_b32 s29, s29, 3
	s_delay_alu instid0(SALU_CYCLE_1) | instskip(SKIP_1) | instid1(SALU_CYCLE_1)
	v_mov_b32_e32 v105, s29
	s_add_i32 s29, s12, 0x120
	s_or_b32 s30, s29, s8
	s_delay_alu instid0(SALU_CYCLE_1) | instskip(NEXT) | instid1(SALU_CYCLE_1)
	s_lshl_b32 s30, s30, 3
	v_mov_b32_e32 v106, s30
	s_add_i32 s30, s12, 0x138
	s_delay_alu instid0(SALU_CYCLE_1) | instskip(NEXT) | instid1(SALU_CYCLE_1)
	s_add_i32 s31, s30, s8
	s_lshl_b32 s31, s31, 3
	s_delay_alu instid0(SALU_CYCLE_1) | instskip(SKIP_1) | instid1(SALU_CYCLE_1)
	v_mov_b32_e32 v107, s31
	s_add_i32 s31, s12, 0x150
	s_add_i32 s33, s31, s8
	s_delay_alu instid0(SALU_CYCLE_1) | instskip(NEXT) | instid1(SALU_CYCLE_1)
	s_lshl_b32 s33, s33, 3
	v_mov_b32_e32 v108, s33
	s_add_i32 s33, s12, 0x168
	s_delay_alu instid0(SALU_CYCLE_1) | instskip(NEXT) | instid1(SALU_CYCLE_1)
	s_add_i32 s34, s33, s8
	s_lshl_b32 s34, s34, 3
	s_delay_alu instid0(SALU_CYCLE_1) | instskip(SKIP_1) | instid1(SALU_CYCLE_1)
	v_mov_b32_e32 v109, s34
	s_add_i32 s34, s12, 0x180
	s_or_b32 s35, s34, s8
	s_delay_alu instid0(SALU_CYCLE_1)
	s_lshl_b32 s35, s35, 3
	v_mul_f64 v[83:84], v[39:40], v[37:38]
	v_mov_b32_e32 v110, s35
	ds_load_b128 v[29:32], v51
	s_add_i32 s35, s12, 0x198
	s_addk_i32 s12, 0x1b0
	s_add_i32 s36, s35, s8
	s_delay_alu instid0(SALU_CYCLE_1) | instskip(NEXT) | instid1(SALU_CYCLE_1)
	s_lshl_b32 s36, s36, 3
	v_mov_b32_e32 v111, s36
	s_add_i32 s36, s12, s8
	s_delay_alu instid0(SALU_CYCLE_1) | instskip(NEXT) | instid1(SALU_CYCLE_1)
	s_lshl_b32 s36, s36, 3
	v_mov_b32_e32 v112, s36
	s_add_i32 s36, s9, s8
	s_add_i32 s8, s8, 20
	s_lshl_b32 s36, s36, 3
	s_delay_alu instid0(SALU_CYCLE_1)
	v_mov_b32_e32 v113, s36
	s_waitcnt lgkmcnt(0)
	v_fma_f64 v[25:26], -v[33:34], v[29:30], v[25:26]
	v_fma_f64 v[29:30], -v[81:82], v[53:54], v[35:36]
	ds_load_b128 v[35:38], v56
	ds_load_b128 v[39:42], v55 offset:16
	s_waitcnt lgkmcnt(1)
	v_fma_f64 v[35:36], -v[33:34], v[35:36], v[27:28]
	v_fma_f64 v[43:44], -v[81:82], v[31:32], v[25:26]
	s_waitcnt lgkmcnt(0)
	v_fma_f64 v[39:40], -v[83:84], v[39:40], v[29:30]
	ds_load_b128 v[25:28], v59
	ds_load_b128 v[29:32], v51 offset:16
	ds_load_b128 v[51:54], v59 offset:16
	s_waitcnt lgkmcnt(2)
	v_fma_f64 v[21:22], -v[33:34], v[25:26], v[21:22]
	v_fma_f64 v[25:26], -v[81:82], v[37:38], v[35:36]
	s_waitcnt lgkmcnt(1)
	v_fma_f64 v[29:30], -v[83:84], v[29:30], v[43:44]
	v_mul_f64 v[85:86], v[41:42], v[39:40]
	ds_load_b128 v[35:38], v67
	ds_load_b128 v[39:42], v56 offset:16
	ds_load_b128 v[55:58], v56 offset:32
	s_waitcnt lgkmcnt(2)
	v_fma_f64 v[35:36], -v[33:34], v[35:36], v[23:24]
	v_fma_f64 v[43:44], -v[81:82], v[27:28], v[21:22]
	s_waitcnt lgkmcnt(1)
	v_fma_f64 v[39:40], -v[83:84], v[39:40], v[25:26]
	ds_load_b128 v[21:24], v73
	ds_load_2addr_b64 v[25:28], v50 offset0:100 offset1:150
	v_fma_f64 v[29:30], -v[85:86], v[31:32], v[29:30]
	s_waitcnt lgkmcnt(1)
	v_fma_f64 v[17:18], -v[33:34], v[21:22], v[17:18]
	v_fma_f64 v[21:22], -v[81:82], v[37:38], v[35:36]
	;; [unrolled: 1-line block ×4, first 2 shown]
	s_waitcnt lgkmcnt(0)
	v_mul_f64 v[87:88], v[25:26], v[29:30]
	ds_load_b128 v[29:32], v75
	ds_load_b128 v[35:38], v67 offset:16
	ds_load_b128 v[39:42], v67 offset:32
	s_waitcnt lgkmcnt(2)
	v_fma_f64 v[25:26], -v[33:34], v[29:30], v[19:20]
	v_fma_f64 v[29:30], -v[81:82], v[23:24], v[17:18]
	s_waitcnt lgkmcnt(1)
	v_fma_f64 v[35:36], -v[83:84], v[35:36], v[21:22]
	v_fma_f64 v[43:44], -v[85:86], v[53:54], v[43:44]
	;; [unrolled: 1-line block ×3, first 2 shown]
	ds_load_b128 v[17:20], v101
	ds_load_b128 v[21:24], v73 offset:16
	ds_load_b128 v[51:54], v59 offset:32
	;; [unrolled: 1-line block ×4, first 2 shown]
	s_waitcnt lgkmcnt(4)
	v_fma_f64 v[13:14], -v[33:34], v[17:18], v[13:14]
	v_fma_f64 v[17:18], -v[81:82], v[31:32], v[25:26]
	s_waitcnt lgkmcnt(3)
	v_fma_f64 v[21:22], -v[83:84], v[21:22], v[29:30]
	v_fma_f64 v[25:26], -v[85:86], v[37:38], v[35:36]
	s_waitcnt lgkmcnt(2)
	v_fma_f64 v[43:44], -v[87:88], v[51:52], v[43:44]
	v_mul_f64 v[89:90], v[57:58], v[55:56]
	ds_load_b128 v[29:32], v105
	ds_load_b128 v[35:38], v75 offset:16
	ds_load_b128 v[55:58], v75 offset:32
	v_fma_f64 v[19:20], -v[81:82], v[19:20], v[13:14]
	s_waitcnt lgkmcnt(2)
	v_fma_f64 v[29:30], -v[33:34], v[29:30], v[15:16]
	s_waitcnt lgkmcnt(1)
	v_fma_f64 v[17:18], -v[83:84], v[35:36], v[17:18]
	v_fma_f64 v[21:22], -v[85:86], v[23:24], v[21:22]
	;; [unrolled: 1-line block ×3, first 2 shown]
	ds_load_b128 v[13:16], v106
	v_fma_f64 v[25:26], -v[89:90], v[53:54], v[43:44]
	s_waitcnt lgkmcnt(0)
	v_fma_f64 v[9:10], -v[33:34], v[13:14], v[9:10]
	v_fma_f64 v[13:14], -v[81:82], v[31:32], v[29:30]
	;; [unrolled: 1-line block ×6, first 2 shown]
	ds_load_b128 v[17:20], v107
	ds_load_b128 v[21:24], v105 offset:16
	ds_load_b64 v[39:40], v67 offset:48
	v_mul_f64 v[91:92], v[27:28], v[25:26]
	ds_load_b128 v[25:28], v105 offset:32
	s_waitcnt lgkmcnt(3)
	v_fma_f64 v[17:18], -v[33:34], v[17:18], v[11:12]
	v_fma_f64 v[43:44], -v[81:82], v[15:16], v[9:10]
	s_waitcnt lgkmcnt(2)
	v_fma_f64 v[21:22], -v[83:84], v[21:22], v[13:14]
	v_fma_f64 v[67:68], -v[85:86], v[65:66], v[29:30]
	;; [unrolled: 1-line block ×4, first 2 shown]
	s_waitcnt lgkmcnt(1)
	v_fma_f64 v[71:72], -v[91:92], v[39:40], v[37:38]
	ds_load_b128 v[9:12], v108
	ds_load_b128 v[13:16], v106 offset:16
	ds_load_b128 v[29:32], v101 offset:32
	;; [unrolled: 1-line block ×3, first 2 shown]
	ds_load_2addr_b64 v[39:42], v50 offset0:175 offset1:200
	ds_load_b128 v[51:54], v101 offset:48
	ds_load_b128 v[59:62], v106 offset:32
	;; [unrolled: 1-line block ×3, first 2 shown]
	s_waitcnt lgkmcnt(7)
	v_fma_f64 v[5:6], -v[33:34], v[9:10], v[5:6]
	v_fma_f64 v[9:10], -v[81:82], v[19:20], v[17:18]
	s_waitcnt lgkmcnt(6)
	v_fma_f64 v[13:14], -v[83:84], v[13:14], v[43:44]
	v_fma_f64 v[43:44], -v[85:86], v[23:24], v[21:22]
	;; [unrolled: 3-line block ×3, first 2 shown]
	s_waitcnt lgkmcnt(4)
	v_fma_f64 v[35:36], -v[91:92], v[35:36], v[69:70]
	ds_load_b128 v[17:20], v109
	ds_load_b128 v[21:24], v107 offset:16
	ds_load_b128 v[55:58], v75 offset:48
	s_waitcnt lgkmcnt(6)
	v_mul_f64 v[93:94], v[39:40], v[71:72]
	ds_load_b64 v[39:40], v75 offset:64
	ds_load_b128 v[67:70], v107 offset:32
	s_waitcnt lgkmcnt(4)
	v_fma_f64 v[17:18], -v[33:34], v[17:18], v[7:8]
	v_fma_f64 v[11:12], -v[81:82], v[11:12], v[5:6]
	s_waitcnt lgkmcnt(3)
	v_fma_f64 v[9:10], -v[83:84], v[21:22], v[9:10]
	v_fma_f64 v[13:14], -v[85:86], v[15:16], v[13:14]
	v_fma_f64 v[15:16], -v[87:88], v[25:26], v[43:44]
	v_fma_f64 v[21:22], -v[89:90], v[31:32], v[29:30]
	s_waitcnt lgkmcnt(2)
	v_fma_f64 v[25:26], -v[91:92], v[55:56], v[73:74]
	ds_load_b128 v[5:8], v110
	v_fma_f64 v[29:30], -v[93:94], v[37:38], v[35:36]
	s_waitcnt lgkmcnt(0)
	v_fma_f64 v[1:2], -v[33:34], v[5:6], v[1:2]
	v_fma_f64 v[5:6], -v[81:82], v[19:20], v[17:18]
	;; [unrolled: 1-line block ×8, first 2 shown]
	ds_load_b128 v[9:12], v111
	ds_load_b128 v[13:16], v109 offset:16
	ds_load_b128 v[17:20], v105 offset:48
	;; [unrolled: 1-line block ×4, first 2 shown]
	v_mul_f64 v[95:96], v[41:42], v[29:30]
	s_waitcnt lgkmcnt(4)
	v_fma_f64 v[9:10], -v[33:34], v[9:10], v[3:4]
	v_fma_f64 v[75:76], -v[81:82], v[7:8], v[1:2]
	s_waitcnt lgkmcnt(3)
	v_fma_f64 v[13:14], -v[83:84], v[13:14], v[5:6]
	v_fma_f64 v[77:78], -v[85:86], v[65:66], v[31:32]
	;; [unrolled: 1-line block ×4, first 2 shown]
	s_waitcnt lgkmcnt(2)
	v_fma_f64 v[17:18], -v[91:92], v[17:18], v[43:44]
	v_fma_f64 v[43:44], -v[93:94], v[53:54], v[51:52]
	;; [unrolled: 1-line block ×3, first 2 shown]
	ds_load_b128 v[1:4], v112
	ds_load_b128 v[5:8], v110 offset:16
	ds_load_b128 v[29:32], v108 offset:32
	;; [unrolled: 1-line block ×4, first 2 shown]
	ds_load_2addr_b64 v[50:53], v50 offset0:225 offset1:250
	ds_load_b128 v[54:57], v106 offset:64
	ds_load_b128 v[58:61], v108 offset:48
	;; [unrolled: 1-line block ×4, first 2 shown]
	v_fma_f64 v[101:102], -v[85:86], v[15:16], v[13:14]
	s_waitcnt lgkmcnt(9)
	v_fma_f64 v[1:2], -v[33:34], v[1:2], v[47:48]
	v_fma_f64 v[47:48], -v[81:82], v[11:12], v[9:10]
	s_waitcnt lgkmcnt(8)
	v_fma_f64 v[5:6], -v[83:84], v[5:6], v[75:76]
	ds_load_b128 v[9:12], v111 offset:16
	s_waitcnt lgkmcnt(8)
	v_fma_f64 v[29:30], -v[87:88], v[29:30], v[77:78]
	v_fma_f64 v[103:104], -v[89:90], v[69:70], v[66:67]
	s_waitcnt lgkmcnt(7)
	v_fma_f64 v[35:36], -v[91:92], v[35:36], v[97:98]
	v_fma_f64 v[97:98], -v[93:94], v[19:20], v[17:18]
	s_waitcnt lgkmcnt(6)
	v_fma_f64 v[39:40], -v[95:96], v[39:40], v[43:44]
	ds_load_b128 v[13:16], v107 offset:48
	ds_load_b128 v[17:20], v113
	ds_load_b128 v[66:69], v107 offset:64
	ds_load_b128 v[75:78], v111 offset:32
	s_waitcnt lgkmcnt(9)
	v_mul_f64 v[99:100], v[50:51], v[99:100]
	s_waitcnt lgkmcnt(2)
	v_fma_f64 v[17:18], -v[33:34], v[17:18], v[45:46]
	v_fma_f64 v[1:2], -v[81:82], v[3:4], v[1:2]
	;; [unrolled: 1-line block ×15, first 2 shown]
	v_add_nc_u32_e64 v72, 0x800, s13
	v_fma_f64 v[39:40], -v[91:92], v[58:59], v[9:10]
	v_fma_f64 v[41:42], -v[93:94], v[15:16], v[13:14]
	v_fma_f64 v[25:26], -v[95:96], v[54:55], v[25:26]
	v_fma_f64 v[21:22], -v[99:100], v[23:24], v[21:22]
	ds_load_b128 v[1:4], v109 offset:48
	ds_load_b64 v[19:20], v105 offset:80
	ds_load_b128 v[5:8], v113 offset:16
	ds_load_b128 v[9:12], v109 offset:64
	;; [unrolled: 1-line block ×3, first 2 shown]
	v_mul_f64 v[47:48], v[52:53], v[29:30]
	s_waitcnt lgkmcnt(2)
	v_fma_f64 v[5:6], -v[83:84], v[5:6], v[17:18]
	v_fma_f64 v[54:55], -v[85:86], v[73:74], v[31:32]
	;; [unrolled: 1-line block ×9, first 2 shown]
	ds_load_b128 v[17:20], v112 offset:32
	ds_load_b128 v[21:24], v110 offset:48
	ds_load_b128 v[25:28], v108 offset:64
	ds_load_b128 v[29:32], v106 offset:80
	ds_load_2addr_b64 v[35:38], v72 offset0:19 offset1:44
	ds_load_b128 v[39:42], v108 offset:80
	ds_load_b128 v[43:46], v110 offset:64
	;; [unrolled: 1-line block ×3, first 2 shown]
	v_fma_f64 v[70:71], -v[89:90], v[77:78], v[58:59]
	s_waitcnt lgkmcnt(6)
	v_fma_f64 v[21:22], -v[91:92], v[21:22], v[62:63]
	v_fma_f64 v[62:63], -v[93:94], v[3:4], v[1:2]
	s_waitcnt lgkmcnt(5)
	v_fma_f64 v[25:26], -v[95:96], v[25:26], v[60:61]
	;; [unrolled: 3-line block ×3, first 2 shown]
	v_fma_f64 v[17:18], -v[87:88], v[17:18], v[54:55]
	s_waitcnt lgkmcnt(3)
	v_mul_f64 v[66:67], v[35:36], v[66:67]
	v_fma_f64 v[35:36], -v[85:86], v[7:8], v[5:6]
	ds_load_b128 v[1:4], v111 offset:48
	ds_load_b128 v[5:8], v107 offset:80
	;; [unrolled: 1-line block ×4, first 2 shown]
	v_fma_f64 v[9:10], -v[95:96], v[9:10], v[62:63]
	s_waitcnt lgkmcnt(3)
	v_fma_f64 v[1:2], -v[91:92], v[1:2], v[70:71]
	s_waitcnt lgkmcnt(2)
	v_fma_f64 v[5:6], -v[47:48], v[5:6], v[64:65]
	v_fma_f64 v[17:18], -v[89:90], v[19:20], v[17:18]
	;; [unrolled: 1-line block ×12, first 2 shown]
	v_mul_f64 v[39:40], v[37:38], v[23:24]
	v_fma_f64 v[23:24], -v[89:90], v[15:16], v[13:14]
	ds_load_b128 v[1:4], v109 offset:80
	ds_load_b128 v[5:8], v113 offset:48
	;; [unrolled: 1-line block ×4, first 2 shown]
	s_waitcnt lgkmcnt(4)
	v_fma_f64 v[50:51], -v[95:96], v[58:59], v[25:26]
	s_waitcnt lgkmcnt(3)
	v_fma_f64 v[1:2], -v[47:48], v[1:2], v[27:28]
	v_fma_f64 v[43:44], -v[93:94], v[52:53], v[17:18]
	;; [unrolled: 1-line block ×5, first 2 shown]
	s_waitcnt lgkmcnt(2)
	v_fma_f64 v[5:6], -v[91:92], v[5:6], v[23:24]
	ds_load_b128 v[17:20], v112 offset:64
	ds_load_b128 v[21:24], v110 offset:80
	;; [unrolled: 1-line block ×5, first 2 shown]
	s_waitcnt lgkmcnt(4)
	v_fma_f64 v[17:18], -v[95:96], v[17:18], v[43:44]
	v_fma_f64 v[43:44], -v[99:100], v[60:61], v[50:51]
	s_waitcnt lgkmcnt(3)
	v_fma_f64 v[21:22], -v[47:48], v[21:22], v[45:46]
	v_fma_f64 v[45:46], -v[66:67], v[3:4], v[1:2]
	s_waitcnt lgkmcnt(2)
	v_fma_f64 v[25:26], -v[39:40], v[25:26], v[41:42]
	v_mul_f64 v[41:42], v[56:57], v[52:53]
	v_fma_f64 v[50:51], -v[93:94], v[7:8], v[5:6]
	ds_load_b128 v[1:4], v111 offset:80
	ds_load_b128 v[5:8], v111 offset:96
	v_fma_f64 v[52:53], -v[99:100], v[19:20], v[17:18]
	s_waitcnt lgkmcnt(1)
	v_fma_f64 v[1:2], -v[47:48], v[1:2], v[43:44]
	v_fma_f64 v[21:22], -v[66:67], v[23:24], v[21:22]
	;; [unrolled: 1-line block ×3, first 2 shown]
	ds_load_2addr_b64 v[17:20], v72 offset0:94 offset1:144
	v_fma_f64 v[23:24], -v[41:42], v[27:28], v[25:26]
	v_fma_f64 v[13:14], -v[95:96], v[13:14], v[50:51]
	;; [unrolled: 1-line block ×6, first 2 shown]
	s_waitcnt lgkmcnt(0)
	v_mul_f64 v[17:18], v[17:18], v[23:24]
	v_fma_f64 v[23:24], -v[99:100], v[15:16], v[13:14]
	ds_load_b128 v[1:4], v109 offset:112
	ds_load_b128 v[9:12], v113 offset:80
	;; [unrolled: 1-line block ×3, first 2 shown]
	v_fma_f64 v[35:36], -v[66:67], v[37:38], v[25:26]
	v_fma_f64 v[5:6], -v[39:40], v[5:6], v[27:28]
	;; [unrolled: 1-line block ×3, first 2 shown]
	s_waitcnt lgkmcnt(2)
	v_fma_f64 v[1:2], -v[17:18], v[1:2], v[29:30]
	s_waitcnt lgkmcnt(1)
	v_fma_f64 v[9:10], -v[47:48], v[9:10], v[23:24]
	ds_load_b128 v[21:24], v112 offset:96
	ds_load_b128 v[25:28], v110 offset:112
	;; [unrolled: 1-line block ×3, first 2 shown]
	s_waitcnt lgkmcnt(2)
	v_fma_f64 v[21:22], -v[39:40], v[21:22], v[35:36]
	v_fma_f64 v[35:36], -v[41:42], v[7:8], v[5:6]
	s_waitcnt lgkmcnt(1)
	v_fma_f64 v[25:26], -v[17:18], v[25:26], v[37:38]
	v_mul_f64 v[37:38], v[3:4], v[1:2]
	v_fma_f64 v[9:10], -v[66:67], v[11:12], v[9:10]
	ds_load_b128 v[1:4], v111 offset:112
	ds_load_b128 v[5:8], v111 offset:128
	v_fma_f64 v[11:12], -v[41:42], v[23:24], v[21:22]
	s_waitcnt lgkmcnt(1)
	v_fma_f64 v[1:2], -v[17:18], v[1:2], v[35:36]
	v_fma_f64 v[21:22], -v[37:38], v[27:28], v[25:26]
	;; [unrolled: 1-line block ×3, first 2 shown]
	s_delay_alu instid0(VALU_DEP_4) | instskip(NEXT) | instid1(VALU_DEP_4)
	v_fma_f64 v[13:14], -v[17:18], v[29:30], v[11:12]
	v_fma_f64 v[23:24], -v[37:38], v[3:4], v[1:2]
	s_delay_alu instid0(VALU_DEP_4) | instskip(NEXT) | instid1(VALU_DEP_4)
	v_mul_f64 v[19:20], v[19:20], v[21:22]
	v_fma_f64 v[15:16], -v[41:42], v[15:16], v[9:10]
	ds_load_b128 v[1:4], v113 offset:112
	ds_load_b128 v[9:12], v113 offset:128
	v_fma_f64 v[21:22], -v[37:38], v[31:32], v[13:14]
	s_waitcnt lgkmcnt(2)
	v_fma_f64 v[5:6], -v[19:20], v[5:6], v[23:24]
	s_waitcnt lgkmcnt(1)
	v_fma_f64 v[1:2], -v[17:18], v[1:2], v[15:16]
	ds_load_b128 v[13:16], v112 offset:128
	s_waitcnt lgkmcnt(0)
	v_fma_f64 v[13:14], -v[19:20], v[13:14], v[21:22]
	v_mul_f64 v[5:6], v[7:8], v[5:6]
	v_fma_f64 v[1:2], -v[37:38], v[3:4], v[1:2]
	s_delay_alu instid0(VALU_DEP_2) | instskip(NEXT) | instid1(VALU_DEP_2)
	v_fma_f64 v[3:4], -v[5:6], v[15:16], v[13:14]
	v_fma_f64 v[1:2], -v[19:20], v[9:10], v[1:2]
	s_delay_alu instid0(VALU_DEP_2) | instskip(NEXT) | instid1(VALU_DEP_2)
	v_mul_f64 v[7:8], v[79:80], v[3:4]
	v_fma_f64 v[9:10], -v[5:6], v[11:12], v[1:2]
	ds_load_b128 v[1:4], v113 offset:144
	v_add_lshl_u32 v11, s15, v0, 3
	v_add_lshl_u32 v12, s9, v0, 3
	s_waitcnt lgkmcnt(0)
	v_fma_f64 v[1:2], -v[7:8], v[1:2], v[9:10]
	v_add_lshl_u32 v9, s4, v0, 3
	v_add_lshl_u32 v10, s14, v0, 3
	ds_store_b64 v49, v[33:34]
	ds_store_b64 v9, v[81:82] offset:4608
	ds_store_b64 v10, v[83:84] offset:4608
	;; [unrolled: 1-line block ×3, first 2 shown]
	v_add_lshl_u32 v9, s22, v0, 3
	v_add_lshl_u32 v10, s23, v0, 3
	;; [unrolled: 1-line block ×3, first 2 shown]
	v_mul_f64 v[1:2], v[3:4], v[1:2]
	v_add_lshl_u32 v3, s19, v0, 3
	v_add_lshl_u32 v4, s21, v0, 3
	ds_store_b64 v3, v[87:88] offset:4608
	ds_store_b64 v4, v[89:90] offset:4608
	ds_store_b64 v9, v[91:92] offset:4608
	ds_store_b64 v10, v[93:94] offset:4608
	ds_store_b64 v11, v[95:96] offset:4608
	v_add_lshl_u32 v3, s25, v0, 3
	v_add_lshl_u32 v4, s26, v0, 3
	v_add_lshl_u32 v9, s27, v0, 3
	v_add_lshl_u32 v10, s29, v0, 3
	v_add_lshl_u32 v11, s30, v0, 3
	ds_store_b64 v3, v[99:100] offset:4608
	ds_store_b64 v4, v[47:48] offset:4608
	ds_store_b64 v9, v[66:67] offset:4608
	ds_store_b64 v10, v[39:40] offset:4608
	ds_store_b64 v11, v[41:42] offset:4608
	v_add_lshl_u32 v3, s31, v0, 3
	v_add_lshl_u32 v4, s33, v0, 3
	;; [unrolled: 1-line block ×5, first 2 shown]
	ds_store_b64 v3, v[17:18] offset:4608
	ds_store_b64 v4, v[37:38] offset:4608
	ds_store_b64 v9, v[19:20] offset:4608
	ds_store_b64 v10, v[5:6] offset:4608
	ds_store_b64 v11, v[7:8] offset:4608
	ds_store_b64 v12, v[1:2] offset:4608
.LBB92_26:
	s_cmp_ge_i32 s8, s20
	s_cbranch_scc1 .LBB92_37
; %bb.27:
	v_lshl_or_b32 v1, v0, 3, 0x1200
	s_add_i32 s4, s8, -1
	s_mul_i32 s9, s8, 0xc0
	s_mov_b32 s12, 0
	s_mov_b32 s13, s8
	s_branch .LBB92_29
.LBB92_28:                              ;   in Loop: Header=BB92_29 Depth=1
	s_mul_i32 s14, s8, 0xc8
	s_delay_alu instid0(SALU_CYCLE_1)
	v_dual_mov_b32 v5, s14 :: v_dual_add_nc_u32 v4, 0x1200, v6
	s_add_i32 s8, s8, 1
	s_add_i32 s12, s12, 1
	s_addk_i32 s9, 0xc0
	s_cmp_ge_i32 s8, s20
	ds_load_b64 v[5:6], v5
	s_waitcnt lgkmcnt(0)
	v_mul_f64 v[2:3], v[5:6], v[2:3]
	v_add_nc_u16 v5, s13, 1
	s_delay_alu instid0(VALU_DEP_1)
	v_readfirstlane_b32 s13, v5
	ds_store_b64 v4, v[2:3]
	s_cbranch_scc1 .LBB92_37
.LBB92_29:                              ; =>This Loop Header: Depth=1
                                        ;     Child Loop BB92_32 Depth 2
                                        ;     Child Loop BB92_36 Depth 2
	s_mul_i32 s14, s8, 24
	s_cmp_eq_u32 s8, 0
	v_add_lshl_u32 v6, s14, v0, 3
	ds_load_b64 v[2:3], v6 offset:4608
	s_cbranch_scc1 .LBB92_28
; %bb.30:                               ;   in Loop: Header=BB92_29 Depth=1
	s_add_i32 s14, s4, s12
	s_delay_alu instid0(SALU_CYCLE_1)
	s_cmp_lt_u32 s14, 7
	s_cbranch_scc1 .LBB92_34
; %bb.31:                               ;   in Loop: Header=BB92_29 Depth=1
	v_mov_b32_e32 v4, v1
	s_and_b32 s14, s8, -8
	s_mov_b32 s15, 0
	s_mov_b32 s19, s9
	s_set_inst_prefetch_distance 0x1
	.p2align	6
.LBB92_32:                              ;   Parent Loop BB92_29 Depth=1
                                        ; =>  This Inner Loop Header: Depth=2
	v_mov_b32_e32 v5, s19
	s_add_i32 s15, s15, 8
	s_add_i32 s19, s19, 64
	s_cmp_lg_u32 s14, s15
	ds_load_2addr_b64 v[7:10], v4 offset1:24
	ds_load_b128 v[11:14], v5
	ds_load_b128 v[15:18], v5 offset:16
	s_waitcnt lgkmcnt(1)
	v_fma_f64 v[2:3], -v[7:8], v[11:12], v[2:3]
	s_delay_alu instid0(VALU_DEP_1) | instskip(SKIP_3) | instid1(VALU_DEP_1)
	v_fma_f64 v[2:3], -v[9:10], v[13:14], v[2:3]
	ds_load_2addr_b64 v[7:10], v4 offset0:48 offset1:72
	s_waitcnt lgkmcnt(0)
	v_fma_f64 v[2:3], -v[7:8], v[15:16], v[2:3]
	v_fma_f64 v[2:3], -v[9:10], v[17:18], v[2:3]
	ds_load_2addr_b64 v[7:10], v4 offset0:96 offset1:120
	ds_load_b128 v[11:14], v5 offset:32
	ds_load_b128 v[15:18], v5 offset:48
	s_waitcnt lgkmcnt(1)
	v_fma_f64 v[2:3], -v[7:8], v[11:12], v[2:3]
	s_delay_alu instid0(VALU_DEP_1) | instskip(SKIP_4) | instid1(VALU_DEP_1)
	v_fma_f64 v[2:3], -v[9:10], v[13:14], v[2:3]
	ds_load_2addr_b64 v[7:10], v4 offset0:144 offset1:168
	v_add_nc_u32_e32 v4, 0x600, v4
	s_waitcnt lgkmcnt(0)
	v_fma_f64 v[2:3], -v[7:8], v[15:16], v[2:3]
	v_fma_f64 v[2:3], -v[9:10], v[17:18], v[2:3]
	s_cbranch_scc1 .LBB92_32
; %bb.33:                               ;   in Loop: Header=BB92_29 Depth=1
	s_set_inst_prefetch_distance 0x2
	s_and_b32 s15, s8, 7
	s_delay_alu instid0(SALU_CYCLE_1)
	s_cmp_eq_u32 s15, 0
	s_cbranch_scc0 .LBB92_35
	s_branch .LBB92_28
.LBB92_34:                              ;   in Loop: Header=BB92_29 Depth=1
	s_mov_b32 s14, 0
	s_and_b32 s15, s8, 7
	s_delay_alu instid0(SALU_CYCLE_1)
	s_cmp_eq_u32 s15, 0
	s_cbranch_scc1 .LBB92_28
.LBB92_35:                              ;   in Loop: Header=BB92_29 Depth=1
	s_waitcnt lgkmcnt(0)
	s_delay_alu instid0(VALU_DEP_1)
	v_mad_u64_u32 v[4:5], null, 0xc0, s14, v[1:2]
	s_and_b32 s15, s13, 7
	s_lshl_b32 s14, s14, 3
.LBB92_36:                              ;   Parent Loop BB92_29 Depth=1
                                        ; =>  This Inner Loop Header: Depth=2
	s_delay_alu instid0(SALU_CYCLE_1)
	s_add_i32 s19, s9, s14
	s_add_i32 s15, s15, -1
	v_mov_b32_e32 v5, s19
	s_add_i32 s14, s14, 8
	s_cmp_lg_u32 s15, 0
	ds_load_b64 v[7:8], v4
	ds_load_b64 v[9:10], v5
	v_add_nc_u32_e32 v4, 0xc0, v4
	s_waitcnt lgkmcnt(0)
	v_fma_f64 v[2:3], -v[7:8], v[9:10], v[2:3]
	s_cbranch_scc1 .LBB92_36
	s_branch .LBB92_28
.LBB92_37:
	s_mov_b32 s4, 0
.LBB92_38:
	s_delay_alu instid0(SALU_CYCLE_1)
	s_and_b32 vcc_lo, exec_lo, s4
	s_cbranch_vccz .LBB92_60
; %bb.39:
	s_cmp_gt_i32 s6, 23
	s_mov_b32 s4, s28
	s_cbranch_scc0 .LBB92_41
; %bb.40:
	s_mul_i32 s30, s20, 24
	s_add_i32 s24, s20, -6
	s_sub_i32 s4, s30, 24
	s_sub_i32 s27, s30, 48
	s_add_i32 s8, s20, s4
	s_add_i32 s15, s24, s27
	s_lshl_b32 s8, s8, 3
	s_mul_i32 s9, s28, 24
	s_add_i32 s8, s8, -16
	s_lshl_b32 s15, s15, 3
	v_mov_b32_e32 v1, s8
	v_add_lshl_u32 v5, s9, v0, 3
	s_mul_i32 s38, s28, 0xc8
	s_add_i32 s23, s30, 0xffffffb8
	s_add_i32 s22, s30, 0xffffffa0
	ds_load_2addr_b64 v[1:4], v1 offset1:1
	ds_load_b64 v[5:6], v5 offset:4608
	v_add_lshl_u32 v65, s27, v0, 3
	s_add_i32 s8, s38, 0xffffff38
	v_add_lshl_u32 v66, s23, v0, 3
	v_add_lshl_u32 v67, s22, v0, 3
	v_mov_b32_e32 v13, s8
	ds_load_b64 v[7:8], v65 offset:4608
	ds_load_b64 v[9:10], v66 offset:4608
	;; [unrolled: 1-line block ×3, first 2 shown]
	ds_load_b64 v[13:14], v13
	s_add_i32 s8, s20, -4
	s_add_i32 s12, s30, 0xffffff88
	s_add_i32 s9, s8, s4
	v_add_lshl_u32 v68, s12, v0, 3
	s_lshl_b32 s9, s9, 3
	s_add_i32 s13, s30, 0xffffff70
	s_add_i32 s14, s38, 0xfffffda8
	v_add_lshl_u32 v69, s13, v0, 3
	s_add_i32 s31, s20, -8
	s_add_i32 s41, s20, -10
	s_add_i32 s26, s31, s23
	s_add_i32 s25, s41, s4
	s_waitcnt lgkmcnt(4)
	v_mul_f64 v[33:34], v[3:4], v[5:6]
	s_lshl_b32 s25, s25, 3
	s_add_i32 s21, s30, 0xffffff28
	s_add_i32 s19, s30, 0xffffff10
	v_add_lshl_u32 v72, s21, v0, 3
	v_add_lshl_u32 v73, s19, v0, 3
	s_add_i32 s43, s20, -12
	s_add_i32 s40, s20, -14
	s_add_i32 s35, s41, s12
	s_add_i32 s34, s40, s4
	;; [unrolled: 1-line block ×3, first 2 shown]
	s_lshl_b32 s34, s34, 3
	s_add_i32 s33, s38, 0xfffffb50
	s_lshl_b32 s35, s35, 3
	s_add_i32 s29, s30, 0xfffffec8
	s_add_i32 s37, s40, s23
	v_add_lshl_u32 v76, s29, v0, 3
	s_lshl_b32 s37, s37, 3
	s_add_i32 s42, s40, s22
	s_add_i32 s44, s40, s12
	;; [unrolled: 1-line block ×3, first 2 shown]
	s_lshl_b32 s44, s44, 3
	s_waitcnt lgkmcnt(3)
	s_delay_alu instid0(VALU_DEP_4)
	v_fma_f64 v[15:16], -v[33:34], v[1:2], v[7:8]
	v_mov_b32_e32 v1, s9
	s_add_i32 s9, s8, s27
	s_add_i32 s8, s8, s23
	s_lshl_b32 s9, s9, 3
	s_lshl_b32 s8, s8, 3
	ds_load_2addr_b64 v[1:4], v1 offset1:1
	v_mov_b32_e32 v5, s9
	s_add_i32 s9, s24, s4
	s_delay_alu instid0(SALU_CYCLE_1)
	s_lshl_b32 s9, s9, 3
	ds_load_2addr_b64 v[5:8], v5 offset1:1
	s_waitcnt lgkmcnt(1)
	v_fma_f64 v[3:4], -v[33:34], v[3:4], v[9:10]
	v_mul_f64 v[35:36], v[13:14], v[15:16]
	v_fma_f64 v[15:16], -v[33:34], v[1:2], v[11:12]
	v_mov_b32_e32 v1, s9
	s_add_i32 s9, s30, 0xffffff40
	v_mov_b32_e32 v11, s14
	v_add_lshl_u32 v71, s9, v0, 3
	v_mov_b32_e32 v12, s15
	s_add_i32 s14, s31, s4
	s_add_i32 s15, s24, s23
	s_lshl_b32 s14, s14, 3
	s_lshl_b32 s15, s15, 3
	s_waitcnt lgkmcnt(0)
	v_fma_f64 v[17:18], -v[35:36], v[7:8], v[3:4]
	v_mov_b32_e32 v7, s8
	v_fma_f64 v[5:6], -v[35:36], v[5:6], v[15:16]
	ds_load_2addr_b64 v[1:4], v1 offset1:1
	ds_load_b64 v[19:20], v68 offset:4608
	ds_load_2addr_b64 v[7:10], v7 offset1:1
	s_add_i32 s8, s30, 0xffffff58
	s_delay_alu instid0(SALU_CYCLE_1)
	v_add_lshl_u32 v70, s8, v0, 3
	ds_load_b64 v[21:22], v69 offset:4608
	ds_load_b64 v[23:24], v70 offset:4608
	;; [unrolled: 1-line block ×3, first 2 shown]
	ds_load_b64 v[27:28], v11
	ds_load_2addr_b64 v[11:14], v12 offset1:1
	s_waitcnt lgkmcnt(6)
	v_fma_f64 v[3:4], -v[33:34], v[3:4], v[19:20]
	s_waitcnt lgkmcnt(5)
	v_mul_f64 v[37:38], v[9:10], v[17:18]
	s_waitcnt lgkmcnt(4)
	v_fma_f64 v[9:10], -v[33:34], v[1:2], v[21:22]
	v_mov_b32_e32 v1, s14
	s_add_i32 s14, s24, s22
	s_add_i32 s24, s24, s12
	s_lshl_b32 s14, s14, 3
	s_lshl_b32 s24, s24, 3
	s_waitcnt lgkmcnt(0)
	s_delay_alu instid0(VALU_DEP_4) | instskip(SKIP_2) | instid1(SALU_CYCLE_1)
	v_fma_f64 v[21:22], -v[35:36], v[13:14], v[3:4]
	v_mov_b32_e32 v13, s14
	s_add_i32 s14, s30, 0xfffffee0
	v_add_lshl_u32 v75, s14, v0, 3
	v_fma_f64 v[29:30], -v[37:38], v[7:8], v[5:6]
	v_mov_b32_e32 v5, s15
	v_fma_f64 v[9:10], -v[35:36], v[11:12], v[9:10]
	s_add_i32 s15, s31, s27
	ds_load_2addr_b64 v[1:4], v1 offset1:1
	ds_load_2addr_b64 v[5:8], v5 offset1:1
	s_lshl_b32 s15, s15, 3
	s_delay_alu instid0(SALU_CYCLE_1) | instskip(SKIP_3) | instid1(SALU_CYCLE_1)
	v_mov_b32_e32 v17, s15
	ds_load_2addr_b64 v[13:16], v13 offset1:1
	ds_load_2addr_b64 v[17:20], v17 offset1:1
	s_add_i32 s15, s30, 0xfffffef8
	v_add_lshl_u32 v74, s15, v0, 3
	s_waitcnt lgkmcnt(3)
	v_fma_f64 v[3:4], -v[33:34], v[3:4], v[23:24]
	s_waitcnt lgkmcnt(2)
	v_fma_f64 v[7:8], -v[37:38], v[7:8], v[21:22]
	v_mul_f64 v[39:40], v[27:28], v[29:30]
	v_fma_f64 v[27:28], -v[33:34], v[1:2], v[25:26]
	v_fma_f64 v[31:32], -v[37:38], v[5:6], v[9:10]
	v_mov_b32_e32 v1, s25
	s_lshl_b32 s25, s26, 3
	v_mov_b32_e32 v9, s24
	v_mov_b32_e32 v5, s25
	s_add_i32 s24, s38, 0xfffffc18
	s_add_i32 s25, s41, s27
	;; [unrolled: 1-line block ×3, first 2 shown]
	s_lshl_b32 s25, s25, 3
	s_lshl_b32 s26, s26, 3
	v_mov_b32_e32 v23, s25
	s_add_i32 s25, s43, s4
	s_delay_alu instid0(SALU_CYCLE_1)
	s_lshl_b32 s25, s25, 3
	s_waitcnt lgkmcnt(0)
	v_fma_f64 v[29:30], -v[35:36], v[19:20], v[3:4]
	ds_load_2addr_b64 v[1:4], v1 offset1:1
	ds_load_b64 v[41:42], v72 offset:4608
	v_mov_b32_e32 v19, s24
	s_add_i32 s24, s31, s22
	ds_load_2addr_b64 v[9:12], v9 offset1:1
	s_lshl_b32 s24, s24, 3
	s_delay_alu instid0(SALU_CYCLE_1) | instskip(SKIP_1) | instid1(SALU_CYCLE_1)
	v_mov_b32_e32 v20, s24
	s_add_i32 s24, s31, s12
	s_lshl_b32 s24, s24, 3
	v_fma_f64 v[15:16], -v[39:40], v[15:16], v[7:8]
	ds_load_2addr_b64 v[5:8], v5 offset1:1
	v_fma_f64 v[17:18], -v[35:36], v[17:18], v[27:28]
	v_fma_f64 v[13:14], -v[39:40], v[13:14], v[31:32]
	ds_load_b64 v[43:44], v73 offset:4608
	ds_load_b64 v[45:46], v74 offset:4608
	;; [unrolled: 1-line block ×3, first 2 shown]
	ds_load_b64 v[49:50], v19
	ds_load_2addr_b64 v[19:22], v20 offset1:1
	ds_load_2addr_b64 v[23:26], v23 offset1:1
	s_waitcnt lgkmcnt(8)
	v_fma_f64 v[3:4], -v[33:34], v[3:4], v[41:42]
	s_waitcnt lgkmcnt(5)
	v_fma_f64 v[43:44], -v[33:34], v[1:2], v[43:44]
	v_mov_b32_e32 v1, s25
	s_add_i32 s25, s41, s22
	s_delay_alu instid0(SALU_CYCLE_1)
	s_lshl_b32 s25, s25, 3
	v_fma_f64 v[7:8], -v[37:38], v[7:8], v[29:30]
	v_mul_f64 v[41:42], v[11:12], v[15:16]
	v_fma_f64 v[17:18], -v[37:38], v[5:6], v[17:18]
	v_mov_b32_e32 v5, s26
	s_add_i32 s26, s43, s27
	s_delay_alu instid0(SALU_CYCLE_1)
	s_lshl_b32 s26, s26, 3
	s_waitcnt lgkmcnt(0)
	v_fma_f64 v[51:52], -v[35:36], v[25:26], v[3:4]
	v_mov_b32_e32 v25, s25
	v_mov_b32_e32 v29, s26
	s_add_i32 s26, s30, 0xfffffeb0
	s_add_i32 s25, s30, 0xfffffe98
	v_add_lshl_u32 v77, s26, v0, 3
	v_add_lshl_u32 v78, s25, v0, 3
	v_fma_f64 v[23:24], -v[35:36], v[23:24], v[43:44]
	v_fma_f64 v[21:22], -v[39:40], v[21:22], v[7:8]
	;; [unrolled: 1-line block ×3, first 2 shown]
	v_mov_b32_e32 v9, s24
	v_fma_f64 v[17:18], -v[39:40], v[19:20], v[17:18]
	ds_load_2addr_b64 v[1:4], v1 offset1:1
	ds_load_2addr_b64 v[5:8], v5 offset1:1
	;; [unrolled: 1-line block ×3, first 2 shown]
	s_add_i32 s24, s31, s13
	s_add_i32 s31, s31, s8
	s_lshl_b32 s24, s24, 3
	s_lshl_b32 s31, s31, 3
	v_mov_b32_e32 v13, s24
	ds_load_2addr_b64 v[13:16], v13 offset1:1
	ds_load_2addr_b64 v[25:28], v25 offset1:1
	;; [unrolled: 1-line block ×3, first 2 shown]
	s_add_i32 s24, s30, 0xfffffe80
	s_delay_alu instid0(SALU_CYCLE_1)
	v_add_lshl_u32 v79, s24, v0, 3
	s_waitcnt lgkmcnt(5)
	v_fma_f64 v[3:4], -v[33:34], v[3:4], v[45:46]
	s_waitcnt lgkmcnt(4)
	v_fma_f64 v[7:8], -v[37:38], v[7:8], v[51:52]
	;; [unrolled: 2-line block ×3, first 2 shown]
	v_fma_f64 v[23:24], -v[37:38], v[5:6], v[23:24]
	v_fma_f64 v[45:46], -v[33:34], v[1:2], v[47:48]
	v_mov_b32_e32 v1, s34
	s_lshl_b32 s34, s36, 3
	s_add_i32 s36, s43, s13
	v_mov_b32_e32 v5, s34
	s_add_i32 s34, s43, s22
	s_delay_alu instid0(SALU_CYCLE_1) | instskip(NEXT) | instid1(SALU_CYCLE_1)
	s_lshl_b32 s34, s34, 3
	v_mov_b32_e32 v19, s34
	s_add_i32 s34, s41, s9
	s_delay_alu instid0(SALU_CYCLE_1) | instskip(SKIP_4) | instid1(SALU_CYCLE_1)
	s_lshl_b32 s34, s34, 3
	v_mul_f64 v[43:44], v[49:50], v[53:54]
	v_fma_f64 v[51:52], -v[41:42], v[9:10], v[17:18]
	v_mov_b32_e32 v9, s35
	s_add_i32 s35, s40, s27
	s_lshl_b32 s35, s35, 3
	s_delay_alu instid0(SALU_CYCLE_1) | instskip(SKIP_1) | instid1(SALU_CYCLE_1)
	v_mov_b32_e32 v47, s35
	s_add_i32 s35, s43, s12
	s_lshl_b32 s35, s35, 3
	s_waitcnt lgkmcnt(0)
	v_fma_f64 v[31:32], -v[35:36], v[31:32], v[3:4]
	v_fma_f64 v[27:28], -v[39:40], v[27:28], v[7:8]
	ds_load_2addr_b64 v[1:4], v1 offset1:1
	ds_load_b64 v[55:56], v76 offset:4608
	ds_load_2addr_b64 v[5:8], v5 offset1:1
	v_fma_f64 v[23:24], -v[39:40], v[25:26], v[23:24]
	v_fma_f64 v[29:30], -v[35:36], v[29:30], v[45:46]
	v_mov_b32_e32 v25, s31
	s_add_i32 s31, s38, 0xfffffa88
	v_fma_f64 v[53:54], -v[43:44], v[15:16], v[11:12]
	v_mov_b32_e32 v15, s33
	ds_load_2addr_b64 v[9:12], v9 offset1:1
	v_fma_f64 v[13:14], -v[43:44], v[13:14], v[51:52]
	s_add_i32 s33, s41, s13
	s_waitcnt lgkmcnt(2)
	v_fma_f64 v[3:4], -v[33:34], v[3:4], v[55:56]
	ds_load_b64 v[57:58], v15
	s_lshl_b32 s33, s33, 3
	s_delay_alu instid0(SALU_CYCLE_1)
	v_mov_b32_e32 v15, s33
	ds_load_b64 v[59:60], v77 offset:4608
	ds_load_b64 v[63:64], v78 offset:4608
	;; [unrolled: 1-line block ×3, first 2 shown]
	ds_load_2addr_b64 v[15:18], v15 offset1:1
	ds_load_2addr_b64 v[19:22], v19 offset1:1
	;; [unrolled: 1-line block ×3, first 2 shown]
	ds_load_b64 v[25:26], v25
	s_add_i32 s33, s20, -16
	s_delay_alu instid0(SALU_CYCLE_1)
	s_add_i32 s39, s33, s4
	s_add_i32 s46, s33, s23
	s_lshl_b32 s39, s39, 3
	s_lshl_b32 s46, s46, 3
	s_add_i32 s47, s33, s22
	s_add_i32 s50, s33, s12
	s_waitcnt lgkmcnt(9)
	v_fma_f64 v[7:8], -v[37:38], v[7:8], v[31:32]
	s_waitcnt lgkmcnt(8)
	v_fma_f64 v[11:12], -v[41:42], v[11:12], v[27:28]
	s_lshl_b32 s50, s50, 3
	s_add_i32 s51, s33, s13
	v_fma_f64 v[51:52], -v[41:42], v[9:10], v[23:24]
	v_mov_b32_e32 v9, s35
	s_waitcnt lgkmcnt(6)
	v_fma_f64 v[27:28], -v[33:34], v[1:2], v[59:60]
	v_fma_f64 v[29:30], -v[37:38], v[5:6], v[29:30]
	v_mov_b32_e32 v1, s39
	v_mov_b32_e32 v5, s37
	s_lshl_b32 s35, s36, 3
	s_lshl_b32 s36, s42, 3
	s_sub_i32 s39, s20, 18
	v_mov_b32_e32 v55, s36
	s_add_i32 s48, s39, s4
	s_add_i32 s36, s30, 0xfffffe68
	s_lshl_b32 s48, s48, 3
	v_mul_f64 v[45:46], v[57:58], v[53:54]
	v_mov_b32_e32 v53, s31
	s_add_i32 s31, s41, s8
	v_mov_b32_e32 v54, s35
	s_lshl_b32 s31, s31, 3
	s_waitcnt lgkmcnt(1)
	v_fma_f64 v[31:32], -v[35:36], v[49:50], v[3:4]
	ds_load_2addr_b64 v[1:4], v1 offset1:1
	s_add_i32 s37, s38, 0xfffff9c0
	v_add_lshl_u32 v80, s36, v0, 3
	s_add_i32 s35, s30, 0xfffffe50
	s_add_i32 s42, s43, s9
	v_add_lshl_u32 v81, s35, v0, 3
	s_add_i32 s49, s39, s27
	s_lshl_b32 s42, s42, 3
	s_addk_i32 s38, 0xf8f8
	s_add_i32 s52, s39, s23
	s_add_i32 s53, s39, s22
	s_lshl_b32 s52, s52, 3
	s_lshl_b32 s51, s51, 3
	v_fma_f64 v[49:50], -v[39:40], v[21:22], v[7:8]
	ds_load_2addr_b64 v[5:8], v5 offset1:1
	v_fma_f64 v[17:18], -v[43:44], v[17:18], v[11:12]
	ds_load_2addr_b64 v[9:12], v9 offset1:1
	v_mov_b32_e32 v21, s31
	s_waitcnt lgkmcnt(2)
	v_fma_f64 v[3:4], -v[33:34], v[3:4], v[63:64]
	v_fma_f64 v[27:28], -v[35:36], v[47:48], v[27:28]
	;; [unrolled: 1-line block ×4, first 2 shown]
	s_add_i32 s31, s33, s27
	v_fma_f64 v[92:93], -v[33:34], v[1:2], v[92:93]
	s_lshl_b32 s31, s31, 3
	v_mov_b32_e32 v1, s48
	v_dual_mov_b32 v59, s31 :: v_dual_mov_b32 v2, s46
	s_add_i32 s31, s30, 0xfffffe20
	s_add_i32 s48, s40, s8
	v_fma_f64 v[13:14], -v[45:46], v[25:26], v[13:14]
	ds_load_2addr_b64 v[21:24], v21 offset1:1
	ds_load_b64 v[25:26], v53
	v_mov_b32_e32 v53, s34
	s_add_i32 s34, s30, 0xfffffe38
	ds_load_2addr_b64 v[84:87], v53 offset1:1
	ds_load_2addr_b64 v[88:91], v54 offset1:1
	;; [unrolled: 1-line block ×4, first 2 shown]
	s_waitcnt lgkmcnt(7)
	v_fma_f64 v[7:8], -v[37:38], v[7:8], v[31:32]
	v_add_lshl_u32 v82, s34, v0, 3
	v_add_lshl_u32 v83, s31, v0, 3
	s_lshl_b32 s48, s48, 3
	s_sub_i32 s46, s20, 22
	s_waitcnt lgkmcnt(6)
	v_fma_f64 v[11:12], -v[41:42], v[11:12], v[49:50]
	s_waitcnt lgkmcnt(5)
	v_fma_f64 v[17:18], -v[45:46], v[23:24], v[17:18]
	;; [unrolled: 2-line block ×3, first 2 shown]
	v_fma_f64 v[96:97], -v[37:38], v[5:6], v[27:28]
	v_fma_f64 v[100:101], -v[41:42], v[9:10], v[19:20]
	;; [unrolled: 1-line block ×3, first 2 shown]
	v_mov_b32_e32 v3, s44
	v_fma_f64 v[61:62], -v[35:36], v[59:60], v[92:93]
	s_lshl_b32 s44, s47, 3
	s_add_i32 s47, s41, s21
	v_mov_b32_e32 v9, s44
	s_lshl_b32 s47, s47, 3
	s_add_i32 s44, s30, 0xfffffdf0
	v_mul_f64 v[47:48], v[25:26], v[13:14]
	v_mov_b32_e32 v13, s37
	s_add_i32 s37, s43, s8
	s_add_i32 s41, s30, 0xfffffdd8
	s_lshl_b32 s37, s37, 3
	v_fma_f64 v[98:99], -v[39:40], v[57:58], v[7:8]
	v_fma_f64 v[90:91], -v[43:44], v[90:91], v[11:12]
	s_delay_alu instid0(VALU_DEP_4)
	v_fma_f64 v[86:87], -v[47:48], v[86:87], v[17:18]
	ds_load_2addr_b64 v[17:20], v1 offset1:1
	ds_load_b64 v[57:58], v80 offset:4608
	v_mov_b32_e32 v1, s37
	ds_load_2addr_b64 v[29:32], v2 offset1:1
	ds_load_2addr_b64 v[25:28], v3 offset1:1
	ds_load_b64 v[104:105], v13
	s_lshl_b32 s37, s45, 3
	ds_load_2addr_b64 v[21:24], v1 offset1:1
	s_lshl_b32 s45, s49, 3
	v_mov_b32_e32 v1, s42
	v_mov_b32_e32 v5, s37
	;; [unrolled: 1-line block ×3, first 2 shown]
	ds_load_b64 v[53:54], v81 offset:4608
	ds_load_b64 v[51:52], v82 offset:4608
	;; [unrolled: 1-line block ×3, first 2 shown]
	ds_load_2addr_b64 v[1:4], v1 offset1:1
	ds_load_2addr_b64 v[5:8], v5 offset1:1
	ds_load_2addr_b64 v[9:12], v9 offset1:1
	ds_load_2addr_b64 v[13:16], v13 offset1:1
	s_sub_i32 s42, s20, 20
	s_add_i32 s49, s40, s9
	s_add_i32 s54, s42, s4
	s_lshl_b32 s49, s49, 3
	s_lshl_b32 s54, s54, 3
	s_add_i32 s55, s42, s27
	s_add_i32 s45, s30, 0xfffffe08
	s_addk_i32 s30, 0xfdc0
	s_waitcnt lgkmcnt(11)
	v_fma_f64 v[63:64], -v[33:34], v[19:20], v[57:58]
	v_fma_f64 v[57:58], -v[39:40], v[55:56], v[96:97]
	s_waitcnt lgkmcnt(10)
	v_fma_f64 v[59:60], -v[37:38], v[31:32], v[94:95]
	s_waitcnt lgkmcnt(9)
	v_fma_f64 v[55:56], -v[41:42], v[27:28], v[98:99]
	v_fma_f64 v[31:32], -v[43:44], v[88:89], v[100:101]
	s_waitcnt lgkmcnt(6)
	v_fma_f64 v[96:97], -v[33:34], v[17:18], v[53:54]
	v_fma_f64 v[27:28], -v[45:46], v[23:24], v[90:91]
	;; [unrolled: 1-line block ×3, first 2 shown]
	v_mov_b32_e32 v84, s47
	v_fma_f64 v[100:101], -v[37:38], v[29:30], v[61:62]
	v_mov_b32_e32 v29, s48
	s_add_i32 s47, s43, s19
	v_mov_b32_e32 v61, s49
	ds_load_b64 v[84:85], v84
	s_lshl_b32 s47, s47, 3
	s_lshl_b32 s48, s55, 3
	s_add_i32 s49, s39, s12
	v_mul_f64 v[19:20], v[104:105], v[86:87]
	v_mov_b32_e32 v86, s38
	s_add_i32 s38, s43, s21
	v_mov_b32_e32 v92, s48
	s_lshl_b32 s38, s38, 3
	s_lshl_b32 s49, s49, 3
	v_mov_b32_e32 v53, s38
	s_lshl_b32 s38, s53, 3
	s_add_i32 s53, s46, s4
	v_mov_b32_e32 v88, s38
	s_lshl_b32 s53, s53, 3
	s_mul_i32 s37, s20, 0xc8
	s_add_i32 s43, s43, s15
	s_add_i32 s38, s37, 0xfffff6a0
	s_lshl_b32 s43, s43, 3
	s_add_i32 s48, s33, s9
	s_delay_alu instid0(SALU_CYCLE_1)
	s_lshl_b32 s48, s48, 3
	s_waitcnt lgkmcnt(1)
	v_fma_f64 v[98:99], -v[35:36], v[15:16], v[63:64]
	v_fma_f64 v[102:103], -v[41:42], v[25:26], v[57:58]
	;; [unrolled: 1-line block ×5, first 2 shown]
	v_mov_b32_e32 v15, s54
	v_fma_f64 v[3:4], -v[47:48], v[3:4], v[27:28]
	v_mov_b32_e32 v21, s52
	v_mov_b32_e32 v25, s50
	ds_load_2addr_b64 v[29:32], v29 offset1:1
	ds_load_2addr_b64 v[15:18], v15 offset1:1
	v_fma_f64 v[13:14], -v[35:36], v[13:14], v[96:97]
	v_mov_b32_e32 v57, s47
	ds_load_2addr_b64 v[25:28], v25 offset1:1
	s_add_i32 s47, s33, s8
	v_mov_b32_e32 v96, s38
	s_lshl_b32 s47, s47, 3
	s_waitcnt lgkmcnt(3)
	v_fma_f64 v[106:107], -v[19:20], v[84:85], v[23:24]
	ds_load_2addr_b64 v[21:24], v21 offset1:1
	ds_load_2addr_b64 v[53:56], v53 offset1:1
	ds_load_b64 v[108:109], v86
	v_mov_b32_e32 v84, s51
	ds_load_2addr_b64 v[57:60], v57 offset1:1
	ds_load_2addr_b64 v[61:64], v61 offset1:1
	;; [unrolled: 1-line block ×5, first 2 shown]
	s_add_i32 s51, s42, s23
	s_add_i32 s38, s40, s19
	s_lshl_b32 s51, s51, 3
	s_add_i32 s50, s39, s13
	s_add_i32 s52, s42, s22
	;; [unrolled: 1-line block ×3, first 2 shown]
	s_waitcnt lgkmcnt(9)
	v_fma_f64 v[17:18], -v[33:34], v[17:18], v[51:52]
	v_fma_f64 v[51:52], -v[39:40], v[9:10], v[100:101]
	;; [unrolled: 1-line block ×3, first 2 shown]
	v_add_lshl_u32 v10, s30, v0, 3
	s_add_i32 s30, s40, s21
	v_add_lshl_u32 v9, s41, v0, 3
	s_lshl_b32 s30, s30, 3
	s_lshl_b32 s38, s38, 3
	s_waitcnt lgkmcnt(7)
	v_fma_f64 v[23:24], -v[37:38], v[23:24], v[98:99]
	v_fma_f64 v[5:6], -v[43:44], v[5:6], v[102:103]
	v_fma_f64 v[27:28], -v[41:42], v[27:28], v[11:12]
	v_fma_f64 v[7:8], -v[45:46], v[31:32], v[7:8]
	v_fma_f64 v[31:32], -v[47:48], v[1:2], v[104:105]
	v_add_lshl_u32 v11, s45, v0, 3
	s_waitcnt lgkmcnt(6)
	v_fma_f64 v[3:4], -v[19:20], v[55:56], v[3:4]
	v_mov_b32_e32 v49, s30
	v_add_lshl_u32 v12, s44, v0, 3
	s_lshl_b32 s50, s50, 3
	s_lshl_b32 s52, s52, 3
	v_fma_f64 v[116:117], -v[37:38], v[21:22], v[13:14]
	v_mov_b32_e32 v21, s51
	s_lshl_b32 s54, s54, 3
	v_mov_b32_e32 v98, s48
	v_mov_b32_e32 v102, s50
	v_mov_b32_e32 v110, s54
	s_waitcnt lgkmcnt(5)
	v_mul_f64 v[1:2], v[108:109], v[106:107]
	v_mov_b32_e32 v106, s52
	s_sub_i32 s30, s20, 24
	s_add_i32 s51, s42, s12
	s_add_i32 s55, s30, s4
	s_lshl_b32 s51, s51, 3
	s_lshl_b32 s55, s55, 3
	s_add_i32 s48, s33, s19
	s_add_i32 s50, s39, s9
	;; [unrolled: 1-line block ×3, first 2 shown]
	s_lshl_b32 s48, s48, 3
	s_add_i32 s54, s46, s22
	s_add_i32 s27, s30, s27
	s_waitcnt lgkmcnt(0)
	v_fma_f64 v[17:18], -v[35:36], v[94:95], v[17:18]
	v_fma_f64 v[118:119], -v[41:42], v[25:26], v[51:52]
	v_dual_mov_b32 v25, s49 :: v_dual_mov_b32 v94, s38
	s_add_i32 s38, s40, s15
	s_add_i32 s49, s39, s8
	s_lshl_b32 s38, s38, 3
	s_lshl_b32 s49, s49, 3
	v_fma_f64 v[90:91], -v[39:40], v[90:91], v[23:24]
	v_fma_f64 v[5:6], -v[45:46], v[29:30], v[5:6]
	v_fma_f64 v[86:87], -v[43:44], v[86:87], v[27:28]
	v_fma_f64 v[63:64], -v[47:48], v[63:64], v[7:8]
	v_fma_f64 v[120:121], -v[19:20], v[53:54], v[31:32]
	v_dual_mov_b32 v8, s53 :: v_dual_mov_b32 v7, s43
	s_add_i32 s53, s46, s23
	s_add_i32 s43, s40, s14
	s_lshl_b32 s53, s53, 3
	s_lshl_b32 s43, s43, 3
	;; [unrolled: 1-line block ×6, first 2 shown]
	s_add_i32 s40, s40, s29
	v_fma_f64 v[3:4], -v[1:2], v[59:60], v[3:4]
	ds_load_2addr_b64 v[13:16], v8 offset1:1
	ds_load_b64 v[59:60], v11 offset:4608
	v_mov_b32_e32 v8, s47
	ds_load_2addr_b64 v[21:24], v21 offset1:1
	ds_load_2addr_b64 v[25:28], v25 offset1:1
	ds_load_2addr_b64 v[49:52], v49 offset1:1
	s_add_i32 s47, s33, s21
	ds_load_2addr_b64 v[29:32], v8 offset1:1
	ds_load_2addr_b64 v[53:56], v7 offset1:1
	ds_load_b64 v[122:123], v12 offset:4608
	ds_load_b64 v[124:125], v9 offset:4608
	;; [unrolled: 1-line block ×3, first 2 shown]
	ds_load_b64 v[126:127], v96
	ds_load_2addr_b64 v[94:97], v94 offset1:1
	ds_load_2addr_b64 v[98:101], v98 offset1:1
	;; [unrolled: 1-line block ×5, first 2 shown]
	s_lshl_b32 s47, s47, 3
	v_fma_f64 v[84:85], -v[43:44], v[84:85], v[118:119]
	s_waitcnt lgkmcnt(14)
	v_fma_f64 v[15:16], -v[33:34], v[15:16], v[59:60]
	v_fma_f64 v[59:60], -v[35:36], v[92:93], v[114:115]
	s_waitcnt lgkmcnt(13)
	v_fma_f64 v[17:18], -v[37:38], v[23:24], v[17:18]
	v_fma_f64 v[23:24], -v[39:40], v[88:89], v[116:117]
	s_waitcnt lgkmcnt(12)
	v_fma_f64 v[27:28], -v[41:42], v[27:28], v[90:91]
	v_fma_f64 v[5:6], -v[47:48], v[61:62], v[5:6]
	s_waitcnt lgkmcnt(10)
	v_fma_f64 v[31:32], -v[45:46], v[31:32], v[86:87]
	v_fma_f64 v[51:52], -v[19:20], v[51:52], v[63:64]
	v_fma_f64 v[57:58], -v[1:2], v[57:58], v[120:121]
	s_waitcnt lgkmcnt(8)
	v_fma_f64 v[92:93], -v[33:34], v[13:14], v[122:123]
	v_mov_b32_e32 v13, s55
	v_dual_mov_b32 v61, s48 :: v_dual_mov_b32 v88, s52
	v_mov_b32_e32 v116, s27
	s_add_i32 s52, s42, s8
	s_add_i32 s48, s30, s22
	s_lshl_b32 s22, s40, 3
	v_mul_f64 v[3:4], v[55:56], v[3:4]
	s_add_i32 s27, s37, 0xfffff510
	v_fma_f64 v[128:129], -v[45:46], v[29:30], v[84:85]
	v_dual_mov_b32 v29, s49 :: v_dual_mov_b32 v84, s50
	s_add_i32 s49, s33, s14
	s_add_i32 s50, s39, s21
	s_waitcnt lgkmcnt(0)
	v_fma_f64 v[120:121], -v[35:36], v[112:113], v[15:16]
	v_fma_f64 v[122:123], -v[37:38], v[21:22], v[59:60]
	v_fma_f64 v[17:18], -v[39:40], v[108:109], v[17:18]
	v_fma_f64 v[108:109], -v[41:42], v[25:26], v[23:24]
	v_fma_f64 v[104:105], -v[43:44], v[104:105], v[27:28]
	v_fma_f64 v[5:6], -v[19:20], v[49:50], v[5:6]
	v_fma_f64 v[100:101], -v[47:48], v[100:101], v[31:32]
	v_fma_f64 v[96:97], -v[1:2], v[96:97], v[51:52]
	v_mov_b32_e32 v21, s53
	v_mov_b32_e32 v25, s51
	;; [unrolled: 1-line block ×3, first 2 shown]
	ds_load_2addr_b64 v[13:16], v13 offset1:1
	ds_load_2addr_b64 v[29:32], v29 offset1:1
	;; [unrolled: 1-line block ×5, first 2 shown]
	v_fma_f64 v[92:93], -v[35:36], v[110:111], v[92:93]
	v_fma_f64 v[130:131], -v[3:4], v[53:54], v[57:58]
	v_mov_b32_e32 v53, s38
	v_dual_mov_b32 v57, s43 :: v_dual_mov_b32 v112, s54
	s_add_i32 s43, s33, s15
	s_add_i32 s51, s39, s19
	ds_load_2addr_b64 v[53:56], v53 offset1:1
	ds_load_2addr_b64 v[57:60], v57 offset1:1
	;; [unrolled: 1-line block ×7, first 2 shown]
	s_add_i32 s38, s46, s12
	s_add_i32 s54, s30, s23
	s_lshl_b32 s47, s43, 3
	s_lshl_b32 s23, s49, 3
	;; [unrolled: 1-line block ×4, first 2 shown]
	s_waitcnt lgkmcnt(11)
	v_fma_f64 v[15:16], -v[33:34], v[15:16], v[124:125]
	v_fma_f64 v[98:99], -v[47:48], v[98:99], v[128:129]
	;; [unrolled: 1-line block ×3, first 2 shown]
	s_lshl_b32 s50, s52, 3
	s_lshl_b32 s51, s54, 3
	;; [unrolled: 1-line block ×3, first 2 shown]
	v_mov_b32_e32 v13, s51
	s_waitcnt lgkmcnt(9)
	v_fma_f64 v[23:24], -v[37:38], v[23:24], v[120:121]
	v_fma_f64 v[106:107], -v[39:40], v[106:107], v[122:123]
	s_waitcnt lgkmcnt(8)
	v_fma_f64 v[17:18], -v[41:42], v[27:28], v[17:18]
	v_fma_f64 v[27:28], -v[43:44], v[102:103], v[108:109]
	;; [unrolled: 1-line block ×4, first 2 shown]
	s_waitcnt lgkmcnt(7)
	v_fma_f64 v[51:52], -v[19:20], v[51:52], v[100:101]
	s_waitcnt lgkmcnt(6)
	v_fma_f64 v[55:56], -v[3:4], v[55:56], v[96:97]
	s_add_i32 s53, s42, s9
	v_mov_b32_e32 v96, s27
	s_add_i32 s27, s46, s13
	s_lshl_b32 s43, s53, 3
	s_lshl_b32 s27, s27, 3
	s_add_i32 s12, s30, s12
	v_mov_b32_e32 v102, s27
	s_add_i32 s27, s39, s15
	s_lshl_b32 s12, s12, 3
	v_mul_f64 v[5:6], v[126:127], v[130:131]
	s_lshl_b32 s27, s27, 3
	s_add_i32 s13, s30, s13
	s_delay_alu instid0(SALU_CYCLE_1)
	s_lshl_b32 s13, s13, 3
	s_waitcnt lgkmcnt(0)
	v_fma_f64 v[110:111], -v[35:36], v[118:119], v[15:16]
	v_fma_f64 v[118:119], -v[37:38], v[21:22], v[92:93]
	;; [unrolled: 1-line block ×3, first 2 shown]
	v_mov_b32_e32 v21, s38
	v_mov_b32_e32 v49, s47
	ds_load_2addr_b64 v[13:16], v13 offset1:1
	v_fma_f64 v[7:8], -v[35:36], v[116:117], v[7:8]
	v_fma_f64 v[114:115], -v[39:40], v[114:115], v[23:24]
	ds_load_2addr_b64 v[21:24], v21 offset1:1
	v_fma_f64 v[120:121], -v[41:42], v[25:26], v[106:107]
	v_fma_f64 v[17:18], -v[43:44], v[90:91], v[17:18]
	;; [unrolled: 1-line block ×6, first 2 shown]
	v_mov_b32_e32 v25, s50
	v_mov_b32_e32 v29, s49
	;; [unrolled: 1-line block ×3, first 2 shown]
	ds_load_2addr_b64 v[49:52], v49 offset1:1
	v_mov_b32_e32 v90, s23
	ds_load_2addr_b64 v[25:28], v25 offset1:1
	ds_load_2addr_b64 v[29:32], v29 offset1:1
	s_lshl_b32 s38, s48, 3
	v_mov_b32_e32 v94, s40
	v_fma_f64 v[59:60], -v[5:6], v[59:60], v[55:56]
	ds_load_2addr_b64 v[53:56], v53 offset1:1
	v_mov_b32_e32 v98, s43
	v_mov_b32_e32 v106, s38
	ds_load_b64 v[128:129], v96
	ds_load_2addr_b64 v[90:93], v90 offset1:1
	ds_load_2addr_b64 v[94:97], v94 offset1:1
	;; [unrolled: 1-line block ×5, first 2 shown]
	s_add_i32 s22, s33, s29
	s_add_i32 s40, s42, s21
	;; [unrolled: 1-line block ×3, first 2 shown]
	s_lshl_b32 s22, s22, 3
	s_lshl_b32 s47, s47, 3
	s_add_i32 s23, s33, s26
	s_add_i32 s38, s39, s14
	s_add_i32 s43, s42, s19
	s_lshl_b32 s23, s23, 3
	s_waitcnt lgkmcnt(11)
	v_fma_f64 v[15:16], -v[37:38], v[15:16], v[110:111]
	v_fma_f64 v[110:111], -v[39:40], v[112:113], v[118:119]
	;; [unrolled: 1-line block ×3, first 2 shown]
	s_add_i32 s48, s46, s9
	s_lshl_b32 s38, s38, 3
	s_add_i32 s8, s30, s8
	v_fma_f64 v[7:8], -v[37:38], v[13:14], v[7:8]
	s_waitcnt lgkmcnt(10)
	v_fma_f64 v[23:24], -v[41:42], v[23:24], v[114:115]
	v_mov_b32_e32 v13, s12
	v_fma_f64 v[88:89], -v[43:44], v[88:89], v[120:121]
	s_waitcnt lgkmcnt(8)
	v_fma_f64 v[17:18], -v[45:46], v[27:28], v[17:18]
	v_fma_f64 v[27:28], -v[47:48], v[84:85], v[122:123]
	s_waitcnt lgkmcnt(7)
	v_fma_f64 v[31:32], -v[19:20], v[31:32], v[86:87]
	v_fma_f64 v[51:52], -v[3:4], v[51:52], v[63:64]
	;; [unrolled: 1-line block ×3, first 2 shown]
	s_lshl_b32 s12, s40, 3
	s_add_i32 s33, s33, s25
	s_lshl_b32 s8, s8, 3
	s_lshl_b32 s33, s33, 3
	s_add_i32 s9, s30, s9
	s_delay_alu instid0(SALU_CYCLE_1)
	s_lshl_b32 s9, s9, 3
	s_waitcnt lgkmcnt(6)
	v_mul_f64 v[112:113], v[55:56], v[59:60]
	s_waitcnt lgkmcnt(0)
	v_fma_f64 v[114:115], -v[39:40], v[108:109], v[15:16]
	v_fma_f64 v[116:117], -v[41:42], v[21:22], v[110:111]
	;; [unrolled: 1-line block ×3, first 2 shown]
	v_mov_b32_e32 v21, s47
	v_mov_b32_e32 v49, s22
	ds_load_2addr_b64 v[13:16], v13 offset1:1
	v_fma_f64 v[7:8], -v[39:40], v[106:107], v[7:8]
	v_fma_f64 v[104:105], -v[43:44], v[104:105], v[23:24]
	ds_load_2addr_b64 v[21:24], v21 offset1:1
	v_fma_f64 v[88:89], -v[45:46], v[25:26], v[88:89]
	v_fma_f64 v[17:18], -v[47:48], v[100:101], v[17:18]
	;; [unrolled: 1-line block ×5, first 2 shown]
	v_mov_b32_e32 v25, s12
	v_mov_b32_e32 v29, s27
	ds_load_2addr_b64 v[49:52], v49 offset1:1
	s_lshl_b32 s12, s43, 3
	s_lshl_b32 s22, s48, 3
	ds_load_2addr_b64 v[25:28], v25 offset1:1
	ds_load_2addr_b64 v[29:32], v29 offset1:1
	v_dual_mov_b32 v61, s12 :: v_dual_mov_b32 v84, s22
	v_mov_b32_e32 v108, s13
	v_fma_f64 v[120:121], -v[112:113], v[53:54], v[57:58]
	v_mov_b32_e32 v53, s23
	v_mov_b32_e32 v57, s38
	s_add_i32 s12, s37, 0xfffff380
	ds_load_2addr_b64 v[53:56], v53 offset1:1
	ds_load_2addr_b64 v[57:60], v57 offset1:1
	;; [unrolled: 1-line block ×5, first 2 shown]
	s_add_i32 s22, s42, s15
	s_add_i32 s27, s46, s21
	;; [unrolled: 1-line block ×3, first 2 shown]
	s_lshl_b32 s27, s27, 3
	s_add_i32 s23, s42, s14
	s_add_i32 s38, s46, s19
	;; [unrolled: 1-line block ×3, first 2 shown]
	s_waitcnt lgkmcnt(9)
	v_fma_f64 v[15:16], -v[41:42], v[15:16], v[114:115]
	v_fma_f64 v[102:103], -v[43:44], v[102:103], v[116:117]
	;; [unrolled: 1-line block ×3, first 2 shown]
	s_lshl_b32 s21, s21, 3
	v_fma_f64 v[7:8], -v[41:42], v[13:14], v[7:8]
	s_waitcnt lgkmcnt(8)
	v_fma_f64 v[23:24], -v[45:46], v[23:24], v[104:105]
	v_mov_b32_e32 v13, s8
	v_fma_f64 v[88:89], -v[47:48], v[98:99], v[88:89]
	s_waitcnt lgkmcnt(6)
	v_fma_f64 v[17:18], -v[19:20], v[27:28], v[17:18]
	v_fma_f64 v[27:28], -v[1:2], v[94:95], v[100:101]
	s_waitcnt lgkmcnt(5)
	v_fma_f64 v[31:32], -v[3:4], v[31:32], v[96:97]
	v_fma_f64 v[51:52], -v[112:113], v[51:52], v[92:93]
	v_mov_b32_e32 v92, s12
	s_add_i32 s12, s39, s29
	s_lshl_b32 s8, s22, 3
	s_lshl_b32 s12, s12, 3
	v_mov_b32_e32 v98, s9
	s_add_i32 s22, s46, s15
	s_add_i32 s9, s39, s24
	s_lshl_b32 s22, s22, 3
	s_lshl_b32 s9, s9, 3
	v_mul_f64 v[104:105], v[128:129], v[120:121]
	s_waitcnt lgkmcnt(0)
	v_fma_f64 v[106:107], -v[43:44], v[110:111], v[15:16]
	v_fma_f64 v[102:103], -v[45:46], v[21:22], v[102:103]
	;; [unrolled: 1-line block ×3, first 2 shown]
	v_mov_b32_e32 v21, s27
	v_mov_b32_e32 v49, s33
	ds_load_2addr_b64 v[13:16], v13 offset1:1
	v_fma_f64 v[7:8], -v[43:44], v[108:109], v[7:8]
	v_fma_f64 v[110:111], -v[47:48], v[86:87], v[23:24]
	ds_load_2addr_b64 v[21:24], v21 offset1:1
	v_fma_f64 v[114:115], -v[19:20], v[25:26], v[88:89]
	v_fma_f64 v[17:18], -v[1:2], v[63:64], v[17:18]
	;; [unrolled: 1-line block ×4, first 2 shown]
	v_mov_b32_e32 v25, s8
	v_mov_b32_e32 v29, s12
	s_lshl_b32 s8, s13, 3
	s_lshl_b32 s12, s23, 3
	;; [unrolled: 1-line block ×3, first 2 shown]
	ds_load_2addr_b64 v[25:28], v25 offset1:1
	ds_load_2addr_b64 v[29:32], v29 offset1:1
	v_mov_b32_e32 v86, s8
	v_mov_b32_e32 v90, s12
	;; [unrolled: 1-line block ×3, first 2 shown]
	s_add_i32 s8, s39, s25
	v_fma_f64 v[55:56], -v[104:105], v[55:56], v[51:52]
	ds_load_2addr_b64 v[49:52], v49 offset1:1
	ds_load_b64 v[118:119], v92
	ds_load_2addr_b64 v[86:89], v86 offset1:1
	ds_load_2addr_b64 v[90:93], v90 offset1:1
	;; [unrolled: 1-line block ×4, first 2 shown]
	s_add_i32 s12, s42, s29
	s_lshl_b32 s8, s8, 3
	s_lshl_b32 s12, s12, 3
	s_add_i32 s13, s42, s26
	s_add_i32 s39, s39, s36
	s_lshl_b32 s13, s13, 3
	s_waitcnt lgkmcnt(9)
	v_fma_f64 v[15:16], -v[45:46], v[15:16], v[106:107]
	v_fma_f64 v[84:85], -v[47:48], v[84:85], v[102:103]
	;; [unrolled: 1-line block ×4, first 2 shown]
	s_waitcnt lgkmcnt(8)
	v_fma_f64 v[23:24], -v[19:20], v[23:24], v[110:111]
	v_mov_b32_e32 v13, s21
	v_fma_f64 v[61:62], -v[1:2], v[61:62], v[114:115]
	s_waitcnt lgkmcnt(7)
	v_fma_f64 v[17:18], -v[3:4], v[27:28], v[17:18]
	v_fma_f64 v[27:28], -v[5:6], v[57:58], v[63:64]
	s_waitcnt lgkmcnt(6)
	v_fma_f64 v[31:32], -v[112:113], v[31:32], v[59:60]
	s_waitcnt lgkmcnt(5)
	v_mul_f64 v[102:103], v[51:52], v[55:56]
	s_waitcnt lgkmcnt(0)
	v_fma_f64 v[100:101], -v[47:48], v[100:101], v[15:16]
	v_fma_f64 v[84:85], -v[19:20], v[21:22], v[84:85]
	v_mov_b32_e32 v21, s22
	ds_load_2addr_b64 v[13:16], v13 offset1:1
	v_fma_f64 v[7:8], -v[47:48], v[98:99], v[7:8]
	v_fma_f64 v[96:97], -v[1:2], v[96:97], v[23:24]
	ds_load_2addr_b64 v[21:24], v21 offset1:1
	v_fma_f64 v[106:107], -v[3:4], v[25:26], v[61:62]
	v_fma_f64 v[17:18], -v[5:6], v[92:93], v[17:18]
	v_fma_f64 v[92:93], -v[112:113], v[29:30], v[27:28]
	v_fma_f64 v[88:89], -v[104:105], v[88:89], v[31:32]
	v_mov_b32_e32 v25, s12
	v_mov_b32_e32 v29, s8
	s_add_i32 s8, s46, s14
	s_add_i32 s12, s30, s19
	s_lshl_b32 s8, s8, 3
	ds_load_2addr_b64 v[25:28], v25 offset1:1
	ds_load_2addr_b64 v[29:32], v29 offset1:1
	s_lshl_b32 s12, s12, 3
	v_mov_b32_e32 v57, s8
	v_mov_b32_e32 v61, s12
	s_add_i32 s12, s30, s15
	v_fma_f64 v[108:109], -v[102:103], v[49:50], v[53:54]
	v_mov_b32_e32 v49, s9
	v_mov_b32_e32 v53, s13
	s_add_i32 s9, s42, s25
	ds_load_2addr_b64 v[49:52], v49 offset1:1
	ds_load_2addr_b64 v[53:56], v53 offset1:1
	;; [unrolled: 1-line block ×4, first 2 shown]
	s_add_i32 s13, s46, s29
	s_lshl_b32 s12, s12, 3
	s_lshl_b32 s13, s13, 3
	;; [unrolled: 1-line block ×3, first 2 shown]
	s_add_i32 s8, s37, 0xfffff1f0
	s_waitcnt lgkmcnt(7)
	v_fma_f64 v[15:16], -v[19:20], v[15:16], v[100:101]
	v_fma_f64 v[84:85], -v[1:2], v[94:95], v[84:85]
	;; [unrolled: 1-line block ×3, first 2 shown]
	s_waitcnt lgkmcnt(6)
	v_fma_f64 v[23:24], -v[3:4], v[23:24], v[96:97]
	v_mov_b32_e32 v13, s12
	v_fma_f64 v[90:91], -v[5:6], v[90:91], v[106:107]
	s_waitcnt lgkmcnt(5)
	v_fma_f64 v[17:18], -v[112:113], v[27:28], v[17:18]
	v_fma_f64 v[27:28], -v[104:105], v[86:87], v[92:93]
	s_waitcnt lgkmcnt(4)
	v_fma_f64 v[31:32], -v[102:103], v[31:32], v[88:89]
	s_lshl_b32 s12, s39, 3
	v_mul_f64 v[96:97], v[118:119], v[108:109]
	s_waitcnt lgkmcnt(0)
	v_fma_f64 v[63:64], -v[1:2], v[63:64], v[15:16]
	v_fma_f64 v[98:99], -v[3:4], v[21:22], v[84:85]
	v_mov_b32_e32 v21, s13
	ds_load_2addr_b64 v[13:16], v13 offset1:1
	v_mov_b32_e32 v84, s8
	s_add_i32 s8, s42, s24
	v_fma_f64 v[7:8], -v[1:2], v[61:62], v[7:8]
	v_fma_f64 v[59:60], -v[5:6], v[59:60], v[23:24]
	ds_load_2addr_b64 v[21:24], v21 offset1:1
	v_fma_f64 v[100:101], -v[112:113], v[25:26], v[90:91]
	v_fma_f64 v[17:18], -v[104:105], v[55:56], v[17:18]
	;; [unrolled: 1-line block ×3, first 2 shown]
	v_mov_b32_e32 v25, s9
	v_mov_b32_e32 v29, s12
	s_add_i32 s9, s46, s26
	s_add_i32 s12, s30, s14
	s_lshl_b32 s8, s8, 3
	ds_load_2addr_b64 v[25:28], v25 offset1:1
	s_lshl_b32 s9, s9, 3
	s_lshl_b32 s12, s12, 3
	v_dual_mov_b32 v85, s8 :: v_dual_mov_b32 v88, s9
	v_mov_b32_e32 v92, s12
	s_add_i32 s9, s30, s29
	v_fma_f64 v[51:52], -v[96:97], v[51:52], v[31:32]
	ds_load_2addr_b64 v[29:32], v29 offset1:1
	ds_load_b64 v[106:107], v84
	ds_load_2addr_b64 v[84:87], v85 offset1:1
	ds_load_2addr_b64 v[88:91], v88 offset1:1
	;; [unrolled: 1-line block ×3, first 2 shown]
	s_add_i32 s12, s46, s25
	s_add_i32 s8, s42, s36
	s_lshl_b32 s9, s9, 3
	s_lshl_b32 s12, s12, 3
	;; [unrolled: 1-line block ×3, first 2 shown]
	s_waitcnt lgkmcnt(7)
	v_fma_f64 v[15:16], -v[3:4], v[15:16], v[63:64]
	v_fma_f64 v[57:58], -v[5:6], v[57:58], v[98:99]
	;; [unrolled: 1-line block ×3, first 2 shown]
	s_waitcnt lgkmcnt(6)
	v_fma_f64 v[23:24], -v[112:113], v[23:24], v[59:60]
	v_mov_b32_e32 v13, s9
	v_fma_f64 v[53:54], -v[104:105], v[53:54], v[100:101]
	s_waitcnt lgkmcnt(5)
	v_fma_f64 v[17:18], -v[102:103], v[27:28], v[17:18]
	v_fma_f64 v[27:28], -v[96:97], v[49:50], v[55:56]
	s_add_i32 s9, s46, s24
	s_delay_alu instid0(SALU_CYCLE_1) | instskip(NEXT) | instid1(SALU_CYCLE_1)
	s_lshl_b32 s9, s9, 3
	v_mov_b32_e32 v49, s9
	s_add_i32 s9, s46, s36
	s_delay_alu instid0(SALU_CYCLE_1)
	s_lshl_b32 s9, s9, 3
	s_waitcnt lgkmcnt(4)
	v_mul_f64 v[63:64], v[31:32], v[51:52]
	s_waitcnt lgkmcnt(0)
	v_fma_f64 v[59:60], -v[5:6], v[94:95], v[15:16]
	v_fma_f64 v[57:58], -v[112:113], v[21:22], v[57:58]
	v_mov_b32_e32 v21, s12
	s_add_i32 s12, s30, s26
	s_delay_alu instid0(SALU_CYCLE_1)
	s_lshl_b32 s12, s12, 3
	v_fma_f64 v[7:8], -v[5:6], v[92:93], v[7:8]
	v_fma_f64 v[61:62], -v[104:105], v[90:91], v[23:24]
	v_fma_f64 v[90:91], -v[102:103], v[25:26], v[53:54]
	v_fma_f64 v[17:18], -v[96:97], v[86:87], v[17:18]
	v_mov_b32_e32 v25, s8
	s_add_i32 s8, s42, s35
	v_mov_b32_e32 v53, s12
	s_lshl_b32 s8, s8, 3
	s_add_i32 s42, s42, s34
	v_fma_f64 v[86:87], -v[63:64], v[29:30], v[27:28]
	ds_load_2addr_b64 v[13:16], v13 offset1:1
	ds_load_2addr_b64 v[21:24], v21 offset1:1
	;; [unrolled: 1-line block ×3, first 2 shown]
	v_mov_b32_e32 v29, s8
	s_add_i32 s8, s30, s25
	ds_load_2addr_b64 v[29:32], v29 offset1:1
	ds_load_2addr_b64 v[49:52], v49 offset1:1
	;; [unrolled: 1-line block ×3, first 2 shown]
	s_lshl_b32 s8, s8, 3
	v_fma_f64 v[57:58], -v[104:105], v[88:89], v[57:58]
	s_waitcnt lgkmcnt(5)
	v_fma_f64 v[15:16], -v[112:113], v[15:16], v[59:60]
	v_fma_f64 v[7:8], -v[112:113], v[13:14], v[7:8]
	s_waitcnt lgkmcnt(4)
	v_fma_f64 v[23:24], -v[102:103], v[23:24], v[61:62]
	v_mov_b32_e32 v13, s8
	v_fma_f64 v[59:60], -v[96:97], v[84:85], v[90:91]
	s_waitcnt lgkmcnt(3)
	v_fma_f64 v[17:18], -v[63:64], v[27:28], v[17:18]
	s_lshl_b32 s8, s42, 3
	v_mul_f64 v[84:85], v[106:107], v[86:87]
	v_fma_f64 v[88:89], -v[102:103], v[21:22], v[57:58]
	v_mov_b32_e32 v21, s9
	s_add_i32 s9, s30, s24
	s_waitcnt lgkmcnt(0)
	v_fma_f64 v[86:87], -v[104:105], v[55:56], v[15:16]
	s_lshl_b32 s9, s9, 3
	v_fma_f64 v[51:52], -v[96:97], v[51:52], v[23:24]
	v_fma_f64 v[7:8], -v[104:105], v[53:54], v[7:8]
	;; [unrolled: 1-line block ×3, first 2 shown]
	v_mov_b32_e32 v25, s8
	ds_load_2addr_b64 v[13:16], v13 offset1:1
	ds_load_2addr_b64 v[21:24], v21 offset1:1
	;; [unrolled: 1-line block ×3, first 2 shown]
	s_add_i32 s8, s37, 0xfffff060
	v_mov_b32_e32 v59, s9
	s_add_i32 s9, s46, s34
	s_delay_alu instid0(SALU_CYCLE_1) | instskip(SKIP_3) | instid1(SALU_CYCLE_1)
	s_lshl_b32 s9, s9, 3
	v_fma_f64 v[17:18], -v[84:85], v[31:32], v[17:18]
	v_mov_b32_e32 v31, s8
	s_add_i32 s8, s46, s35
	s_lshl_b32 s8, s8, 3
	s_delay_alu instid0(SALU_CYCLE_1) | instskip(SKIP_4) | instid1(SALU_CYCLE_1)
	v_mov_b32_e32 v32, s8
	ds_load_b64 v[92:93], v31
	ds_load_2addr_b64 v[55:58], v32 offset1:1
	ds_load_2addr_b64 v[59:62], v59 offset1:1
	s_add_i32 s8, s30, s36
	s_lshl_b32 s8, s8, 3
	v_fma_f64 v[31:32], -v[96:97], v[49:50], v[88:89]
	s_waitcnt lgkmcnt(5)
	v_fma_f64 v[15:16], -v[102:103], v[15:16], v[86:87]
	s_waitcnt lgkmcnt(4)
	v_fma_f64 v[23:24], -v[63:64], v[23:24], v[51:52]
	v_fma_f64 v[7:8], -v[102:103], v[13:14], v[7:8]
	;; [unrolled: 1-line block ×3, first 2 shown]
	v_mov_b32_e32 v13, s8
	s_add_i32 s8, s46, s31
	s_add_i32 s46, s46, s45
	s_lshl_b32 s8, s8, 3
	s_waitcnt lgkmcnt(3)
	v_mul_f64 v[17:18], v[27:28], v[17:18]
	v_fma_f64 v[51:52], -v[63:64], v[21:22], v[31:32]
	v_mov_b32_e32 v21, s9
	s_add_i32 s9, s30, s35
	s_waitcnt lgkmcnt(0)
	v_fma_f64 v[49:50], -v[96:97], v[61:62], v[15:16]
	s_lshl_b32 s9, s9, 3
	v_fma_f64 v[53:54], -v[84:85], v[57:58], v[23:24]
	ds_load_2addr_b64 v[13:16], v13 offset1:1
	ds_load_2addr_b64 v[21:24], v21 offset1:1
	v_fma_f64 v[7:8], -v[96:97], v[59:60], v[7:8]
	v_fma_f64 v[57:58], -v[17:18], v[25:26], v[29:30]
	v_mov_b32_e32 v25, s8
	v_mov_b32_e32 v29, s9
	s_add_i32 s8, s30, s34
	ds_load_2addr_b64 v[25:28], v25 offset1:1
	ds_load_2addr_b64 v[29:32], v29 offset1:1
	s_lshl_b32 s8, s8, 3
	s_lshl_b32 s9, s46, 3
	s_waitcnt lgkmcnt(3)
	v_fma_f64 v[15:16], -v[63:64], v[15:16], v[49:50]
	v_fma_f64 v[49:50], -v[84:85], v[55:56], v[51:52]
	s_waitcnt lgkmcnt(2)
	v_fma_f64 v[23:24], -v[17:18], v[23:24], v[53:54]
	v_fma_f64 v[7:8], -v[63:64], v[13:14], v[7:8]
	v_mov_b32_e32 v13, s8
	s_add_i32 s8, s30, s31
	s_delay_alu instid0(SALU_CYCLE_1)
	s_lshl_b32 s8, s8, 3
	v_mul_f64 v[53:54], v[92:93], v[57:58]
	s_waitcnt lgkmcnt(0)
	v_fma_f64 v[31:32], -v[84:85], v[31:32], v[15:16]
	v_fma_f64 v[55:56], -v[17:18], v[21:22], v[49:50]
	v_mov_b32_e32 v21, s9
	s_add_i32 s9, s37, 0xffffeed0
	v_fma_f64 v[7:8], -v[84:85], v[29:30], v[7:8]
	v_dual_mov_b32 v49, s9 :: v_dual_mov_b32 v50, s8
	s_add_i32 s8, s30, s45
	s_delay_alu instid0(SALU_CYCLE_1)
	s_lshl_b32 s8, s8, 3
	v_fma_f64 v[27:28], -v[53:54], v[27:28], v[23:24]
	ds_load_2addr_b64 v[13:16], v13 offset1:1
	ds_load_2addr_b64 v[21:24], v21 offset1:1
	ds_load_b64 v[57:58], v49
	ds_load_2addr_b64 v[49:52], v50 offset1:1
	v_fma_f64 v[25:26], -v[53:54], v[25:26], v[55:56]
	s_waitcnt lgkmcnt(3)
	v_fma_f64 v[15:16], -v[17:18], v[15:16], v[31:32]
	v_fma_f64 v[7:8], -v[17:18], v[13:14], v[7:8]
	v_mov_b32_e32 v13, s8
	s_add_i32 s8, s30, s44
	s_add_i32 s30, s30, s41
	s_lshl_b32 s8, s8, 3
	s_waitcnt lgkmcnt(2)
	v_mul_f64 v[27:28], v[23:24], v[27:28]
	s_waitcnt lgkmcnt(0)
	s_delay_alu instid0(VALU_DEP_4)
	v_fma_f64 v[29:30], -v[53:54], v[51:52], v[15:16]
	ds_load_2addr_b64 v[13:16], v13 offset1:1
	v_fma_f64 v[7:8], -v[53:54], v[49:50], v[7:8]
	v_fma_f64 v[25:26], -v[27:28], v[21:22], v[25:26]
	v_mov_b32_e32 v21, s8
	s_lshl_b32 s8, s30, 3
	ds_load_2addr_b64 v[21:24], v21 offset1:1
	s_waitcnt lgkmcnt(1)
	v_fma_f64 v[15:16], -v[27:28], v[15:16], v[29:30]
	v_fma_f64 v[7:8], -v[27:28], v[13:14], v[7:8]
	v_mov_b32_e32 v13, s8
	s_add_i32 s8, s37, 0xffffed40
	s_delay_alu instid0(SALU_CYCLE_1) | instskip(SKIP_3) | instid1(VALU_DEP_1)
	v_mov_b32_e32 v29, s8
	ds_load_b64 v[29:30], v29
	v_mul_f64 v[25:26], v[57:58], v[25:26]
	s_waitcnt lgkmcnt(1)
	v_fma_f64 v[23:24], -v[25:26], v[23:24], v[15:16]
	ds_load_2addr_b64 v[13:16], v13 offset1:1
	v_fma_f64 v[7:8], -v[25:26], v[21:22], v[7:8]
	s_waitcnt lgkmcnt(0)
	v_mul_f64 v[15:16], v[15:16], v[23:24]
	s_delay_alu instid0(VALU_DEP_1)
	v_fma_f64 v[7:8], -v[15:16], v[13:14], v[7:8]
	v_add_lshl_u32 v13, s4, v0, 3
	s_sub_i32 s4, s20, 25
	ds_store_b64 v13, v[33:34] offset:4608
	ds_store_b64 v65, v[35:36] offset:4608
	;; [unrolled: 1-line block ×22, first 2 shown]
	v_mul_f64 v[7:8], v[29:30], v[7:8]
	ds_store_b64 v9, v[15:16] offset:4608
	ds_store_b64 v10, v[7:8] offset:4608
.LBB92_41:
	s_cmp_gt_i32 s4, -1
	s_cbranch_scc0 .LBB92_60
; %bb.42:
	s_cmp_lt_u32 s4, 19
	s_cbranch_scc1 .LBB92_47
; %bb.43:
	s_mul_i32 s8, s4, 24
	s_delay_alu instid0(SALU_CYCLE_1) | instskip(SKIP_3) | instid1(VALU_DEP_2)
	v_add_lshl_u32 v41, s8, v0, 3
	s_sub_i32 s15, s8, 24
	s_cmp_le_i32 s28, s4
	v_add_lshl_u32 v42, s15, v0, 3
	v_add_nc_u32_e32 v1, 0xc00, v41
	v_add_nc_u32_e32 v2, 0x800, v41
	ds_load_b64 v[37:38], v41 offset:4608
	ds_load_b64 v[39:40], v42 offset:4608
	ds_load_2addr_b64 v[33:36], v1 offset0:120 offset1:144
	ds_load_2addr_b64 v[29:32], v2 offset0:200 offset1:224
	;; [unrolled: 1-line block ×9, first 2 shown]
	s_cbranch_scc1 .LBB92_46
; %bb.44:
	v_lshlrev_b32_e32 v43, 3, v0
	s_mul_i32 s9, s20, 0xc0
	s_lshl_b32 s12, s4, 3
	s_delay_alu instid0(SALU_CYCLE_1) | instskip(NEXT) | instid1(VALU_DEP_1)
	s_add_i32 s12, s9, s12
	v_add3_u32 v43, s9, v43, 0x1140
	s_add_i32 s9, s12, 0xfffffea8
	s_mov_b32 s12, s28
.LBB92_45:                              ; =>This Inner Loop Header: Depth=1
	v_mov_b32_e32 v80, s9
	s_add_i32 s12, s12, -1
	s_addk_i32 s9, 0xff40
	s_cmp_gt_i32 s12, s4
	ds_load_b64 v[84:85], v43
	ds_load_2addr_b64 v[44:47], v80 offset0:18 offset1:19
	ds_load_2addr_b64 v[48:51], v80 offset0:16 offset1:17
	;; [unrolled: 1-line block ×9, first 2 shown]
	ds_load_2addr_b64 v[80:83], v80 offset1:1
	v_add_nc_u32_e32 v43, 0xffffff40, v43
	s_waitcnt lgkmcnt(9)
	v_fma_f64 v[37:38], -v[84:85], v[46:47], v[37:38]
	v_fma_f64 v[39:40], -v[84:85], v[44:45], v[39:40]
	s_waitcnt lgkmcnt(8)
	v_fma_f64 v[35:36], -v[84:85], v[50:51], v[35:36]
	v_fma_f64 v[33:34], -v[84:85], v[48:49], v[33:34]
	;; [unrolled: 3-line block ×10, first 2 shown]
	s_cbranch_scc1 .LBB92_45
.LBB92_46:
	s_mul_i32 s9, s4, 0xc8
	s_add_i32 s22, s4, -7
	s_add_i32 s12, s9, -8
	s_delay_alu instid0(SALU_CYCLE_1)
	v_dual_mov_b32 v43, s12 :: v_dual_add_nc_u32 v42, 0x1200, v42
	s_add_i32 s12, s9, 0xffffff38
	s_add_i32 s21, s22, s15
	s_add_i32 s13, s4, -3
	s_lshl_b32 s21, s21, 3
	ds_load_2addr_b64 v[43:46], v43 offset1:1
	v_mov_b32_e32 v47, s12
	s_add_i32 s12, s13, s8
	s_add_i32 s25, s4, -11
	s_lshl_b32 s12, s12, 3
	s_add_i32 s24, s25, s15
	ds_load_b64 v[51:52], v47
	s_lshl_b32 s24, s24, 3
	s_add_i32 s19, s4, -5
	s_add_i32 s26, s4, -9
	s_add_i32 s14, s19, s8
	s_delay_alu instid0(SALU_CYCLE_1) | instskip(SKIP_2) | instid1(VALU_DEP_1)
	s_lshl_b32 s14, s14, 3
	s_waitcnt lgkmcnt(1)
	v_mul_f64 v[37:38], v[45:46], v[37:38]
	v_fma_f64 v[39:40], -v[37:38], v[43:44], v[39:40]
	v_mov_b32_e32 v43, s12
	s_add_i32 s12, s13, s15
	s_delay_alu instid0(SALU_CYCLE_1) | instskip(SKIP_3) | instid1(SALU_CYCLE_1)
	s_lshl_b32 s12, s12, 3
	ds_load_2addr_b64 v[43:46], v43 offset1:1
	v_mov_b32_e32 v47, s12
	s_sub_i32 s12, s15, 24
	s_add_i32 s13, s13, s12
	s_add_i32 s23, s22, s12
	ds_load_2addr_b64 v[47:50], v47 offset1:1
	s_lshl_b32 s13, s13, 3
	s_lshl_b32 s23, s23, 3
	s_add_i32 s27, s25, s12
	s_delay_alu instid0(SALU_CYCLE_1)
	s_lshl_b32 s27, s27, 3
	s_waitcnt lgkmcnt(1)
	v_fma_f64 v[45:46], -v[37:38], v[45:46], v[35:36]
	v_fma_f64 v[33:34], -v[37:38], v[43:44], v[33:34]
	v_mov_b32_e32 v43, s14
	s_add_i32 s14, s9, 0xfffffda8
	s_delay_alu instid0(SALU_CYCLE_1) | instskip(SKIP_1) | instid1(SALU_CYCLE_1)
	v_mov_b32_e32 v53, s14
	s_add_i32 s14, s19, s12
	s_lshl_b32 s14, s14, 3
	v_mul_f64 v[35:36], v[51:52], v[39:40]
	s_waitcnt lgkmcnt(0)
	s_delay_alu instid0(VALU_DEP_1)
	v_fma_f64 v[39:40], -v[35:36], v[49:50], v[45:46]
	v_mov_b32_e32 v49, s13
	v_fma_f64 v[33:34], -v[35:36], v[47:48], v[33:34]
	s_add_i32 s13, s19, s15
	ds_load_2addr_b64 v[43:46], v43 offset1:1
	ds_load_2addr_b64 v[49:52], v49 offset1:1
	s_lshl_b32 s13, s13, 3
	s_delay_alu instid0(SALU_CYCLE_1)
	v_dual_mov_b32 v54, s13 :: v_dual_add_nc_u32 v41, 0x1200, v41
	ds_load_b64 v[63:64], v53
	ds_load_2addr_b64 v[53:56], v54 offset1:1
	s_add_i32 s13, s22, s8
	v_mov_b32_e32 v47, s14
	s_lshl_b32 s13, s13, 3
	s_waitcnt lgkmcnt(3)
	v_fma_f64 v[45:46], -v[37:38], v[45:46], v[31:32]
	v_fma_f64 v[29:30], -v[37:38], v[43:44], v[29:30]
	v_mov_b32_e32 v43, s13
	s_sub_i32 s13, s15, 48
	s_delay_alu instid0(SALU_CYCLE_1) | instskip(NEXT) | instid1(SALU_CYCLE_1)
	s_add_i32 s14, s19, s13
	s_lshl_b32 s14, s14, 3
	s_waitcnt lgkmcnt(2)
	v_mul_f64 v[31:32], v[51:52], v[39:40]
	v_dual_mov_b32 v51, s14 :: v_dual_mov_b32 v52, s21
	s_add_i32 s14, s15, 0xffffffb8
	s_add_i32 s21, s26, s8
	s_add_i32 s19, s19, s14
	s_lshl_b32 s21, s21, 3
	s_lshl_b32 s19, s19, 3
	s_add_i32 s31, s25, s14
	s_waitcnt lgkmcnt(0)
	v_fma_f64 v[39:40], -v[35:36], v[55:56], v[45:46]
	v_fma_f64 v[29:30], -v[35:36], v[53:54], v[29:30]
	s_delay_alu instid0(VALU_DEP_4)
	v_fma_f64 v[33:34], -v[31:32], v[49:50], v[33:34]
	ds_load_2addr_b64 v[43:46], v43 offset1:1
	ds_load_2addr_b64 v[47:50], v47 offset1:1
	;; [unrolled: 1-line block ×4, first 2 shown]
	v_mov_b32_e32 v51, s19
	s_add_i32 s19, s9, 0xfffffc18
	s_waitcnt lgkmcnt(3)
	v_fma_f64 v[45:46], -v[37:38], v[45:46], v[27:28]
	v_fma_f64 v[25:26], -v[37:38], v[43:44], v[25:26]
	v_mov_b32_e32 v43, s21
	s_add_i32 s21, s22, s13
	s_waitcnt lgkmcnt(2)
	v_fma_f64 v[39:40], -v[31:32], v[49:50], v[39:40]
	v_fma_f64 v[29:30], -v[31:32], v[47:48], v[29:30]
	v_mov_b32_e32 v47, s23
	s_add_i32 s23, s26, s15
	v_mul_f64 v[27:28], v[63:64], v[33:34]
	s_waitcnt lgkmcnt(0)
	v_fma_f64 v[33:34], -v[35:36], v[61:62], v[45:46]
	ds_load_2addr_b64 v[43:46], v43 offset1:1
	ds_load_2addr_b64 v[47:50], v47 offset1:1
	;; [unrolled: 1-line block ×3, first 2 shown]
	v_fma_f64 v[25:26], -v[35:36], v[59:60], v[25:26]
	v_mov_b32_e32 v60, s24
	v_fma_f64 v[39:40], -v[27:28], v[57:58], v[39:40]
	s_waitcnt lgkmcnt(2)
	v_fma_f64 v[45:46], -v[37:38], v[45:46], v[23:24]
	v_fma_f64 v[29:30], -v[27:28], v[55:56], v[29:30]
	v_mov_b32_e32 v57, s19
	s_lshl_b32 s19, s21, 3
	s_lshl_b32 s21, s23, 3
	s_delay_alu instid0(SALU_CYCLE_1)
	v_dual_mov_b32 v58, s19 :: v_dual_mov_b32 v65, s21
	ds_load_b64 v[75:76], v57
	ds_load_2addr_b64 v[61:64], v58 offset1:1
	ds_load_2addr_b64 v[65:68], v65 offset1:1
	v_fma_f64 v[21:22], -v[37:38], v[43:44], v[21:22]
	s_add_i32 s19, s22, s14
	s_add_i32 s21, s25, s8
	;; [unrolled: 1-line block ×3, first 2 shown]
	s_lshl_b32 s21, s21, 3
	s_lshl_b32 s19, s19, 3
	;; [unrolled: 1-line block ×3, first 2 shown]
	v_mov_b32_e32 v43, s21
	s_waitcnt lgkmcnt(4)
	v_fma_f64 v[33:34], -v[31:32], v[49:50], v[33:34]
	v_fma_f64 v[25:26], -v[31:32], v[47:48], v[25:26]
	v_mov_b32_e32 v47, s23
	s_add_i32 s23, s26, s13
	s_delay_alu instid0(SALU_CYCLE_1) | instskip(NEXT) | instid1(SALU_CYCLE_1)
	s_lshl_b32 s23, s23, 3
	v_mov_b32_e32 v59, s23
	s_add_i32 s23, s4, -13
	s_delay_alu instid0(SALU_CYCLE_1)
	s_add_i32 s24, s23, s8
	s_add_i32 s34, s23, s12
	s_lshl_b32 s24, s24, 3
	s_lshl_b32 s34, s34, 3
	s_add_i32 s35, s23, s13
	s_waitcnt lgkmcnt(3)
	v_mul_f64 v[23:24], v[53:54], v[39:40]
	s_waitcnt lgkmcnt(0)
	v_fma_f64 v[39:40], -v[35:36], v[67:68], v[45:46]
	ds_load_2addr_b64 v[43:46], v43 offset1:1
	ds_load_2addr_b64 v[47:50], v47 offset1:1
	v_fma_f64 v[21:22], -v[35:36], v[65:66], v[21:22]
	v_fma_f64 v[33:34], -v[27:28], v[63:64], v[33:34]
	s_waitcnt lgkmcnt(1)
	v_fma_f64 v[45:46], -v[37:38], v[45:46], v[19:20]
	v_fma_f64 v[25:26], -v[27:28], v[61:62], v[25:26]
	;; [unrolled: 1-line block ×3, first 2 shown]
	v_mov_b32_e32 v43, s24
	s_add_i32 s24, s9, 0xfffffb50
	v_fma_f64 v[29:30], -v[23:24], v[51:52], v[29:30]
	v_mov_b32_e32 v51, s19
	s_waitcnt lgkmcnt(0)
	v_fma_f64 v[39:40], -v[31:32], v[49:50], v[39:40]
	s_add_i32 s19, s15, 0xffffffa0
	s_delay_alu instid0(SALU_CYCLE_1)
	s_add_i32 s21, s22, s19
	ds_load_2addr_b64 v[51:54], v51 offset1:1
	s_lshl_b32 s21, s21, 3
	s_add_i32 s33, s25, s19
	v_mov_b32_e32 v55, s21
	s_add_i32 s21, s26, s14
	ds_load_2addr_b64 v[55:58], v55 offset1:1
	ds_load_2addr_b64 v[67:70], v59 offset1:1
	;; [unrolled: 1-line block ×3, first 2 shown]
	v_fma_f64 v[21:22], -v[31:32], v[47:48], v[21:22]
	s_lshl_b32 s21, s21, 3
	v_mov_b32_e32 v47, s27
	s_add_i32 s27, s23, s15
	s_delay_alu instid0(SALU_CYCLE_1)
	s_lshl_b32 s27, s27, 3
	s_waitcnt lgkmcnt(3)
	v_fma_f64 v[33:34], -v[23:24], v[53:54], v[33:34]
	v_fma_f64 v[25:26], -v[23:24], v[51:52], v[25:26]
	v_mov_b32_e32 v51, s21
	s_add_i32 s21, s26, s19
	s_delay_alu instid0(SALU_CYCLE_1)
	s_lshl_b32 s21, s21, 3
	s_waitcnt lgkmcnt(0)
	v_fma_f64 v[17:18], -v[35:36], v[71:72], v[17:18]
	v_mul_f64 v[19:20], v[75:76], v[29:30]
	v_fma_f64 v[29:30], -v[35:36], v[73:74], v[45:46]
	v_fma_f64 v[39:40], -v[27:28], v[69:70], v[39:40]
	ds_load_2addr_b64 v[43:46], v43 offset1:1
	ds_load_2addr_b64 v[47:50], v47 offset1:1
	;; [unrolled: 1-line block ×3, first 2 shown]
	v_mov_b32_e32 v69, s27
	s_add_i32 s27, s9, 0xfffffa88
	v_fma_f64 v[21:22], -v[27:28], v[67:68], v[21:22]
	s_waitcnt lgkmcnt(2)
	v_fma_f64 v[45:46], -v[37:38], v[45:46], v[15:16]
	v_fma_f64 v[13:14], -v[37:38], v[43:44], v[13:14]
	s_waitcnt lgkmcnt(1)
	v_fma_f64 v[17:18], -v[31:32], v[47:48], v[17:18]
	v_mov_b32_e32 v47, s34
	s_add_i32 s34, s23, s19
	v_fma_f64 v[33:34], -v[19:20], v[57:58], v[33:34]
	v_mov_b32_e32 v57, s24
	v_fma_f64 v[29:30], -v[31:32], v[49:50], v[29:30]
	s_waitcnt lgkmcnt(0)
	v_fma_f64 v[39:40], -v[23:24], v[53:54], v[39:40]
	v_fma_f64 v[25:26], -v[19:20], v[55:56], v[25:26]
	s_add_i32 s24, s25, s13
	ds_load_b64 v[65:66], v57
	v_mov_b32_e32 v57, s21
	s_add_i32 s21, s15, 0xffffff88
	s_lshl_b32 s24, s24, 3
	s_add_i32 s22, s22, s21
	v_mov_b32_e32 v61, s24
	s_lshl_b32 s22, s22, 3
	ds_load_2addr_b64 v[57:60], v57 offset1:1
	ds_load_2addr_b64 v[61:64], v61 offset1:1
	;; [unrolled: 1-line block ×3, first 2 shown]
	s_add_i32 s24, s4, -15
	v_fma_f64 v[21:22], -v[23:24], v[51:52], v[21:22]
	s_add_i32 s36, s24, s8
	s_add_i32 s29, s26, s21
	ds_load_2addr_b64 v[47:50], v47 offset1:1
	s_lshl_b32 s29, s29, 3
	s_waitcnt lgkmcnt(2)
	v_fma_f64 v[17:18], -v[27:28], v[61:62], v[17:18]
	s_waitcnt lgkmcnt(1)
	v_fma_f64 v[55:56], -v[35:36], v[75:76], v[45:46]
	v_fma_f64 v[13:14], -v[35:36], v[73:74], v[13:14]
	v_mul_f64 v[15:16], v[65:66], v[33:34]
	v_mov_b32_e32 v33, s22
	v_fma_f64 v[29:30], -v[27:28], v[63:64], v[29:30]
	v_fma_f64 v[39:40], -v[19:20], v[59:60], v[39:40]
	s_add_i32 s22, s15, 0xffffff70
	ds_load_b64 v[33:34], v33
	s_add_i32 s30, s26, s22
	v_fma_f64 v[21:22], -v[19:20], v[57:58], v[21:22]
	s_waitcnt lgkmcnt(1)
	v_fma_f64 v[49:50], -v[31:32], v[49:50], v[55:56]
	v_fma_f64 v[13:14], -v[31:32], v[47:48], v[13:14]
	s_waitcnt lgkmcnt(0)
	v_fma_f64 v[25:26], -v[15:16], v[33:34], v[25:26]
	v_mov_b32_e32 v33, s27
	s_lshl_b32 s27, s36, 3
	s_add_i32 s36, s24, s13
	v_mov_b32_e32 v34, s27
	s_lshl_b32 s27, s31, 3
	s_lshl_b32 s31, s35, 3
	v_mov_b32_e32 v51, s27
	s_add_i32 s27, s24, s15
	ds_load_2addr_b64 v[43:46], v34 offset1:1
	s_lshl_b32 s27, s27, 3
	v_mov_b32_e32 v71, s31
	ds_load_2addr_b64 v[51:54], v51 offset1:1
	v_mov_b32_e32 v34, s29
	ds_load_2addr_b64 v[63:66], v34 offset1:1
	ds_load_b64 v[33:34], v33
	s_lshl_b32 s29, s30, 3
	s_lshl_b32 s30, s33, 3
	s_delay_alu instid0(SALU_CYCLE_1)
	v_dual_mov_b32 v59, s29 :: v_dual_mov_b32 v60, s30
	v_mov_b32_e32 v72, s27
	ds_load_2addr_b64 v[67:70], v59 offset1:1
	ds_load_2addr_b64 v[75:78], v60 offset1:1
	;; [unrolled: 1-line block ×4, first 2 shown]
	s_sub_i32 s27, s4, 17
	s_add_i32 s30, s25, s21
	s_waitcnt lgkmcnt(7)
	v_fma_f64 v[45:46], -v[37:38], v[45:46], v[11:12]
	v_fma_f64 v[9:10], -v[37:38], v[43:44], v[9:10]
	s_add_i32 s33, s23, s14
	s_waitcnt lgkmcnt(6)
	v_fma_f64 v[29:30], -v[23:24], v[53:54], v[29:30]
	v_fma_f64 v[17:18], -v[23:24], v[51:52], v[17:18]
	s_add_i32 s35, s24, s12
	s_add_i32 s37, s27, s8
	;; [unrolled: 1-line block ×3, first 2 shown]
	s_waitcnt lgkmcnt(5)
	v_fma_f64 v[39:40], -v[15:16], v[65:66], v[39:40]
	s_waitcnt lgkmcnt(4)
	v_mul_f64 v[11:12], v[33:34], v[25:26]
	v_fma_f64 v[21:22], -v[15:16], v[63:64], v[21:22]
	s_lshl_b32 s37, s37, 3
	s_lshl_b32 s35, s35, 3
	;; [unrolled: 1-line block ×4, first 2 shown]
	v_mov_b32_e32 v43, s37
	s_waitcnt lgkmcnt(1)
	v_fma_f64 v[33:34], -v[27:28], v[81:82], v[49:50]
	v_mov_b32_e32 v47, s35
	v_mov_b32_e32 v51, s33
	;; [unrolled: 1-line block ×4, first 2 shown]
	v_fma_f64 v[13:14], -v[27:28], v[79:80], v[13:14]
	s_add_i32 s31, s25, s22
	ds_load_2addr_b64 v[51:54], v51 offset1:1
	ds_load_2addr_b64 v[55:58], v55 offset1:1
	ds_load_b64 v[73:74], v59
	s_lshl_b32 s29, s31, 3
	s_lshl_b32 s30, s34, 3
	v_mov_b32_e32 v59, s29
	s_add_i32 s29, s15, 0xffffff58
	s_lshl_b32 s31, s36, 3
	v_mov_b32_e32 v63, s30
	s_add_i32 s30, s26, s29
	s_add_i32 s38, s27, s15
	;; [unrolled: 1-line block ×3, first 2 shown]
	s_lshl_b32 s33, s38, 3
	ds_load_2addr_b64 v[47:50], v47 offset1:1
	s_add_i32 s34, s25, s26
	s_waitcnt lgkmcnt(4)
	v_fma_f64 v[25:26], -v[35:36], v[85:86], v[45:46]
	ds_load_2addr_b64 v[43:46], v43 offset1:1
	v_fma_f64 v[9:10], -v[35:36], v[83:84], v[9:10]
	v_fma_f64 v[29:30], -v[19:20], v[77:78], v[29:30]
	;; [unrolled: 1-line block ×3, first 2 shown]
	v_mov_b32_e32 v77, s33
	s_add_i32 s33, s25, s29
	s_add_i32 s35, s23, s21
	;; [unrolled: 1-line block ×3, first 2 shown]
	v_fma_f64 v[39:40], -v[11:12], v[69:70], v[39:40]
	v_fma_f64 v[21:22], -v[11:12], v[67:68], v[21:22]
	v_mov_b32_e32 v69, s31
	s_lshl_b32 s31, s30, 3
	ds_load_2addr_b64 v[59:62], v59 offset1:1
	ds_load_2addr_b64 v[63:66], v63 offset1:1
	;; [unrolled: 1-line block ×4, first 2 shown]
	s_sub_i32 s30, s4, 19
	s_waitcnt lgkmcnt(8)
	v_fma_f64 v[33:34], -v[23:24], v[53:54], v[33:34]
	s_add_i32 s39, s27, s12
	s_add_i32 s41, s30, s8
	s_lshl_b32 s39, s39, 3
	s_add_i32 s37, s24, s14
	s_waitcnt lgkmcnt(4)
	v_fma_f64 v[45:46], -v[37:38], v[45:46], v[7:8]
	v_fma_f64 v[5:6], -v[37:38], v[43:44], v[5:6]
	;; [unrolled: 1-line block ×3, first 2 shown]
	s_add_i32 s38, s24, s19
	s_add_i32 s40, s27, s13
	;; [unrolled: 1-line block ×3, first 2 shown]
	s_sub_i32 s4, s4, 20
	s_lshl_b32 s15, s15, 3
	s_delay_alu instid0(SALU_CYCLE_1)
	v_mov_b32_e32 v91, s15
	s_add_i32 s15, s8, 0xffffff10
	v_fma_f64 v[25:26], -v[31:32], v[49:50], v[25:26]
	v_fma_f64 v[9:10], -v[31:32], v[47:48], v[9:10]
	;; [unrolled: 1-line block ×4, first 2 shown]
	v_mul_f64 v[7:8], v[73:74], v[39:40]
	v_mov_b32_e32 v39, s31
	s_add_i32 s31, s9, 0xfffff8f8
	s_delay_alu instid0(SALU_CYCLE_1)
	v_mov_b32_e32 v73, s31
	s_lshl_b32 s31, s33, 3
	ds_load_b64 v[39:40], v39
	s_waitcnt lgkmcnt(3)
	v_fma_f64 v[33:34], -v[19:20], v[65:66], v[33:34]
	s_lshl_b32 s33, s34, 3
	s_lshl_b32 s34, s35, 3
	s_lshl_b32 s35, s36, 3
	s_lshl_b32 s36, s41, 3
	s_waitcnt lgkmcnt(1)
	v_fma_f64 v[83:84], -v[35:36], v[87:88], v[45:46]
	v_fma_f64 v[5:6], -v[35:36], v[85:86], v[5:6]
	;; [unrolled: 1-line block ×7, first 2 shown]
	v_dual_mov_b32 v61, s33 :: v_dual_mov_b32 v62, s35
	s_add_i32 s35, s24, s21
	s_add_i32 s33, s27, s19
	s_waitcnt lgkmcnt(0)
	v_fma_f64 v[21:22], -v[7:8], v[39:40], v[21:22]
	v_dual_mov_b32 v39, s36 :: v_dual_mov_b32 v40, s39
	s_lshl_b32 s36, s37, 3
	s_lshl_b32 s37, s38, 3
	v_mov_b32_e32 v51, s36
	ds_load_2addr_b64 v[43:46], v39 offset1:1
	ds_load_2addr_b64 v[47:50], v40 offset1:1
	v_dual_mov_b32 v39, s34 :: v_dual_mov_b32 v40, s31
	ds_load_2addr_b64 v[51:54], v51 offset1:1
	s_lshl_b32 s31, s40, 3
	v_mov_b32_e32 v79, s37
	ds_load_2addr_b64 v[55:58], v39 offset1:1
	ds_load_2addr_b64 v[65:68], v40 offset1:1
	ds_load_b64 v[39:40], v73
	v_mov_b32_e32 v87, s31
	ds_load_2addr_b64 v[71:74], v61 offset1:1
	ds_load_2addr_b64 v[75:78], v62 offset1:1
	;; [unrolled: 1-line block ×5, first 2 shown]
	s_add_i32 s40, s25, s15
	s_add_i32 s36, s9, 0xfffff768
	s_add_i32 s34, s23, s29
	s_add_i32 s37, s27, s14
	s_add_i32 s39, s30, s12
	s_lshl_b32 s40, s40, 3
	v_mov_b32_e32 v63, s36
	s_lshl_b32 s36, s39, 3
	s_waitcnt lgkmcnt(10)
	v_fma_f64 v[45:46], -v[37:38], v[45:46], v[3:4]
	s_waitcnt lgkmcnt(9)
	v_fma_f64 v[49:50], -v[31:32], v[49:50], v[83:84]
	v_fma_f64 v[5:6], -v[31:32], v[47:48], v[5:6]
	;; [unrolled: 1-line block ×3, first 2 shown]
	s_waitcnt lgkmcnt(8)
	v_fma_f64 v[25:26], -v[23:24], v[53:54], v[25:26]
	v_fma_f64 v[9:10], -v[23:24], v[51:52], v[9:10]
	s_lshl_b32 s37, s37, 3
	s_waitcnt lgkmcnt(7)
	v_fma_f64 v[33:34], -v[15:16], v[57:58], v[33:34]
	s_waitcnt lgkmcnt(6)
	v_fma_f64 v[29:30], -v[7:8], v[67:68], v[29:30]
	v_fma_f64 v[13:14], -v[15:16], v[55:56], v[13:14]
	;; [unrolled: 1-line block ×3, first 2 shown]
	s_lshl_b32 s35, s35, 3
	s_waitcnt lgkmcnt(5)
	v_mul_f64 v[3:4], v[39:40], v[21:22]
	s_lshl_b32 s34, s34, 3
	v_mov_b32_e32 v43, s36
	v_mov_b32_e32 v47, s37
	;; [unrolled: 1-line block ×5, first 2 shown]
	s_add_i32 s25, s23, s26
	s_add_i32 s31, s24, s22
	ds_load_2addr_b64 v[51:54], v51 offset1:1
	ds_load_2addr_b64 v[55:58], v55 offset1:1
	;; [unrolled: 1-line block ×3, first 2 shown]
	s_lshl_b32 s25, s25, 3
	s_add_i32 s38, s30, s13
	s_lshl_b32 s31, s31, 3
	s_lshl_b32 s33, s33, 3
	v_mov_b32_e32 v64, s25
	s_lshl_b32 s34, s38, 3
	v_mov_b32_e32 v67, s31
	s_add_i32 s31, s23, s15
	s_add_i32 s36, s30, s14
	;; [unrolled: 1-line block ×3, first 2 shown]
	s_lshl_b32 s36, s36, 3
	s_lshl_b32 s37, s37, 3
	;; [unrolled: 1-line block ×3, first 2 shown]
	s_add_i32 s25, s8, 0xfffffef8
	s_waitcnt lgkmcnt(3)
	v_fma_f64 v[21:22], -v[35:36], v[93:94], v[45:46]
	v_fma_f64 v[39:40], -v[27:28], v[89:90], v[49:50]
	ds_load_2addr_b64 v[43:46], v43 offset1:1
	ds_load_2addr_b64 v[47:50], v47 offset1:1
	v_fma_f64 v[25:26], -v[19:20], v[81:82], v[25:26]
	v_fma_f64 v[5:6], -v[27:28], v[87:88], v[5:6]
	;; [unrolled: 1-line block ×6, first 2 shown]
	s_add_i32 s35, s24, s26
	s_delay_alu instid0(SALU_CYCLE_1)
	s_lshl_b32 s35, s35, 3
	v_fma_f64 v[29:30], -v[3:4], v[73:74], v[29:30]
	v_fma_f64 v[17:18], -v[3:4], v[71:72], v[17:18]
	v_dual_mov_b32 v73, s33 :: v_dual_mov_b32 v74, s34
	ds_load_b64 v[85:86], v63
	ds_load_2addr_b64 v[63:66], v64 offset1:1
	ds_load_2addr_b64 v[67:70], v67 offset1:1
	ds_load_2addr_b64 v[81:84], v73 offset1:1
	ds_load_2addr_b64 v[93:96], v74 offset1:1
	s_add_i32 s34, s24, s29
	s_add_i32 s33, s23, s25
	s_lshl_b32 s34, s34, 3
	s_lshl_b32 s33, s33, 3
	s_waitcnt lgkmcnt(6)
	v_fma_f64 v[21:22], -v[31:32], v[45:46], v[21:22]
	s_waitcnt lgkmcnt(5)
	v_fma_f64 v[39:40], -v[23:24], v[49:50], v[39:40]
	v_fma_f64 v[25:26], -v[15:16], v[53:54], v[25:26]
	;; [unrolled: 1-line block ×7, first 2 shown]
	v_mov_b32_e32 v43, s36
	v_mov_b32_e32 v47, s37
	;; [unrolled: 1-line block ×3, first 2 shown]
	v_mul_f64 v[29:30], v[61:62], v[29:30]
	v_mov_b32_e32 v55, s31
	ds_load_2addr_b64 v[43:46], v43 offset1:1
	ds_load_2addr_b64 v[47:50], v47 offset1:1
	;; [unrolled: 1-line block ×3, first 2 shown]
	s_add_i32 s31, s27, s22
	ds_load_2addr_b64 v[55:58], v55 offset1:1
	s_add_i32 s34, s30, s19
	s_lshl_b32 s31, s31, 3
	s_lshl_b32 s34, s34, 3
	s_add_i32 s36, s27, s29
	v_mov_b32_e32 v77, s34
	s_add_i32 s34, s24, s15
	s_lshl_b32 s36, s36, 3
	s_lshl_b32 s34, s34, 3
	s_waitcnt lgkmcnt(4)
	v_fma_f64 v[21:22], -v[27:28], v[95:96], v[21:22]
	v_fma_f64 v[39:40], -v[19:20], v[83:84], v[39:40]
	;; [unrolled: 1-line block ×8, first 2 shown]
	v_dual_mov_b32 v65, s35 :: v_dual_mov_b32 v66, s31
	s_add_i32 s31, s8, 0xfffffee0
	v_fma_f64 v[17:18], -v[29:30], v[59:60], v[17:18]
	v_mov_b32_e32 v59, s33
	s_add_i32 s23, s23, s31
	s_add_i32 s35, s30, s21
	ds_load_2addr_b64 v[59:62], v59 offset1:1
	ds_load_2addr_b64 v[69:72], v65 offset1:1
	;; [unrolled: 1-line block ×4, first 2 shown]
	s_lshl_b32 s35, s35, 3
	s_lshl_b32 s23, s23, 3
	s_add_i32 s33, s9, 0xfffff5d8
	s_waitcnt lgkmcnt(7)
	v_fma_f64 v[21:22], -v[23:24], v[45:46], v[21:22]
	s_waitcnt lgkmcnt(6)
	v_fma_f64 v[39:40], -v[15:16], v[49:50], v[39:40]
	;; [unrolled: 2-line block ×3, first 2 shown]
	v_fma_f64 v[5:6], -v[15:16], v[47:48], v[5:6]
	v_fma_f64 v[9:10], -v[7:8], v[51:52], v[9:10]
	s_waitcnt lgkmcnt(4)
	v_fma_f64 v[33:34], -v[29:30], v[57:58], v[33:34]
	v_fma_f64 v[1:2], -v[23:24], v[43:44], v[1:2]
	;; [unrolled: 1-line block ×3, first 2 shown]
	v_mov_b32_e32 v43, s35
	v_mov_b32_e32 v47, s36
	;; [unrolled: 1-line block ×3, first 2 shown]
	v_mul_f64 v[17:18], v[85:86], v[17:18]
	v_mov_b32_e32 v55, s23
	ds_load_2addr_b64 v[43:46], v43 offset1:1
	ds_load_2addr_b64 v[47:50], v47 offset1:1
	;; [unrolled: 1-line block ×3, first 2 shown]
	s_add_i32 s23, s24, s25
	ds_load_2addr_b64 v[55:58], v55 offset1:1
	s_add_i32 s34, s27, s26
	s_add_i32 s35, s30, s22
	s_lshl_b32 s23, s23, 3
	s_waitcnt lgkmcnt(4)
	v_fma_f64 v[21:22], -v[19:20], v[79:80], v[21:22]
	v_fma_f64 v[39:40], -v[11:12], v[75:76], v[39:40]
	v_fma_f64 v[25:26], -v[3:4], v[71:72], v[25:26]
	v_fma_f64 v[5:6], -v[11:12], v[73:74], v[5:6]
	v_fma_f64 v[9:10], -v[3:4], v[69:70], v[9:10]
	v_fma_f64 v[1:2], -v[19:20], v[77:78], v[1:2]
	v_fma_f64 v[33:34], -v[17:18], v[61:62], v[33:34]
	v_fma_f64 v[13:14], -v[17:18], v[59:60], v[13:14]
	v_mov_b32_e32 v61, s33
	s_lshl_b32 s33, s34, 3
	s_lshl_b32 s34, s35, 3
	v_dual_mov_b32 v62, s23 :: v_dual_mov_b32 v65, s33
	v_mov_b32_e32 v71, s34
	ds_load_b64 v[75:76], v61
	ds_load_2addr_b64 v[61:64], v62 offset1:1
	ds_load_2addr_b64 v[65:68], v65 offset1:1
	;; [unrolled: 1-line block ×3, first 2 shown]
	s_add_i32 s23, s24, s31
	s_add_i32 s33, s30, s29
	;; [unrolled: 1-line block ×3, first 2 shown]
	s_lshl_b32 s33, s33, 3
	s_lshl_b32 s23, s23, 3
	;; [unrolled: 1-line block ×3, first 2 shown]
	s_add_i32 s35, s30, s26
	s_delay_alu instid0(SALU_CYCLE_1) | instskip(NEXT) | instid1(SALU_CYCLE_1)
	s_lshl_b32 s35, s35, 3
	v_mov_b32_e32 v60, s35
	s_add_i32 s35, s27, s31
	s_delay_alu instid0(SALU_CYCLE_1)
	s_lshl_b32 s35, s35, 3
	s_waitcnt lgkmcnt(7)
	v_fma_f64 v[21:22], -v[15:16], v[45:46], v[21:22]
	s_waitcnt lgkmcnt(6)
	v_fma_f64 v[39:40], -v[7:8], v[49:50], v[39:40]
	;; [unrolled: 2-line block ×3, first 2 shown]
	v_fma_f64 v[5:6], -v[7:8], v[47:48], v[5:6]
	v_fma_f64 v[9:10], -v[29:30], v[51:52], v[9:10]
	v_mov_b32_e32 v51, s23
	v_fma_f64 v[1:2], -v[15:16], v[43:44], v[1:2]
	v_mov_b32_e32 v43, s33
	v_mov_b32_e32 v47, s34
	ds_load_2addr_b64 v[43:46], v43 offset1:1
	ds_load_2addr_b64 v[47:50], v47 offset1:1
	s_waitcnt lgkmcnt(6)
	v_mul_f64 v[33:34], v[57:58], v[33:34]
	ds_load_2addr_b64 v[51:54], v51 offset1:1
	s_add_i32 s23, s8, 0xfffffec8
	s_add_i32 s34, s27, s25
	;; [unrolled: 1-line block ×3, first 2 shown]
	s_lshl_b32 s34, s34, 3
	s_lshl_b32 s33, s33, 3
	v_mov_b32_e32 v59, s34
	s_add_i32 s34, s30, s15
	s_delay_alu instid0(SALU_CYCLE_1)
	s_lshl_b32 s34, s34, 3
	s_waitcnt lgkmcnt(3)
	v_fma_f64 v[21:22], -v[11:12], v[81:82], v[21:22]
	v_fma_f64 v[39:40], -v[3:4], v[67:68], v[39:40]
	;; [unrolled: 1-line block ×7, first 2 shown]
	v_mov_b32_e32 v55, s33
	ds_load_2addr_b64 v[55:58], v55 offset1:1
	ds_load_2addr_b64 v[67:70], v59 offset1:1
	;; [unrolled: 1-line block ×3, first 2 shown]
	s_add_i32 s33, s8, 0xfffffeb0
	s_delay_alu instid0(SALU_CYCLE_1) | instskip(NEXT) | instid1(SALU_CYCLE_1)
	s_add_i32 s24, s24, s33
	s_lshl_b32 s24, s24, 3
	s_waitcnt lgkmcnt(5)
	v_fma_f64 v[21:22], -v[7:8], v[45:46], v[21:22]
	s_waitcnt lgkmcnt(4)
	v_fma_f64 v[39:40], -v[29:30], v[49:50], v[39:40]
	;; [unrolled: 2-line block ×3, first 2 shown]
	v_fma_f64 v[5:6], -v[29:30], v[47:48], v[5:6]
	v_fma_f64 v[9:10], -v[33:34], v[51:52], v[9:10]
	v_mov_b32_e32 v47, s35
	v_fma_f64 v[1:2], -v[7:8], v[43:44], v[1:2]
	v_mov_b32_e32 v43, s34
	v_mov_b32_e32 v51, s24
	ds_load_2addr_b64 v[43:46], v43 offset1:1
	ds_load_2addr_b64 v[47:50], v47 offset1:1
	ds_load_2addr_b64 v[51:54], v51 offset1:1
	v_mul_f64 v[13:14], v[75:76], v[13:14]
	s_add_i32 s24, s9, 0xfffff448
	s_add_i32 s34, s27, s23
	;; [unrolled: 1-line block ×3, first 2 shown]
	s_waitcnt lgkmcnt(3)
	v_fma_f64 v[21:22], -v[3:4], v[73:74], v[21:22]
	v_fma_f64 v[39:40], -v[17:18], v[69:70], v[39:40]
	;; [unrolled: 1-line block ×6, first 2 shown]
	v_mov_b32_e32 v57, s24
	s_lshl_b32 s24, s34, 3
	s_lshl_b32 s34, s35, 3
	s_delay_alu instid0(SALU_CYCLE_1)
	v_dual_mov_b32 v58, s24 :: v_dual_mov_b32 v61, s34
	ds_load_b64 v[69:70], v57
	ds_load_2addr_b64 v[57:60], v58 offset1:1
	ds_load_2addr_b64 v[61:64], v61 offset1:1
	s_add_i32 s24, s30, s31
	s_add_i32 s34, s27, s33
	s_lshl_b32 s24, s24, 3
	s_lshl_b32 s34, s34, 3
	s_add_i32 s35, s30, s23
	s_delay_alu instid0(SALU_CYCLE_1) | instskip(NEXT) | instid1(SALU_CYCLE_1)
	s_lshl_b32 s35, s35, 3
	v_mov_b32_e32 v55, s35
	s_add_i32 s35, s30, s33
	s_delay_alu instid0(SALU_CYCLE_1)
	s_lshl_b32 s35, s35, 3
	s_waitcnt lgkmcnt(5)
	v_fma_f64 v[21:22], -v[29:30], v[45:46], v[21:22]
	s_waitcnt lgkmcnt(4)
	v_fma_f64 v[39:40], -v[33:34], v[49:50], v[39:40]
	v_fma_f64 v[5:6], -v[33:34], v[47:48], v[5:6]
	v_mov_b32_e32 v47, s34
	v_fma_f64 v[1:2], -v[29:30], v[43:44], v[1:2]
	v_mov_b32_e32 v43, s24
	ds_load_2addr_b64 v[43:46], v43 offset1:1
	ds_load_2addr_b64 v[47:50], v47 offset1:1
	s_waitcnt lgkmcnt(5)
	v_mul_f64 v[25:26], v[53:54], v[25:26]
	s_add_i32 s24, s8, 0xfffffe98
	s_delay_alu instid0(SALU_CYCLE_1) | instskip(NEXT) | instid1(SALU_CYCLE_1)
	s_add_i32 s34, s27, s24
	s_lshl_b32 s34, s34, 3
	s_waitcnt lgkmcnt(2)
	v_fma_f64 v[21:22], -v[17:18], v[63:64], v[21:22]
	v_fma_f64 v[39:40], -v[13:14], v[59:60], v[39:40]
	;; [unrolled: 1-line block ×5, first 2 shown]
	v_mov_b32_e32 v51, s34
	ds_load_2addr_b64 v[51:54], v51 offset1:1
	ds_load_2addr_b64 v[63:66], v55 offset1:1
	s_add_i32 s34, s8, 0xfffffe80
	s_delay_alu instid0(SALU_CYCLE_1) | instskip(NEXT) | instid1(SALU_CYCLE_1)
	s_add_i32 s27, s27, s34
	s_lshl_b32 s27, s27, 3
	s_waitcnt lgkmcnt(3)
	v_fma_f64 v[21:22], -v[33:34], v[45:46], v[21:22]
	s_waitcnt lgkmcnt(2)
	v_fma_f64 v[39:40], -v[25:26], v[49:50], v[39:40]
	v_fma_f64 v[5:6], -v[25:26], v[47:48], v[5:6]
	v_mov_b32_e32 v47, s27
	s_add_i32 s27, s30, s24
	v_fma_f64 v[1:2], -v[33:34], v[43:44], v[1:2]
	v_mov_b32_e32 v43, s35
	ds_load_2addr_b64 v[43:46], v43 offset1:1
	ds_load_2addr_b64 v[47:50], v47 offset1:1
	v_mul_f64 v[9:10], v[69:70], v[9:10]
	s_add_i32 s35, s9, 0xfffff2b8
	s_lshl_b32 s27, s27, 3
	s_addk_i32 s9, 0xf128
	s_waitcnt lgkmcnt(2)
	v_fma_f64 v[21:22], -v[13:14], v[65:66], v[21:22]
	v_fma_f64 v[1:2], -v[13:14], v[63:64], v[1:2]
	s_delay_alu instid0(VALU_DEP_3)
	v_fma_f64 v[39:40], -v[9:10], v[53:54], v[39:40]
	v_fma_f64 v[5:6], -v[9:10], v[51:52], v[5:6]
	v_dual_mov_b32 v53, s35 :: v_dual_mov_b32 v54, s27
	ds_load_b64 v[57:58], v53
	ds_load_2addr_b64 v[53:56], v54 offset1:1
	s_add_i32 s27, s30, s34
	s_delay_alu instid0(SALU_CYCLE_1)
	s_lshl_b32 s27, s27, 3
	s_waitcnt lgkmcnt(3)
	v_fma_f64 v[21:22], -v[25:26], v[45:46], v[21:22]
	v_fma_f64 v[1:2], -v[25:26], v[43:44], v[1:2]
	v_mov_b32_e32 v43, s27
	s_add_i32 s27, s8, 0xfffffe68
	s_delay_alu instid0(SALU_CYCLE_1)
	s_add_i32 s35, s30, s27
	ds_load_2addr_b64 v[43:46], v43 offset1:1
	s_waitcnt lgkmcnt(3)
	v_mul_f64 v[39:40], v[49:50], v[39:40]
	s_lshl_b32 s35, s35, 3
	s_waitcnt lgkmcnt(1)
	v_fma_f64 v[21:22], -v[9:10], v[55:56], v[21:22]
	v_fma_f64 v[1:2], -v[9:10], v[53:54], v[1:2]
	s_delay_alu instid0(VALU_DEP_3)
	v_fma_f64 v[5:6], -v[39:40], v[47:48], v[5:6]
	v_mov_b32_e32 v47, s35
	s_add_i32 s35, s8, 0xfffffe50
	s_addk_i32 s8, 0xfe38
	s_add_i32 s30, s30, s35
	ds_load_2addr_b64 v[47:50], v47 offset1:1
	s_lshl_b32 s30, s30, 3
	s_waitcnt lgkmcnt(1)
	v_fma_f64 v[21:22], -v[39:40], v[45:46], v[21:22]
	v_fma_f64 v[1:2], -v[39:40], v[43:44], v[1:2]
	v_mov_b32_e32 v43, s30
	ds_load_2addr_b64 v[43:46], v43 offset1:1
	v_mul_f64 v[5:6], v[57:58], v[5:6]
	s_waitcnt lgkmcnt(1)
	s_delay_alu instid0(VALU_DEP_1)
	v_fma_f64 v[21:22], -v[5:6], v[49:50], v[21:22]
	v_mov_b32_e32 v49, s9
	v_fma_f64 v[1:2], -v[5:6], v[47:48], v[1:2]
	ds_load_b64 v[49:50], v49
	s_waitcnt lgkmcnt(1)
	v_mul_f64 v[21:22], v[45:46], v[21:22]
	s_delay_alu instid0(VALU_DEP_1)
	v_fma_f64 v[1:2], -v[21:22], v[43:44], v[1:2]
	v_add_lshl_u32 v43, s12, v0, 3
	v_add_lshl_u32 v44, s13, v0, 3
	ds_store_b64 v41, v[37:38]
	ds_store_b64 v42, v[35:36]
	ds_store_b64 v43, v[31:32] offset:4608
	ds_store_b64 v44, v[27:28] offset:4608
	v_add_lshl_u32 v27, s14, v0, 3
	v_add_lshl_u32 v28, s19, v0, 3
	;; [unrolled: 1-line block ×5, first 2 shown]
	ds_store_b64 v27, v[23:24] offset:4608
	ds_store_b64 v28, v[19:20] offset:4608
	;; [unrolled: 1-line block ×5, first 2 shown]
	v_add_lshl_u32 v7, s26, v0, 3
	v_add_lshl_u32 v8, s15, v0, 3
	;; [unrolled: 1-line block ×5, first 2 shown]
	ds_store_b64 v7, v[3:4] offset:4608
	ds_store_b64 v8, v[29:30] offset:4608
	;; [unrolled: 1-line block ×5, first 2 shown]
	v_add_lshl_u32 v3, s33, v0, 3
	v_add_lshl_u32 v11, s35, v0, 3
	;; [unrolled: 1-line block ×6, first 2 shown]
	ds_store_b64 v3, v[25:26] offset:4608
	ds_store_b64 v4, v[9:10] offset:4608
	;; [unrolled: 1-line block ×4, first 2 shown]
	s_waitcnt lgkmcnt(18)
	v_mul_f64 v[1:2], v[49:50], v[1:2]
	ds_store_b64 v11, v[21:22] offset:4608
	ds_store_b64 v12, v[1:2] offset:4608
.LBB92_47:
	s_cmp_lt_i32 s4, 0
	s_cbranch_scc1 .LBB92_60
; %bb.48:
	s_bitcmp1_b32 s4, 0
	s_cselect_b32 s8, -1, 0
	s_delay_alu instid0(SALU_CYCLE_1)
	s_and_b32 vcc_lo, exec_lo, s8
	s_mov_b32 s8, s4
	s_cbranch_vccnz .LBB92_53
; %bb.49:
	s_mul_i32 s8, s4, 24
	s_cmp_le_i32 s28, s4
	v_add_lshl_u32 v3, s8, v0, 3
	ds_load_b64 v[1:2], v3 offset:4608
	s_cbranch_scc1 .LBB92_52
; %bb.50:
	v_lshlrev_b32_e32 v4, 3, v0
	s_mul_i32 s8, s20, 0xc0
	s_lshl_b32 s9, s4, 3
	s_delay_alu instid0(SALU_CYCLE_1) | instskip(NEXT) | instid1(VALU_DEP_1)
	s_add_i32 s9, s8, s9
	v_add3_u32 v4, s8, v4, 0x1140
	s_add_i32 s8, s9, 0xffffff40
	s_mov_b32 s9, s28
.LBB92_51:                              ; =>This Inner Loop Header: Depth=1
	v_mov_b32_e32 v7, s8
	s_add_i32 s9, s9, -1
	s_addk_i32 s8, 0xff40
	s_cmp_gt_i32 s9, s4
	ds_load_b64 v[5:6], v4
	ds_load_b64 v[7:8], v7
	v_add_nc_u32_e32 v4, 0xffffff40, v4
	s_waitcnt lgkmcnt(0)
	v_fma_f64 v[1:2], -v[5:6], v[7:8], v[1:2]
	s_cbranch_scc1 .LBB92_51
.LBB92_52:
	s_mul_i32 s8, s4, 0xc8
	s_delay_alu instid0(SALU_CYCLE_1)
	v_dual_mov_b32 v4, s8 :: v_dual_add_nc_u32 v3, 0x1200, v3
	s_add_i32 s8, s4, -1
	ds_load_b64 v[4:5], v4
	s_waitcnt lgkmcnt(0)
	v_mul_f64 v[1:2], v[4:5], v[1:2]
	ds_store_b64 v3, v[1:2]
.LBB92_53:
	s_cmp_eq_u32 s4, 0
	s_cbranch_scc1 .LBB92_60
; %bb.54:
	v_lshlrev_b32_e32 v1, 3, v0
	s_mul_i32 s4, s20, 0xc0
	s_lshl_b32 s9, s8, 3
	s_delay_alu instid0(SALU_CYCLE_1) | instskip(NEXT) | instid1(VALU_DEP_1)
	s_add_i32 s9, s4, s9
	v_add3_u32 v5, s4, v1, 0x1140
	s_add_i32 s4, s9, 0xffffff40
	s_addk_i32 s9, 0xff38
	s_branch .LBB92_56
.LBB92_55:                              ;   in Loop: Header=BB92_56 Depth=1
	s_addk_i32 s12, 0xff38
	s_add_i32 s4, s4, -16
	v_mov_b32_e32 v1, s12
	s_add_i32 s12, s8, -2
	s_add_i32 s9, s9, -16
	s_cmp_lt_i32 s8, 2
	s_mov_b32 s8, s12
	ds_load_b64 v[1:2], v1
	s_waitcnt lgkmcnt(0)
	v_mul_f64 v[1:2], v[1:2], v[3:4]
	ds_store_b64 v6, v[1:2]
	s_cbranch_scc1 .LBB92_60
.LBB92_56:                              ; =>This Loop Header: Depth=1
                                        ;     Child Loop BB92_57 Depth 2
                                        ;     Child Loop BB92_59 Depth 2
	s_mul_i32 s12, s8, 24
	v_mov_b32_e32 v4, v5
	v_add_lshl_u32 v3, s12, v0, 3
	s_cmp_le_i32 s28, s8
	s_mov_b32 s12, s4
	s_mov_b32 s13, s28
	ds_load_b64 v[1:2], v3 offset:4608
	s_cbranch_scc1 .LBB92_58
.LBB92_57:                              ;   Parent Loop BB92_56 Depth=1
                                        ; =>  This Inner Loop Header: Depth=2
	v_mov_b32_e32 v8, s12
	s_add_i32 s13, s13, -1
	s_addk_i32 s12, 0xff40
	s_cmp_gt_i32 s13, s8
	ds_load_b64 v[6:7], v4
	ds_load_b64 v[8:9], v8
	v_add_nc_u32_e32 v4, 0xffffff40, v4
	s_waitcnt lgkmcnt(0)
	v_fma_f64 v[1:2], -v[6:7], v[8:9], v[1:2]
	s_cbranch_scc1 .LBB92_57
.LBB92_58:                              ;   in Loop: Header=BB92_56 Depth=1
	s_mul_i32 s12, s8, 0xc8
	v_add_nc_u32_e32 v7, 0x1200, v3
	v_mov_b32_e32 v3, s12
	s_cmp_lt_i32 s28, s8
	s_mov_b32 s13, s9
	s_mov_b32 s14, s20
	v_add_nc_u32_e32 v6, 0xffffff40, v7
	ds_load_b64 v[8:9], v3
	ds_load_b64 v[3:4], v6
	s_waitcnt lgkmcnt(1)
	v_mul_f64 v[8:9], v[8:9], v[1:2]
	v_mov_b32_e32 v1, v5
	ds_store_b64 v7, v[8:9]
	s_cbranch_scc1 .LBB92_55
.LBB92_59:                              ;   Parent Loop BB92_56 Depth=1
                                        ; =>  This Inner Loop Header: Depth=2
	v_mov_b32_e32 v2, s13
	s_add_i32 s14, s14, -1
	s_addk_i32 s13, 0xff40
	s_cmp_gt_i32 s14, s8
	ds_load_b64 v[7:8], v1
	ds_load_b64 v[9:10], v2
	v_add_nc_u32_e32 v1, 0xffffff40, v1
	s_waitcnt lgkmcnt(0)
	v_fma_f64 v[3:4], -v[7:8], v[9:10], v[3:4]
	s_cbranch_scc1 .LBB92_59
	s_branch .LBB92_55
.LBB92_60:
	s_waitcnt vmcnt(0) lgkmcnt(0)
	s_waitcnt_vscnt null, 0x0
	; wave barrier
	s_waitcnt lgkmcnt(0)
	buffer_gl0_inv
	s_and_saveexec_b32 s4, s18
	s_cbranch_execz .LBB92_67
; %bb.61:
	s_cmp_lt_i32 s6, 8
	s_mov_b32 s4, 0
	s_cbranch_scc1 .LBB92_64
; %bb.62:
	v_mad_i64_i32 v[1:2], null, s16, v0, 0
	v_lshl_or_b32 v3, v0, 3, 0x1200
	s_lshl_b32 s4, s20, 3
	s_delay_alu instid0(VALU_DEP_2) | instskip(NEXT) | instid1(VALU_DEP_1)
	v_lshlrev_b64 v[1:2], 3, v[1:2]
	v_add_co_u32 v1, vcc_lo, s5, v1
	s_delay_alu instid0(VALU_DEP_2)
	v_add_co_ci_u32_e32 v2, vcc_lo, s7, v2, vcc_lo
	s_and_b32 s5, s4, 0xc0
	s_mov_b32 s4, 0
	s_mov_b64 s[6:7], 0
	.p2align	6
.LBB92_63:                              ; =>This Inner Loop Header: Depth=1
	ds_load_2addr_b64 v[4:7], v3 offset1:24
	ds_load_2addr_b64 v[8:11], v3 offset0:48 offset1:72
	ds_load_2addr_b64 v[12:15], v3 offset0:96 offset1:120
	;; [unrolled: 1-line block ×3, first 2 shown]
	v_add_co_u32 v20, vcc_lo, v1, s6
	v_add_co_ci_u32_e32 v21, vcc_lo, s7, v2, vcc_lo
	s_add_i32 s4, s4, 8
	v_add_nc_u32_e32 v3, 0x600, v3
	s_add_u32 s6, s6, 64
	s_addc_u32 s7, s7, 0
	s_cmp_lg_u32 s5, s6
	s_waitcnt lgkmcnt(3)
	global_store_b128 v[20:21], v[4:7], off
	s_waitcnt lgkmcnt(2)
	global_store_b128 v[20:21], v[8:11], off offset:16
	s_waitcnt lgkmcnt(1)
	global_store_b128 v[20:21], v[12:15], off offset:32
	;; [unrolled: 2-line block ×3, first 2 shown]
	s_cbranch_scc1 .LBB92_63
.LBB92_64:
	s_and_b32 s6, s20, 7
	s_mov_b32 s5, 0
	s_cmp_eq_u32 s6, 0
	s_cbranch_scc1 .LBB92_67
; %bb.65:
	v_lshlrev_b32_e32 v2, 3, v0
	s_lshl_b64 s[8:9], s[10:11], 3
	s_lshl_b64 s[10:11], s[4:5], 3
	s_delay_alu instid0(SALU_CYCLE_1) | instskip(NEXT) | instid1(VALU_DEP_1)
	s_add_u32 s2, s2, s10
	v_add_co_u32 v3, s5, s8, v2
	s_delay_alu instid0(VALU_DEP_1) | instskip(SKIP_3) | instid1(VALU_DEP_1)
	v_add_co_ci_u32_e64 v4, null, s9, 0, s5
	s_addc_u32 s3, s3, s11
	s_add_u32 s0, s2, s0
	s_addc_u32 s1, s3, s1
	v_mul_lo_u32 v4, v4, s16
	v_mad_u64_u32 v[0:1], null, v3, s16, s[0:1]
	v_mul_lo_u32 v3, v3, s17
	s_mul_i32 s0, s4, 0xc0
	s_delay_alu instid0(SALU_CYCLE_1) | instskip(NEXT) | instid1(VALU_DEP_2)
	v_add3_u32 v2, s0, v2, 0x1200
	v_add3_u32 v1, v4, v1, v3
.LBB92_66:                              ; =>This Inner Loop Header: Depth=1
	ds_load_b64 v[3:4], v2
	v_add_nc_u32_e32 v2, 0xc0, v2
	s_add_i32 s6, s6, -1
	s_delay_alu instid0(SALU_CYCLE_1)
	s_cmp_lg_u32 s6, 0
	s_waitcnt lgkmcnt(0)
	global_store_b64 v[0:1], v[3:4], off
	v_add_co_u32 v0, vcc_lo, v0, 8
	v_add_co_ci_u32_e32 v1, vcc_lo, 0, v1, vcc_lo
	s_cbranch_scc1 .LBB92_66
.LBB92_67:
	s_nop 0
	s_sendmsg sendmsg(MSG_DEALLOC_VGPRS)
	s_endpgm
	.section	.rodata,"a",@progbits
	.p2align	6, 0x0
	.amdhsa_kernel _ZL38rocblas_trsm_small_left_device_sharedBILi24ELi24ELb0EddPKPKdPKPdEv13rocblas_fill_18rocblas_operation_17rocblas_diagonal_iiT3_T4_lilT5_lili
		.amdhsa_group_segment_fixed_size 9216
		.amdhsa_private_segment_fixed_size 0
		.amdhsa_kernarg_size 360
		.amdhsa_user_sgpr_count 14
		.amdhsa_user_sgpr_dispatch_ptr 0
		.amdhsa_user_sgpr_queue_ptr 0
		.amdhsa_user_sgpr_kernarg_segment_ptr 1
		.amdhsa_user_sgpr_dispatch_id 0
		.amdhsa_user_sgpr_private_segment_size 0
		.amdhsa_wavefront_size32 1
		.amdhsa_uses_dynamic_stack 0
		.amdhsa_enable_private_segment 0
		.amdhsa_system_sgpr_workgroup_id_x 1
		.amdhsa_system_sgpr_workgroup_id_y 0
		.amdhsa_system_sgpr_workgroup_id_z 1
		.amdhsa_system_sgpr_workgroup_info 0
		.amdhsa_system_vgpr_workitem_id 0
		.amdhsa_next_free_vgpr 132
		.amdhsa_next_free_sgpr 56
		.amdhsa_reserve_vcc 1
		.amdhsa_float_round_mode_32 0
		.amdhsa_float_round_mode_16_64 0
		.amdhsa_float_denorm_mode_32 3
		.amdhsa_float_denorm_mode_16_64 3
		.amdhsa_dx10_clamp 1
		.amdhsa_ieee_mode 1
		.amdhsa_fp16_overflow 0
		.amdhsa_workgroup_processor_mode 1
		.amdhsa_memory_ordered 1
		.amdhsa_forward_progress 0
		.amdhsa_shared_vgpr_count 0
		.amdhsa_exception_fp_ieee_invalid_op 0
		.amdhsa_exception_fp_denorm_src 0
		.amdhsa_exception_fp_ieee_div_zero 0
		.amdhsa_exception_fp_ieee_overflow 0
		.amdhsa_exception_fp_ieee_underflow 0
		.amdhsa_exception_fp_ieee_inexact 0
		.amdhsa_exception_int_div_zero 0
	.end_amdhsa_kernel
	.section	.text._ZL38rocblas_trsm_small_left_device_sharedBILi24ELi24ELb0EddPKPKdPKPdEv13rocblas_fill_18rocblas_operation_17rocblas_diagonal_iiT3_T4_lilT5_lili,"axG",@progbits,_ZL38rocblas_trsm_small_left_device_sharedBILi24ELi24ELb0EddPKPKdPKPdEv13rocblas_fill_18rocblas_operation_17rocblas_diagonal_iiT3_T4_lilT5_lili,comdat
.Lfunc_end92:
	.size	_ZL38rocblas_trsm_small_left_device_sharedBILi24ELi24ELb0EddPKPKdPKPdEv13rocblas_fill_18rocblas_operation_17rocblas_diagonal_iiT3_T4_lilT5_lili, .Lfunc_end92-_ZL38rocblas_trsm_small_left_device_sharedBILi24ELi24ELb0EddPKPKdPKPdEv13rocblas_fill_18rocblas_operation_17rocblas_diagonal_iiT3_T4_lilT5_lili
                                        ; -- End function
	.section	.AMDGPU.csdata,"",@progbits
; Kernel info:
; codeLenInByte = 23472
; NumSgprs: 58
; NumVgprs: 132
; ScratchSize: 0
; MemoryBound: 0
; FloatMode: 240
; IeeeMode: 1
; LDSByteSize: 9216 bytes/workgroup (compile time only)
; SGPRBlocks: 7
; VGPRBlocks: 16
; NumSGPRsForWavesPerEU: 58
; NumVGPRsForWavesPerEU: 132
; Occupancy: 4
; WaveLimiterHint : 1
; COMPUTE_PGM_RSRC2:SCRATCH_EN: 0
; COMPUTE_PGM_RSRC2:USER_SGPR: 14
; COMPUTE_PGM_RSRC2:TRAP_HANDLER: 0
; COMPUTE_PGM_RSRC2:TGID_X_EN: 1
; COMPUTE_PGM_RSRC2:TGID_Y_EN: 0
; COMPUTE_PGM_RSRC2:TGID_Z_EN: 1
; COMPUTE_PGM_RSRC2:TIDIG_COMP_CNT: 0
	.section	.text._ZL30rocblas_trsm_small_left_deviceILi24ELi24ELb0EddPKPKdPKPdEv13rocblas_fill_18rocblas_operation_17rocblas_diagonal_iiT3_T4_lilT5_lili,"axG",@progbits,_ZL30rocblas_trsm_small_left_deviceILi24ELi24ELb0EddPKPKdPKPdEv13rocblas_fill_18rocblas_operation_17rocblas_diagonal_iiT3_T4_lilT5_lili,comdat
	.globl	_ZL30rocblas_trsm_small_left_deviceILi24ELi24ELb0EddPKPKdPKPdEv13rocblas_fill_18rocblas_operation_17rocblas_diagonal_iiT3_T4_lilT5_lili ; -- Begin function _ZL30rocblas_trsm_small_left_deviceILi24ELi24ELb0EddPKPKdPKPdEv13rocblas_fill_18rocblas_operation_17rocblas_diagonal_iiT3_T4_lilT5_lili
	.p2align	8
	.type	_ZL30rocblas_trsm_small_left_deviceILi24ELi24ELb0EddPKPKdPKPdEv13rocblas_fill_18rocblas_operation_17rocblas_diagonal_iiT3_T4_lilT5_lili,@function
_ZL30rocblas_trsm_small_left_deviceILi24ELi24ELb0EddPKPKdPKPdEv13rocblas_fill_18rocblas_operation_17rocblas_diagonal_iiT3_T4_lilT5_lili: ; @_ZL30rocblas_trsm_small_left_deviceILi24ELi24ELb0EddPKPKdPKPdEv13rocblas_fill_18rocblas_operation_17rocblas_diagonal_iiT3_T4_lilT5_lili
; %bb.0:
	s_load_b128 s[16:19], s[0:1], 0x40
	s_mov_b32 s2, s15
	s_mov_b32 s3, 0
	s_clause 0x1
	s_load_b128 s[8:11], s[0:1], 0x4
	s_load_b64 s[20:21], s[0:1], 0x28
	s_lshl_b64 s[24:25], s[2:3], 3
	s_waitcnt lgkmcnt(0)
	s_add_u32 s12, s16, s24
	s_addc_u32 s13, s17, s25
	s_load_b128 s[4:7], s[0:1], 0x18
	s_load_b64 s[16:17], s[12:13], 0x0
	s_min_i32 s2, s10, 24
	s_mov_b32 s13, exec_lo
	s_add_i32 s12, s2, -1
	v_cmpx_gt_i32_e64 s2, v0
	s_cbranch_execz .LBB93_10
; %bb.1:
	s_load_b32 s22, s[0:1], 0x30
	v_lshlrev_b32_e32 v3, 3, v0
	s_waitcnt lgkmcnt(0)
	s_ashr_i32 s23, s22, 31
	s_add_u32 s6, s6, s24
	s_addc_u32 s7, s7, s25
	s_cmp_lt_u32 s12, 3
	s_load_b64 s[6:7], s[6:7], 0x0
	s_cbranch_scc1 .LBB93_4
; %bb.2:
	s_lshl_b64 s[24:25], s[20:21], 3
	v_mov_b32_e32 v4, v3
	s_waitcnt lgkmcnt(0)
	s_add_u32 s3, s6, s24
	s_addc_u32 s15, s7, s25
	v_add_co_u32 v1, s3, s3, v3
	s_delay_alu instid0(VALU_DEP_1)
	v_add_co_ci_u32_e64 v2, null, s15, 0, s3
	s_and_b32 s3, s2, -4
	s_mul_hi_i32 s15, s22, 24
	s_mul_i32 s30, s22, 24
	s_lshl_b64 s[24:25], s[22:23], 5
	s_lshl_b64 s[26:27], s[22:23], 4
	;; [unrolled: 1-line block ×3, first 2 shown]
	s_mov_b32 s31, 0
	.p2align	6
.LBB93_3:                               ; =>This Inner Loop Header: Depth=1
	v_add_co_u32 v5, vcc_lo, v1, s28
	v_add_co_ci_u32_e32 v6, vcc_lo, s29, v2, vcc_lo
	v_add_co_u32 v7, vcc_lo, v1, s26
	v_add_co_ci_u32_e32 v8, vcc_lo, s27, v2, vcc_lo
	;; [unrolled: 2-line block ×3, first 2 shown]
	s_clause 0x3
	global_load_b64 v[11:12], v[1:2], off
	global_load_b64 v[5:6], v[5:6], off
	;; [unrolled: 1-line block ×4, first 2 shown]
	v_add_co_u32 v1, vcc_lo, v1, s24
	v_add_co_ci_u32_e32 v2, vcc_lo, s25, v2, vcc_lo
	s_add_i32 s31, s31, 4
	s_waitcnt vmcnt(2)
	ds_store_2addr_b64 v4, v[11:12], v[5:6] offset1:24
	s_waitcnt vmcnt(0)
	ds_store_2addr_b64 v4, v[7:8], v[9:10] offset0:48 offset1:72
	v_add_nc_u32_e32 v4, 0x300, v4
	s_cmp_eq_u32 s3, s31
	s_cbranch_scc0 .LBB93_3
.LBB93_4:
	s_and_b32 s15, s2, 3
	s_delay_alu instid0(SALU_CYCLE_1)
	s_cmp_eq_u32 s15, 0
	s_cbranch_scc1 .LBB93_7
; %bb.5:
	s_mul_i32 s24, s23, s3
	s_mul_hi_u32 s25, s22, s3
	s_lshl_b64 s[20:21], s[20:21], 3
	s_add_i32 s25, s25, s24
	s_mul_i32 s24, s22, s3
	s_mulk_i32 s3, 0xc0
	s_lshl_b64 s[24:25], s[24:25], 3
	v_lshl_add_u32 v4, v0, 3, s3
	s_add_u32 s3, s24, s20
	s_addc_u32 s20, s25, s21
	s_waitcnt lgkmcnt(0)
	s_add_u32 s3, s6, s3
	s_addc_u32 s6, s7, s20
	v_add_co_u32 v1, s3, s3, v3
	s_delay_alu instid0(VALU_DEP_1)
	v_add_co_ci_u32_e64 v2, null, s6, 0, s3
	s_lshl_b64 s[6:7], s[22:23], 3
.LBB93_6:                               ; =>This Inner Loop Header: Depth=1
	global_load_b64 v[5:6], v[1:2], off
	v_add_co_u32 v1, vcc_lo, v1, s6
	v_add_co_ci_u32_e32 v2, vcc_lo, s7, v2, vcc_lo
	s_add_i32 s15, s15, -1
	s_delay_alu instid0(SALU_CYCLE_1)
	s_cmp_lg_u32 s15, 0
	s_waitcnt vmcnt(0)
	ds_store_b64 v4, v[5:6]
	v_add_nc_u32_e32 v4, 0xc0, v4
	s_cbranch_scc1 .LBB93_6
.LBB93_7:
	v_mul_u32_u24_e32 v3, 25, v0
	v_mov_b32_e32 v1, 0
	v_mov_b32_e32 v2, 0x3ff00000
	s_cmpk_lg_i32 s9, 0x84
	s_delay_alu instid0(VALU_DEP_3)
	v_lshlrev_b32_e32 v3, 3, v3
	s_cbranch_scc0 .LBB93_9
; %bb.8:
	ds_load_b64 v[1:2], v3
	s_waitcnt lgkmcnt(0)
	v_div_scale_f64 v[4:5], null, v[1:2], v[1:2], 1.0
	s_delay_alu instid0(VALU_DEP_1) | instskip(SKIP_2) | instid1(VALU_DEP_1)
	v_rcp_f64_e32 v[6:7], v[4:5]
	s_waitcnt_depctr 0xfff
	v_fma_f64 v[8:9], -v[4:5], v[6:7], 1.0
	v_fma_f64 v[6:7], v[6:7], v[8:9], v[6:7]
	s_delay_alu instid0(VALU_DEP_1) | instskip(NEXT) | instid1(VALU_DEP_1)
	v_fma_f64 v[8:9], -v[4:5], v[6:7], 1.0
	v_fma_f64 v[6:7], v[6:7], v[8:9], v[6:7]
	v_div_scale_f64 v[8:9], vcc_lo, 1.0, v[1:2], 1.0
	s_delay_alu instid0(VALU_DEP_1) | instskip(NEXT) | instid1(VALU_DEP_1)
	v_mul_f64 v[10:11], v[8:9], v[6:7]
	v_fma_f64 v[4:5], -v[4:5], v[10:11], v[8:9]
	s_delay_alu instid0(VALU_DEP_1) | instskip(NEXT) | instid1(VALU_DEP_1)
	v_div_fmas_f64 v[4:5], v[4:5], v[6:7], v[10:11]
	v_div_fixup_f64 v[1:2], v[4:5], v[1:2], 1.0
.LBB93_9:
	ds_store_b64 v3, v[1:2]
.LBB93_10:
	s_or_b32 exec_lo, exec_lo, s13
	s_load_b32 s3, s[0:1], 0x68
	s_waitcnt lgkmcnt(0)
	s_mul_i32 s6, s14, 0xffffffe8
	s_delay_alu instid0(SALU_CYCLE_1) | instskip(SKIP_2) | instid1(SALU_CYCLE_1)
	s_add_i32 s6, s6, s11
	; wave barrier
	buffer_gl0_inv
	s_add_i32 s3, s3, -1
	s_cmp_ge_u32 s14, s3
	s_cselect_b32 s3, s6, 24
	s_delay_alu instid0(SALU_CYCLE_1)
	v_cmp_gt_i32_e32 vcc_lo, s3, v0
	s_mov_b32 s3, -1
	s_and_saveexec_b32 s6, vcc_lo
	s_cbranch_execz .LBB93_54
; %bb.11:
	s_load_b32 s0, s[0:1], 0x50
	v_mad_u64_u32 v[1:2], null, s14, 24, v[0:1]
	s_waitcnt lgkmcnt(0)
	s_delay_alu instid0(VALU_DEP_1) | instskip(SKIP_1) | instid1(SALU_CYCLE_1)
	v_mad_i64_i32 v[2:3], null, s0, v1, 0
	s_lshl_b64 s[0:1], s[18:19], 3
	s_add_u32 s6, s16, s0
	s_addc_u32 s7, s17, s1
	s_cmpk_eq_i32 s8, 0x6f
	s_delay_alu instid0(VALU_DEP_1) | instskip(NEXT) | instid1(VALU_DEP_1)
	v_lshlrev_b64 v[48:49], 3, v[2:3]
	v_add_co_u32 v46, vcc_lo, s6, v48
	s_delay_alu instid0(VALU_DEP_2)
	v_add_co_ci_u32_e32 v47, vcc_lo, s7, v49, vcc_lo
	s_cbranch_scc1 .LBB93_32
; %bb.12:
	s_cmp_gt_i32 s10, 23
	s_mov_b32 s6, 0
	s_cselect_b32 s3, -1, 0
	s_delay_alu instid0(SALU_CYCLE_1)
	s_and_b32 vcc_lo, exec_lo, s3
	s_cbranch_vccz .LBB93_14
; %bb.13:
	s_clause 0x3
	global_load_b128 v[0:3], v[46:47], off
	global_load_b128 v[4:7], v[46:47], off offset:16
	global_load_b128 v[8:11], v[46:47], off offset:32
	global_load_b128 v[16:19], v[46:47], off offset:48
	v_mov_b32_e32 v38, 0
	global_load_b128 v[24:27], v[46:47], off offset:64
	v_add_nc_u32_e64 v45, 0x800, 0
	s_mov_b32 s6, 24
	ds_load_2addr_b64 v[20:23], v38 offset1:50
	ds_load_b128 v[12:15], v38 offset:192
	ds_load_b128 v[28:31], v38 offset:384
	;; [unrolled: 1-line block ×4, first 2 shown]
	global_load_b128 v[39:42], v[46:47], off offset:80
	ds_load_b128 v[54:57], v38 offset:768
	ds_load_b128 v[58:61], v38 offset:784
	s_waitcnt vmcnt(5)
	v_mul_f64 v[0:1], v[0:1], s[4:5]
	s_waitcnt lgkmcnt(6)
	s_delay_alu instid0(VALU_DEP_1) | instskip(SKIP_1) | instid1(VALU_DEP_1)
	v_mul_f64 v[0:1], v[20:21], v[0:1]
	s_waitcnt lgkmcnt(5)
	v_mul_f64 v[12:13], v[0:1], v[12:13]
	s_waitcnt lgkmcnt(4)
	v_mul_f64 v[20:21], v[0:1], v[28:29]
	s_delay_alu instid0(VALU_DEP_2) | instskip(SKIP_3) | instid1(VALU_DEP_3)
	v_fma_f64 v[2:3], v[2:3], s[4:5], -v[12:13]
	s_waitcnt lgkmcnt(3)
	v_mul_f64 v[12:13], v[0:1], v[32:33]
	s_waitcnt vmcnt(4)
	v_fma_f64 v[4:5], v[4:5], s[4:5], -v[20:21]
	s_waitcnt lgkmcnt(1)
	v_mul_f64 v[20:21], v[0:1], v[54:55]
	s_delay_alu instid0(VALU_DEP_4) | instskip(NEXT) | instid1(VALU_DEP_4)
	v_mul_f64 v[2:3], v[14:15], v[2:3]
	v_fma_f64 v[32:33], v[6:7], s[4:5], -v[12:13]
	global_load_b128 v[12:15], v[46:47], off offset:96
	s_waitcnt vmcnt(4)
	v_fma_f64 v[8:9], v[8:9], s[4:5], -v[20:21]
	v_fma_f64 v[36:37], -v[2:3], v[30:31], v[4:5]
	ds_load_b128 v[4:7], v38 offset:960
	ds_load_b128 v[28:31], v38 offset:976
	v_fma_f64 v[32:33], -v[2:3], v[34:35], v[32:33]
	s_waitcnt lgkmcnt(1)
	v_mul_f64 v[43:44], v[0:1], v[4:5]
	v_mul_f64 v[4:5], v[22:23], v[36:37]
	ds_load_b128 v[20:23], v38 offset:1152
	v_fma_f64 v[36:37], v[10:11], s[4:5], -v[43:44]
	v_fma_f64 v[43:44], -v[2:3], v[56:57], v[8:9]
	ds_load_b128 v[8:11], v38 offset:1344
	s_waitcnt lgkmcnt(1)
	v_mul_f64 v[20:21], v[0:1], v[20:21]
	ds_load_b128 v[54:57], v38 offset:1360
	v_fma_f64 v[50:51], -v[4:5], v[50:51], v[32:33]
	global_load_b128 v[32:35], v[46:47], off offset:112
	s_waitcnt lgkmcnt(1)
	v_mul_f64 v[8:9], v[0:1], v[8:9]
	s_waitcnt vmcnt(4)
	v_fma_f64 v[16:17], v[16:17], s[4:5], -v[20:21]
	v_fma_f64 v[20:21], -v[2:3], v[6:7], v[36:37]
	v_fma_f64 v[36:37], -v[4:5], v[58:59], v[43:44]
	v_mul_f64 v[6:7], v[52:53], v[50:51]
	ds_load_b128 v[50:53], v38 offset:1536
	ds_load_b128 v[62:65], v38 offset:1552
	v_fma_f64 v[8:9], v[18:19], s[4:5], -v[8:9]
	s_waitcnt lgkmcnt(1)
	v_mul_f64 v[43:44], v[0:1], v[50:51]
	v_fma_f64 v[50:51], -v[2:3], v[22:23], v[16:17]
	v_fma_f64 v[28:29], -v[4:5], v[28:29], v[20:21]
	ds_load_b128 v[20:23], v38 offset:1728
	global_load_b128 v[16:19], v[46:47], off offset:128
	v_fma_f64 v[36:37], -v[6:7], v[60:61], v[36:37]
	ds_load_b128 v[58:61], v38 offset:1168
	ds_load_2addr_b64 v[66:69], v38 offset0:100 offset1:150
	ds_load_b128 v[70:73], v38 offset:1184
	ds_load_b128 v[74:77], v38 offset:1744
	;; [unrolled: 1-line block ×4, first 2 shown]
	v_fma_f64 v[10:11], -v[2:3], v[10:11], v[8:9]
	s_waitcnt lgkmcnt(6)
	v_mul_f64 v[20:21], v[0:1], v[20:21]
	s_waitcnt vmcnt(4)
	v_fma_f64 v[24:25], v[24:25], s[4:5], -v[43:44]
	s_waitcnt lgkmcnt(5)
	v_fma_f64 v[43:44], -v[4:5], v[58:59], v[50:51]
	v_fma_f64 v[28:29], -v[6:7], v[30:31], v[28:29]
	s_waitcnt lgkmcnt(4)
	v_mul_f64 v[8:9], v[66:67], v[36:37]
	s_waitcnt lgkmcnt(1)
	v_mul_f64 v[36:37], v[0:1], v[78:79]
	v_fma_f64 v[10:11], -v[4:5], v[54:55], v[10:11]
	v_fma_f64 v[20:21], v[26:27], s[4:5], -v[20:21]
	v_fma_f64 v[58:59], -v[2:3], v[52:53], v[24:25]
	ds_load_b128 v[24:27], v38 offset:2112
	ds_load_b128 v[50:53], v38 offset:2128
	v_fma_f64 v[43:44], -v[6:7], v[60:61], v[43:44]
	s_waitcnt lgkmcnt(2)
	v_fma_f64 v[54:55], -v[8:9], v[82:83], v[28:29]
	global_load_b128 v[28:31], v[46:47], off offset:144
	s_waitcnt vmcnt(4)
	v_fma_f64 v[36:37], v[39:40], s[4:5], -v[36:37]
	s_waitcnt lgkmcnt(1)
	v_mul_f64 v[66:67], v[0:1], v[24:25]
	v_fma_f64 v[20:21], -v[2:3], v[22:23], v[20:21]
	v_fma_f64 v[39:40], -v[4:5], v[62:63], v[58:59]
	;; [unrolled: 1-line block ×4, first 2 shown]
	v_mul_f64 v[10:11], v[84:85], v[54:55]
	ds_load_b128 v[22:25], v38 offset:2304
	ds_load_b128 v[54:57], v38 offset:1376
	ds_load_b128 v[58:61], v38 offset:1392
	ds_load_b128 v[82:85], v38 offset:2320
	v_fma_f64 v[36:37], -v[2:3], v[80:81], v[36:37]
	v_fma_f64 v[66:67], v[41:42], s[4:5], -v[66:67]
	v_fma_f64 v[74:75], -v[4:5], v[74:75], v[20:21]
	s_waitcnt lgkmcnt(3)
	v_mul_f64 v[94:95], v[0:1], v[22:23]
	global_load_b128 v[20:23], v[46:47], off offset:160
	v_fma_f64 v[96:97], -v[6:7], v[64:65], v[39:40]
	s_waitcnt lgkmcnt(2)
	v_fma_f64 v[54:55], -v[8:9], v[54:55], v[62:63]
	ds_load_b128 v[39:42], v38 offset:2496
	v_fma_f64 v[43:44], -v[10:11], v[72:73], v[43:44]
	ds_load_b128 v[62:65], v38 offset:1936
	ds_load_b128 v[70:73], v38 offset:1568
	;; [unrolled: 1-line block ×5, first 2 shown]
	v_fma_f64 v[26:27], -v[2:3], v[26:27], v[66:67]
	s_waitcnt lgkmcnt(5)
	v_mul_f64 v[39:40], v[0:1], v[39:40]
	s_waitcnt lgkmcnt(4)
	v_fma_f64 v[36:37], -v[4:5], v[62:63], v[36:37]
	s_waitcnt vmcnt(4)
	v_fma_f64 v[94:95], v[12:13], s[4:5], -v[94:95]
	v_fma_f64 v[62:63], -v[6:7], v[76:77], v[74:75]
	s_waitcnt lgkmcnt(3)
	v_fma_f64 v[70:71], -v[8:9], v[70:71], v[96:97]
	v_fma_f64 v[96:97], -v[10:11], v[56:57], v[54:55]
	v_mul_f64 v[12:13], v[68:69], v[43:44]
	ds_load_b128 v[54:57], v38 offset:2688
	ds_load_b128 v[66:69], v38 offset:1760
	;; [unrolled: 1-line block ×3, first 2 shown]
	v_fma_f64 v[50:51], -v[4:5], v[50:51], v[26:27]
	v_fma_f64 v[14:15], v[14:15], s[4:5], -v[39:40]
	v_fma_f64 v[36:37], -v[6:7], v[64:65], v[36:37]
	v_fma_f64 v[39:40], -v[2:3], v[24:25], v[94:95]
	s_waitcnt lgkmcnt(2)
	v_mul_f64 v[43:44], v[0:1], v[54:55]
	s_waitcnt lgkmcnt(1)
	v_fma_f64 v[54:55], -v[8:9], v[66:67], v[62:63]
	v_fma_f64 v[66:67], -v[10:11], v[72:73], v[70:71]
	ds_load_b128 v[62:65], v38 offset:2880
	ds_load_b128 v[70:73], v38 offset:2896
	global_load_b128 v[24:27], v[46:47], off offset:176
	v_fma_f64 v[58:59], -v[12:13], v[58:59], v[96:97]
	v_fma_f64 v[94:95], -v[6:7], v[52:53], v[50:51]
	s_waitcnt lgkmcnt(1)
	v_mul_f64 v[62:63], v[0:1], v[62:63]
	v_fma_f64 v[36:37], -v[8:9], v[86:87], v[36:37]
	v_fma_f64 v[82:83], -v[4:5], v[82:83], v[39:40]
	s_waitcnt vmcnt(4)
	v_fma_f64 v[32:33], v[32:33], s[4:5], -v[43:44]
	v_fma_f64 v[43:44], -v[2:3], v[41:42], v[14:15]
	v_fma_f64 v[54:55], -v[10:11], v[68:69], v[54:55]
	;; [unrolled: 1-line block ×3, first 2 shown]
	v_mul_f64 v[14:15], v[60:61], v[58:59]
	ds_load_b128 v[39:42], v38 offset:3072
	ds_load_b128 v[50:53], v38 offset:2144
	;; [unrolled: 1-line block ×4, first 2 shown]
	v_fma_f64 v[62:63], v[34:35], s[4:5], -v[62:63]
	v_fma_f64 v[110:111], -v[10:11], v[88:89], v[36:37]
	s_waitcnt lgkmcnt(3)
	v_mul_f64 v[39:40], v[0:1], v[39:40]
	v_fma_f64 v[32:33], -v[2:3], v[56:57], v[32:33]
	v_fma_f64 v[43:44], -v[4:5], v[90:91], v[43:44]
	;; [unrolled: 1-line block ×3, first 2 shown]
	s_waitcnt lgkmcnt(2)
	v_fma_f64 v[50:51], -v[8:9], v[50:51], v[94:95]
	v_fma_f64 v[74:75], -v[12:13], v[74:75], v[54:55]
	v_fma_f64 v[112:113], -v[14:15], v[80:81], v[78:79]
	ds_load_b128 v[54:57], v38 offset:3264
	ds_load_b128 v[78:81], v38 offset:2704
	;; [unrolled: 1-line block ×4, first 2 shown]
	ds_load_2addr_b64 v[34:37], v38 offset0:200 offset1:250
	ds_load_b128 v[94:97], v38 offset:1984
	ds_load_b128 v[98:101], v38 offset:2352
	;; [unrolled: 1-line block ×4, first 2 shown]
	v_fma_f64 v[114:115], -v[2:3], v[64:65], v[62:63]
	s_waitcnt lgkmcnt(8)
	v_mul_f64 v[54:55], v[0:1], v[54:55]
	s_waitcnt lgkmcnt(5)
	v_fma_f64 v[86:87], -v[12:13], v[86:87], v[110:111]
	s_waitcnt vmcnt(3)
	v_fma_f64 v[39:40], v[16:17], s[4:5], -v[39:40]
	v_fma_f64 v[32:33], -v[4:5], v[78:79], v[32:33]
	v_fma_f64 v[43:44], -v[6:7], v[92:93], v[43:44]
	;; [unrolled: 1-line block ×5, first 2 shown]
	ds_load_b128 v[50:53], v38 offset:3456
	ds_load_b128 v[62:65], v38 offset:2528
	;; [unrolled: 1-line block ×4, first 2 shown]
	s_waitcnt lgkmcnt(8)
	v_mul_f64 v[16:17], v[34:35], v[112:113]
	s_waitcnt lgkmcnt(3)
	v_mul_f64 v[50:51], v[0:1], v[50:51]
	v_fma_f64 v[70:71], -v[4:5], v[70:71], v[114:115]
	v_fma_f64 v[18:19], v[18:19], s[4:5], -v[54:55]
	v_fma_f64 v[54:55], -v[2:3], v[41:42], v[39:40]
	v_fma_f64 v[80:81], -v[6:7], v[80:81], v[32:33]
	s_waitcnt lgkmcnt(2)
	v_fma_f64 v[43:44], -v[8:9], v[62:63], v[43:44]
	v_fma_f64 v[62:63], -v[10:11], v[84:85], v[78:79]
	;; [unrolled: 1-line block ×4, first 2 shown]
	ds_load_b128 v[39:42], v38 offset:3648
	ds_load_b128 v[32:35], v38 offset:3664
	s_waitcnt lgkmcnt(3)
	v_fma_f64 v[74:75], -v[16:17], v[74:75], v[110:111]
	v_fma_f64 v[82:83], -v[6:7], v[72:73], v[70:71]
	s_waitcnt lgkmcnt(1)
	v_mul_f64 v[39:40], v[0:1], v[39:40]
	s_waitcnt vmcnt(2)
	v_fma_f64 v[28:29], v[28:29], s[4:5], -v[50:51]
	v_fma_f64 v[50:51], -v[2:3], v[56:57], v[18:19]
	v_fma_f64 v[66:67], -v[4:5], v[66:67], v[54:55]
	;; [unrolled: 1-line block ×7, first 2 shown]
	v_mul_f64 v[18:19], v[76:77], v[74:75]
	ds_load_b128 v[54:57], v38 offset:3840
	ds_load_b128 v[58:61], v38 offset:2912
	;; [unrolled: 1-line block ×6, first 2 shown]
	v_fma_f64 v[39:40], v[30:31], s[4:5], -v[39:40]
	s_waitcnt lgkmcnt(5)
	v_mul_f64 v[54:55], v[0:1], v[54:55]
	v_fma_f64 v[118:119], -v[2:3], v[52:53], v[28:29]
	v_fma_f64 v[106:107], -v[4:5], v[106:107], v[50:51]
	;; [unrolled: 1-line block ×3, first 2 shown]
	s_waitcnt lgkmcnt(4)
	v_fma_f64 v[58:59], -v[8:9], v[58:59], v[82:83]
	v_fma_f64 v[122:123], -v[10:11], v[104:105], v[84:85]
	;; [unrolled: 1-line block ×4, first 2 shown]
	s_waitcnt lgkmcnt(3)
	v_fma_f64 v[62:63], -v[16:17], v[62:63], v[88:89]
	v_fma_f64 v[124:125], -v[18:19], v[96:97], v[94:95]
	ds_load_b128 v[28:31], v38 offset:4032
	ds_load_b128 v[50:53], v38 offset:3472
	;; [unrolled: 1-line block ×10, first 2 shown]
	v_fma_f64 v[126:127], -v[2:3], v[41:42], v[39:40]
	s_waitcnt lgkmcnt(9)
	v_mul_f64 v[28:29], v[0:1], v[28:29]
	s_waitcnt vmcnt(1)
	v_fma_f64 v[54:55], v[20:21], s[4:5], -v[54:55]
	s_waitcnt lgkmcnt(8)
	v_fma_f64 v[50:51], -v[4:5], v[50:51], v[118:119]
	v_fma_f64 v[118:119], -v[6:7], v[108:109], v[106:107]
	s_waitcnt lgkmcnt(7)
	v_fma_f64 v[66:67], -v[8:9], v[66:67], v[120:121]
	v_fma_f64 v[120:121], -v[10:11], v[60:61], v[58:59]
	;; [unrolled: 3-line block ×4, first 2 shown]
	ds_load_b128 v[39:42], v38 offset:4224
	ds_load_b128 v[58:61], v38 offset:3296
	;; [unrolled: 1-line block ×5, first 2 shown]
	v_mul_f64 v[20:21], v[36:37], v[124:125]
	s_waitcnt lgkmcnt(4)
	v_mul_f64 v[36:37], v[0:1], v[39:40]
	v_fma_f64 v[32:33], -v[4:5], v[32:33], v[126:127]
	v_fma_f64 v[22:23], v[22:23], s[4:5], -v[28:29]
	v_fma_f64 v[28:29], -v[2:3], v[56:57], v[54:55]
	v_fma_f64 v[39:40], -v[6:7], v[52:53], v[50:51]
	s_waitcnt lgkmcnt(3)
	v_fma_f64 v[58:59], -v[8:9], v[58:59], v[118:119]
	v_fma_f64 v[66:67], -v[10:11], v[68:69], v[66:67]
	;; [unrolled: 1-line block ×4, first 2 shown]
	s_waitcnt lgkmcnt(2)
	v_fma_f64 v[43:44], -v[16:17], v[62:63], v[43:44]
	v_fma_f64 v[62:63], -v[18:19], v[88:89], v[86:87]
	ds_load_b128 v[50:53], v38 offset:4416
	ds_load_b128 v[54:57], v38 offset:4432
	v_fma_f64 v[70:71], -v[20:21], v[70:71], v[122:123]
	s_waitcnt vmcnt(0)
	v_fma_f64 v[24:25], v[24:25], s[4:5], -v[36:37]
	v_fma_f64 v[82:83], -v[6:7], v[34:35], v[32:33]
	s_waitcnt lgkmcnt(1)
	v_mul_f64 v[50:51], v[0:1], v[50:51]
	v_fma_f64 v[36:37], -v[2:3], v[30:31], v[22:23]
	v_fma_f64 v[78:79], -v[4:5], v[78:79], v[28:29]
	;; [unrolled: 1-line block ×9, first 2 shown]
	ds_load_b128 v[28:31], v38 offset:3680
	ds_load_b128 v[32:35], v38 offset:2944
	;; [unrolled: 1-line block ×4, first 2 shown]
	v_mul_f64 v[22:23], v[72:73], v[70:71]
	v_fma_f64 v[110:111], -v[2:3], v[41:42], v[24:25]
	s_waitcnt lgkmcnt(3)
	v_fma_f64 v[28:29], -v[8:9], v[28:29], v[82:83]
	v_fma_f64 v[50:51], v[26:27], s[4:5], -v[50:51]
	v_fma_f64 v[36:37], -v[4:5], v[114:115], v[36:37]
	v_fma_f64 v[114:115], -v[6:7], v[80:81], v[78:79]
	;; [unrolled: 1-line block ×5, first 2 shown]
	s_waitcnt lgkmcnt(2)
	v_fma_f64 v[32:33], -v[16:17], v[32:33], v[68:69]
	v_fma_f64 v[120:121], -v[18:19], v[100:101], v[74:75]
	;; [unrolled: 1-line block ×3, first 2 shown]
	ds_load_b128 v[24:27], v38 offset:4240
	ds_load_b128 v[39:42], v38 offset:3872
	;; [unrolled: 1-line block ×3, first 2 shown]
	v_fma_f64 v[90:91], -v[22:23], v[96:97], v[76:77]
	ds_load_b128 v[70:73], v38 offset:3136
	ds_load_b128 v[74:77], v38 offset:2768
	ds_load_2addr_b64 v[78:81], v45 offset0:44 offset1:94
	ds_load_b128 v[82:85], v38 offset:2784
	ds_load_b128 v[86:89], v38 offset:3152
	;; [unrolled: 1-line block ×5, first 2 shown]
	s_waitcnt lgkmcnt(10)
	v_fma_f64 v[110:111], -v[4:5], v[24:25], v[110:111]
	v_fma_f64 v[36:37], -v[6:7], v[116:117], v[36:37]
	s_waitcnt lgkmcnt(9)
	v_fma_f64 v[39:40], -v[8:9], v[39:40], v[114:115]
	v_fma_f64 v[114:115], -v[10:11], v[30:31], v[28:29]
	;; [unrolled: 3-line block ×5, first 2 shown]
	s_waitcnt lgkmcnt(5)
	v_mul_f64 v[24:25], v[78:79], v[90:91]
	v_fma_f64 v[78:79], -v[2:3], v[52:53], v[50:51]
	ds_load_b128 v[28:31], v38 offset:4064
	ds_load_b128 v[32:35], v38 offset:3328
	;; [unrolled: 1-line block ×5, first 2 shown]
	v_fma_f64 v[26:27], -v[6:7], v[26:27], v[110:111]
	s_waitcnt lgkmcnt(4)
	v_fma_f64 v[28:29], -v[8:9], v[28:29], v[36:37]
	v_fma_f64 v[36:37], -v[10:11], v[41:42], v[39:40]
	v_fma_f64 v[39:40], -v[12:13], v[62:63], v[114:115]
	v_fma_f64 v[41:42], -v[14:15], v[68:69], v[66:67]
	s_waitcnt lgkmcnt(3)
	v_fma_f64 v[32:33], -v[16:17], v[32:33], v[112:113]
	v_fma_f64 v[62:63], -v[18:19], v[72:73], v[70:71]
	v_fma_f64 v[58:59], -v[20:21], v[58:59], v[116:117]
	v_fma_f64 v[66:67], -v[22:23], v[76:77], v[74:75]
	s_waitcnt lgkmcnt(2)
	v_fma_f64 v[43:44], -v[24:25], v[50:51], v[43:44]
	v_fma_f64 v[50:51], -v[4:5], v[54:55], v[78:79]
	v_fma_f64 v[68:69], -v[8:9], v[102:103], v[26:27]
	v_fma_f64 v[70:71], -v[10:11], v[30:31], v[28:29]
	v_fma_f64 v[36:37], -v[12:13], v[98:99], v[36:37]
	;; [unrolled: 1-line block ×8, first 2 shown]
	v_mul_f64 v[26:27], v[52:53], v[43:44]
	v_fma_f64 v[43:44], -v[6:7], v[56:57], v[50:51]
	ds_load_b128 v[28:31], v38 offset:3712
	ds_load_b128 v[32:35], v38 offset:2976
	;; [unrolled: 1-line block ×6, first 2 shown]
	v_fma_f64 v[78:79], -v[10:11], v[104:105], v[68:69]
	s_waitcnt lgkmcnt(6)
	v_fma_f64 v[102:103], -v[12:13], v[106:107], v[70:71]
	v_fma_f64 v[36:37], -v[14:15], v[100:101], v[36:37]
	s_waitcnt lgkmcnt(5)
	v_fma_f64 v[28:29], -v[16:17], v[28:29], v[64:65]
	v_fma_f64 v[104:105], -v[18:19], v[96:97], v[72:73]
	;; [unrolled: 1-line block ×4, first 2 shown]
	s_waitcnt lgkmcnt(4)
	v_fma_f64 v[32:33], -v[24:25], v[32:33], v[76:77]
	v_fma_f64 v[110:111], -v[26:27], v[84:85], v[66:67]
	s_waitcnt lgkmcnt(3)
	v_fma_f64 v[39:40], -v[8:9], v[39:40], v[43:44]
	ds_load_b128 v[62:65], v38 offset:4272
	ds_load_b128 v[66:69], v38 offset:3904
	ds_load_b128 v[70:73], v38 offset:3536
	ds_load_b128 v[74:77], v38 offset:3168
	ds_load_b128 v[82:85], v38 offset:3184
	ds_load_b128 v[86:89], v38 offset:3552
	ds_load_b128 v[94:97], v38 offset:3920
	ds_load_b128 v[98:101], v38 offset:4288
	s_waitcnt lgkmcnt(7)
	v_fma_f64 v[43:44], -v[12:13], v[62:63], v[78:79]
	v_fma_f64 v[62:63], -v[14:15], v[108:109], v[102:103]
	s_waitcnt lgkmcnt(6)
	v_fma_f64 v[66:67], -v[16:17], v[66:67], v[36:37]
	v_fma_f64 v[102:103], -v[18:19], v[30:31], v[28:29]
	;; [unrolled: 3-line block ×4, first 2 shown]
	v_mul_f64 v[28:29], v[80:81], v[110:111]
	v_fma_f64 v[104:105], -v[10:11], v[41:42], v[39:40]
	ds_load_b128 v[30:33], v38 offset:4096
	ds_load_b128 v[34:37], v38 offset:3360
	;; [unrolled: 1-line block ×4, first 2 shown]
	v_fma_f64 v[43:44], -v[14:15], v[64:65], v[43:44]
	s_waitcnt lgkmcnt(3)
	v_fma_f64 v[30:31], -v[16:17], v[30:31], v[62:63]
	v_fma_f64 v[62:63], -v[18:19], v[68:69], v[66:67]
	;; [unrolled: 1-line block ×4, first 2 shown]
	s_waitcnt lgkmcnt(2)
	v_fma_f64 v[34:35], -v[24:25], v[34:35], v[90:91]
	v_fma_f64 v[66:67], -v[26:27], v[76:77], v[74:75]
	;; [unrolled: 1-line block ×11, first 2 shown]
	v_mul_f64 v[30:31], v[52:53], v[50:51]
	v_fma_f64 v[72:73], -v[14:15], v[60:61], v[58:59]
	ds_load_b128 v[32:35], v38 offset:3744
	ds_load_b128 v[50:53], v38 offset:4480
	;; [unrolled: 1-line block ×4, first 2 shown]
	v_fma_f64 v[43:44], -v[18:19], v[100:101], v[43:44]
	s_waitcnt lgkmcnt(4)
	v_fma_f64 v[78:79], -v[20:21], v[78:79], v[68:69]
	v_fma_f64 v[94:95], -v[22:23], v[96:97], v[62:63]
	s_waitcnt lgkmcnt(3)
	v_fma_f64 v[32:33], -v[24:25], v[32:33], v[70:71]
	v_fma_f64 v[96:97], -v[26:27], v[88:89], v[64:65]
	;; [unrolled: 1-line block ×4, first 2 shown]
	s_waitcnt lgkmcnt(2)
	v_fma_f64 v[50:51], -v[16:17], v[50:51], v[72:73]
	ds_load_b128 v[62:65], v38 offset:4304
	ds_load_b128 v[66:69], v38 offset:3936
	;; [unrolled: 1-line block ×3, first 2 shown]
	ds_load_2addr_b64 v[74:77], v45 offset0:144 offset1:194
	ds_load_b128 v[82:85], v38 offset:3584
	ds_load_b128 v[86:89], v38 offset:3952
	;; [unrolled: 1-line block ×3, first 2 shown]
	v_add_nc_u32_e64 v45, 0xc00, 0
	s_waitcnt lgkmcnt(6)
	v_fma_f64 v[43:44], -v[20:21], v[62:63], v[43:44]
	v_fma_f64 v[62:63], -v[22:23], v[80:81], v[78:79]
	s_waitcnt lgkmcnt(5)
	v_fma_f64 v[66:67], -v[24:25], v[66:67], v[94:95]
	v_fma_f64 v[78:79], -v[26:27], v[34:35], v[32:33]
	;; [unrolled: 3-line block ×3, first 2 shown]
	s_waitcnt lgkmcnt(3)
	v_mul_f64 v[32:33], v[74:75], v[39:40]
	v_fma_f64 v[74:75], -v[18:19], v[52:53], v[50:51]
	ds_load_b128 v[34:37], v38 offset:4128
	ds_load_b128 v[39:42], v38 offset:3392
	;; [unrolled: 1-line block ×3, first 2 shown]
	v_fma_f64 v[43:44], -v[22:23], v[64:65], v[43:44]
	s_waitcnt lgkmcnt(2)
	v_fma_f64 v[34:35], -v[24:25], v[34:35], v[62:63]
	v_fma_f64 v[62:63], -v[26:27], v[68:69], v[66:67]
	;; [unrolled: 1-line block ×4, first 2 shown]
	s_waitcnt lgkmcnt(1)
	v_fma_f64 v[39:40], -v[32:33], v[39:40], v[80:81]
	v_fma_f64 v[58:59], -v[20:21], v[58:59], v[74:75]
	;; [unrolled: 1-line block ×7, first 2 shown]
	v_mul_f64 v[34:35], v[41:42], v[39:40]
	v_fma_f64 v[72:73], -v[22:23], v[60:61], v[58:59]
	ds_load_b128 v[39:42], v38 offset:3776
	ds_load_b128 v[54:57], v38 offset:4512
	;; [unrolled: 1-line block ×4, first 2 shown]
	v_fma_f64 v[43:44], -v[26:27], v[92:93], v[43:44]
	s_waitcnt lgkmcnt(4)
	v_fma_f64 v[36:37], -v[28:29], v[50:51], v[36:37]
	v_fma_f64 v[50:51], -v[30:31], v[88:89], v[66:67]
	s_waitcnt lgkmcnt(3)
	v_fma_f64 v[39:40], -v[32:33], v[39:40], v[68:69]
	;; [unrolled: 3-line block ×3, first 2 shown]
	ds_load_b128 v[66:69], v38 offset:4336
	ds_load_b128 v[70:73], v38 offset:3968
	;; [unrolled: 1-line block ×4, first 2 shown]
	s_waitcnt lgkmcnt(3)
	v_fma_f64 v[66:67], -v[28:29], v[66:67], v[43:44]
	v_fma_f64 v[36:37], -v[30:31], v[52:53], v[36:37]
	s_waitcnt lgkmcnt(2)
	v_fma_f64 v[70:71], -v[32:33], v[70:71], v[50:51]
	v_fma_f64 v[86:87], -v[34:35], v[41:42], v[39:40]
	ds_load_b128 v[41:44], v38 offset:4160
	ds_load_b128 v[50:53], v38 offset:4176
	v_mul_f64 v[39:40], v[76:77], v[74:75]
	v_fma_f64 v[54:55], -v[26:27], v[56:57], v[54:55]
	v_fma_f64 v[56:57], -v[30:31], v[68:69], v[66:67]
	s_waitcnt lgkmcnt(1)
	v_fma_f64 v[36:37], -v[32:33], v[41:42], v[36:37]
	v_fma_f64 v[41:42], -v[34:35], v[72:73], v[70:71]
	v_fma_f64 v[58:59], -v[39:40], v[58:59], v[86:87]
	v_fma_f64 v[54:55], -v[28:29], v[62:63], v[54:55]
	v_fma_f64 v[62:63], -v[32:33], v[82:83], v[56:57]
	v_fma_f64 v[36:37], -v[34:35], v[43:44], v[36:37]
	v_fma_f64 v[43:44], -v[39:40], v[78:79], v[41:42]
	v_mul_f64 v[41:42], v[60:61], v[58:59]
	v_fma_f64 v[64:65], -v[30:31], v[64:65], v[54:55]
	ds_load_b128 v[54:57], v38 offset:4544
	ds_load_b128 v[58:61], v38 offset:4560
	v_fma_f64 v[74:75], -v[34:35], v[84:85], v[62:63]
	s_waitcnt lgkmcnt(2)
	v_fma_f64 v[36:37], -v[39:40], v[50:51], v[36:37]
	v_fma_f64 v[43:44], -v[41:42], v[80:81], v[43:44]
	s_waitcnt lgkmcnt(1)
	v_fma_f64 v[54:55], -v[32:33], v[54:55], v[64:65]
	ds_load_b128 v[62:65], v38 offset:4368
	ds_load_2addr_b64 v[66:69], v45 offset0:116 offset1:166
	ds_load_b128 v[70:73], v38 offset:4384
	s_waitcnt lgkmcnt(2)
	v_fma_f64 v[62:63], -v[39:40], v[62:63], v[74:75]
	v_fma_f64 v[36:37], -v[41:42], v[52:53], v[36:37]
	s_waitcnt lgkmcnt(1)
	v_mul_f64 v[50:51], v[66:67], v[43:44]
	v_fma_f64 v[43:44], -v[34:35], v[56:57], v[54:55]
	ds_load_b128 v[52:55], v38 offset:4192
	v_fma_f64 v[56:57], -v[41:42], v[64:65], v[62:63]
	s_waitcnt lgkmcnt(0)
	v_fma_f64 v[36:37], -v[50:51], v[52:53], v[36:37]
	v_fma_f64 v[43:44], -v[39:40], v[58:59], v[43:44]
	s_delay_alu instid0(VALU_DEP_3) | instskip(NEXT) | instid1(VALU_DEP_3)
	v_fma_f64 v[62:63], -v[50:51], v[70:71], v[56:57]
	v_mul_f64 v[52:53], v[54:55], v[36:37]
	s_delay_alu instid0(VALU_DEP_3)
	v_fma_f64 v[36:37], -v[41:42], v[60:61], v[43:44]
	ds_load_b128 v[54:57], v38 offset:4576
	ds_load_b128 v[58:61], v38 offset:4592
	s_clause 0x9
	global_store_b128 v[46:47], v[0:3], off
	global_store_b128 v[46:47], v[4:7], off offset:16
	global_store_b128 v[46:47], v[8:11], off offset:32
	;; [unrolled: 1-line block ×9, first 2 shown]
	v_fma_f64 v[43:44], -v[52:53], v[72:73], v[62:63]
	s_waitcnt lgkmcnt(1)
	v_fma_f64 v[36:37], -v[50:51], v[54:55], v[36:37]
	s_delay_alu instid0(VALU_DEP_2) | instskip(NEXT) | instid1(VALU_DEP_2)
	v_mul_f64 v[54:55], v[68:69], v[43:44]
	v_fma_f64 v[36:37], -v[52:53], v[56:57], v[36:37]
	s_waitcnt lgkmcnt(0)
	s_delay_alu instid0(VALU_DEP_1) | instskip(NEXT) | instid1(VALU_DEP_1)
	v_fma_f64 v[36:37], -v[54:55], v[58:59], v[36:37]
	v_mul_f64 v[56:57], v[60:61], v[36:37]
	s_clause 0x1
	global_store_b128 v[46:47], v[50:53], off offset:160
	global_store_b128 v[46:47], v[54:57], off offset:176
.LBB93_14:
	s_cmp_lt_i32 s6, s2
	s_cbranch_scc0 .LBB93_31
; %bb.15:
	s_add_i32 s7, s6, 19
	s_delay_alu instid0(SALU_CYCLE_1)
	s_cmp_ge_u32 s7, s2
	s_cbranch_scc1 .LBB93_20
; %bb.16:
	s_lshl_b32 s8, s6, 3
	s_delay_alu instid0(SALU_CYCLE_1)
	v_add_co_u32 v20, vcc_lo, v46, s8
	v_add_co_ci_u32_e32 v21, vcc_lo, 0, v47, vcc_lo
	s_and_not1_b32 vcc_lo, exec_lo, s3
	s_mov_b32 s3, 0
	s_clause 0x9
	global_load_b128 v[0:3], v[20:21], off
	global_load_b128 v[4:7], v[20:21], off offset:16
	global_load_b128 v[8:11], v[20:21], off offset:32
	global_load_b128 v[12:15], v[20:21], off offset:48
	global_load_b128 v[16:19], v[20:21], off offset:64
	global_load_b128 v[22:25], v[20:21], off offset:80
	global_load_b128 v[26:29], v[20:21], off offset:96
	global_load_b128 v[42:45], v[20:21], off offset:112
	global_load_b128 v[50:53], v[20:21], off offset:128
	global_load_b128 v[54:57], v[20:21], off offset:144
	s_waitcnt vmcnt(9)
	v_mul_f64 v[0:1], v[0:1], s[4:5]
	v_mul_f64 v[40:41], v[2:3], s[4:5]
	s_waitcnt vmcnt(8)
	v_mul_f64 v[2:3], v[4:5], s[4:5]
	v_mul_f64 v[38:39], v[6:7], s[4:5]
	;; [unrolled: 3-line block ×10, first 2 shown]
	s_cbranch_vccnz .LBB93_19
; %bb.17:
	v_dual_mov_b32 v42, v46 :: v_dual_mov_b32 v43, v47
	s_mul_i32 s8, s6, 0xc0
.LBB93_18:                              ; =>This Inner Loop Header: Depth=1
	global_load_b64 v[44:45], v[42:43], off
	v_mov_b32_e32 v66, s8
	v_add_nc_u32_e64 v70, 0x400, s8
	v_add_nc_u32_e64 v86, 0x800, s8
	v_add_co_u32 v42, vcc_lo, v42, 8
	ds_load_2addr_b64 v[50:53], v66 offset1:24
	ds_load_2addr_b64 v[54:57], v66 offset0:48 offset1:72
	ds_load_2addr_b64 v[58:61], v66 offset0:96 offset1:120
	;; [unrolled: 1-line block ×9, first 2 shown]
	v_add_co_ci_u32_e32 v43, vcc_lo, 0, v43, vcc_lo
	s_add_i32 s3, s3, 1
	s_add_i32 s8, s8, 8
	s_cmp_lt_u32 s3, s6
	s_waitcnt vmcnt(0) lgkmcnt(9)
	v_fma_f64 v[0:1], -v[44:45], v[50:51], v[0:1]
	v_fma_f64 v[40:41], -v[44:45], v[52:53], v[40:41]
	s_waitcnt lgkmcnt(8)
	v_fma_f64 v[2:3], -v[44:45], v[54:55], v[2:3]
	v_fma_f64 v[38:39], -v[44:45], v[56:57], v[38:39]
	s_waitcnt lgkmcnt(7)
	;; [unrolled: 3-line block ×9, first 2 shown]
	v_fma_f64 v[18:19], -v[44:45], v[86:87], v[18:19]
	v_fma_f64 v[22:23], -v[44:45], v[88:89], v[22:23]
	s_cbranch_scc1 .LBB93_18
.LBB93_19:
	s_or_b32 s8, s6, 1
	s_mul_i32 s3, s6, 0xc8
	s_mul_i32 s8, s8, 24
	;; [unrolled: 1-line block ×3, first 2 shown]
	s_add_i32 s9, s8, s6
	s_add_i32 s7, s7, s6
	s_lshl_b32 s9, s9, 3
	s_delay_alu instid0(SALU_CYCLE_1)
	v_dual_mov_b32 v42, s3 :: v_dual_mov_b32 v45, s9
	s_add_i32 s9, s8, 0x48
	s_lshl_b32 s7, s7, 3
	s_or_b32 s11, s9, s6
	ds_load_2addr_b64 v[50:53], v42 offset1:50
	ds_load_b128 v[54:57], v45
	ds_load_b128 v[58:61], v45 offset:192
	s_lshl_b32 s11, s11, 3
	s_add_i32 s9, s9, s6
	s_delay_alu instid0(SALU_CYCLE_1) | instskip(SKIP_3) | instid1(VALU_DEP_1)
	s_lshl_b32 s9, s9, 3
	s_waitcnt lgkmcnt(2)
	v_mul_f64 v[0:1], v[50:51], v[0:1]
	s_waitcnt lgkmcnt(1)
	v_fma_f64 v[40:41], -v[0:1], v[54:55], v[40:41]
	s_waitcnt lgkmcnt(0)
	v_fma_f64 v[43:44], -v[0:1], v[58:59], v[2:3]
	s_delay_alu instid0(VALU_DEP_2)
	v_mul_f64 v[2:3], v[56:57], v[40:41]
	ds_load_b128 v[54:57], v45 offset:384
	ds_load_b128 v[62:65], v45 offset:400
	v_mov_b32_e32 v45, s11
	s_waitcnt lgkmcnt(1)
	v_fma_f64 v[50:51], -v[0:1], v[54:55], v[38:39]
	v_fma_f64 v[43:44], -v[2:3], v[60:61], v[43:44]
	ds_load_b128 v[38:41], v45
	ds_load_b128 v[58:61], v45 offset:16
	v_mov_b32_e32 v45, s9
	s_add_i32 s9, s8, 0xa8
	s_addk_i32 s8, 0x108
	s_or_b32 s11, s9, s6
	s_add_i32 s9, s9, s6
	s_lshl_b32 s11, s11, 3
	s_lshl_b32 s9, s9, 3
	v_mov_b32_e32 v84, s11
	s_waitcnt lgkmcnt(1)
	v_fma_f64 v[38:39], -v[0:1], v[38:39], v[4:5]
	v_fma_f64 v[66:67], -v[2:3], v[56:57], v[50:51]
	v_mul_f64 v[4:5], v[52:53], v[43:44]
	ds_load_b128 v[50:53], v45 offset:192
	ds_load_b128 v[54:57], v45 offset:208
	s_waitcnt lgkmcnt(1)
	v_fma_f64 v[43:44], -v[0:1], v[50:51], v[36:37]
	v_fma_f64 v[40:41], -v[2:3], v[40:41], v[38:39]
	ds_load_b128 v[36:39], v45 offset:384
	v_fma_f64 v[50:51], -v[4:5], v[62:63], v[66:67]
	s_waitcnt lgkmcnt(0)
	v_fma_f64 v[36:37], -v[0:1], v[36:37], v[6:7]
	v_fma_f64 v[43:44], -v[2:3], v[52:53], v[43:44]
	v_fma_f64 v[40:41], -v[4:5], v[58:59], v[40:41]
	s_delay_alu instid0(VALU_DEP_4)
	v_mul_f64 v[6:7], v[64:65], v[50:51]
	ds_load_b128 v[50:53], v45 offset:576
	ds_load_b128 v[62:65], v45 offset:592
	v_fma_f64 v[74:75], -v[2:3], v[38:39], v[36:37]
	s_waitcnt lgkmcnt(1)
	v_fma_f64 v[50:51], -v[0:1], v[50:51], v[34:35]
	v_fma_f64 v[43:44], -v[4:5], v[54:55], v[43:44]
	;; [unrolled: 1-line block ×3, first 2 shown]
	ds_load_b128 v[34:37], v84
	ds_load_b128 v[38:41], v45 offset:400
	ds_load_2addr_b64 v[58:61], v42 offset0:100 offset1:150
	ds_load_b128 v[66:69], v45 offset:416
	ds_load_b128 v[70:73], v84 offset:16
	s_waitcnt lgkmcnt(4)
	v_fma_f64 v[78:79], -v[0:1], v[34:35], v[8:9]
	v_mov_b32_e32 v34, s9
	s_waitcnt lgkmcnt(3)
	v_fma_f64 v[38:39], -v[4:5], v[38:39], v[74:75]
	v_fma_f64 v[80:81], -v[2:3], v[52:53], v[50:51]
	;; [unrolled: 1-line block ×3, first 2 shown]
	s_or_b32 s9, s8, s6
	s_add_i32 s8, s8, s6
	s_lshl_b32 s9, s9, 3
	s_lshl_b32 s8, s8, 3
	s_add_i32 s6, s6, 20
	s_waitcnt lgkmcnt(2)
	v_mul_f64 v[8:9], v[58:59], v[54:55]
	ds_load_b128 v[50:53], v34 offset:192
	ds_load_b128 v[54:57], v45 offset:224
	;; [unrolled: 1-line block ×3, first 2 shown]
	v_fma_f64 v[39:40], -v[6:7], v[40:41], v[38:39]
	s_waitcnt lgkmcnt(2)
	v_fma_f64 v[32:33], -v[0:1], v[50:51], v[32:33]
	v_fma_f64 v[50:51], -v[2:3], v[36:37], v[78:79]
	;; [unrolled: 1-line block ×3, first 2 shown]
	ds_load_b128 v[35:38], v34 offset:384
	ds_load_b128 v[78:81], v34 offset:400
	s_waitcnt lgkmcnt(3)
	v_fma_f64 v[43:44], -v[8:9], v[54:55], v[43:44]
	s_waitcnt lgkmcnt(1)
	v_fma_f64 v[35:36], -v[0:1], v[35:36], v[10:11]
	v_fma_f64 v[39:40], -v[8:9], v[66:67], v[39:40]
	;; [unrolled: 1-line block ×5, first 2 shown]
	v_mul_f64 v[10:11], v[56:57], v[43:44]
	ds_load_b128 v[50:53], v34 offset:576
	ds_load_b128 v[54:57], v45 offset:608
	ds_load_b64 v[43:44], v45 offset:624
	v_add_nc_u32_e64 v45, 0x800, s3
	v_fma_f64 v[82:83], -v[2:3], v[37:38], v[35:36]
	s_waitcnt lgkmcnt(2)
	v_fma_f64 v[50:51], -v[0:1], v[50:51], v[30:31]
	v_fma_f64 v[31:32], -v[4:5], v[74:75], v[32:33]
	;; [unrolled: 1-line block ×3, first 2 shown]
	s_waitcnt lgkmcnt(1)
	v_fma_f64 v[54:55], -v[8:9], v[54:55], v[58:59]
	v_mov_b32_e32 v30, s9
	v_fma_f64 v[39:40], -v[10:11], v[68:69], v[39:40]
	v_fma_f64 v[78:79], -v[4:5], v[78:79], v[82:83]
	;; [unrolled: 1-line block ×4, first 2 shown]
	v_mov_b32_e32 v31, s8
	ds_load_b128 v[35:38], v30
	ds_load_b128 v[62:65], v84 offset:32
	ds_load_b128 v[66:69], v84 offset:48
	;; [unrolled: 1-line block ×3, first 2 shown]
	v_fma_f64 v[92:93], -v[10:11], v[56:57], v[54:55]
	s_waitcnt lgkmcnt(3)
	v_fma_f64 v[35:36], -v[0:1], v[35:36], v[12:13]
	s_waitcnt lgkmcnt(2)
	v_fma_f64 v[62:63], -v[8:9], v[62:63], v[74:75]
	v_mul_f64 v[12:13], v[60:61], v[39:40]
	ds_load_b128 v[50:53], v31 offset:192
	ds_load_b128 v[54:57], v34 offset:592
	;; [unrolled: 1-line block ×6, first 2 shown]
	s_waitcnt lgkmcnt(5)
	v_fma_f64 v[28:29], -v[0:1], v[50:51], v[28:29]
	s_waitcnt lgkmcnt(4)
	v_fma_f64 v[50:51], -v[4:5], v[54:55], v[90:91]
	v_fma_f64 v[54:55], -v[6:7], v[80:81], v[78:79]
	s_waitcnt lgkmcnt(3)
	v_fma_f64 v[32:33], -v[8:9], v[58:59], v[32:33]
	v_fma_f64 v[39:40], -v[2:3], v[37:38], v[35:36]
	;; [unrolled: 1-line block ×4, first 2 shown]
	ds_load_b128 v[35:38], v42 offset:2688
	ds_load_b128 v[62:65], v34 offset:416
	ds_load_2addr_b64 v[78:81], v42 offset0:175 offset1:200
	ds_load_b128 v[90:93], v42 offset:2704
	ds_load_b128 v[94:97], v34 offset:432
	v_fma_f64 v[28:29], -v[2:3], v[52:53], v[28:29]
	s_waitcnt lgkmcnt(4)
	v_fma_f64 v[35:36], -v[0:1], v[35:36], v[14:15]
	v_fma_f64 v[56:57], -v[6:7], v[56:57], v[50:51]
	s_waitcnt lgkmcnt(3)
	v_fma_f64 v[54:55], -v[8:9], v[62:63], v[54:55]
	v_fma_f64 v[32:33], -v[10:11], v[60:61], v[32:33]
	ds_load_b128 v[50:53], v42 offset:2880
	v_fma_f64 v[39:40], -v[4:5], v[70:71], v[39:40]
	v_fma_f64 v[58:59], -v[12:13], v[66:67], v[58:59]
	s_waitcnt lgkmcnt(3)
	v_mul_f64 v[14:15], v[78:79], v[43:44]
	s_waitcnt lgkmcnt(0)
	v_fma_f64 v[43:44], -v[0:1], v[50:51], v[26:27]
	v_fma_f64 v[60:61], -v[4:5], v[86:87], v[28:29]
	;; [unrolled: 1-line block ×6, first 2 shown]
	ds_load_b128 v[26:29], v42 offset:3072
	ds_load_b128 v[35:38], v30 offset:32
	;; [unrolled: 1-line block ×3, first 2 shown]
	v_fma_f64 v[39:40], -v[6:7], v[72:73], v[39:40]
	v_fma_f64 v[58:59], -v[14:15], v[68:69], v[58:59]
	s_waitcnt lgkmcnt(2)
	v_fma_f64 v[26:27], -v[0:1], v[26:27], v[16:17]
	v_fma_f64 v[43:44], -v[2:3], v[52:53], v[43:44]
	;; [unrolled: 1-line block ×6, first 2 shown]
	s_waitcnt lgkmcnt(1)
	v_fma_f64 v[35:36], -v[8:9], v[35:36], v[39:40]
	v_fma_f64 v[39:40], -v[10:11], v[84:85], v[62:63]
	v_mul_f64 v[16:17], v[80:81], v[58:59]
	ds_load_b128 v[50:53], v42 offset:3264
	ds_load_b128 v[58:61], v42 offset:2896
	;; [unrolled: 1-line block ×4, first 2 shown]
	ds_load_2addr_b64 v[70:73], v34 offset0:32 offset1:82
	ds_load_b128 v[74:77], v42 offset:2912
	ds_load_b128 v[78:81], v34 offset:640
	;; [unrolled: 1-line block ×3, first 2 shown]
	v_fma_f64 v[28:29], -v[2:3], v[28:29], v[26:27]
	s_waitcnt lgkmcnt(7)
	v_fma_f64 v[50:51], -v[0:1], v[50:51], v[24:25]
	s_waitcnt lgkmcnt(6)
	;; [unrolled: 2-line block ×3, first 2 shown]
	v_fma_f64 v[62:63], -v[8:9], v[62:63], v[88:89]
	v_fma_f64 v[58:59], -v[6:7], v[92:93], v[86:87]
	;; [unrolled: 1-line block ×3, first 2 shown]
	s_waitcnt lgkmcnt(4)
	v_fma_f64 v[39:40], -v[12:13], v[66:67], v[39:40]
	v_fma_f64 v[66:67], -v[14:15], v[96:97], v[90:91]
	s_waitcnt lgkmcnt(3)
	v_fma_f64 v[32:33], -v[16:17], v[70:71], v[32:33]
	ds_load_b128 v[24:27], v42 offset:3456
	ds_load_b128 v[35:38], v42 offset:3088
	;; [unrolled: 1-line block ×4, first 2 shown]
	ds_load_2addr_b64 v[94:97], v42 offset0:225 offset1:250
	ds_load_b128 v[98:101], v42 offset:2736
	ds_load_b128 v[102:105], v42 offset:3104
	;; [unrolled: 1-line block ×3, first 2 shown]
	v_fma_f64 v[70:71], -v[2:3], v[52:53], v[50:51]
	s_waitcnt lgkmcnt(7)
	v_fma_f64 v[24:25], -v[0:1], v[24:25], v[18:19]
	s_waitcnt lgkmcnt(6)
	v_fma_f64 v[28:29], -v[4:5], v[35:36], v[28:29]
	v_fma_f64 v[43:44], -v[6:7], v[60:61], v[43:44]
	s_waitcnt lgkmcnt(5)
	v_fma_f64 v[86:87], -v[8:9], v[86:87], v[58:59]
	v_fma_f64 v[62:63], -v[10:11], v[64:65], v[62:63]
	v_fma_f64 v[54:55], -v[12:13], v[54:55], v[110:111]
	v_fma_f64 v[39:40], -v[14:15], v[68:69], v[39:40]
	s_waitcnt lgkmcnt(4)
	v_fma_f64 v[64:65], -v[16:17], v[90:91], v[66:67]
	s_waitcnt lgkmcnt(3)
	v_mul_f64 v[18:19], v[94:95], v[32:33]
	v_mov_b32_e32 v110, s7
	ds_load_b128 v[32:35], v42 offset:3280
	ds_load_b128 v[50:53], v110
	ds_load_b128 v[58:61], v42 offset:3296
	v_fma_f64 v[66:67], -v[2:3], v[26:27], v[24:25]
	v_fma_f64 v[36:37], -v[6:7], v[37:38], v[28:29]
	v_fma_f64 v[43:44], -v[8:9], v[74:75], v[43:44]
	v_fma_f64 v[68:69], -v[10:11], v[88:89], v[86:87]
	v_fma_f64 v[62:63], -v[12:13], v[82:83], v[62:63]
	s_waitcnt lgkmcnt(2)
	v_fma_f64 v[32:33], -v[4:5], v[32:33], v[70:71]
	s_waitcnt lgkmcnt(1)
	v_fma_f64 v[50:51], -v[0:1], v[50:51], v[22:23]
	ds_load_b128 v[22:25], v30 offset:64
	ds_load_b128 v[26:29], v30 offset:80
	v_fma_f64 v[54:55], -v[14:15], v[56:57], v[54:55]
	v_fma_f64 v[38:39], -v[16:17], v[78:79], v[39:40]
	;; [unrolled: 1-line block ×9, first 2 shown]
	s_waitcnt lgkmcnt(1)
	v_fma_f64 v[84:85], -v[16:17], v[22:23], v[54:55]
	v_fma_f64 v[80:81], -v[18:19], v[80:81], v[38:39]
	v_mul_f64 v[22:23], v[96:97], v[40:41]
	v_fma_f64 v[40:41], -v[2:3], v[52:53], v[50:51]
	ds_load_b128 v[32:35], v42 offset:2928
	ds_load_b128 v[36:39], v31 offset:256
	;; [unrolled: 1-line block ×6, first 2 shown]
	v_fma_f64 v[98:99], -v[6:7], v[108:109], v[70:71]
	v_fma_f64 v[102:103], -v[10:11], v[104:105], v[78:79]
	s_waitcnt lgkmcnt(5)
	v_fma_f64 v[32:33], -v[12:13], v[32:33], v[43:44]
	v_fma_f64 v[43:44], -v[14:15], v[100:101], v[76:77]
	s_waitcnt lgkmcnt(4)
	v_fma_f64 v[36:37], -v[16:17], v[36:37], v[82:83]
	v_fma_f64 v[58:59], -v[8:9], v[58:59], v[74:75]
	;; [unrolled: 1-line block ×4, first 2 shown]
	s_waitcnt lgkmcnt(3)
	v_fma_f64 v[40:41], -v[4:5], v[50:51], v[40:41]
	ds_load_b128 v[70:73], v42 offset:3488
	ds_load_b128 v[74:77], v42 offset:3120
	;; [unrolled: 1-line block ×3, first 2 shown]
	ds_load_2addr_b64 v[82:85], v45 offset0:19 offset1:44
	ds_load_b128 v[86:89], v42 offset:2768
	ds_load_b128 v[90:93], v42 offset:3136
	;; [unrolled: 1-line block ×3, first 2 shown]
	s_waitcnt lgkmcnt(4)
	v_fma_f64 v[43:44], -v[16:17], v[78:79], v[43:44]
	v_fma_f64 v[50:51], -v[8:9], v[70:71], v[98:99]
	;; [unrolled: 1-line block ×6, first 2 shown]
	ds_load_b128 v[32:35], v42 offset:3312
	ds_load_b128 v[36:39], v42 offset:3328
	v_fma_f64 v[26:27], -v[22:23], v[26:27], v[24:25]
	s_waitcnt lgkmcnt(5)
	v_mul_f64 v[24:25], v[82:83], v[100:101]
	v_fma_f64 v[40:41], -v[6:7], v[52:53], v[40:41]
	v_fma_f64 v[43:44], -v[18:19], v[80:81], v[43:44]
	;; [unrolled: 1-line block ×3, first 2 shown]
	s_waitcnt lgkmcnt(1)
	v_fma_f64 v[32:33], -v[12:13], v[32:33], v[58:59]
	v_fma_f64 v[52:53], -v[14:15], v[76:77], v[60:61]
	v_fma_f64 v[54:55], -v[16:17], v[54:55], v[70:71]
	v_fma_f64 v[58:59], -v[22:23], v[66:67], v[74:75]
	v_fma_f64 v[26:27], -v[24:25], v[28:29], v[26:27]
	v_fma_f64 v[28:29], -v[8:9], v[62:63], v[40:41]
	v_fma_f64 v[43:44], -v[22:23], v[86:87], v[43:44]
	v_fma_f64 v[40:41], -v[12:13], v[94:95], v[50:51]
	v_fma_f64 v[62:63], -v[14:15], v[34:35], v[32:33]
	v_fma_f64 v[66:67], -v[16:17], v[90:91], v[52:53]
	v_fma_f64 v[70:71], -v[18:19], v[56:57], v[54:55]
	v_fma_f64 v[68:69], -v[24:25], v[68:69], v[58:59]
	v_mul_f64 v[26:27], v[84:85], v[26:27]
	v_fma_f64 v[64:65], -v[10:11], v[64:65], v[28:29]
	ds_load_b128 v[32:35], v42 offset:2960
	ds_load_b128 v[28:31], v31 offset:288
	;; [unrolled: 1-line block ×5, first 2 shown]
	v_fma_f64 v[43:44], -v[24:25], v[88:89], v[43:44]
	v_fma_f64 v[40:41], -v[14:15], v[96:97], v[40:41]
	s_waitcnt lgkmcnt(5)
	v_fma_f64 v[36:37], -v[16:17], v[36:37], v[62:63]
	v_fma_f64 v[82:83], -v[18:19], v[92:93], v[66:67]
	s_waitcnt lgkmcnt(4)
	v_fma_f64 v[32:33], -v[22:23], v[32:33], v[70:71]
	s_waitcnt lgkmcnt(3)
	;; [unrolled: 2-line block ×3, first 2 shown]
	v_fma_f64 v[50:51], -v[12:13], v[50:51], v[64:65]
	ds_load_b128 v[62:65], v42 offset:3520
	ds_load_b128 v[66:69], v42 offset:3152
	;; [unrolled: 1-line block ×5, first 2 shown]
	s_waitcnt lgkmcnt(2)
	v_fma_f64 v[43:44], -v[26:27], v[70:71], v[43:44]
	v_fma_f64 v[40:41], -v[16:17], v[62:63], v[40:41]
	v_fma_f64 v[38:39], -v[18:19], v[38:39], v[36:37]
	v_fma_f64 v[62:63], -v[22:23], v[66:67], v[82:83]
	v_fma_f64 v[66:67], -v[24:25], v[34:35], v[32:33]
	v_mul_f64 v[28:29], v[30:31], v[28:29]
	v_fma_f64 v[50:51], -v[14:15], v[52:53], v[50:51]
	ds_load_b128 v[30:33], v42 offset:3344
	ds_load_b128 v[34:37], v42 offset:3360
	v_fma_f64 v[52:53], -v[18:19], v[64:65], v[40:41]
	s_waitcnt lgkmcnt(1)
	v_fma_f64 v[30:31], -v[22:23], v[30:31], v[38:39]
	v_fma_f64 v[62:63], -v[24:25], v[68:69], v[62:63]
	;; [unrolled: 1-line block ×3, first 2 shown]
	ds_load_2addr_b64 v[38:41], v45 offset0:94 offset1:144
	v_fma_f64 v[43:44], -v[28:29], v[72:73], v[43:44]
	v_fma_f64 v[50:51], -v[16:17], v[58:59], v[50:51]
	;; [unrolled: 1-line block ×6, first 2 shown]
	s_waitcnt lgkmcnt(0)
	v_mul_f64 v[30:31], v[38:39], v[43:44]
	v_fma_f64 v[38:39], -v[18:19], v[60:61], v[50:51]
	ds_load_b128 v[50:53], v42 offset:2992
	ds_load_b128 v[54:57], v110 offset:80
	;; [unrolled: 1-line block ×3, first 2 shown]
	v_fma_f64 v[43:44], -v[24:25], v[80:81], v[64:65]
	v_fma_f64 v[70:71], -v[26:27], v[34:35], v[32:33]
	;; [unrolled: 1-line block ×3, first 2 shown]
	s_waitcnt lgkmcnt(2)
	v_fma_f64 v[50:51], -v[30:31], v[50:51], v[66:67]
	s_waitcnt lgkmcnt(1)
	v_fma_f64 v[38:39], -v[22:23], v[54:55], v[38:39]
	ds_load_b128 v[32:35], v42 offset:3552
	ds_load_b128 v[62:65], v42 offset:3184
	;; [unrolled: 1-line block ×3, first 2 shown]
	s_waitcnt lgkmcnt(2)
	v_fma_f64 v[43:44], -v[26:27], v[32:33], v[43:44]
	v_fma_f64 v[54:55], -v[28:29], v[36:37], v[70:71]
	s_waitcnt lgkmcnt(1)
	v_fma_f64 v[62:63], -v[30:31], v[62:63], v[72:73]
	v_mul_f64 v[32:33], v[52:53], v[50:51]
	v_fma_f64 v[56:57], -v[24:25], v[56:57], v[38:39]
	ds_load_b128 v[36:39], v42 offset:3376
	ds_load_b128 v[50:53], v42 offset:3392
	v_fma_f64 v[34:35], -v[28:29], v[34:35], v[43:44]
	s_waitcnt lgkmcnt(1)
	v_fma_f64 v[36:37], -v[30:31], v[36:37], v[54:55]
	v_fma_f64 v[43:44], -v[32:33], v[64:65], v[62:63]
	;; [unrolled: 1-line block ×3, first 2 shown]
	s_delay_alu instid0(VALU_DEP_4) | instskip(NEXT) | instid1(VALU_DEP_4)
	v_fma_f64 v[58:59], -v[30:31], v[66:67], v[34:35]
	v_fma_f64 v[62:63], -v[32:33], v[38:39], v[36:37]
	s_delay_alu instid0(VALU_DEP_4) | instskip(NEXT) | instid1(VALU_DEP_4)
	v_mul_f64 v[34:35], v[40:41], v[43:44]
	v_fma_f64 v[40:41], -v[28:29], v[60:61], v[54:55]
	ds_load_b128 v[36:39], v110 offset:112
	ds_load_b128 v[54:57], v110 offset:128
	v_fma_f64 v[43:44], -v[32:33], v[68:69], v[58:59]
	s_waitcnt lgkmcnt(2)
	v_fma_f64 v[50:51], -v[34:35], v[50:51], v[62:63]
	s_waitcnt lgkmcnt(1)
	v_fma_f64 v[40:41], -v[30:31], v[36:37], v[40:41]
	ds_load_b128 v[58:61], v42 offset:3584
	ds_load_b64 v[62:63], v42 offset:3600
	s_waitcnt lgkmcnt(1)
	v_fma_f64 v[42:43], -v[34:35], v[58:59], v[43:44]
	v_mul_f64 v[36:37], v[52:53], v[50:51]
	v_fma_f64 v[38:39], -v[32:33], v[38:39], v[40:41]
	s_delay_alu instid0(VALU_DEP_2) | instskip(NEXT) | instid1(VALU_DEP_2)
	v_fma_f64 v[40:41], -v[36:37], v[60:61], v[42:43]
	v_fma_f64 v[42:43], -v[34:35], v[54:55], v[38:39]
	s_waitcnt lgkmcnt(0)
	s_delay_alu instid0(VALU_DEP_2) | instskip(NEXT) | instid1(VALU_DEP_2)
	v_mul_f64 v[38:39], v[62:63], v[40:41]
	v_fma_f64 v[44:45], -v[36:37], v[56:57], v[42:43]
	ds_load_b128 v[40:43], v110 offset:144
	s_waitcnt lgkmcnt(0)
	v_fma_f64 v[40:41], -v[38:39], v[40:41], v[44:45]
	s_delay_alu instid0(VALU_DEP_1)
	v_mul_f64 v[40:41], v[42:43], v[40:41]
	s_clause 0x9
	global_store_b128 v[20:21], v[0:3], off
	global_store_b128 v[20:21], v[4:7], off offset:16
	global_store_b128 v[20:21], v[8:11], off offset:32
	;; [unrolled: 1-line block ×9, first 2 shown]
.LBB93_20:
	s_cmp_ge_i32 s6, s2
	s_cbranch_scc1 .LBB93_31
; %bb.21:
	s_add_i32 s3, s6, -1
	s_add_u32 s7, s16, s0
	s_addc_u32 s8, s17, s1
	v_add_co_u32 v8, vcc_lo, s7, v48
	v_add_co_ci_u32_e32 v9, vcc_lo, s8, v49, vcc_lo
	s_mul_i32 s11, s6, 0xc0
	s_delay_alu instid0(VALU_DEP_2) | instskip(NEXT) | instid1(VALU_DEP_2)
	v_add_co_u32 v0, vcc_lo, v8, 56
	v_add_co_ci_u32_e32 v1, vcc_lo, 0, v9, vcc_lo
	s_mov_b32 s9, 0
	s_mov_b32 s14, s6
	;; [unrolled: 1-line block ×3, first 2 shown]
	s_branch .LBB93_23
.LBB93_22:                              ;   in Loop: Header=BB93_23 Depth=1
	s_mul_i32 s7, s6, 0xc8
	s_add_i32 s6, s6, 1
	v_mov_b32_e32 v6, s7
	s_add_i32 s13, s13, 1
	s_addk_i32 s11, 0xc0
	s_cmp_ge_i32 s6, s2
	ds_load_b64 v[6:7], v6
	s_waitcnt lgkmcnt(0)
	v_mul_f64 v[4:5], v[6:7], v[4:5]
	v_add_nc_u16 v6, s14, 1
	s_delay_alu instid0(VALU_DEP_1)
	v_readfirstlane_b32 s14, v6
	global_store_b64 v[2:3], v[4:5], off
	s_cbranch_scc1 .LBB93_31
.LBB93_23:                              ; =>This Loop Header: Depth=1
                                        ;     Child Loop BB93_26 Depth 2
                                        ;     Child Loop BB93_30 Depth 2
	s_ashr_i32 s7, s6, 31
	s_delay_alu instid0(SALU_CYCLE_1)
	s_lshl_b64 s[18:19], s[6:7], 3
	s_cmp_eq_u32 s6, 0
	v_add_co_u32 v2, vcc_lo, v46, s18
	v_add_co_ci_u32_e32 v3, vcc_lo, s19, v47, vcc_lo
	global_load_b64 v[4:5], v[2:3], off
	s_waitcnt vmcnt(0)
	v_mul_f64 v[4:5], v[4:5], s[4:5]
	s_cbranch_scc1 .LBB93_22
; %bb.24:                               ;   in Loop: Header=BB93_23 Depth=1
	s_add_i32 s7, s3, s13
	s_delay_alu instid0(SALU_CYCLE_1)
	s_cmp_lt_u32 s7, 7
	s_cbranch_scc1 .LBB93_28
; %bb.25:                               ;   in Loop: Header=BB93_23 Depth=1
	v_dual_mov_b32 v7, v1 :: v_dual_mov_b32 v6, v0
	s_and_b32 s8, s6, -8
	s_mov_b32 s7, 0
	s_mov_b32 s15, s11
	s_set_inst_prefetch_distance 0x1
	.p2align	6
.LBB93_26:                              ;   Parent Loop BB93_23 Depth=1
                                        ; =>  This Inner Loop Header: Depth=2
	s_clause 0x3
	global_load_b128 v[10:13], v[6:7], off offset:-56
	global_load_b128 v[14:17], v[6:7], off offset:-40
	;; [unrolled: 1-line block ×4, first 2 shown]
	v_mov_b32_e32 v34, s15
	v_add_co_u32 v6, vcc_lo, v6, 64
	v_add_co_ci_u32_e32 v7, vcc_lo, 0, v7, vcc_lo
	ds_load_b128 v[26:29], v34
	ds_load_b128 v[30:33], v34 offset:16
	s_add_i32 s7, s7, 8
	s_add_i32 s15, s15, 64
	s_cmp_lg_u32 s8, s7
	s_waitcnt vmcnt(3) lgkmcnt(1)
	v_fma_f64 v[4:5], -v[10:11], v[26:27], v[4:5]
	s_delay_alu instid0(VALU_DEP_1) | instskip(SKIP_1) | instid1(VALU_DEP_1)
	v_fma_f64 v[4:5], -v[12:13], v[28:29], v[4:5]
	s_waitcnt vmcnt(2) lgkmcnt(0)
	v_fma_f64 v[4:5], -v[14:15], v[30:31], v[4:5]
	s_delay_alu instid0(VALU_DEP_1) | instskip(SKIP_4) | instid1(VALU_DEP_1)
	v_fma_f64 v[4:5], -v[16:17], v[32:33], v[4:5]
	ds_load_b128 v[10:13], v34 offset:32
	ds_load_b128 v[14:17], v34 offset:48
	s_waitcnt vmcnt(1) lgkmcnt(1)
	v_fma_f64 v[4:5], -v[18:19], v[10:11], v[4:5]
	v_fma_f64 v[4:5], -v[20:21], v[12:13], v[4:5]
	s_waitcnt vmcnt(0) lgkmcnt(0)
	s_delay_alu instid0(VALU_DEP_1) | instskip(NEXT) | instid1(VALU_DEP_1)
	v_fma_f64 v[4:5], -v[22:23], v[14:15], v[4:5]
	v_fma_f64 v[4:5], -v[24:25], v[16:17], v[4:5]
	s_cbranch_scc1 .LBB93_26
; %bb.27:                               ;   in Loop: Header=BB93_23 Depth=1
	s_set_inst_prefetch_distance 0x2
	s_and_b32 s7, s6, 7
	s_delay_alu instid0(SALU_CYCLE_1)
	s_cmp_eq_u32 s7, 0
	s_cbranch_scc0 .LBB93_29
	s_branch .LBB93_22
.LBB93_28:                              ;   in Loop: Header=BB93_23 Depth=1
	s_mov_b32 s8, 0
	s_and_b32 s7, s6, 7
	s_delay_alu instid0(SALU_CYCLE_1)
	s_cmp_eq_u32 s7, 0
	s_cbranch_scc1 .LBB93_22
.LBB93_29:                              ;   in Loop: Header=BB93_23 Depth=1
	s_lshl_b64 s[18:19], s[8:9], 3
	s_and_b32 s7, s14, 7
	v_add_co_u32 v6, vcc_lo, v8, s18
	v_add_co_ci_u32_e32 v7, vcc_lo, s19, v9, vcc_lo
	s_lshl_b32 s8, s8, 3
.LBB93_30:                              ;   Parent Loop BB93_23 Depth=1
                                        ; =>  This Inner Loop Header: Depth=2
	global_load_b64 v[10:11], v[6:7], off
	s_add_i32 s15, s11, s8
	v_add_co_u32 v6, vcc_lo, v6, 8
	v_mov_b32_e32 v12, s15
	v_add_co_ci_u32_e32 v7, vcc_lo, 0, v7, vcc_lo
	s_add_i32 s7, s7, -1
	s_add_i32 s8, s8, 8
	ds_load_b64 v[12:13], v12
	s_cmp_lg_u32 s7, 0
	s_waitcnt vmcnt(0) lgkmcnt(0)
	v_fma_f64 v[4:5], -v[10:11], v[12:13], v[4:5]
	s_cbranch_scc1 .LBB93_30
	s_branch .LBB93_22
.LBB93_31:
	s_mov_b32 s3, 0
.LBB93_32:
	s_delay_alu instid0(SALU_CYCLE_1)
	s_and_b32 vcc_lo, exec_lo, s3
	s_cbranch_vccz .LBB93_54
; %bb.33:
	s_cmp_gt_i32 s10, 23
	s_mov_b32 s6, s12
	s_cbranch_scc0 .LBB93_35
; %bb.34:
	s_ashr_i32 s13, s12, 31
	s_mov_b32 s3, 0
	s_lshl_b64 s[6:7], s[12:13], 3
	s_add_i32 s24, s2, -11
	v_add_co_u32 v50, vcc_lo, v46, s6
	v_add_co_ci_u32_e32 v51, vcc_lo, s7, v47, vcc_lo
	s_lshl_b64 s[6:7], s[2:3], 3
	s_add_i32 s21, s2, -13
	v_add_co_u32 v24, vcc_lo, v46, s6
	global_load_b64 v[12:13], v[50:51], off
	v_add_co_ci_u32_e32 v25, vcc_lo, s7, v47, vcc_lo
	s_clause 0x4
	global_load_b64 v[16:17], v[24:25], off offset:-16
	global_load_b128 v[0:3], v[24:25], off offset:-32
	global_load_b128 v[8:11], v[24:25], off offset:-48
	;; [unrolled: 1-line block ×4, first 2 shown]
	s_mul_i32 s6, s12, 24
	s_mul_i32 s7, s12, 0xc8
	s_add_i32 s3, s2, s6
	global_load_b128 v[42:45], v[24:25], off offset:-80
	s_lshl_b32 s3, s3, 3
	s_add_i32 s13, s6, 0xffffff28
	s_add_i32 s3, s3, -16
	s_waitcnt vmcnt(6)
	v_mul_f64 v[18:19], v[12:13], s[4:5]
	v_mov_b32_e32 v12, s3
	s_add_i32 s3, s7, 0xffffff38
	s_delay_alu instid0(SALU_CYCLE_1)
	v_mov_b32_e32 v26, s3
	s_add_i32 s3, s2, -4
	ds_load_2addr_b64 v[12:15], v12 offset1:1
	s_add_i32 s8, s3, s6
	ds_load_b64 v[30:31], v26
	s_lshl_b32 s8, s8, 3
	s_waitcnt lgkmcnt(1)
	v_mul_f64 v[52:53], v[14:15], v[18:19]
	s_delay_alu instid0(VALU_DEP_1) | instskip(SKIP_2) | instid1(SALU_CYCLE_1)
	v_mul_f64 v[18:19], v[52:53], v[12:13]
	v_mov_b32_e32 v12, s8
	s_sub_i32 s8, s6, 24
	s_add_i32 s9, s3, s8
	ds_load_2addr_b64 v[12:15], v12 offset1:1
	s_lshl_b32 s9, s9, 3
	s_delay_alu instid0(SALU_CYCLE_1) | instskip(SKIP_1) | instid1(SALU_CYCLE_1)
	v_mov_b32_e32 v26, s9
	s_add_i32 s9, s2, -6
	s_add_i32 s10, s9, s6
	s_add_i32 s8, s9, s8
	ds_load_2addr_b64 v[26:29], v26 offset1:1
	s_lshl_b32 s10, s10, 3
	s_lshl_b32 s8, s8, 3
	s_waitcnt lgkmcnt(1)
	v_mul_f64 v[14:15], v[52:53], v[14:15]
	v_mul_f64 v[12:13], v[52:53], v[12:13]
	s_waitcnt vmcnt(5)
	v_fma_f64 v[32:33], v[16:17], s[4:5], -v[18:19]
	global_load_b128 v[16:19], v[24:25], off offset:-96
	s_waitcnt vmcnt(5)
	v_fma_f64 v[2:3], v[2:3], s[4:5], -v[14:15]
	v_mov_b32_e32 v14, s10
	v_fma_f64 v[34:35], v[0:1], s[4:5], -v[12:13]
	v_mul_f64 v[54:55], v[30:31], v[32:33]
	ds_load_2addr_b64 v[30:33], v14 offset1:1
	v_mov_b32_e32 v14, s8
	s_sub_i32 s8, s6, 48
	s_delay_alu instid0(SALU_CYCLE_1)
	s_add_i32 s3, s3, s8
	s_add_i32 s9, s9, s8
	s_lshl_b32 s3, s3, 3
	s_lshl_b32 s8, s9, 3
	v_mov_b32_e32 v0, s3
	s_add_i32 s3, s7, 0xfffffda8
	s_add_i32 s9, s8, 0xffffff40
	v_mov_b32_e32 v36, s3
	s_add_i32 s3, s6, 0xffffff88
	v_mov_b32_e32 v56, s9
	s_add_i32 s10, s2, s3
	ds_load_2addr_b64 v[38:41], v14 offset1:1
	s_lshl_b32 s10, s10, 3
	ds_load_b64 v[60:61], v36
	ds_load_2addr_b64 v[56:59], v56 offset1:1
	v_mov_b32_e32 v72, s10
	s_waitcnt lgkmcnt(3)
	v_mul_f64 v[32:33], v[52:53], v[32:33]
	v_mul_f64 v[30:31], v[52:53], v[30:31]
	s_sub_i32 s10, s10, 64
	s_add_i32 s9, s2, -10
	s_add_i32 s25, s3, s21
	v_fma_f64 v[28:29], -v[54:55], v[28:29], v[2:3]
	ds_load_2addr_b64 v[0:3], v0 offset1:1
	s_waitcnt vmcnt(4)
	v_fma_f64 v[10:11], v[10:11], s[4:5], -v[32:33]
	v_fma_f64 v[32:33], -v[54:55], v[26:27], v[34:35]
	v_mov_b32_e32 v34, s10
	v_fma_f64 v[62:63], v[8:9], s[4:5], -v[30:31]
	v_mov_b32_e32 v8, s8
	s_add_i32 s10, s6, 0xffffff58
	s_addk_i32 s8, 0xfe80
	ds_load_2addr_b64 v[34:37], v34 offset1:1
	global_load_b128 v[12:15], v[24:25], off offset:-112
	s_add_i32 s11, s10, s9
	s_add_i32 s9, s9, s3
	s_lshl_b32 s11, s11, 3
	s_lshl_b32 s9, s9, 3
	v_mov_b32_e32 v88, s11
	s_add_i32 s11, s2, -14
	s_waitcnt lgkmcnt(4)
	v_fma_f64 v[40:41], -v[54:55], v[40:41], v[10:11]
	ds_load_2addr_b64 v[8:11], v8 offset1:1
	s_waitcnt lgkmcnt(2)
	v_mul_f64 v[2:3], v[2:3], v[28:29]
	ds_load_2addr_b64 v[26:29], v72 offset0:112 offset1:113
	s_waitcnt lgkmcnt(0)
	v_mul_f64 v[28:29], v[52:53], v[28:29]
	v_mul_f64 v[26:27], v[52:53], v[26:27]
	v_fma_f64 v[0:1], -v[2:3], v[0:1], v[32:33]
	global_load_b128 v[30:33], v[24:25], off offset:-128
	v_fma_f64 v[10:11], -v[2:3], v[10:11], v[40:41]
	s_waitcnt vmcnt(5)
	v_fma_f64 v[22:23], v[22:23], s[4:5], -v[28:29]
	v_fma_f64 v[28:29], -v[54:55], v[38:39], v[62:63]
	v_fma_f64 v[20:21], v[20:21], s[4:5], -v[26:27]
	v_mov_b32_e32 v38, s9
	v_mul_f64 v[0:1], v[60:61], v[0:1]
	ds_load_2addr_b64 v[60:63], v88 offset0:168 offset1:169
	ds_load_2addr_b64 v[64:67], v72 offset0:88 offset1:89
	;; [unrolled: 1-line block ×3, first 2 shown]
	ds_load_2addr_b64 v[38:41], v38 offset1:1
	s_waitcnt lgkmcnt(3)
	v_mul_f64 v[62:63], v[52:53], v[62:63]
	s_waitcnt lgkmcnt(2)
	v_fma_f64 v[22:23], -v[54:55], v[66:67], v[22:23]
	v_fma_f64 v[66:67], -v[2:3], v[8:9], v[28:29]
	v_mov_b32_e32 v8, s8
	global_load_b128 v[26:29], v[24:25], off offset:-144
	s_add_i32 s8, s7, 0xfffffc18
	v_mul_f64 v[84:85], v[52:53], v[60:61]
	v_mov_b32_e32 v73, s8
	v_fma_f64 v[20:21], -v[54:55], v[64:65], v[20:21]
	s_add_i32 s8, s2, -12
	s_addk_i32 s7, 0xfb50
	s_add_i32 s9, s13, s8
	s_add_i32 s8, s8, s3
	s_lshl_b32 s9, s9, 3
	ds_load_b64 v[82:83], v73
	v_mov_b32_e32 v94, s9
	s_add_i32 s9, s6, 0xfffffef8
	s_lshl_b32 s8, s8, 3
	v_fma_f64 v[58:59], -v[0:1], v[58:59], v[10:11]
	ds_load_2addr_b64 v[8:11], v8 offset1:1
	s_add_i32 s14, s9, s11
	s_add_i32 s11, s11, s3
	s_lshl_b32 s14, s14, 3
	s_add_i32 s21, s21, s9
	s_add_i32 s15, s14, 0x840
	v_mov_b32_e32 v95, s14
	s_lshl_b32 s21, s21, 3
	s_waitcnt vmcnt(4)
	v_fma_f64 v[44:45], v[44:45], s[4:5], -v[62:63]
	s_waitcnt lgkmcnt(3)
	v_fma_f64 v[22:23], -v[2:3], v[70:71], v[22:23]
	v_fma_f64 v[86:87], -v[0:1], v[56:57], v[66:67]
	v_fma_f64 v[42:43], v[42:43], s[4:5], -v[84:85]
	s_waitcnt lgkmcnt(0)
	v_mul_f64 v[10:11], v[10:11], v[58:59]
	ds_load_2addr_b64 v[56:59], v94 offset0:216 offset1:217
	ds_load_2addr_b64 v[60:63], v88 offset0:144 offset1:145
	;; [unrolled: 1-line block ×6, first 2 shown]
	s_waitcnt lgkmcnt(5)
	v_mul_f64 v[58:59], v[52:53], v[58:59]
	s_waitcnt lgkmcnt(4)
	v_fma_f64 v[44:45], -v[54:55], v[62:63], v[44:45]
	v_fma_f64 v[62:63], -v[2:3], v[68:69], v[20:21]
	s_waitcnt lgkmcnt(3)
	v_fma_f64 v[66:67], -v[0:1], v[66:67], v[22:23]
	global_load_b128 v[20:23], v[24:25], off offset:-160
	v_mul_f64 v[68:69], v[52:53], v[56:57]
	v_fma_f64 v[84:85], -v[54:55], v[60:61], v[42:43]
	v_mov_b32_e32 v42, s15
	s_add_i32 s15, s2, -16
	s_delay_alu instid0(SALU_CYCLE_1) | instskip(NEXT) | instid1(SALU_CYCLE_1)
	s_add_i32 s27, s15, s3
	s_lshl_b32 s27, s27, 3
	v_fma_f64 v[8:9], -v[10:11], v[8:9], v[86:87]
	s_waitcnt vmcnt(4)
	v_fma_f64 v[18:19], v[18:19], s[4:5], -v[58:59]
	s_waitcnt lgkmcnt(1)
	v_fma_f64 v[76:77], -v[2:3], v[76:77], v[44:45]
	v_fma_f64 v[86:87], -v[0:1], v[64:65], v[62:63]
	;; [unrolled: 1-line block ×3, first 2 shown]
	ds_load_2addr_b64 v[56:59], v42 offset1:1
	ds_load_2addr_b64 v[60:63], v88 offset0:96 offset1:97
	ds_load_2addr_b64 v[64:67], v88 offset0:72 offset1:73
	;; [unrolled: 1-line block ×3, first 2 shown]
	v_fma_f64 v[84:85], -v[2:3], v[74:75], v[84:85]
	v_mul_f64 v[8:9], v[82:83], v[8:9]
	v_fma_f64 v[82:83], v[16:17], s[4:5], -v[68:69]
	s_waitcnt lgkmcnt(3)
	v_mul_f64 v[58:59], v[52:53], v[58:59]
	v_fma_f64 v[80:81], -v[54:55], v[80:81], v[18:19]
	global_load_b128 v[16:19], v[24:25], off offset:-176
	v_mov_b32_e32 v24, s7
	s_add_i32 s7, s6, 0xfffffec8
	s_waitcnt lgkmcnt(2)
	v_fma_f64 v[62:63], -v[0:1], v[62:63], v[76:77]
	v_fma_f64 v[76:77], -v[10:11], v[70:71], v[86:87]
	ds_load_2addr_b64 v[68:71], v94 offset0:168 offset1:169
	ds_load_b64 v[24:25], v24
	v_mul_f64 v[86:87], v[52:53], v[56:57]
	s_add_i32 s14, s7, s15
	v_fma_f64 v[84:85], -v[0:1], v[60:61], v[84:85]
	s_lshl_b32 s18, s14, 3
	s_add_i32 s14, s2, -9
	s_add_i32 s19, s18, 0x9c0
	s_add_i32 s20, s3, s14
	;; [unrolled: 1-line block ×3, first 2 shown]
	s_lshl_b32 s10, s11, 3
	s_lshl_b32 s11, s14, 3
	s_sub_i32 s14, s2, 18
	v_fma_f64 v[36:37], -v[8:9], v[36:37], v[72:73]
	v_fma_f64 v[90:91], -v[54:55], v[78:79], v[82:83]
	ds_load_2addr_b64 v[72:75], v94 offset0:144 offset1:145
	s_waitcnt lgkmcnt(2)
	v_fma_f64 v[70:71], -v[2:3], v[70:71], v[80:81]
	v_fma_f64 v[66:67], -v[10:11], v[66:67], v[62:63]
	;; [unrolled: 1-line block ×3, first 2 shown]
	s_waitcnt vmcnt(4)
	v_fma_f64 v[88:89], v[14:15], s[4:5], -v[58:59]
	v_fma_f64 v[12:13], v[12:13], s[4:5], -v[86:87]
	s_waitcnt lgkmcnt(1)
	v_mul_f64 v[14:15], v[24:25], v[36:37]
	v_mov_b32_e32 v24, s19
	s_lshl_b32 s19, s20, 3
	v_mov_b32_e32 v25, s11
	s_addk_i32 s19, 0xff40
	s_add_i32 s20, s18, 0x900
	ds_load_2addr_b64 v[56:59], v24 offset1:1
	v_mov_b32_e32 v24, s19
	ds_load_2addr_b64 v[60:63], v95 offset0:240 offset1:241
	ds_load_2addr_b64 v[76:79], v24 offset1:1
	v_mov_b32_e32 v24, s10
	ds_load_2addr_b64 v[34:37], v24 offset1:1
	ds_load_2addr_b64 v[80:83], v25 offset1:1
	s_waitcnt lgkmcnt(5)
	v_fma_f64 v[70:71], -v[0:1], v[74:75], v[70:71]
	v_fma_f64 v[74:75], -v[10:11], v[64:65], v[84:85]
	;; [unrolled: 1-line block ×3, first 2 shown]
	s_add_i32 s10, s6, 0xfffffe98
	s_add_i32 s11, s3, s24
	;; [unrolled: 1-line block ×3, first 2 shown]
	s_lshl_b32 s11, s11, 3
	s_lshl_b32 s23, s19, 3
	s_waitcnt lgkmcnt(4)
	v_mul_f64 v[24:25], v[52:53], v[58:59]
	s_add_i32 s19, s23, 0xb40
	s_add_i32 s24, s24, s13
	;; [unrolled: 1-line block ×3, first 2 shown]
	s_waitcnt lgkmcnt(3)
	v_fma_f64 v[58:59], -v[54:55], v[62:63], v[88:89]
	v_fma_f64 v[88:89], -v[2:3], v[68:69], v[90:91]
	ds_load_2addr_b64 v[62:65], v95 offset0:216 offset1:217
	ds_load_2addr_b64 v[66:69], v94 offset0:120 offset1:121
	;; [unrolled: 1-line block ×3, first 2 shown]
	v_fma_f64 v[60:61], -v[54:55], v[60:61], v[12:13]
	s_lshl_b32 s13, s24, 3
	s_sub_i32 s24, s2, 22
	s_add_i32 s14, s14, s3
	s_waitcnt lgkmcnt(5)
	v_fma_f64 v[78:79], -v[14:15], v[78:79], v[92:93]
	v_mul_f64 v[92:93], v[52:53], v[56:57]
	s_lshl_b32 s14, s14, 3
	s_waitcnt lgkmcnt(1)
	v_fma_f64 v[96:97], -v[10:11], v[68:69], v[70:71]
	v_fma_f64 v[98:99], -v[8:9], v[38:39], v[74:75]
	;; [unrolled: 1-line block ×3, first 2 shown]
	v_mov_b32_e32 v38, s8
	s_mul_i32 s8, s2, 0xc8
	s_waitcnt vmcnt(3)
	v_fma_f64 v[24:25], v[32:33], s[4:5], -v[24:25]
	v_dual_mov_b32 v32, s19 :: v_dual_mov_b32 v33, s20
	s_add_i32 s19, s11, 0xffffff40
	v_fma_f64 v[64:65], -v[2:3], v[64:65], v[58:59]
	v_fma_f64 v[94:95], -v[0:1], v[72:73], v[88:89]
	ds_load_2addr_b64 v[56:59], v32 offset1:1
	ds_load_2addr_b64 v[68:71], v33 offset1:1
	v_mov_b32_e32 v32, s19
	s_add_i32 s19, s8, 0xfffff768
	s_add_i32 s20, s23, 0xa80
	v_mul_f64 v[12:13], v[82:83], v[78:79]
	ds_load_2addr_b64 v[72:75], v38 offset1:1
	ds_load_2addr_b64 v[76:79], v32 offset1:1
	v_fma_f64 v[30:31], v[30:31], s[4:5], -v[92:93]
	v_mov_b32_e32 v32, s19
	s_add_i32 s19, s18, 0x840
	s_delay_alu instid0(SALU_CYCLE_1)
	v_dual_mov_b32 v39, s20 :: v_dual_mov_b32 v38, s19
	s_add_i32 s19, s11, 0xfffffe80
	s_add_i32 s20, s8, 0xfffff8f8
	ds_load_b64 v[32:33], v32
	ds_load_2addr_b64 v[88:91], v38 offset1:1
	ds_load_2addr_b64 v[38:41], v39 offset1:1
	s_waitcnt lgkmcnt(6)
	v_mul_f64 v[82:83], v[52:53], v[58:59]
	v_mov_b32_e32 v58, s19
	v_mul_f64 v[56:57], v[52:53], v[56:57]
	s_sub_i32 s19, s2, 20
	s_waitcnt lgkmcnt(4)
	v_fma_f64 v[74:75], -v[8:9], v[74:75], v[96:97]
	s_waitcnt lgkmcnt(3)
	v_fma_f64 v[78:79], -v[14:15], v[78:79], v[98:99]
	v_fma_f64 v[24:25], -v[54:55], v[70:71], v[24:25]
	;; [unrolled: 1-line block ×3, first 2 shown]
	v_mov_b32_e32 v62, s20
	ds_load_2addr_b64 v[58:61], v58 offset1:1
	ds_load_b64 v[92:93], v62
	v_fma_f64 v[86:87], -v[0:1], v[86:87], v[64:65]
	v_fma_f64 v[66:67], -v[10:11], v[66:67], v[94:95]
	s_add_i32 s20, s11, 0xfffffdc0
	s_add_i32 s11, s6, 0xfffffe68
	v_mov_b32_e32 v62, s20
	v_fma_f64 v[80:81], -v[12:13], v[80:81], v[100:101]
	s_add_i32 s20, s11, s19
	v_fma_f64 v[94:95], -v[54:55], v[68:69], v[30:31]
	s_lshl_b32 s20, s20, 3
	ds_load_2addr_b64 v[62:65], v62 offset1:1
	s_add_i32 s22, s20, 0xcc0
	s_add_i32 s28, s20, 0xc00
	s_waitcnt vmcnt(2)
	v_fma_f64 v[82:83], v[28:29], s[4:5], -v[82:83]
	v_mov_b32_e32 v28, s22
	s_lshl_b32 s22, s25, 3
	v_fma_f64 v[26:27], v[26:27], s[4:5], -v[56:57]
	s_add_i32 s25, s22, 0xffffff40
	v_mov_b32_e32 v56, s13
	ds_load_2addr_b64 v[28:31], v28 offset1:1
	v_fma_f64 v[96:97], -v[14:15], v[76:77], v[74:75]
	s_waitcnt lgkmcnt(3)
	v_fma_f64 v[60:61], -v[12:13], v[60:61], v[78:79]
	v_mov_b32_e32 v74, s18
	s_add_i32 s18, s22, 0xfffffe80
	s_add_i32 s13, s2, -15
	v_fma_f64 v[90:91], -v[2:3], v[90:91], v[24:25]
	v_fma_f64 v[84:85], -v[0:1], v[84:85], v[70:71]
	v_mov_b32_e32 v70, s25
	v_mov_b32_e32 v78, s18
	s_add_i32 s18, s23, 0x9c0
	s_add_i32 s25, s3, s13
	s_addk_i32 s23, 0x840
	v_fma_f64 v[44:45], -v[10:11], v[44:45], v[86:87]
	v_fma_f64 v[86:87], -v[8:9], v[72:73], v[66:67]
	ds_load_2addr_b64 v[66:69], v74 offset0:240 offset1:241
	ds_load_2addr_b64 v[70:73], v70 offset1:1
	s_lshl_b32 s15, s25, 3
	s_add_i32 s9, s22, 0xfffffc40
	s_waitcnt lgkmcnt(4)
	v_mul_f64 v[24:25], v[92:93], v[80:81]
	ds_load_2addr_b64 v[74:77], v74 offset0:216 offset1:217
	ds_load_2addr_b64 v[78:81], v78 offset1:1
	s_waitcnt lgkmcnt(4)
	v_mul_f64 v[30:31], v[52:53], v[30:31]
	v_fma_f64 v[88:89], -v[2:3], v[88:89], v[94:95]
	v_mul_f64 v[94:95], v[52:53], v[28:29]
	s_add_i32 s13, s13, s7
	s_delay_alu instid0(SALU_CYCLE_1)
	s_lshl_b32 s7, s13, 3
	v_fma_f64 v[92:93], -v[54:55], v[40:41], v[82:83]
	v_mov_b32_e32 v40, s18
	s_add_i32 s18, s6, 0xfffffe38
	v_fma_f64 v[38:39], -v[54:55], v[38:39], v[26:27]
	v_mov_b32_e32 v27, s28
	s_add_i32 s28, s15, 0xffffff40
	s_addk_i32 s6, 0xfe08
	s_waitcnt lgkmcnt(3)
	v_fma_f64 v[68:69], -v[0:1], v[68:69], v[90:91]
	v_fma_f64 v[90:91], -v[10:11], v[42:43], v[84:85]
	;; [unrolled: 1-line block ×3, first 2 shown]
	s_waitcnt lgkmcnt(2)
	v_fma_f64 v[44:45], -v[14:15], v[72:73], v[86:87]
	v_fma_f64 v[72:73], -v[12:13], v[58:59], v[96:97]
	ds_load_2addr_b64 v[40:43], v40 offset1:1
	ds_load_2addr_b64 v[56:59], v56 offset1:1
	v_fma_f64 v[60:61], -v[24:25], v[64:65], v[60:61]
	v_mov_b32_e32 v64, s26
	s_waitcnt vmcnt(1)
	v_fma_f64 v[96:97], v[22:23], s[4:5], -v[30:31]
	v_fma_f64 v[98:99], -v[0:1], v[66:67], v[88:89]
	s_add_i32 s26, s18, s24
	v_fma_f64 v[20:21], v[20:21], s[4:5], -v[94:95]
	s_lshl_b32 s25, s26, 3
	ds_load_2addr_b64 v[82:85], v64 offset1:1
	s_add_i32 s26, s25, 0xe40
	s_add_i32 s24, s24, s3
	v_mov_b32_e32 v26, s26
	s_add_i32 s26, s22, 0xfffffdc0
	ds_load_2addr_b64 v[28:31], v26 offset1:1
	s_waitcnt lgkmcnt(3)
	v_fma_f64 v[92:93], -v[2:3], v[42:43], v[92:93]
	v_mov_b32_e32 v42, s27
	v_fma_f64 v[40:41], -v[2:3], v[40:41], v[38:39]
	s_add_i32 s27, s8, 0xfffff448
	s_delay_alu instid0(SALU_CYCLE_1)
	v_mov_b32_e32 v66, s27
	s_add_i32 s27, s20, 0xb40
	v_fma_f64 v[76:77], -v[10:11], v[76:77], v[68:69]
	v_fma_f64 v[90:91], -v[8:9], v[34:35], v[90:91]
	;; [unrolled: 1-line block ×3, first 2 shown]
	ds_load_2addr_b64 v[34:37], v27 offset1:1
	v_fma_f64 v[80:81], -v[12:13], v[80:81], v[44:45]
	v_fma_f64 v[102:103], -v[24:25], v[62:63], v[72:73]
	v_mov_b32_e32 v27, s26
	s_waitcnt lgkmcnt(3)
	v_mul_f64 v[22:23], v[58:59], v[60:61]
	v_mov_b32_e32 v26, s28
	ds_load_2addr_b64 v[42:45], v42 offset1:1
	ds_load_2addr_b64 v[58:61], v26 offset1:1
	;; [unrolled: 1-line block ×3, first 2 shown]
	s_waitcnt lgkmcnt(4)
	v_mul_f64 v[30:31], v[52:53], v[30:31]
	s_add_i32 s26, s22, 0xfffffd00
	s_add_i32 s28, s25, 0xd80
	v_dual_mov_b32 v67, s26 :: v_dual_mov_b32 v70, s27
	v_mov_b32_e32 v86, s28
	ds_load_b64 v[26:27], v66
	ds_load_2addr_b64 v[66:69], v67 offset1:1
	ds_load_2addr_b64 v[70:73], v70 offset1:1
	ds_load_2addr_b64 v[86:89], v86 offset1:1
	s_add_i32 s26, s15, 0xfffffdc0
	s_waitcnt lgkmcnt(7)
	v_fma_f64 v[94:95], -v[54:55], v[36:37], v[96:97]
	v_fma_f64 v[84:85], -v[0:1], v[84:85], v[92:93]
	;; [unrolled: 1-line block ×3, first 2 shown]
	v_mov_b32_e32 v36, s23
	s_add_i32 s23, s15, 0xfffffe80
	v_fma_f64 v[20:21], -v[54:55], v[34:35], v[20:21]
	v_mov_b32_e32 v74, s23
	s_add_i32 s23, s2, s6
	ds_load_2addr_b64 v[36:39], v36 offset1:1
	s_add_i32 s22, s25, 0xc00
	s_waitcnt lgkmcnt(7)
	v_fma_f64 v[44:45], -v[8:9], v[44:45], v[76:77]
	ds_load_2addr_b64 v[74:77], v74 offset1:1
	s_waitcnt lgkmcnt(7)
	v_fma_f64 v[60:61], -v[14:15], v[60:61], v[90:91]
	v_mov_b32_e32 v90, s14
	s_lshl_b32 s14, s23, 3
	s_sub_i32 s23, s2, 17
	v_fma_f64 v[98:99], -v[12:13], v[78:79], v[100:101]
	v_mul_f64 v[100:101], v[52:53], v[28:29]
	s_waitcnt lgkmcnt(6)
	v_fma_f64 v[64:65], -v[24:25], v[64:65], v[80:81]
	v_mov_b32_e32 v78, s26
	s_add_i32 s26, s14, 0xf00
	v_fma_f64 v[56:57], -v[22:23], v[56:57], v[102:103]
	s_add_i32 s27, s3, s23
	v_mov_b32_e32 v28, s26
	s_lshl_b32 s26, s27, 3
	s_add_i32 s27, s20, 0xa80
	s_add_i32 s28, s26, 0xffffff40
	ds_load_2addr_b64 v[78:81], v78 offset1:1
	ds_load_2addr_b64 v[90:93], v90 offset1:1
	s_waitcnt vmcnt(0)
	v_fma_f64 v[102:103], v[18:19], s[4:5], -v[30:31]
	ds_load_2addr_b64 v[28:31], v28 offset1:1
	s_addk_i32 s20, 0x9c0
	s_add_i32 s23, s23, s10
	s_delay_alu instid0(SALU_CYCLE_1)
	s_lshl_b32 s10, s23, 3
	s_waitcnt lgkmcnt(6)
	v_fma_f64 v[72:73], -v[2:3], v[72:73], v[94:95]
	v_fma_f64 v[94:95], -v[0:1], v[82:83], v[40:41]
	s_waitcnt lgkmcnt(4)
	v_fma_f64 v[104:105], -v[10:11], v[38:39], v[84:85]
	v_fma_f64 v[96:97], -v[8:9], v[42:43], v[96:97]
	v_mov_b32_e32 v38, s28
	v_mov_b32_e32 v42, s9
	v_fma_f64 v[20:21], -v[2:3], v[70:71], v[20:21]
	s_add_i32 s9, s26, 0xfffffe80
	ds_load_2addr_b64 v[38:41], v38 offset1:1
	v_fma_f64 v[106:107], -v[14:15], v[58:59], v[44:45]
	ds_load_2addr_b64 v[42:45], v42 offset1:1
	s_waitcnt lgkmcnt(5)
	v_fma_f64 v[76:77], -v[12:13], v[76:77], v[60:61]
	v_mov_b32_e32 v60, s9
	s_add_i32 s9, s25, 0xcc0
	v_fma_f64 v[98:99], -v[24:25], v[62:63], v[98:99]
	v_fma_f64 v[16:17], v[16:17], s[4:5], -v[100:101]
	v_fma_f64 v[64:65], -v[22:23], v[68:69], v[64:65]
	v_mov_b32_e32 v68, s20
	v_mul_f64 v[18:19], v[32:33], v[56:57]
	v_mov_b32_e32 v32, s27
	v_mov_b32_e32 v56, s21
	s_add_i32 s21, s15, 0xfffffc40
	ds_load_2addr_b64 v[32:35], v32 offset1:1
	s_waitcnt lgkmcnt(3)
	v_mul_f64 v[30:31], v[52:53], v[30:31]
	v_fma_f64 v[88:89], -v[54:55], v[88:89], v[102:103]
	ds_load_2addr_b64 v[56:59], v56 offset1:1
	ds_load_2addr_b64 v[60:63], v60 offset1:1
	;; [unrolled: 1-line block ×3, first 2 shown]
	v_mov_b32_e32 v68, s21
	s_add_i32 s21, s19, s3
	s_delay_alu instid0(SALU_CYCLE_1)
	s_lshl_b32 s21, s21, 3
	v_fma_f64 v[94:95], -v[10:11], v[36:37], v[94:95]
	v_fma_f64 v[92:93], -v[8:9], v[92:93], v[104:105]
	s_waitcnt lgkmcnt(5)
	v_fma_f64 v[40:41], -v[14:15], v[40:41], v[96:97]
	s_waitcnt lgkmcnt(3)
	v_fma_f64 v[100:101], -v[0:1], v[34:35], v[72:73]
	v_fma_f64 v[96:97], -v[12:13], v[74:75], v[106:107]
	;; [unrolled: 1-line block ×3, first 2 shown]
	v_mov_b32_e32 v34, s9
	s_add_i32 s9, s15, 0xfffffd00
	v_fma_f64 v[20:21], -v[0:1], v[32:33], v[20:21]
	v_mov_b32_e32 v72, s22
	v_fma_f64 v[80:81], -v[22:23], v[66:67], v[98:99]
	ds_load_2addr_b64 v[34:37], v34 offset1:1
	v_fma_f64 v[98:99], -v[54:55], v[86:87], v[16:17]
	v_fma_f64 v[44:45], -v[18:19], v[44:45], v[64:65]
	v_mov_b32_e32 v64, s9
	s_sub_i32 s9, s2, 19
	s_delay_alu instid0(SALU_CYCLE_1)
	s_add_i32 s20, s3, s9
	s_add_i32 s9, s9, s11
	ds_load_2addr_b64 v[64:67], v64 offset1:1
	v_fma_f64 v[6:7], v[6:7], s[4:5], -v[30:31]
	s_lshl_b32 s19, s20, 3
	s_add_i32 s20, s14, 0xe40
	s_add_i32 s22, s19, 0xffffff40
	ds_load_2addr_b64 v[68:71], v68 offset1:1
	ds_load_2addr_b64 v[72:75], v72 offset1:1
	s_add_i32 s13, s19, 0xfffffc40
	s_lshl_b32 s9, s9, 3
	s_waitcnt lgkmcnt(3)
	v_fma_f64 v[102:103], -v[2:3], v[36:37], v[88:89]
	v_fma_f64 v[94:95], -v[8:9], v[90:91], v[94:95]
	;; [unrolled: 1-line block ×4, first 2 shown]
	v_mov_b32_e32 v36, s21
	v_mov_b32_e32 v40, s22
	s_add_i32 s21, s14, 0xd80
	s_add_i32 s22, s19, 0xfffffdc0
	v_mov_b32_e32 v88, s21
	s_add_i32 s21, s25, 0xb40
	v_fma_f64 v[32:33], -v[10:11], v[84:85], v[100:101]
	v_fma_f64 v[96:97], -v[24:25], v[78:79], v[96:97]
	s_waitcnt lgkmcnt(2)
	v_fma_f64 v[66:67], -v[22:23], v[66:67], v[76:77]
	v_fma_f64 v[20:21], -v[10:11], v[82:83], v[20:21]
	;; [unrolled: 1-line block ×4, first 2 shown]
	v_mul_f64 v[16:17], v[58:59], v[44:45]
	v_mul_f64 v[44:45], v[52:53], v[28:29]
	v_mov_b32_e32 v28, s20
	s_add_i32 s20, s26, 0xfffffdc0
	s_delay_alu instid0(SALU_CYCLE_1)
	v_mov_b32_e32 v58, s20
	s_add_i32 s20, s8, 0xfffff128
	ds_load_2addr_b64 v[28:31], v28 offset1:1
	ds_load_2addr_b64 v[36:39], v36 offset1:1
	;; [unrolled: 1-line block ×4, first 2 shown]
	v_mov_b32_e32 v58, s20
	s_add_i32 s20, s26, 0xfffffd00
	s_delay_alu instid0(SALU_CYCLE_1)
	v_mov_b32_e32 v59, s20
	s_add_i32 s20, s8, 0xfffff5d8
	ds_load_b64 v[100:101], v58
	ds_load_2addr_b64 v[84:87], v59 offset1:1
	ds_load_2addr_b64 v[88:91], v88 offset1:1
	s_waitcnt lgkmcnt(7)
	v_fma_f64 v[74:75], -v[0:1], v[74:75], v[102:103]
	v_fma_f64 v[92:93], -v[12:13], v[60:61], v[92:93]
	v_mov_b32_e32 v60, s22
	s_waitcnt lgkmcnt(5)
	v_fma_f64 v[38:39], -v[8:9], v[38:39], v[32:33]
	v_fma_f64 v[104:105], -v[54:55], v[30:31], v[6:7]
	s_waitcnt lgkmcnt(4)
	v_fma_f64 v[82:83], -v[14:15], v[42:43], v[94:95]
	s_waitcnt lgkmcnt(3)
	v_fma_f64 v[78:79], -v[24:25], v[78:79], v[62:63]
	v_fma_f64 v[94:95], -v[22:23], v[64:65], v[96:97]
	;; [unrolled: 1-line block ×3, first 2 shown]
	v_mov_b32_e32 v30, s20
	s_add_i32 s20, s19, 0xfffffe80
	v_fma_f64 v[20:21], -v[8:9], v[36:37], v[20:21]
	v_mov_b32_e32 v31, s20
	s_add_i32 s20, s15, 0xfffffb80
	v_fma_f64 v[102:103], -v[0:1], v[72:73], v[34:35]
	v_fma_f64 v[80:81], -v[16:17], v[56:57], v[80:81]
	v_fma_f64 v[96:97], v[4:5], s[4:5], -v[44:45]
	v_mov_b32_e32 v4, s21
	v_mov_b32_e32 v42, s20
	ds_load_2addr_b64 v[4:7], v4 offset1:1
	ds_load_b64 v[98:99], v30
	ds_load_2addr_b64 v[30:33], v31 offset1:1
	ds_load_2addr_b64 v[42:45], v42 offset1:1
	s_sub_i32 s20, s2, 21
	s_lshl_b32 s21, s24, 3
	s_addk_i32 s15, 0xfac0
	v_mov_b32_e32 v64, s21
	v_mov_b32_e32 v56, s15
	s_add_i32 s15, s3, s20
	s_add_i32 s21, s14, 0xcc0
	s_lshl_b32 s15, s15, 3
	v_fma_f64 v[92:93], -v[24:25], v[76:77], v[92:93]
	ds_load_2addr_b64 v[56:59], v56 offset1:1
	ds_load_2addr_b64 v[60:63], v60 offset1:1
	;; [unrolled: 1-line block ×3, first 2 shown]
	s_add_i32 s22, s15, 0xfffffe80
	s_add_i32 s24, s14, 0xc00
	v_mov_b32_e32 v76, s22
	s_add_i32 s20, s20, s18
	v_fma_f64 v[40:41], -v[14:15], v[40:41], v[38:39]
	s_waitcnt lgkmcnt(7)
	v_fma_f64 v[90:91], -v[2:3], v[90:91], v[104:105]
	s_waitcnt lgkmcnt(6)
	;; [unrolled: 2-line block ×3, first 2 shown]
	v_fma_f64 v[106:107], -v[12:13], v[32:33], v[82:83]
	v_fma_f64 v[86:87], -v[22:23], v[86:87], v[78:79]
	;; [unrolled: 1-line block ×3, first 2 shown]
	s_waitcnt lgkmcnt(3)
	v_fma_f64 v[44:45], -v[16:17], v[44:45], v[70:71]
	v_mov_b32_e32 v32, s21
	s_add_i32 s21, s15, 0xffffff40
	s_delay_alu instid0(SALU_CYCLE_1)
	v_mov_b32_e32 v36, s21
	s_add_i32 s21, s26, 0xfffffc40
	v_mul_f64 v[6:7], v[98:99], v[80:81]
	v_fma_f64 v[28:29], -v[54:55], v[28:29], v[96:97]
	ds_load_2addr_b64 v[32:35], v32 offset1:1
	v_mov_b32_e32 v68, s21
	ds_load_2addr_b64 v[36:39], v36 offset1:1
	ds_load_2addr_b64 v[68:71], v68 offset1:1
	v_fma_f64 v[4:5], -v[10:11], v[4:5], v[102:103]
	s_add_i32 s21, s26, 0xfffffb80
	v_mov_b32_e32 v80, s24
	v_mov_b32_e32 v72, s21
	s_add_i32 s21, s19, 0xfffffd00
	ds_load_2addr_b64 v[72:75], v72 offset1:1
	ds_load_2addr_b64 v[76:79], v76 offset1:1
	;; [unrolled: 1-line block ×3, first 2 shown]
	v_fma_f64 v[84:85], -v[22:23], v[84:85], v[92:93]
	s_waitcnt lgkmcnt(4)
	v_fma_f64 v[20:21], -v[14:15], v[38:39], v[20:21]
	v_fma_f64 v[34:35], -v[0:1], v[34:35], v[90:91]
	v_fma_f64 v[66:67], -v[8:9], v[66:67], v[104:105]
	v_fma_f64 v[90:91], -v[12:13], v[30:31], v[40:41]
	v_fma_f64 v[62:63], -v[24:25], v[62:63], v[106:107]
	s_waitcnt lgkmcnt(3)
	v_fma_f64 v[70:71], -v[18:19], v[70:71], v[86:87]
	v_fma_f64 v[86:87], -v[16:17], v[42:43], v[94:95]
	v_mov_b32_e32 v38, s7
	s_sub_i32 s7, s2, 23
	v_mov_b32_e32 v42, s13
	s_add_i32 s3, s3, s7
	s_add_i32 s13, s15, 0xfffffdc0
	v_fma_f64 v[58:59], -v[6:7], v[58:59], v[44:45]
	v_fma_f64 v[88:89], -v[2:3], v[88:89], v[28:29]
	v_mov_b32_e32 v28, s21
	ds_load_2addr_b64 v[28:31], v28 offset1:1
	ds_load_2addr_b64 v[38:41], v38 offset1:1
	v_fma_f64 v[92:93], -v[8:9], v[64:65], v[4:5]
	s_lshl_b32 s3, s3, 3
	s_add_i32 s21, s14, 0xb40
	s_add_i32 s22, s3, 0xffffff40
	ds_load_2addr_b64 v[42:45], v42 offset1:1
	s_add_i32 s7, s7, s6
	v_fma_f64 v[84:85], -v[18:19], v[68:69], v[84:85]
	s_waitcnt lgkmcnt(4)
	v_fma_f64 v[20:21], -v[12:13], v[78:79], v[20:21]
	s_waitcnt lgkmcnt(3)
	v_fma_f64 v[82:83], -v[10:11], v[82:83], v[34:35]
	v_fma_f64 v[94:95], -v[14:15], v[36:37], v[66:67]
	;; [unrolled: 1-line block ×3, first 2 shown]
	s_waitcnt lgkmcnt(2)
	v_fma_f64 v[90:91], -v[22:23], v[30:31], v[62:63]
	v_fma_f64 v[74:75], -v[16:17], v[74:75], v[70:71]
	;; [unrolled: 1-line block ×3, first 2 shown]
	v_mov_b32_e32 v30, s21
	v_mov_b32_e32 v34, s22
	;; [unrolled: 1-line block ×3, first 2 shown]
	s_add_i32 s13, s26, 0xfffffac0
	s_add_i32 s21, s26, 0xfffffa00
	s_waitcnt lgkmcnt(1)
	v_mul_f64 v[4:5], v[40:41], v[58:59]
	v_fma_f64 v[40:41], -v[0:1], v[32:33], v[88:89]
	ds_load_2addr_b64 v[30:33], v30 offset1:1
	ds_load_2addr_b64 v[34:37], v34 offset1:1
	v_mov_b32_e32 v60, s13
	ds_load_2addr_b64 v[56:59], v56 offset1:1
	ds_load_2addr_b64 v[60:63], v60 offset1:1
	s_add_i32 s13, s8, 0xffffee08
	s_add_i32 s22, s15, 0xfffffd00
	v_mov_b32_e32 v88, s13
	s_add_i32 s13, s3, 0xfffffe80
	v_mov_b32_e32 v64, s21
	v_mov_b32_e32 v68, s22
	ds_load_2addr_b64 v[64:67], v64 offset1:1
	ds_load_2addr_b64 v[68:71], v68 offset1:1
	ds_load_b64 v[88:89], v88
	s_add_i32 s21, s3, 0xfffffdc0
	s_waitcnt lgkmcnt(5)
	v_fma_f64 v[92:93], -v[14:15], v[36:37], v[92:93]
	v_mov_b32_e32 v36, s13
	s_add_i32 s13, s19, 0xfffffb80
	s_waitcnt lgkmcnt(4)
	v_fma_f64 v[20:21], -v[24:25], v[58:59], v[20:21]
	v_fma_f64 v[32:33], -v[8:9], v[32:33], v[82:83]
	;; [unrolled: 1-line block ×6, first 2 shown]
	s_waitcnt lgkmcnt(3)
	v_fma_f64 v[62:63], -v[6:7], v[62:63], v[74:75]
	v_mov_b32_e32 v72, s13
	s_add_i32 s13, s19, 0xfffffac0
	s_delay_alu instid0(SALU_CYCLE_1)
	v_mov_b32_e32 v76, s13
	s_add_i32 s13, s15, 0xfffffc40
	v_fma_f64 v[84:85], -v[4:5], v[38:39], v[86:87]
	v_fma_f64 v[40:41], -v[10:11], v[80:81], v[40:41]
	ds_load_2addr_b64 v[36:39], v36 offset1:1
	ds_load_2addr_b64 v[72:75], v72 offset1:1
	v_mov_b32_e32 v80, s21
	ds_load_2addr_b64 v[76:79], v76 offset1:1
	ds_load_2addr_b64 v[80:83], v80 offset1:1
	s_waitcnt lgkmcnt(3)
	v_fma_f64 v[86:87], -v[12:13], v[38:39], v[92:93]
	v_fma_f64 v[20:21], -v[22:23], v[70:71], v[20:21]
	;; [unrolled: 1-line block ×5, first 2 shown]
	s_waitcnt lgkmcnt(2)
	v_fma_f64 v[74:75], -v[16:17], v[74:75], v[44:45]
	v_fma_f64 v[60:61], -v[6:7], v[60:61], v[58:59]
	;; [unrolled: 1-line block ×3, first 2 shown]
	v_mov_b32_e32 v94, s14
	v_mov_b32_e32 v42, s10
	s_add_i32 s10, s3, 0xfffffd00
	v_mul_f64 v[28:29], v[26:27], v[84:85]
	v_fma_f64 v[26:27], -v[8:9], v[30:31], v[40:41]
	v_mov_b32_e32 v30, s13
	s_add_i32 s13, s26, 0xfffff940
	s_delay_alu instid0(SALU_CYCLE_1) | instskip(SKIP_4) | instid1(SALU_CYCLE_1)
	v_mov_b32_e32 v38, s13
	ds_load_2addr_b64 v[30:33], v30 offset1:1
	ds_load_2addr_b64 v[38:41], v38 offset1:1
	ds_load_b64 v[66:67], v94 offset:2688
	s_add_i32 s13, s15, 0xfffffb80
	v_mov_b32_e32 v56, s13
	ds_load_2addr_b64 v[42:45], v42 offset1:1
	ds_load_2addr_b64 v[56:59], v56 offset1:1
	s_add_i32 s13, s3, 0xfffffc40
	s_waitcnt lgkmcnt(5)
	v_fma_f64 v[82:83], -v[24:25], v[82:83], v[86:87]
	v_fma_f64 v[36:37], -v[12:13], v[36:37], v[34:35]
	;; [unrolled: 1-line block ×3, first 2 shown]
	s_waitcnt lgkmcnt(4)
	v_fma_f64 v[20:21], -v[18:19], v[32:33], v[20:21]
	v_fma_f64 v[86:87], -v[16:17], v[72:73], v[70:71]
	;; [unrolled: 1-line block ×4, first 2 shown]
	s_waitcnt lgkmcnt(3)
	v_fma_f64 v[40:41], -v[28:29], v[40:41], v[62:63]
	s_waitcnt lgkmcnt(2)
	v_fma_f64 v[92:93], -v[14:15], v[66:67], v[26:27]
	v_mov_b32_e32 v26, s10
	s_add_i32 s10, s19, 0xfffffa00
	s_delay_alu instid0(SALU_CYCLE_1)
	v_mov_b32_e32 v27, s10
	s_add_i32 s10, s19, 0xfffff940
	ds_load_2addr_b64 v[32:35], v26 offset1:1
	v_add_nc_u32_e64 v26, 0x800, s14
	ds_load_2addr_b64 v[60:63], v27 offset1:1
	ds_load_2addr_b64 v[64:67], v26 offset0:32 offset1:56
	v_dual_mov_b32 v26, s10 :: v_dual_mov_b32 v27, s13
	ds_load_2addr_b64 v[68:71], v26 offset1:1
	ds_load_2addr_b64 v[72:75], v27 offset1:1
	s_add_i32 s10, s15, 0xfffffac0
	s_add_i32 s13, s19, 0xfffff880
	v_fma_f64 v[80:81], -v[24:25], v[80:81], v[36:37]
	v_fma_f64 v[30:31], -v[18:19], v[30:31], v[84:85]
	s_waitcnt lgkmcnt(4)
	v_fma_f64 v[82:83], -v[22:23], v[34:35], v[82:83]
	v_fma_f64 v[20:21], -v[16:17], v[58:59], v[20:21]
	;; [unrolled: 1-line block ×3, first 2 shown]
	s_waitcnt lgkmcnt(3)
	v_fma_f64 v[62:63], -v[4:5], v[62:63], v[78:79]
	v_fma_f64 v[76:77], -v[28:29], v[38:39], v[90:91]
	v_mov_b32_e32 v34, s10
	s_add_i32 s10, s15, 0xfffffa00
	s_delay_alu instid0(SALU_CYCLE_1)
	v_mov_b32_e32 v38, s10
	v_mul_f64 v[26:27], v[44:45], v[40:41]
	s_waitcnt lgkmcnt(2)
	v_fma_f64 v[44:45], -v[12:13], v[66:67], v[92:93]
	ds_load_2addr_b64 v[34:37], v34 offset1:1
	s_add_i32 s10, s3, 0xfffffb80
	ds_load_2addr_b64 v[38:41], v38 offset1:1
	v_fma_f64 v[78:79], -v[22:23], v[32:33], v[80:81]
	v_fma_f64 v[80:81], -v[16:17], v[56:57], v[30:31]
	v_mov_b32_e32 v30, s10
	s_waitcnt lgkmcnt(2)
	v_fma_f64 v[74:75], -v[18:19], v[74:75], v[82:83]
	s_add_i32 s10, s8, 0xfffff2b8
	v_fma_f64 v[70:71], -v[28:29], v[70:71], v[62:63]
	v_mov_b32_e32 v56, s10
	ds_load_2addr_b64 v[30:33], v30 offset1:1
	s_waitcnt lgkmcnt(2)
	v_fma_f64 v[20:21], -v[6:7], v[36:37], v[20:21]
	v_fma_f64 v[36:37], -v[4:5], v[60:61], v[58:59]
	v_add_nc_u32_e64 v57, 0x400, s14
	v_fma_f64 v[76:77], -v[26:27], v[42:43], v[76:77]
	v_fma_f64 v[82:83], -v[24:25], v[64:65], v[44:45]
	v_mov_b32_e32 v42, s13
	ds_load_2addr_b64 v[42:45], v42 offset1:1
	ds_load_b64 v[84:85], v56
	ds_load_2addr_b64 v[56:59], v57 offset0:112 offset1:136
	s_add_i32 s10, s19, 0xfffff7c0
	s_add_i32 s13, s3, 0xfffffac0
	v_mov_b32_e32 v60, s10
	s_add_i32 s10, s15, 0xfffff940
	v_mov_b32_e32 v64, s13
	ds_load_2addr_b64 v[60:63], v60 offset1:1
	ds_load_2addr_b64 v[64:67], v64 offset1:1
	v_fma_f64 v[72:73], -v[18:19], v[72:73], v[78:79]
	v_fma_f64 v[78:79], -v[6:7], v[34:35], v[80:81]
	v_mov_b32_e32 v34, s10
	s_waitcnt lgkmcnt(5)
	v_fma_f64 v[74:75], -v[16:17], v[32:33], v[74:75]
	s_add_i32 s10, s15, 0xfffff880
	s_waitcnt lgkmcnt(4)
	v_fma_f64 v[44:45], -v[26:27], v[44:45], v[70:71]
	v_fma_f64 v[20:21], -v[4:5], v[40:41], v[20:21]
	;; [unrolled: 1-line block ×3, first 2 shown]
	ds_load_2addr_b64 v[34:37], v34 offset1:1
	s_waitcnt lgkmcnt(4)
	v_mul_f64 v[32:33], v[84:85], v[76:77]
	s_waitcnt lgkmcnt(3)
	v_fma_f64 v[58:59], -v[22:23], v[58:59], v[82:83]
	v_mov_b32_e32 v68, s10
	s_add_i32 s10, s3, 0xfffffa00
	ds_load_2addr_b64 v[68:71], v68 offset1:1
	v_fma_f64 v[30:31], -v[16:17], v[30:31], v[72:73]
	v_fma_f64 v[76:77], -v[4:5], v[38:39], v[78:79]
	s_waitcnt lgkmcnt(2)
	v_fma_f64 v[66:67], -v[6:7], v[66:67], v[74:75]
	s_waitcnt lgkmcnt(1)
	v_fma_f64 v[20:21], -v[28:29], v[36:37], v[20:21]
	v_fma_f64 v[78:79], -v[26:27], v[42:43], v[40:41]
	v_mov_b32_e32 v36, s10
	v_fma_f64 v[44:45], -v[32:33], v[62:63], v[44:45]
	v_fma_f64 v[62:63], -v[18:19], v[56:57], v[58:59]
	v_mov_b32_e32 v40, s9
	ds_load_2addr_b64 v[36:39], v36 offset1:1
	ds_load_2addr_b64 v[40:43], v40 offset1:1
	ds_load_2addr_b64 v[56:59], v94 offset0:192 offset1:216
	s_add_i32 s9, s3, 0xfffff940
	s_add_i32 s10, s8, 0xffffef98
	v_mov_b32_e32 v72, s9
	s_add_i32 s9, s15, 0xfffff7c0
	ds_load_2addr_b64 v[72:75], v72 offset1:1
	v_fma_f64 v[64:65], -v[6:7], v[64:65], v[30:31]
	v_fma_f64 v[34:35], -v[28:29], v[34:35], v[76:77]
	s_waitcnt lgkmcnt(3)
	v_fma_f64 v[38:39], -v[4:5], v[38:39], v[66:67]
	v_fma_f64 v[20:21], -v[26:27], v[70:71], v[20:21]
	;; [unrolled: 1-line block ×3, first 2 shown]
	s_waitcnt lgkmcnt(2)
	v_mul_f64 v[30:31], v[42:43], v[44:45]
	s_waitcnt lgkmcnt(1)
	v_fma_f64 v[62:63], -v[16:17], v[58:59], v[62:63]
	v_mov_b32_e32 v42, s9
	s_add_i32 s9, s15, 0xfffff700
	s_delay_alu instid0(SALU_CYCLE_1)
	v_mov_b32_e32 v58, s9
	s_add_i32 s9, s3, 0xfffff880
	ds_load_2addr_b64 v[42:45], v42 offset1:1
	ds_load_2addr_b64 v[58:61], v58 offset1:1
	v_fma_f64 v[70:71], -v[4:5], v[36:37], v[64:65]
	v_fma_f64 v[68:69], -v[26:27], v[68:69], v[34:35]
	v_mov_b32_e32 v34, s9
	s_waitcnt lgkmcnt(2)
	v_fma_f64 v[74:75], -v[28:29], v[74:75], v[38:39]
	s_add_i32 s9, s3, 0xfffff7c0
	s_waitcnt lgkmcnt(1)
	v_fma_f64 v[20:21], -v[32:33], v[44:45], v[20:21]
	v_fma_f64 v[44:45], -v[30:31], v[40:41], v[66:67]
	;; [unrolled: 1-line block ×3, first 2 shown]
	ds_load_2addr_b64 v[34:37], v34 offset1:1
	ds_load_2addr_b64 v[38:41], v94 offset0:144 offset1:168
	v_mov_b32_e32 v62, s9
	s_add_i32 s9, s15, 0xfffff640
	ds_load_2addr_b64 v[62:65], v62 offset1:1
	v_fma_f64 v[70:71], -v[28:29], v[72:73], v[70:71]
	s_waitcnt lgkmcnt(2)
	v_fma_f64 v[72:73], -v[26:27], v[36:37], v[74:75]
	v_fma_f64 v[74:75], -v[32:33], v[42:43], v[68:69]
	;; [unrolled: 1-line block ×3, first 2 shown]
	v_mul_f64 v[36:37], v[100:101], v[44:45]
	s_waitcnt lgkmcnt(1)
	v_fma_f64 v[44:45], -v[4:5], v[40:41], v[56:57]
	v_mov_b32_e32 v40, s9
	s_lshl_b32 s9, s20, 3
	s_delay_alu instid0(SALU_CYCLE_1)
	v_mov_b32_e32 v56, s9
	s_add_i32 s9, s3, 0xfffff700
	ds_load_2addr_b64 v[40:43], v40 offset1:1
	ds_load_2addr_b64 v[66:69], v56 offset1:1
	v_fma_f64 v[34:35], -v[26:27], v[34:35], v[70:71]
	s_waitcnt lgkmcnt(2)
	v_fma_f64 v[60:61], -v[32:33], v[64:65], v[72:73]
	v_fma_f64 v[64:65], -v[30:31], v[58:59], v[74:75]
	s_waitcnt lgkmcnt(1)
	v_fma_f64 v[20:21], -v[36:37], v[42:43], v[20:21]
	v_fma_f64 v[38:39], -v[28:29], v[38:39], v[44:45]
	v_mov_b32_e32 v42, s9
	ds_load_2addr_b64 v[42:45], v42 offset1:1
	ds_load_2addr_b64 v[56:59], v94 offset0:96 offset1:120
	s_add_i32 s9, s3, 0xfffff640
	s_delay_alu instid0(SALU_CYCLE_1)
	v_mov_b32_e32 v70, s9
	s_add_i32 s9, s3, 0xfffff580
	s_addk_i32 s3, 0xf4c0
	ds_load_2addr_b64 v[70:73], v70 offset1:1
	v_fma_f64 v[62:63], -v[32:33], v[62:63], v[34:35]
	s_waitcnt lgkmcnt(2)
	v_fma_f64 v[44:45], -v[30:31], v[44:45], v[60:61]
	v_fma_f64 v[40:41], -v[36:37], v[40:41], v[64:65]
	v_mul_f64 v[34:35], v[68:69], v[20:21]
	s_waitcnt lgkmcnt(1)
	v_fma_f64 v[20:21], -v[26:27], v[58:59], v[38:39]
	v_mov_b32_e32 v38, s9
	v_fma_f64 v[60:61], -v[30:31], v[42:43], v[62:63]
	v_mov_b32_e32 v42, s10
	s_waitcnt lgkmcnt(0)
	v_fma_f64 v[62:63], -v[36:37], v[72:73], v[44:45]
	v_fma_f64 v[64:65], -v[34:35], v[66:67], v[40:41]
	;; [unrolled: 1-line block ×3, first 2 shown]
	ds_load_2addr_b64 v[38:41], v38 offset1:1
	ds_load_b64 v[66:67], v42
	ds_load_2addr_b64 v[42:45], v94 offset0:48 offset1:72
	v_mov_b32_e32 v56, s3
	s_lshl_b32 s3, s7, 3
	ds_load_2addr_b64 v[56:59], v56 offset1:1
	v_fma_f64 v[60:61], -v[36:37], v[70:71], v[60:61]
	s_waitcnt lgkmcnt(3)
	v_fma_f64 v[62:63], -v[34:35], v[40:41], v[62:63]
	s_waitcnt lgkmcnt(2)
	v_mul_f64 v[40:41], v[66:67], v[64:65]
	s_waitcnt lgkmcnt(1)
	v_fma_f64 v[20:21], -v[30:31], v[44:45], v[20:21]
	s_delay_alu instid0(VALU_DEP_4) | instskip(SKIP_1) | instid1(VALU_DEP_3)
	v_fma_f64 v[38:39], -v[34:35], v[38:39], v[60:61]
	s_waitcnt lgkmcnt(0)
	v_fma_f64 v[62:63], -v[40:41], v[58:59], v[62:63]
	s_delay_alu instid0(VALU_DEP_3)
	v_fma_f64 v[20:21], -v[36:37], v[42:43], v[20:21]
	v_mov_b32_e32 v42, s3
	ds_load_2addr_b64 v[42:45], v42 offset1:1
	ds_load_2addr_b64 v[58:61], v94 offset1:24
	s_add_i32 s3, s14, 0xffffff40
	v_fma_f64 v[56:57], -v[40:41], v[56:57], v[38:39]
	s_waitcnt lgkmcnt(1)
	v_mul_f64 v[38:39], v[44:45], v[62:63]
	s_waitcnt lgkmcnt(0)
	v_fma_f64 v[20:21], -v[34:35], v[60:61], v[20:21]
	v_mov_b32_e32 v44, s3
	s_add_i32 s3, s14, 0xfffffe80
	s_delay_alu instid0(VALU_DEP_3) | instskip(NEXT) | instid1(VALU_DEP_3)
	v_fma_f64 v[42:43], -v[38:39], v[42:43], v[56:57]
	v_fma_f64 v[20:21], -v[40:41], v[58:59], v[20:21]
	ds_load_b64 v[56:57], v44
	v_mul_f64 v[44:45], v[88:89], v[42:43]
	s_waitcnt lgkmcnt(0)
	v_fma_f64 v[20:21], -v[38:39], v[56:57], v[20:21]
	v_mov_b32_e32 v42, s3
	s_add_i32 s3, s8, 0xffffed40
	ds_load_b64 v[42:43], v42
	s_waitcnt lgkmcnt(0)
	v_fma_f64 v[20:21], -v[44:45], v[42:43], v[20:21]
	v_mov_b32_e32 v42, s3
	s_ashr_i32 s3, s2, 31
	s_delay_alu instid0(SALU_CYCLE_1)
	s_lshl_b64 s[6:7], s[2:3], 3
	ds_load_b64 v[42:43], v42
	s_waitcnt lgkmcnt(0)
	v_mul_f64 v[42:43], v[42:43], v[20:21]
	v_add_co_u32 v20, vcc_lo, v46, s6
	v_add_co_ci_u32_e32 v21, vcc_lo, s7, v47, vcc_lo
	s_sub_i32 s6, s2, 25
	s_clause 0xc
	global_store_b64 v[50:51], v[52:53], off
	global_store_b64 v[20:21], v[54:55], off offset:-16
	global_store_b128 v[20:21], v[0:3], off offset:-32
	global_store_b128 v[20:21], v[8:11], off offset:-48
	;; [unrolled: 1-line block ×11, first 2 shown]
.LBB93_35:
	s_cmp_gt_i32 s6, -1
	s_cbranch_scc0 .LBB93_54
; %bb.36:
	s_cmp_lt_u32 s6, 19
	s_cbranch_scc1 .LBB93_41
; %bb.37:
	s_mov_b32 s7, 0
	s_delay_alu instid0(SALU_CYCLE_1)
	s_lshl_b64 s[8:9], s[6:7], 3
	s_cmp_le_i32 s12, s6
	v_add_co_u32 v16, vcc_lo, v46, s8
	v_add_co_ci_u32_e32 v17, vcc_lo, s9, v47, vcc_lo
	s_clause 0x9
	global_load_b128 v[0:3], v[16:17], off offset:-8
	global_load_b128 v[4:7], v[16:17], off offset:-24
	;; [unrolled: 1-line block ×10, first 2 shown]
	s_waitcnt vmcnt(9)
	v_mul_f64 v[20:21], v[2:3], s[4:5]
	v_mul_f64 v[40:41], v[0:1], s[4:5]
	s_waitcnt vmcnt(8)
	v_mul_f64 v[22:23], v[6:7], s[4:5]
	v_mul_f64 v[38:39], v[4:5], s[4:5]
	;; [unrolled: 3-line block ×10, first 2 shown]
	s_cbranch_scc1 .LBB93_40
; %bb.38:
	s_mul_i32 s3, s2, 0xc0
	s_lshl_b32 s7, s6, 3
	s_ashr_i32 s13, s12, 31
	s_add_i32 s3, s3, s7
	s_lshl_b64 s[8:9], s[12:13], 3
	s_addk_i32 s3, 0xfea8
	s_add_u32 s7, s16, s8
	s_addc_u32 s8, s17, s9
	s_add_u32 s7, s7, s0
	s_addc_u32 s8, s8, s1
	v_add_co_u32 v42, vcc_lo, s7, v48
	v_add_co_ci_u32_e32 v43, vcc_lo, s8, v49, vcc_lo
	s_mov_b32 s7, s12
.LBB93_39:                              ; =>This Inner Loop Header: Depth=1
	global_load_b64 v[44:45], v[42:43], off
	v_mov_b32_e32 v86, s3
	v_add_co_u32 v42, vcc_lo, v42, -8
	v_add_co_ci_u32_e32 v43, vcc_lo, -1, v43, vcc_lo
	ds_load_2addr_b64 v[50:53], v86 offset0:18 offset1:19
	ds_load_2addr_b64 v[54:57], v86 offset0:16 offset1:17
	;; [unrolled: 1-line block ×9, first 2 shown]
	ds_load_2addr_b64 v[86:89], v86 offset1:1
	s_add_i32 s7, s7, -1
	s_addk_i32 s3, 0xff40
	s_cmp_gt_i32 s7, s6
	s_waitcnt vmcnt(0) lgkmcnt(9)
	v_fma_f64 v[20:21], -v[44:45], v[52:53], v[20:21]
	v_fma_f64 v[40:41], -v[44:45], v[50:51], v[40:41]
	s_waitcnt lgkmcnt(8)
	v_fma_f64 v[22:23], -v[44:45], v[56:57], v[22:23]
	v_fma_f64 v[38:39], -v[44:45], v[54:55], v[38:39]
	s_waitcnt lgkmcnt(7)
	;; [unrolled: 3-line block ×9, first 2 shown]
	v_fma_f64 v[12:13], -v[44:45], v[88:89], v[12:13]
	v_fma_f64 v[18:19], -v[44:45], v[86:87], v[18:19]
	s_cbranch_scc1 .LBB93_39
.LBB93_40:
	s_mul_i32 s3, s6, 0xc8
	s_add_i32 s8, s6, -3
	s_add_i32 s7, s3, -8
	;; [unrolled: 1-line block ×3, first 2 shown]
	v_mov_b32_e32 v42, s7
	s_add_i32 s7, s3, 0xffffff38
	s_add_i32 s18, s6, -7
	v_mov_b32_e32 v50, s7
	s_mul_i32 s7, s6, 24
	ds_load_2addr_b64 v[42:45], v42 offset1:1
	s_add_i32 s9, s8, s7
	s_sub_i32 s10, s7, 24
	s_lshl_b32 s9, s9, 3
	ds_load_b64 v[54:55], v50
	s_add_i32 s11, s13, s7
	s_add_i32 s14, s18, s10
	s_lshl_b32 s11, s11, 3
	s_lshl_b32 s14, s14, 3
	s_add_i32 s22, s6, -9
	s_add_i32 s19, s6, -11
	s_delay_alu instid0(SALU_CYCLE_1) | instskip(NEXT) | instid1(SALU_CYCLE_1)
	s_add_i32 s20, s19, s10
	s_lshl_b32 s20, s20, 3
	s_waitcnt lgkmcnt(1)
	v_mul_f64 v[20:21], v[44:45], v[20:21]
	s_delay_alu instid0(VALU_DEP_1) | instskip(SKIP_2) | instid1(SALU_CYCLE_1)
	v_fma_f64 v[44:45], -v[20:21], v[42:43], v[40:41]
	v_mov_b32_e32 v40, s9
	s_add_i32 s9, s8, s10
	s_lshl_b32 s9, s9, 3
	ds_load_2addr_b64 v[40:43], v40 offset1:1
	v_mov_b32_e32 v50, s9
	s_sub_i32 s9, s7, 48
	s_delay_alu instid0(SALU_CYCLE_1)
	s_add_i32 s8, s8, s9
	s_add_i32 s15, s18, s9
	ds_load_2addr_b64 v[50:53], v50 offset1:1
	s_lshl_b32 s8, s8, 3
	s_lshl_b32 s15, s15, 3
	s_add_i32 s21, s19, s9
	s_delay_alu instid0(SALU_CYCLE_1)
	s_lshl_b32 s21, s21, 3
	s_waitcnt lgkmcnt(1)
	v_fma_f64 v[42:43], -v[20:21], v[42:43], v[22:23]
	v_fma_f64 v[56:57], -v[20:21], v[40:41], v[38:39]
	v_mov_b32_e32 v38, s11
	s_add_i32 s11, s3, 0xfffffda8
	v_mul_f64 v[22:23], v[54:55], v[44:45]
	s_waitcnt lgkmcnt(0)
	s_delay_alu instid0(VALU_DEP_1)
	v_fma_f64 v[58:59], -v[22:23], v[52:53], v[42:43]
	v_mov_b32_e32 v42, s8
	v_fma_f64 v[50:51], -v[22:23], v[50:51], v[56:57]
	s_add_i32 s8, s13, s10
	ds_load_2addr_b64 v[38:41], v38 offset1:1
	ds_load_2addr_b64 v[42:45], v42 offset1:1
	s_lshl_b32 s8, s8, 3
	s_delay_alu instid0(SALU_CYCLE_1)
	v_dual_mov_b32 v52, s11 :: v_dual_mov_b32 v53, s8
	ds_load_b64 v[62:63], v52
	ds_load_2addr_b64 v[52:55], v53 offset1:1
	s_add_i32 s8, s18, s7
	s_add_i32 s11, s13, s9
	s_lshl_b32 s8, s8, 3
	s_lshl_b32 s11, s11, 3
	s_waitcnt lgkmcnt(3)
	v_fma_f64 v[40:41], -v[20:21], v[40:41], v[2:3]
	s_waitcnt lgkmcnt(2)
	v_mul_f64 v[2:3], v[44:45], v[58:59]
	v_fma_f64 v[44:45], -v[20:21], v[38:39], v[36:37]
	v_mov_b32_e32 v36, s8
	v_mov_b32_e32 v58, s14
	s_add_i32 s14, s22, s7
	s_delay_alu instid0(SALU_CYCLE_1) | instskip(SKIP_4) | instid1(SALU_CYCLE_1)
	s_lshl_b32 s14, s14, 3
	s_waitcnt lgkmcnt(0)
	v_fma_f64 v[64:65], -v[22:23], v[54:55], v[40:41]
	v_mov_b32_e32 v40, s11
	s_add_i32 s11, s7, 0xffffffb8
	s_add_i32 s8, s13, s11
	s_delay_alu instid0(SALU_CYCLE_1) | instskip(NEXT) | instid1(SALU_CYCLE_1)
	s_lshl_b32 s8, s8, 3
	v_mov_b32_e32 v54, s8
	s_add_i32 s8, s7, 0xffffffa0
	s_delay_alu instid0(SALU_CYCLE_1)
	s_add_i32 s13, s13, s8
	s_add_i32 s25, s19, s8
	s_lshl_b32 s13, s13, 3
	v_fma_f64 v[50:51], -v[2:3], v[42:43], v[50:51]
	ds_load_2addr_b64 v[36:39], v36 offset1:1
	ds_load_2addr_b64 v[40:43], v40 offset1:1
	v_fma_f64 v[44:45], -v[22:23], v[52:53], v[44:45]
	ds_load_2addr_b64 v[54:57], v54 offset1:1
	ds_load_2addr_b64 v[58:61], v58 offset1:1
	s_waitcnt lgkmcnt(3)
	v_fma_f64 v[38:39], -v[20:21], v[38:39], v[0:1]
	s_waitcnt lgkmcnt(2)
	v_fma_f64 v[42:43], -v[2:3], v[42:43], v[64:65]
	v_fma_f64 v[64:65], -v[20:21], v[36:37], v[34:35]
	v_mov_b32_e32 v34, s14
	s_add_i32 s14, s22, s10
	s_delay_alu instid0(SALU_CYCLE_1)
	s_lshl_b32 s14, s14, 3
	v_mul_f64 v[0:1], v[62:63], v[50:51]
	v_fma_f64 v[68:69], -v[2:3], v[40:41], v[44:45]
	s_waitcnt lgkmcnt(0)
	v_fma_f64 v[66:67], -v[22:23], v[60:61], v[38:39]
	v_mov_b32_e32 v38, s15
	v_mov_b32_e32 v60, s14
	s_add_i32 s14, s18, s8
	s_add_i32 s15, s22, s9
	v_fma_f64 v[58:59], -v[22:23], v[58:59], v[64:65]
	s_lshl_b32 s15, s15, 3
	v_fma_f64 v[56:57], -v[0:1], v[56:57], v[42:43]
	v_mov_b32_e32 v42, s13
	v_fma_f64 v[54:55], -v[0:1], v[54:55], v[68:69]
	ds_load_2addr_b64 v[34:37], v34 offset1:1
	ds_load_2addr_b64 v[38:41], v38 offset1:1
	ds_load_2addr_b64 v[42:45], v42 offset1:1
	s_add_i32 s13, s3, 0xfffffc18
	s_delay_alu instid0(SALU_CYCLE_1) | instskip(SKIP_1) | instid1(SALU_CYCLE_1)
	v_mov_b32_e32 v50, s13
	s_add_i32 s13, s18, s11
	s_lshl_b32 s13, s13, 3
	s_delay_alu instid0(SALU_CYCLE_1) | instskip(SKIP_4) | instid1(SALU_CYCLE_1)
	v_mov_b32_e32 v51, s13
	ds_load_b64 v[70:71], v50
	ds_load_2addr_b64 v[50:53], v51 offset1:1
	ds_load_2addr_b64 v[60:63], v60 offset1:1
	s_add_i32 s13, s19, s7
	s_lshl_b32 s13, s13, 3
	s_waitcnt lgkmcnt(5)
	v_fma_f64 v[36:37], -v[20:21], v[36:37], v[6:7]
	s_waitcnt lgkmcnt(4)
	v_fma_f64 v[40:41], -v[2:3], v[40:41], v[66:67]
	v_fma_f64 v[68:69], -v[2:3], v[38:39], v[58:59]
	s_waitcnt lgkmcnt(3)
	v_mul_f64 v[6:7], v[44:45], v[56:57]
	v_fma_f64 v[44:45], -v[20:21], v[34:35], v[32:33]
	v_mov_b32_e32 v32, s13
	s_lshl_b32 s13, s14, 3
	s_waitcnt lgkmcnt(0)
	v_fma_f64 v[66:67], -v[22:23], v[62:63], v[36:37]
	v_fma_f64 v[72:73], -v[0:1], v[52:53], v[40:41]
	v_mov_b32_e32 v40, s13
	v_mov_b32_e32 v36, s15
	ds_load_2addr_b64 v[32:35], v32 offset1:1
	ds_load_2addr_b64 v[36:39], v36 offset1:1
	v_fma_f64 v[50:51], -v[0:1], v[50:51], v[68:69]
	s_add_i32 s13, s7, 0xffffff88
	s_add_i32 s15, s22, s11
	;; [unrolled: 1-line block ×3, first 2 shown]
	s_lshl_b32 s15, s15, 3
	s_lshl_b32 s14, s14, 3
	v_mov_b32_e32 v56, s15
	v_mov_b32_e32 v52, s14
	v_fma_f64 v[74:75], -v[6:7], v[42:43], v[54:55]
	ds_load_2addr_b64 v[40:43], v40 offset1:1
	v_fma_f64 v[44:45], -v[22:23], v[60:61], v[44:45]
	v_mov_b32_e32 v62, s20
	ds_load_2addr_b64 v[52:55], v52 offset1:1
	ds_load_2addr_b64 v[56:59], v56 offset1:1
	;; [unrolled: 1-line block ×3, first 2 shown]
	s_add_i32 s14, s6, -13
	s_add_i32 s20, s22, s8
	s_add_i32 s15, s14, s7
	s_waitcnt lgkmcnt(5)
	v_fma_f64 v[34:35], -v[20:21], v[34:35], v[4:5]
	v_fma_f64 v[68:69], -v[20:21], v[32:33], v[30:31]
	s_lshl_b32 s15, s15, 3
	s_add_i32 s27, s14, s9
	v_mov_b32_e32 v30, s15
	s_lshl_b32 s15, s20, 3
	s_add_i32 s20, s3, 0xfffffb50
	s_lshl_b32 s27, s27, 3
	s_add_i32 s26, s19, s13
	ds_load_2addr_b64 v[30:33], v30 offset1:1
	s_add_i32 s28, s14, s13
	s_waitcnt lgkmcnt(5)
	v_fma_f64 v[38:39], -v[2:3], v[38:39], v[66:67]
	s_waitcnt lgkmcnt(4)
	v_fma_f64 v[42:43], -v[6:7], v[42:43], v[72:73]
	v_fma_f64 v[50:51], -v[6:7], v[40:41], v[50:51]
	v_mul_f64 v[4:5], v[70:71], v[74:75]
	s_waitcnt lgkmcnt(0)
	v_fma_f64 v[32:33], -v[20:21], v[32:33], v[10:11]
	v_fma_f64 v[72:73], -v[2:3], v[36:37], v[44:45]
	;; [unrolled: 1-line block ×3, first 2 shown]
	v_mov_b32_e32 v34, s21
	v_fma_f64 v[62:63], -v[22:23], v[62:63], v[68:69]
	s_add_i32 s21, s14, s10
	s_delay_alu instid0(SALU_CYCLE_1) | instskip(NEXT) | instid1(SALU_CYCLE_1)
	s_lshl_b32 s21, s21, 3
	v_mov_b32_e32 v64, s21
	v_fma_f64 v[74:75], -v[0:1], v[58:59], v[38:39]
	v_mov_b32_e32 v38, s15
	s_add_i32 s15, s22, s13
	ds_load_2addr_b64 v[34:37], v34 offset1:1
	ds_load_2addr_b64 v[38:41], v38 offset1:1
	s_lshl_b32 s15, s15, 3
	v_fma_f64 v[54:55], -v[4:5], v[54:55], v[42:43]
	v_mov_b32_e32 v42, s20
	v_fma_f64 v[56:57], -v[0:1], v[56:57], v[72:73]
	v_fma_f64 v[50:51], -v[4:5], v[52:53], v[50:51]
	s_add_i32 s20, s19, s11
	ds_load_b64 v[76:77], v42
	v_mov_b32_e32 v42, s15
	s_add_i32 s15, s7, 0xffffff70
	s_lshl_b32 s20, s20, 3
	s_waitcnt lgkmcnt(2)
	v_fma_f64 v[36:37], -v[2:3], v[36:37], v[70:71]
	s_add_i32 s18, s18, s15
	v_mov_b32_e32 v58, s20
	s_lshl_b32 s18, s18, 3
	ds_load_2addr_b64 v[42:45], v42 offset1:1
	ds_load_2addr_b64 v[58:61], v58 offset1:1
	;; [unrolled: 1-line block ×3, first 2 shown]
	v_mov_b32_e32 v52, s18
	s_add_i32 s20, s3, 0xfffffa88
	v_fma_f64 v[80:81], -v[2:3], v[34:35], v[62:63]
	s_add_i32 s18, s6, -15
	s_add_i32 s23, s22, s15
	s_waitcnt lgkmcnt(4)
	v_fma_f64 v[40:41], -v[6:7], v[40:41], v[74:75]
	ds_load_b64 v[52:53], v52
	s_add_i32 s21, s18, s7
	s_lshl_b32 s23, s23, 3
	s_lshl_b32 s21, s21, 3
	s_add_i32 s29, s18, s9
	s_add_i32 s30, s18, s11
	s_lshl_b32 s29, s29, 3
	s_waitcnt lgkmcnt(1)
	v_fma_f64 v[78:79], -v[22:23], v[66:67], v[32:33]
	v_mov_b32_e32 v32, s27
	v_mul_f64 v[10:11], v[76:77], v[54:55]
	v_mov_b32_e32 v54, s20
	v_fma_f64 v[76:77], -v[20:21], v[30:31], v[28:29]
	v_fma_f64 v[84:85], -v[6:7], v[38:39], v[56:57]
	v_mov_b32_e32 v28, s21
	s_lshl_b32 s21, s25, 3
	ds_load_b64 v[74:75], v54
	ds_load_2addr_b64 v[32:35], v32 offset1:1
	s_add_i32 s20, s7, 0xffffff58
	ds_load_2addr_b64 v[28:31], v28 offset1:1
	v_fma_f64 v[82:83], -v[0:1], v[60:61], v[36:37]
	v_mov_b32_e32 v36, s21
	s_add_i32 s24, s22, s20
	s_add_i32 s21, s14, s11
	s_lshl_b32 s24, s24, 3
	s_lshl_b32 s25, s26, 3
	ds_load_2addr_b64 v[36:39], v36 offset1:1
	s_lshl_b32 s21, s21, 3
	v_mov_b32_e32 v54, s24
	v_fma_f64 v[58:59], -v[0:1], v[58:59], v[80:81]
	v_mov_b32_e32 v60, s25
	v_mov_b32_e32 v66, s21
	v_fma_f64 v[40:41], -v[4:5], v[44:45], v[40:41]
	s_sub_i32 s21, s6, 17
	s_add_i32 s24, s3, 0xfffff8f8
	s_add_i32 s25, s21, s7
	;; [unrolled: 1-line block ×3, first 2 shown]
	s_lshl_b32 s25, s25, 3
	s_add_i32 s26, s19, s20
	s_waitcnt lgkmcnt(1)
	v_fma_f64 v[30:31], -v[20:21], v[30:31], v[8:9]
	s_add_i32 s31, s21, s10
	s_add_i32 s33, s21, s9
	;; [unrolled: 1-line block ×3, first 2 shown]
	s_lshl_b32 s33, s33, 3
	v_fma_f64 v[34:35], -v[2:3], v[34:35], v[78:79]
	v_fma_f64 v[44:45], -v[10:11], v[52:53], v[50:51]
	v_mov_b32_e32 v50, s23
	v_fma_f64 v[64:65], -v[22:23], v[64:65], v[76:77]
	v_fma_f64 v[42:43], -v[4:5], v[42:43], v[84:85]
	s_add_i32 s23, s18, s10
	v_fma_f64 v[76:77], -v[20:21], v[28:29], v[26:27]
	ds_load_2addr_b64 v[50:53], v50 offset1:1
	s_lshl_b32 s23, s23, 3
	v_mov_b32_e32 v26, s25
	v_mov_b32_e32 v70, s23
	s_waitcnt lgkmcnt(1)
	v_fma_f64 v[38:39], -v[6:7], v[38:39], v[82:83]
	ds_load_2addr_b64 v[54:57], v54 offset1:1
	ds_load_2addr_b64 v[60:63], v60 offset1:1
	;; [unrolled: 1-line block ×4, first 2 shown]
	s_add_i32 s23, s7, 0xffffff40
	s_lshl_b32 s25, s27, 3
	s_add_i32 s22, s22, s23
	ds_load_2addr_b64 v[26:29], v26 offset1:1
	s_lshl_b32 s22, s22, 3
	v_fma_f64 v[82:83], -v[6:7], v[36:37], v[58:59]
	s_waitcnt lgkmcnt(5)
	v_fma_f64 v[40:41], -v[10:11], v[52:53], v[40:41]
	v_mov_b32_e32 v52, s24
	s_add_i32 s24, s19, s15
	s_delay_alu instid0(SALU_CYCLE_1) | instskip(SKIP_4) | instid1(SALU_CYCLE_1)
	s_lshl_b32 s24, s24, 3
	s_waitcnt lgkmcnt(1)
	v_fma_f64 v[78:79], -v[22:23], v[72:73], v[30:31]
	v_mov_b32_e32 v30, s29
	s_add_i32 s29, s14, s20
	s_lshl_b32 s29, s29, 3
	v_fma_f64 v[68:69], -v[0:1], v[68:69], v[34:35]
	v_mov_b32_e32 v34, s25
	v_mul_f64 v[8:9], v[74:75], v[44:45]
	s_lshl_b32 s25, s30, 3
	v_fma_f64 v[80:81], -v[2:3], v[32:33], v[64:65]
	ds_load_2addr_b64 v[30:33], v30 offset1:1
	v_fma_f64 v[86:87], -v[10:11], v[50:51], v[42:43]
	v_mov_b32_e32 v42, s22
	ds_load_2addr_b64 v[34:37], v34 offset1:1
	s_waitcnt lgkmcnt(2)
	v_fma_f64 v[28:29], -v[20:21], v[28:29], v[14:15]
	v_fma_f64 v[70:71], -v[22:23], v[70:71], v[76:77]
	s_lshl_b32 s22, s26, 3
	v_fma_f64 v[84:85], -v[4:5], v[62:63], v[38:39]
	v_mov_b32_e32 v38, s24
	ds_load_2addr_b64 v[42:45], v42 offset1:1
	s_lshl_b32 s24, s28, 3
	v_mov_b32_e32 v50, s22
	s_lshl_b32 s26, s31, 3
	v_mov_b32_e32 v62, s25
	v_mov_b32_e32 v72, s26
	s_sub_i32 s22, s6, 19
	v_fma_f64 v[60:61], -v[4:5], v[60:61], v[82:83]
	s_add_i32 s25, s22, s7
	s_add_i32 s26, s19, s23
	;; [unrolled: 1-line block ×4, first 2 shown]
	s_lshl_b32 s25, s25, 3
	s_lshl_b32 s26, s26, 3
	;; [unrolled: 1-line block ×3, first 2 shown]
	s_add_i32 s31, s18, s13
	s_add_i32 s10, s22, s10
	s_delay_alu instid0(SALU_CYCLE_1)
	s_lshl_b32 s10, s10, 3
	s_waitcnt lgkmcnt(2)
	v_fma_f64 v[32:33], -v[2:3], v[32:33], v[78:79]
	v_fma_f64 v[88:89], -v[8:9], v[56:57], v[40:41]
	ds_load_2addr_b64 v[38:41], v38 offset1:1
	v_fma_f64 v[66:67], -v[0:1], v[66:67], v[80:81]
	s_waitcnt lgkmcnt(2)
	v_fma_f64 v[36:37], -v[6:7], v[36:37], v[68:69]
	v_fma_f64 v[54:55], -v[8:9], v[54:55], v[86:87]
	v_mov_b32_e32 v56, s24
	ds_load_b64 v[90:91], v52
	ds_load_2addr_b64 v[50:53], v50 offset1:1
	ds_load_2addr_b64 v[56:59], v56 offset1:1
	;; [unrolled: 1-line block ×4, first 2 shown]
	v_fma_f64 v[80:81], -v[2:3], v[30:31], v[70:71]
	s_add_i32 s24, s7, 0xffffff28
	s_delay_alu instid0(SALU_CYCLE_1) | instskip(NEXT) | instid1(SALU_CYCLE_1)
	s_add_i32 s27, s19, s24
	s_lshl_b32 s27, s27, 3
	s_waitcnt lgkmcnt(5)
	v_fma_f64 v[40:41], -v[10:11], v[40:41], v[84:85]
	s_waitcnt lgkmcnt(0)
	v_fma_f64 v[78:79], -v[22:23], v[74:75], v[28:29]
	v_mov_b32_e32 v28, s33
	v_mov_b32_e32 v74, s10
	v_fma_f64 v[82:83], -v[0:1], v[64:65], v[32:33]
	s_add_i32 s10, s7, 0xffffff10
	ds_load_2addr_b64 v[28:31], v28 offset1:1
	v_mul_f64 v[14:15], v[44:45], v[88:89]
	v_fma_f64 v[44:45], -v[20:21], v[26:27], v[24:25]
	v_fma_f64 v[84:85], -v[6:7], v[34:35], v[66:67]
	;; [unrolled: 1-line block ×4, first 2 shown]
	v_mov_b32_e32 v24, s25
	s_lshl_b32 s25, s30, 3
	v_mov_b32_e32 v36, s28
	v_mov_b32_e32 v32, s25
	v_fma_f64 v[62:63], -v[0:1], v[62:63], v[80:81]
	ds_load_2addr_b64 v[24:27], v24 offset1:1
	s_lshl_b32 s25, s31, 3
	ds_load_2addr_b64 v[36:39], v36 offset1:1
	ds_load_2addr_b64 v[32:35], v32 offset1:1
	v_mov_b32_e32 v58, s29
	v_mov_b32_e32 v64, s25
	s_add_i32 s28, s19, s10
	s_add_i32 s31, s22, s9
	;; [unrolled: 1-line block ×5, first 2 shown]
	v_fma_f64 v[92:93], -v[8:9], v[52:53], v[40:41]
	v_mov_b32_e32 v40, s26
	v_mov_b32_e32 v52, s27
	s_lshl_b32 s26, s34, 3
	s_add_i32 s27, s14, s23
	v_mov_b32_e32 v68, s26
	s_lshl_b32 s11, s28, 3
	s_waitcnt lgkmcnt(3)
	v_fma_f64 v[30:31], -v[2:3], v[30:31], v[78:79]
	s_lshl_b32 s28, s31, 3
	s_waitcnt lgkmcnt(2)
	v_fma_f64 v[26:27], -v[20:21], v[26:27], v[12:13]
	v_fma_f64 v[18:19], -v[20:21], v[24:25], v[18:19]
	s_lshl_b32 s30, s30, 3
	s_waitcnt lgkmcnt(0)
	v_fma_f64 v[34:35], -v[6:7], v[34:35], v[82:83]
	v_mov_b32_e32 v24, s28
	s_lshl_b32 s28, s29, 3
	s_lshl_b32 s27, s27, 3
	s_add_i32 s25, s3, 0xfffff768
	v_fma_f64 v[94:95], -v[14:15], v[42:43], v[54:55]
	ds_load_2addr_b64 v[40:43], v40 offset1:1
	v_fma_f64 v[44:45], -v[22:23], v[72:73], v[44:45]
	v_fma_f64 v[56:57], -v[4:5], v[56:57], v[84:85]
	;; [unrolled: 1-line block ×4, first 2 shown]
	ds_load_2addr_b64 v[52:55], v52 offset1:1
	ds_load_2addr_b64 v[58:61], v58 offset1:1
	;; [unrolled: 1-line block ×5, first 2 shown]
	s_add_i32 s19, s14, s24
	v_mov_b32_e32 v72, s25
	v_fma_f64 v[84:85], -v[6:7], v[32:33], v[62:63]
	v_mov_b32_e32 v32, s28
	s_add_i32 s25, s18, s20
	s_add_i32 s26, s21, s13
	s_lshl_b32 s9, s9, 3
	s_add_i32 s8, s22, s8
	s_delay_alu instid0(SALU_CYCLE_1)
	s_lshl_b32 s8, s8, 3
	s_waitcnt lgkmcnt(5)
	v_fma_f64 v[42:43], -v[14:15], v[42:43], v[92:93]
	s_waitcnt lgkmcnt(1)
	v_fma_f64 v[82:83], -v[0:1], v[70:71], v[30:31]
	s_waitcnt lgkmcnt(0)
	v_fma_f64 v[80:81], -v[22:23], v[76:77], v[26:27]
	ds_load_2addr_b64 v[24:27], v24 offset1:1
	v_fma_f64 v[18:19], -v[22:23], v[74:75], v[18:19]
	v_fma_f64 v[66:67], -v[4:5], v[66:67], v[34:35]
	ds_load_2addr_b64 v[32:35], v32 offset1:1
	v_mov_b32_e32 v76, s9
	s_add_i32 s9, s7, 0xfffffef8
	v_mul_f64 v[12:13], v[90:91], v[94:95]
	v_fma_f64 v[44:45], -v[2:3], v[28:29], v[44:45]
	v_fma_f64 v[86:87], -v[10:11], v[36:37], v[56:57]
	;; [unrolled: 1-line block ×4, first 2 shown]
	v_mov_b32_e32 v28, s30
	v_mov_b32_e32 v36, s27
	;; [unrolled: 1-line block ×3, first 2 shown]
	v_fma_f64 v[64:65], -v[4:5], v[64:65], v[84:85]
	s_lshl_b32 s11, s19, 3
	ds_load_2addr_b64 v[28:31], v28 offset1:1
	ds_load_2addr_b64 v[36:39], v36 offset1:1
	s_lshl_b32 s19, s25, 3
	s_lshl_b32 s25, s26, 3
	v_mov_b32_e32 v60, s19
	v_mov_b32_e32 v70, s25
	s_add_i32 s27, s21, s15
	s_add_i32 s25, s18, s23
	s_lshl_b32 s27, s27, 3
	s_add_i32 s19, s14, s9
	s_add_i32 s26, s18, s24
	;; [unrolled: 1-line block ×3, first 2 shown]
	s_delay_alu instid0(SALU_CYCLE_1)
	s_lshl_b32 s15, s15, 3
	s_waitcnt lgkmcnt(3)
	v_fma_f64 v[80:81], -v[2:3], v[26:27], v[80:81]
	s_waitcnt lgkmcnt(1)
	v_fma_f64 v[30:31], -v[6:7], v[30:31], v[82:83]
	v_fma_f64 v[18:19], -v[2:3], v[24:25], v[18:19]
	;; [unrolled: 1-line block ×3, first 2 shown]
	v_dual_mov_b32 v24, s8 :: v_dual_mov_b32 v25, s27
	s_lshl_b32 s8, s25, 3
	v_fma_f64 v[90:91], -v[12:13], v[54:55], v[42:43]
	ds_load_2addr_b64 v[40:43], v40 offset1:1
	v_fma_f64 v[44:45], -v[0:1], v[68:69], v[44:45]
	v_fma_f64 v[58:59], -v[8:9], v[58:59], v[86:87]
	s_waitcnt lgkmcnt(1)
	v_fma_f64 v[38:39], -v[14:15], v[38:39], v[88:89]
	v_fma_f64 v[50:51], -v[12:13], v[52:53], v[50:51]
	v_mov_b32_e32 v54, s11
	ds_load_b64 v[92:93], v72
	ds_load_2addr_b64 v[54:57], v54 offset1:1
	ds_load_2addr_b64 v[60:63], v60 offset1:1
	;; [unrolled: 1-line block ×4, first 2 shown]
	s_add_i32 s11, s14, s10
	s_delay_alu instid0(SALU_CYCLE_1)
	s_lshl_b32 s11, s11, 3
	s_waitcnt lgkmcnt(0)
	v_fma_f64 v[74:75], -v[0:1], v[78:79], v[80:81]
	v_fma_f64 v[72:73], -v[4:5], v[72:73], v[30:31]
	;; [unrolled: 1-line block ×5, first 2 shown]
	ds_load_2addr_b64 v[32:35], v25 offset1:1
	v_mul_f64 v[26:27], v[42:43], v[90:91]
	v_fma_f64 v[44:45], -v[6:7], v[28:29], v[44:45]
	v_fma_f64 v[82:83], -v[14:15], v[36:37], v[58:59]
	;; [unrolled: 1-line block ×3, first 2 shown]
	v_mov_b32_e32 v36, s8
	ds_load_2addr_b64 v[28:31], v24 offset1:1
	v_mov_b32_e32 v24, s11
	s_add_i32 s8, s21, s20
	s_add_i32 s11, s22, s13
	ds_load_2addr_b64 v[36:39], v36 offset1:1
	s_lshl_b32 s13, s19, 3
	s_lshl_b32 s19, s26, 3
	;; [unrolled: 1-line block ×4, first 2 shown]
	v_dual_mov_b32 v25, s19 :: v_dual_mov_b32 v62, s8
	v_mov_b32_e32 v66, s11
	s_add_i32 s8, s7, 0xfffffee0
	s_add_i32 s19, s21, s23
	;; [unrolled: 1-line block ×3, first 2 shown]
	s_lshl_b32 s19, s19, 3
	s_lshl_b32 s14, s14, 3
	s_add_i32 s11, s3, 0xfffff5d8
	s_waitcnt lgkmcnt(1)
	v_fma_f64 v[30:31], -v[6:7], v[30:31], v[74:75]
	v_fma_f64 v[34:35], -v[10:11], v[34:35], v[72:73]
	;; [unrolled: 1-line block ×4, first 2 shown]
	v_mov_b32_e32 v28, s15
	s_add_i32 s15, s22, s24
	s_delay_alu instid0(SALU_CYCLE_1)
	s_lshl_b32 s15, s15, 3
	v_fma_f64 v[86:87], -v[26:27], v[40:41], v[50:51]
	ds_load_2addr_b64 v[40:43], v24 offset1:1
	v_mov_b32_e32 v24, s13
	v_fma_f64 v[44:45], -v[4:5], v[70:71], v[44:45]
	ds_load_2addr_b64 v[50:53], v24 offset1:1
	ds_load_2addr_b64 v[56:59], v25 offset1:1
	;; [unrolled: 1-line block ×4, first 2 shown]
	s_waitcnt lgkmcnt(5)
	v_fma_f64 v[38:39], -v[14:15], v[38:39], v[80:81]
	v_fma_f64 v[54:55], -v[12:13], v[54:55], v[82:83]
	s_add_i32 s13, s18, s10
	s_delay_alu instid0(SALU_CYCLE_1)
	s_lshl_b32 s13, s13, 3
	s_waitcnt lgkmcnt(4)
	v_fma_f64 v[42:43], -v[26:27], v[42:43], v[84:85]
	s_waitcnt lgkmcnt(0)
	v_fma_f64 v[72:73], -v[4:5], v[68:69], v[30:31]
	v_fma_f64 v[64:65], -v[8:9], v[64:65], v[34:35]
	;; [unrolled: 1-line block ×3, first 2 shown]
	v_mov_b32_e32 v36, s13
	ds_load_2addr_b64 v[28:31], v28 offset1:1
	v_fma_f64 v[18:19], -v[4:5], v[66:67], v[18:19]
	s_add_i32 s13, s21, s24
	s_delay_alu instid0(SALU_CYCLE_1)
	s_lshl_b32 s13, s13, 3
	v_mul_f64 v[24:25], v[92:93], v[86:87]
	v_fma_f64 v[44:45], -v[10:11], v[32:33], v[44:45]
	v_mov_b32_e32 v32, s19
	v_fma_f64 v[76:77], -v[12:13], v[58:59], v[38:39]
	ds_load_2addr_b64 v[32:35], v32 offset1:1
	v_fma_f64 v[78:79], -v[26:27], v[40:41], v[54:55]
	v_mov_b32_e32 v40, s14
	ds_load_2addr_b64 v[36:39], v36 offset1:1
	s_add_i32 s14, s22, s20
	v_mov_b32_e32 v58, s13
	s_lshl_b32 s14, s14, 3
	s_add_i32 s13, s22, s23
	v_mov_b32_e32 v68, s14
	s_add_i32 s14, s21, s10
	s_lshl_b32 s13, s13, 3
	s_lshl_b32 s14, s14, 3
	s_add_i32 s10, s22, s10
	s_delay_alu instid0(SALU_CYCLE_1)
	s_lshl_b32 s10, s10, 3
	s_waitcnt lgkmcnt(2)
	v_fma_f64 v[72:73], -v[10:11], v[30:31], v[72:73]
	s_waitcnt lgkmcnt(1)
	v_fma_f64 v[34:35], -v[14:15], v[34:35], v[64:65]
	v_fma_f64 v[56:57], -v[12:13], v[56:57], v[74:75]
	v_mov_b32_e32 v64, s15
	v_fma_f64 v[18:19], -v[10:11], v[28:29], v[18:19]
	v_dual_mov_b32 v28, s13 :: v_dual_mov_b32 v29, s14
	s_add_i32 s14, s21, s9
	v_fma_f64 v[80:81], -v[24:25], v[52:53], v[42:43]
	ds_load_2addr_b64 v[40:43], v40 offset1:1
	v_mov_b32_e32 v52, s11
	v_fma_f64 v[44:45], -v[8:9], v[62:63], v[44:45]
	s_add_i32 s11, s18, s9
	s_lshl_b32 s14, s14, 3
	s_lshl_b32 s11, s11, 3
	s_add_i32 s9, s22, s9
	s_waitcnt lgkmcnt(1)
	v_fma_f64 v[38:39], -v[26:27], v[38:39], v[76:77]
	v_mov_b32_e32 v53, s11
	v_fma_f64 v[50:51], -v[24:25], v[50:51], v[78:79]
	ds_load_b64 v[82:83], v52
	ds_load_2addr_b64 v[52:55], v53 offset1:1
	ds_load_2addr_b64 v[58:61], v58 offset1:1
	;; [unrolled: 1-line block ×3, first 2 shown]
	s_add_i32 s11, s18, s8
	s_lshl_b32 s9, s9, 3
	s_lshl_b32 s11, s11, 3
	v_fma_f64 v[74:75], -v[26:27], v[36:37], v[56:57]
	s_waitcnt lgkmcnt(0)
	v_fma_f64 v[70:71], -v[8:9], v[70:71], v[72:73]
	v_fma_f64 v[72:73], -v[12:13], v[60:61], v[34:35]
	;; [unrolled: 1-line block ×3, first 2 shown]
	v_mul_f64 v[30:31], v[42:43], v[80:81]
	v_fma_f64 v[44:45], -v[14:15], v[32:33], v[44:45]
	v_fma_f64 v[76:77], -v[24:25], v[54:55], v[38:39]
	ds_load_2addr_b64 v[32:35], v28 offset1:1
	ds_load_2addr_b64 v[36:39], v29 offset1:1
	v_mov_b32_e32 v29, s14
	s_add_i32 s14, s21, s8
	s_add_i32 s8, s22, s8
	s_lshl_b32 s14, s14, 3
	s_lshl_b32 s8, s8, 3
	v_fma_f64 v[52:53], -v[24:25], v[52:53], v[74:75]
	s_waitcnt lgkmcnt(1)
	v_fma_f64 v[34:35], -v[14:15], v[34:35], v[70:71]
	s_waitcnt lgkmcnt(0)
	v_fma_f64 v[38:39], -v[26:27], v[38:39], v[72:73]
	v_fma_f64 v[18:19], -v[14:15], v[32:33], v[18:19]
	v_mov_b32_e32 v32, s10
	v_fma_f64 v[50:51], -v[30:31], v[40:41], v[50:51]
	v_mov_b32_e32 v40, s11
	s_add_i32 s11, s7, 0xfffffec8
	v_fma_f64 v[44:45], -v[12:13], v[58:59], v[44:45]
	s_add_i32 s13, s18, s11
	ds_load_2addr_b64 v[40:43], v40 offset1:1
	s_lshl_b32 s13, s13, 3
	s_delay_alu instid0(SALU_CYCLE_1) | instskip(SKIP_4) | instid1(SALU_CYCLE_1)
	v_mov_b32_e32 v28, s13
	ds_load_2addr_b64 v[54:57], v28 offset1:1
	ds_load_2addr_b64 v[60:63], v29 offset1:1
	;; [unrolled: 1-line block ×3, first 2 shown]
	s_add_i32 s13, s7, 0xfffffeb0
	s_add_i32 s18, s18, s13
	s_delay_alu instid0(SALU_CYCLE_1)
	s_lshl_b32 s10, s18, 3
	s_waitcnt lgkmcnt(3)
	v_fma_f64 v[42:43], -v[30:31], v[42:43], v[76:77]
	v_fma_f64 v[68:69], -v[30:31], v[40:41], v[52:53]
	v_mov_b32_e32 v40, s10
	s_add_i32 s10, s3, 0xfffff448
	s_waitcnt lgkmcnt(0)
	v_fma_f64 v[66:67], -v[12:13], v[66:67], v[34:35]
	v_fma_f64 v[62:63], -v[24:25], v[62:63], v[38:39]
	;; [unrolled: 1-line block ×3, first 2 shown]
	v_mul_f64 v[28:29], v[82:83], v[50:51]
	v_mov_b32_e32 v50, s10
	s_add_i32 s10, s21, s11
	v_fma_f64 v[44:45], -v[26:27], v[36:37], v[44:45]
	v_mov_b32_e32 v36, s14
	s_lshl_b32 s10, s10, 3
	s_delay_alu instid0(SALU_CYCLE_1) | instskip(SKIP_1) | instid1(SALU_CYCLE_1)
	v_mov_b32_e32 v51, s10
	s_add_i32 s10, s22, s11
	s_lshl_b32 s10, s10, 3
	v_fma_f64 v[70:71], -v[28:29], v[56:57], v[42:43]
	ds_load_2addr_b64 v[32:35], v32 offset1:1
	ds_load_2addr_b64 v[36:39], v36 offset1:1
	;; [unrolled: 1-line block ×3, first 2 shown]
	v_fma_f64 v[54:55], -v[28:29], v[54:55], v[68:69]
	v_fma_f64 v[44:45], -v[24:25], v[60:61], v[44:45]
	v_mov_b32_e32 v56, s9
	ds_load_b64 v[72:73], v50
	ds_load_2addr_b64 v[50:53], v51 offset1:1
	ds_load_2addr_b64 v[56:59], v56 offset1:1
	s_add_i32 s9, s21, s13
	s_delay_alu instid0(SALU_CYCLE_1)
	s_lshl_b32 s9, s9, 3
	s_waitcnt lgkmcnt(5)
	v_fma_f64 v[66:67], -v[26:27], v[34:35], v[66:67]
	s_waitcnt lgkmcnt(4)
	v_fma_f64 v[38:39], -v[30:31], v[38:39], v[62:63]
	v_fma_f64 v[18:19], -v[26:27], v[32:33], v[18:19]
	v_dual_mov_b32 v32, s8 :: v_dual_mov_b32 v33, s9
	s_add_i32 s8, s7, 0xfffffe98
	s_addk_i32 s7, 0xfe80
	s_add_i32 s9, s21, s8
	s_add_i32 s21, s21, s7
	s_lshl_b32 s9, s9, 3
	s_add_i32 s8, s22, s8
	s_delay_alu instid0(SALU_CYCLE_1)
	s_lshl_b32 s8, s8, 3
	s_waitcnt lgkmcnt(3)
	v_mul_f64 v[34:35], v[42:43], v[70:71]
	v_fma_f64 v[44:45], -v[30:31], v[36:37], v[44:45]
	s_waitcnt lgkmcnt(0)
	v_fma_f64 v[62:63], -v[24:25], v[58:59], v[66:67]
	v_fma_f64 v[64:65], -v[28:29], v[52:53], v[38:39]
	;; [unrolled: 1-line block ×4, first 2 shown]
	ds_load_2addr_b64 v[36:39], v32 offset1:1
	ds_load_2addr_b64 v[40:43], v33 offset1:1
	v_dual_mov_b32 v32, s9 :: v_dual_mov_b32 v33, s10
	ds_load_2addr_b64 v[52:55], v32 offset1:1
	ds_load_2addr_b64 v[58:61], v33 offset1:1
	v_fma_f64 v[44:45], -v[28:29], v[50:51], v[44:45]
	s_add_i32 s9, s22, s13
	s_lshl_b32 s10, s21, 3
	s_lshl_b32 s9, s9, 3
	s_add_i32 s22, s22, s7
	s_delay_alu instid0(SALU_CYCLE_1)
	s_lshl_b32 s7, s22, 3
	s_waitcnt lgkmcnt(3)
	v_fma_f64 v[38:39], -v[30:31], v[38:39], v[62:63]
	s_waitcnt lgkmcnt(2)
	v_fma_f64 v[42:43], -v[34:35], v[42:43], v[64:65]
	v_fma_f64 v[18:19], -v[30:31], v[36:37], v[18:19]
	v_mov_b32_e32 v36, s9
	s_add_i32 s9, s3, 0xfffff2b8
	s_addk_i32 s3, 0xf128
	v_mul_f64 v[32:33], v[72:73], v[66:67]
	v_fma_f64 v[44:45], -v[34:35], v[40:41], v[44:45]
	v_mov_b32_e32 v40, s10
	s_waitcnt lgkmcnt(0)
	v_fma_f64 v[50:51], -v[28:29], v[60:61], v[38:39]
	v_fma_f64 v[18:19], -v[28:29], v[58:59], v[18:19]
	v_fma_f64 v[60:61], -v[32:33], v[54:55], v[42:43]
	ds_load_2addr_b64 v[36:39], v36 offset1:1
	ds_load_2addr_b64 v[40:43], v40 offset1:1
	v_dual_mov_b32 v54, s9 :: v_dual_mov_b32 v55, s8
	ds_load_b64 v[62:63], v54
	ds_load_2addr_b64 v[54:57], v55 offset1:1
	v_fma_f64 v[44:45], -v[32:33], v[52:53], v[44:45]
	s_add_i32 s8, s7, 0xffffff40
	s_waitcnt lgkmcnt(3)
	v_fma_f64 v[50:51], -v[34:35], v[38:39], v[50:51]
	v_fma_f64 v[18:19], -v[34:35], v[36:37], v[18:19]
	v_mov_b32_e32 v36, s7
	s_addk_i32 s7, 0xfe80
	s_waitcnt lgkmcnt(2)
	v_mul_f64 v[38:39], v[42:43], v[60:61]
	s_waitcnt lgkmcnt(0)
	s_delay_alu instid0(VALU_DEP_4) | instskip(NEXT) | instid1(VALU_DEP_4)
	v_fma_f64 v[56:57], -v[32:33], v[56:57], v[50:51]
	v_fma_f64 v[18:19], -v[32:33], v[54:55], v[18:19]
	s_delay_alu instid0(VALU_DEP_3)
	v_fma_f64 v[44:45], -v[38:39], v[40:41], v[44:45]
	ds_load_2addr_b64 v[40:43], v36 offset1:1
	v_mov_b32_e32 v36, s8
	ds_load_2addr_b64 v[50:53], v36 offset1:1
	s_waitcnt lgkmcnt(1)
	v_fma_f64 v[42:43], -v[38:39], v[42:43], v[56:57]
	v_fma_f64 v[18:19], -v[38:39], v[40:41], v[18:19]
	v_mov_b32_e32 v40, s7
	s_ashr_i32 s7, s6, 31
	s_delay_alu instid0(SALU_CYCLE_1) | instskip(SKIP_3) | instid1(VALU_DEP_1)
	s_lshl_b64 s[8:9], s[6:7], 3
	s_sub_i32 s6, s6, 20
	v_mul_f64 v[36:37], v[62:63], v[44:45]
	s_waitcnt lgkmcnt(0)
	v_fma_f64 v[44:45], -v[36:37], v[52:53], v[42:43]
	ds_load_2addr_b64 v[40:43], v40 offset1:1
	v_mov_b32_e32 v52, s3
	v_fma_f64 v[18:19], -v[36:37], v[50:51], v[18:19]
	ds_load_b64 v[52:53], v52
	s_waitcnt lgkmcnt(1)
	v_mul_f64 v[42:43], v[42:43], v[44:45]
	s_delay_alu instid0(VALU_DEP_1) | instskip(SKIP_1) | instid1(VALU_DEP_1)
	v_fma_f64 v[18:19], -v[42:43], v[40:41], v[18:19]
	s_waitcnt lgkmcnt(0)
	v_mul_f64 v[40:41], v[52:53], v[18:19]
	v_add_co_u32 v18, vcc_lo, v46, s8
	v_add_co_ci_u32_e32 v19, vcc_lo, s9, v47, vcc_lo
	s_clause 0xa
	global_store_b64 v[18:19], v[22:23], off offset:-8
	global_store_b128 v[18:19], v[0:3], off offset:-24
	global_store_b128 v[18:19], v[4:7], off offset:-40
	;; [unrolled: 1-line block ×8, first 2 shown]
	global_store_b64 v[16:17], v[20:21], off
	global_store_b128 v[18:19], v[40:43], off offset:-152
.LBB93_41:
	s_cmp_lt_i32 s6, 0
	s_cbranch_scc1 .LBB93_54
; %bb.42:
	s_bitcmp1_b32 s6, 0
	s_mov_b32 s8, s6
	s_cselect_b32 s3, -1, 0
	s_delay_alu instid0(SALU_CYCLE_1)
	s_and_b32 vcc_lo, exec_lo, s3
	s_cbranch_vccnz .LBB93_47
; %bb.43:
	s_mov_b32 s7, 0
	s_delay_alu instid0(SALU_CYCLE_1)
	s_lshl_b64 s[8:9], s[6:7], 3
	s_cmp_le_i32 s12, s6
	v_add_co_u32 v0, vcc_lo, v46, s8
	v_add_co_ci_u32_e32 v1, vcc_lo, s9, v47, vcc_lo
	global_load_b64 v[2:3], v[0:1], off
	s_waitcnt vmcnt(0)
	v_mul_f64 v[2:3], v[2:3], s[4:5]
	s_cbranch_scc1 .LBB93_46
; %bb.44:
	s_mul_i32 s3, s2, 0xc0
	s_lshl_b32 s7, s6, 3
	s_ashr_i32 s13, s12, 31
	s_add_i32 s3, s3, s7
	s_lshl_b64 s[8:9], s[12:13], 3
	s_addk_i32 s3, 0xff40
	s_add_u32 s7, s16, s8
	s_addc_u32 s8, s17, s9
	s_add_u32 s7, s7, s0
	s_addc_u32 s8, s8, s1
	v_add_co_u32 v4, vcc_lo, s7, v48
	v_add_co_ci_u32_e32 v5, vcc_lo, s8, v49, vcc_lo
	s_mov_b32 s7, s12
.LBB93_45:                              ; =>This Inner Loop Header: Depth=1
	global_load_b64 v[6:7], v[4:5], off
	v_mov_b32_e32 v8, s3
	v_add_co_u32 v4, vcc_lo, v4, -8
	v_add_co_ci_u32_e32 v5, vcc_lo, -1, v5, vcc_lo
	ds_load_b64 v[8:9], v8
	s_add_i32 s7, s7, -1
	s_addk_i32 s3, 0xff40
	s_cmp_gt_i32 s7, s6
	s_waitcnt vmcnt(0) lgkmcnt(0)
	v_fma_f64 v[2:3], -v[6:7], v[8:9], v[2:3]
	s_cbranch_scc1 .LBB93_45
.LBB93_46:
	s_mul_i32 s3, s6, 0xc8
	s_add_i32 s8, s6, -1
	v_mov_b32_e32 v4, s3
	ds_load_b64 v[4:5], v4
	s_waitcnt lgkmcnt(0)
	v_mul_f64 v[2:3], v[4:5], v[2:3]
	global_store_b64 v[0:1], v[2:3], off
.LBB93_47:
	s_cmp_eq_u32 s6, 0
	s_mov_b32 s9, 0
	s_cbranch_scc1 .LBB93_54
; %bb.48:
	s_mul_i32 s3, s2, 0xc0
	s_lshl_b32 s6, s8, 3
	s_ashr_i32 s13, s12, 31
	s_add_i32 s10, s3, s6
	s_lshl_b64 s[6:7], s[12:13], 3
	s_add_i32 s3, s10, 0xffffff40
	s_add_u32 s6, s16, s6
	s_addc_u32 s7, s17, s7
	s_add_u32 s0, s6, s0
	s_addc_u32 s1, s7, s1
	v_add_co_u32 v0, vcc_lo, s0, v48
	v_add_co_ci_u32_e32 v1, vcc_lo, s1, v49, vcc_lo
	s_add_i32 s0, s10, 0xffffff38
	s_branch .LBB93_50
.LBB93_49:                              ;   in Loop: Header=BB93_50 Depth=1
	s_addk_i32 s1, 0xff38
	s_add_i32 s3, s3, -16
	v_mov_b32_e32 v6, s1
	s_add_i32 s1, s8, -2
	s_add_i32 s0, s0, -16
	s_cmp_lt_i32 s8, 2
	s_mov_b32 s8, s1
	ds_load_b64 v[6:7], v6
	s_waitcnt lgkmcnt(0)
	v_mul_f64 v[4:5], v[6:7], v[4:5]
	global_store_b64 v[2:3], v[4:5], off offset:-8
	s_cbranch_scc1 .LBB93_54
.LBB93_50:                              ; =>This Loop Header: Depth=1
                                        ;     Child Loop BB93_51 Depth 2
                                        ;     Child Loop BB93_53 Depth 2
	s_lshl_b64 s[6:7], s[8:9], 3
	s_delay_alu instid0(VALU_DEP_1)
	v_dual_mov_b32 v5, v1 :: v_dual_mov_b32 v4, v0
	v_add_co_u32 v2, vcc_lo, v46, s6
	v_add_co_ci_u32_e32 v3, vcc_lo, s7, v47, vcc_lo
	s_cmp_le_i32 s12, s8
	s_mov_b32 s1, s3
	s_mov_b32 s6, s12
	global_load_b64 v[2:3], v[2:3], off
	s_waitcnt vmcnt(0)
	v_mul_f64 v[2:3], v[2:3], s[4:5]
	s_cbranch_scc1 .LBB93_52
.LBB93_51:                              ;   Parent Loop BB93_50 Depth=1
                                        ; =>  This Inner Loop Header: Depth=2
	global_load_b64 v[6:7], v[4:5], off
	v_mov_b32_e32 v8, s1
	v_add_co_u32 v4, vcc_lo, v4, -8
	v_add_co_ci_u32_e32 v5, vcc_lo, -1, v5, vcc_lo
	ds_load_b64 v[8:9], v8
	s_add_i32 s6, s6, -1
	s_addk_i32 s1, 0xff40
	s_cmp_gt_i32 s6, s8
	s_waitcnt vmcnt(0) lgkmcnt(0)
	v_fma_f64 v[2:3], -v[6:7], v[8:9], v[2:3]
	s_cbranch_scc1 .LBB93_51
.LBB93_52:                              ;   in Loop: Header=BB93_50 Depth=1
	s_add_i32 s6, s8, -1
	s_mov_b32 s7, s9
	s_mul_i32 s1, s8, 0xc8
	s_lshl_b64 s[6:7], s[6:7], 3
	v_mov_b32_e32 v6, s1
	v_add_co_u32 v4, vcc_lo, v46, s6
	v_add_co_ci_u32_e32 v5, vcc_lo, s7, v47, vcc_lo
	ds_load_b64 v[6:7], v6
	s_ashr_i32 s7, s8, 31
	s_mov_b32 s6, s8
	global_load_b64 v[4:5], v[4:5], off
	s_lshl_b64 s[6:7], s[6:7], 3
	s_cmp_lt_i32 s12, s8
	s_waitcnt lgkmcnt(0)
	v_mul_f64 v[8:9], v[6:7], v[2:3]
	v_add_co_u32 v2, vcc_lo, v46, s6
	v_add_co_ci_u32_e32 v3, vcc_lo, s7, v47, vcc_lo
	v_dual_mov_b32 v7, v1 :: v_dual_mov_b32 v6, v0
	s_mov_b32 s6, s0
	s_mov_b32 s7, s2
	global_store_b64 v[2:3], v[8:9], off
	s_waitcnt vmcnt(0)
	v_mul_f64 v[4:5], v[4:5], s[4:5]
	s_cbranch_scc1 .LBB93_49
.LBB93_53:                              ;   Parent Loop BB93_50 Depth=1
                                        ; =>  This Inner Loop Header: Depth=2
	global_load_b64 v[8:9], v[6:7], off
	v_mov_b32_e32 v10, s6
	v_add_co_u32 v6, vcc_lo, v6, -8
	v_add_co_ci_u32_e32 v7, vcc_lo, -1, v7, vcc_lo
	ds_load_b64 v[10:11], v10
	s_add_i32 s7, s7, -1
	s_addk_i32 s6, 0xff40
	s_cmp_gt_i32 s7, s8
	s_waitcnt vmcnt(0) lgkmcnt(0)
	v_fma_f64 v[4:5], -v[8:9], v[10:11], v[4:5]
	s_cbranch_scc1 .LBB93_53
	s_branch .LBB93_49
.LBB93_54:
	s_nop 0
	s_sendmsg sendmsg(MSG_DEALLOC_VGPRS)
	s_endpgm
	.section	.rodata,"a",@progbits
	.p2align	6, 0x0
	.amdhsa_kernel _ZL30rocblas_trsm_small_left_deviceILi24ELi24ELb0EddPKPKdPKPdEv13rocblas_fill_18rocblas_operation_17rocblas_diagonal_iiT3_T4_lilT5_lili
		.amdhsa_group_segment_fixed_size 4608
		.amdhsa_private_segment_fixed_size 0
		.amdhsa_kernarg_size 360
		.amdhsa_user_sgpr_count 14
		.amdhsa_user_sgpr_dispatch_ptr 0
		.amdhsa_user_sgpr_queue_ptr 0
		.amdhsa_user_sgpr_kernarg_segment_ptr 1
		.amdhsa_user_sgpr_dispatch_id 0
		.amdhsa_user_sgpr_private_segment_size 0
		.amdhsa_wavefront_size32 1
		.amdhsa_uses_dynamic_stack 0
		.amdhsa_enable_private_segment 0
		.amdhsa_system_sgpr_workgroup_id_x 1
		.amdhsa_system_sgpr_workgroup_id_y 0
		.amdhsa_system_sgpr_workgroup_id_z 1
		.amdhsa_system_sgpr_workgroup_info 0
		.amdhsa_system_vgpr_workitem_id 0
		.amdhsa_next_free_vgpr 128
		.amdhsa_next_free_sgpr 35
		.amdhsa_reserve_vcc 1
		.amdhsa_float_round_mode_32 0
		.amdhsa_float_round_mode_16_64 0
		.amdhsa_float_denorm_mode_32 3
		.amdhsa_float_denorm_mode_16_64 3
		.amdhsa_dx10_clamp 1
		.amdhsa_ieee_mode 1
		.amdhsa_fp16_overflow 0
		.amdhsa_workgroup_processor_mode 1
		.amdhsa_memory_ordered 1
		.amdhsa_forward_progress 0
		.amdhsa_shared_vgpr_count 0
		.amdhsa_exception_fp_ieee_invalid_op 0
		.amdhsa_exception_fp_denorm_src 0
		.amdhsa_exception_fp_ieee_div_zero 0
		.amdhsa_exception_fp_ieee_overflow 0
		.amdhsa_exception_fp_ieee_underflow 0
		.amdhsa_exception_fp_ieee_inexact 0
		.amdhsa_exception_int_div_zero 0
	.end_amdhsa_kernel
	.section	.text._ZL30rocblas_trsm_small_left_deviceILi24ELi24ELb0EddPKPKdPKPdEv13rocblas_fill_18rocblas_operation_17rocblas_diagonal_iiT3_T4_lilT5_lili,"axG",@progbits,_ZL30rocblas_trsm_small_left_deviceILi24ELi24ELb0EddPKPKdPKPdEv13rocblas_fill_18rocblas_operation_17rocblas_diagonal_iiT3_T4_lilT5_lili,comdat
.Lfunc_end93:
	.size	_ZL30rocblas_trsm_small_left_deviceILi24ELi24ELb0EddPKPKdPKPdEv13rocblas_fill_18rocblas_operation_17rocblas_diagonal_iiT3_T4_lilT5_lili, .Lfunc_end93-_ZL30rocblas_trsm_small_left_deviceILi24ELi24ELb0EddPKPKdPKPdEv13rocblas_fill_18rocblas_operation_17rocblas_diagonal_iiT3_T4_lilT5_lili
                                        ; -- End function
	.section	.AMDGPU.csdata,"",@progbits
; Kernel info:
; codeLenInByte = 22172
; NumSgprs: 37
; NumVgprs: 128
; ScratchSize: 0
; MemoryBound: 1
; FloatMode: 240
; IeeeMode: 1
; LDSByteSize: 4608 bytes/workgroup (compile time only)
; SGPRBlocks: 4
; VGPRBlocks: 15
; NumSGPRsForWavesPerEU: 37
; NumVGPRsForWavesPerEU: 128
; Occupancy: 7
; WaveLimiterHint : 1
; COMPUTE_PGM_RSRC2:SCRATCH_EN: 0
; COMPUTE_PGM_RSRC2:USER_SGPR: 14
; COMPUTE_PGM_RSRC2:TRAP_HANDLER: 0
; COMPUTE_PGM_RSRC2:TGID_X_EN: 1
; COMPUTE_PGM_RSRC2:TGID_Y_EN: 0
; COMPUTE_PGM_RSRC2:TGID_Z_EN: 1
; COMPUTE_PGM_RSRC2:TIDIG_COMP_CNT: 0
	.section	.text._ZL38rocblas_trsm_small_left_device_sharedBILi24ELi24ELb1EddPKPKdPKPdEv13rocblas_fill_18rocblas_operation_17rocblas_diagonal_iiT3_T4_lilT5_lili,"axG",@progbits,_ZL38rocblas_trsm_small_left_device_sharedBILi24ELi24ELb1EddPKPKdPKPdEv13rocblas_fill_18rocblas_operation_17rocblas_diagonal_iiT3_T4_lilT5_lili,comdat
	.globl	_ZL38rocblas_trsm_small_left_device_sharedBILi24ELi24ELb1EddPKPKdPKPdEv13rocblas_fill_18rocblas_operation_17rocblas_diagonal_iiT3_T4_lilT5_lili ; -- Begin function _ZL38rocblas_trsm_small_left_device_sharedBILi24ELi24ELb1EddPKPKdPKPdEv13rocblas_fill_18rocblas_operation_17rocblas_diagonal_iiT3_T4_lilT5_lili
	.p2align	8
	.type	_ZL38rocblas_trsm_small_left_device_sharedBILi24ELi24ELb1EddPKPKdPKPdEv13rocblas_fill_18rocblas_operation_17rocblas_diagonal_iiT3_T4_lilT5_lili,@function
_ZL38rocblas_trsm_small_left_device_sharedBILi24ELi24ELb1EddPKPKdPKPdEv13rocblas_fill_18rocblas_operation_17rocblas_diagonal_iiT3_T4_lilT5_lili: ; @_ZL38rocblas_trsm_small_left_device_sharedBILi24ELi24ELb1EddPKPKdPKPdEv13rocblas_fill_18rocblas_operation_17rocblas_diagonal_iiT3_T4_lilT5_lili
; %bb.0:
	s_load_b128 s[16:19], s[0:1], 0x40
	s_mov_b32 s20, s15
	s_mov_b32 s21, 0
	s_clause 0x1
	s_load_b128 s[4:7], s[0:1], 0x4
	s_load_b64 s[12:13], s[0:1], 0x28
	s_lshl_b64 s[22:23], s[20:21], 3
	s_mov_b32 s15, exec_lo
	s_waitcnt lgkmcnt(0)
	s_add_u32 s2, s16, s22
	s_addc_u32 s3, s17, s23
	s_load_b128 s[8:11], s[0:1], 0x18
	s_load_b64 s[2:3], s[2:3], 0x0
	s_min_i32 s20, s6, 24
	s_delay_alu instid0(SALU_CYCLE_1)
	s_add_i32 s28, s20, -1
	v_cmpx_gt_i32_e64 s20, v0
	s_cbranch_execz .LBB94_10
; %bb.1:
	s_load_b32 s16, s[0:1], 0x30
	s_waitcnt lgkmcnt(0)
	s_ashr_i32 s17, s16, 31
	s_add_u32 s10, s10, s22
	s_addc_u32 s11, s11, s23
	s_cmp_lt_u32 s28, 3
	s_load_b64 s[10:11], s[10:11], 0x0
	s_cbranch_scc1 .LBB94_4
; %bb.2:
	v_lshlrev_b32_e32 v3, 3, v0
	s_lshl_b64 s[22:23], s[12:13], 3
	s_mul_hi_i32 s29, s16, 24
	s_waitcnt lgkmcnt(0)
	s_add_u32 s21, s10, s22
	s_addc_u32 s22, s11, s23
	v_add_co_u32 v1, s21, s21, v3
	s_delay_alu instid0(VALU_DEP_1)
	v_add_co_ci_u32_e64 v2, null, s22, 0, s21
	s_and_b32 s21, s20, -4
	s_mul_i32 s30, s16, 24
	s_lshl_b64 s[22:23], s[16:17], 5
	s_lshl_b64 s[24:25], s[16:17], 4
	;; [unrolled: 1-line block ×3, first 2 shown]
	s_mov_b32 s31, 0
	.p2align	6
.LBB94_3:                               ; =>This Inner Loop Header: Depth=1
	v_add_co_u32 v4, vcc_lo, v1, s26
	v_add_co_ci_u32_e32 v5, vcc_lo, s27, v2, vcc_lo
	v_add_co_u32 v6, vcc_lo, v1, s24
	v_add_co_ci_u32_e32 v7, vcc_lo, s25, v2, vcc_lo
	;; [unrolled: 2-line block ×3, first 2 shown]
	s_clause 0x3
	global_load_b64 v[10:11], v[1:2], off
	global_load_b64 v[4:5], v[4:5], off
	;; [unrolled: 1-line block ×4, first 2 shown]
	v_add_co_u32 v1, vcc_lo, v1, s22
	v_add_co_ci_u32_e32 v2, vcc_lo, s23, v2, vcc_lo
	s_add_i32 s31, s31, 4
	s_waitcnt vmcnt(2)
	ds_store_2addr_b64 v3, v[10:11], v[4:5] offset1:24
	s_waitcnt vmcnt(0)
	ds_store_2addr_b64 v3, v[6:7], v[8:9] offset0:48 offset1:72
	v_add_nc_u32_e32 v3, 0x300, v3
	s_cmp_eq_u32 s21, s31
	s_cbranch_scc0 .LBB94_3
.LBB94_4:
	s_and_b32 s22, s20, 3
	s_delay_alu instid0(SALU_CYCLE_1)
	s_cmp_eq_u32 s22, 0
	s_cbranch_scc1 .LBB94_7
; %bb.5:
	s_mul_i32 s23, s17, s21
	s_mul_hi_u32 s24, s16, s21
	s_lshl_b64 s[12:13], s[12:13], 3
	s_add_i32 s25, s24, s23
	s_mul_i32 s24, s16, s21
	v_lshlrev_b32_e32 v1, 3, v0
	s_lshl_b64 s[24:25], s[24:25], 3
	s_mulk_i32 s21, 0xc0
	s_add_u32 s12, s24, s12
	s_addc_u32 s13, s25, s13
	s_waitcnt lgkmcnt(0)
	s_add_u32 s10, s10, s12
	s_addc_u32 s11, s11, s13
	v_add_co_u32 v1, s10, s10, v1
	v_lshl_add_u32 v3, v0, 3, s21
	v_add_co_ci_u32_e64 v2, null, s11, 0, s10
	s_lshl_b64 s[10:11], s[16:17], 3
.LBB94_6:                               ; =>This Inner Loop Header: Depth=1
	global_load_b64 v[4:5], v[1:2], off
	v_add_co_u32 v1, vcc_lo, v1, s10
	v_add_co_ci_u32_e32 v2, vcc_lo, s11, v2, vcc_lo
	s_add_i32 s22, s22, -1
	s_delay_alu instid0(SALU_CYCLE_1)
	s_cmp_lg_u32 s22, 0
	s_waitcnt vmcnt(0)
	ds_store_b64 v3, v[4:5]
	v_add_nc_u32_e32 v3, 0xc0, v3
	s_cbranch_scc1 .LBB94_6
.LBB94_7:
	v_mul_u32_u24_e32 v3, 25, v0
	v_mov_b32_e32 v1, 0
	v_mov_b32_e32 v2, 0x3ff00000
	s_cmpk_lg_i32 s5, 0x84
	s_delay_alu instid0(VALU_DEP_3)
	v_lshlrev_b32_e32 v3, 3, v3
	s_cbranch_scc0 .LBB94_9
; %bb.8:
	ds_load_b64 v[1:2], v3
	s_waitcnt lgkmcnt(0)
	v_div_scale_f64 v[4:5], null, v[1:2], v[1:2], 1.0
	s_delay_alu instid0(VALU_DEP_1) | instskip(SKIP_2) | instid1(VALU_DEP_1)
	v_rcp_f64_e32 v[6:7], v[4:5]
	s_waitcnt_depctr 0xfff
	v_fma_f64 v[8:9], -v[4:5], v[6:7], 1.0
	v_fma_f64 v[6:7], v[6:7], v[8:9], v[6:7]
	s_delay_alu instid0(VALU_DEP_1) | instskip(NEXT) | instid1(VALU_DEP_1)
	v_fma_f64 v[8:9], -v[4:5], v[6:7], 1.0
	v_fma_f64 v[6:7], v[6:7], v[8:9], v[6:7]
	v_div_scale_f64 v[8:9], vcc_lo, 1.0, v[1:2], 1.0
	s_delay_alu instid0(VALU_DEP_1) | instskip(NEXT) | instid1(VALU_DEP_1)
	v_mul_f64 v[10:11], v[8:9], v[6:7]
	v_fma_f64 v[4:5], -v[4:5], v[10:11], v[8:9]
	s_delay_alu instid0(VALU_DEP_1) | instskip(NEXT) | instid1(VALU_DEP_1)
	v_div_fmas_f64 v[4:5], v[4:5], v[6:7], v[10:11]
	v_div_fixup_f64 v[1:2], v[4:5], v[1:2], 1.0
.LBB94_9:
	ds_store_b64 v3, v[1:2]
.LBB94_10:
	s_or_b32 exec_lo, exec_lo, s15
	s_clause 0x1
	s_load_b32 s5, s[0:1], 0x68
	s_load_b32 s16, s[0:1], 0x50
	s_lshl_b64 s[0:1], s[18:19], 3
	s_waitcnt lgkmcnt(0)
	s_mul_i32 s11, s14, 0xffffffe8
	s_mul_i32 s10, s14, 24
	s_ashr_i32 s17, s16, 31
	s_add_u32 s15, s2, s0
	s_addc_u32 s18, s3, s1
	s_add_i32 s5, s5, -1
	s_add_i32 s11, s11, s7
	s_mul_hi_i32 s13, s16, s10
	s_cmp_ge_u32 s14, s5
	s_mul_i32 s12, s16, s10
	s_cselect_b32 s14, s11, 24
	s_lshl_b64 s[12:13], s[12:13], 3
	s_ashr_i32 s11, s10, 31
	s_add_u32 s5, s15, s12
	s_addc_u32 s7, s18, s13
	v_cmp_gt_i32_e32 vcc_lo, s14, v0
	s_cmp_gt_i32 s6, 0
	s_mov_b32 s12, 0
	s_cselect_b32 s13, -1, 0
	s_delay_alu instid0(SALU_CYCLE_1) | instskip(NEXT) | instid1(SALU_CYCLE_1)
	s_and_b32 s18, vcc_lo, s13
	s_and_saveexec_b32 s19, s18
	s_cbranch_execz .LBB94_17
; %bb.11:
	s_cmp_lt_i32 s6, 8
	s_cbranch_scc1 .LBB94_14
; %bb.12:
	v_mad_i64_i32 v[1:2], null, s16, v0, 0
	v_lshl_or_b32 v3, v0, 3, 0x1200
	s_lshl_b32 s12, s20, 3
	s_mov_b64 s[14:15], 0
	s_and_b32 s13, s12, 0xc0
	s_mov_b32 s12, 0
	s_delay_alu instid0(VALU_DEP_2) | instskip(NEXT) | instid1(VALU_DEP_1)
	v_lshlrev_b64 v[1:2], 3, v[1:2]
	v_add_co_u32 v1, vcc_lo, s5, v1
	s_delay_alu instid0(VALU_DEP_2)
	v_add_co_ci_u32_e32 v2, vcc_lo, s7, v2, vcc_lo
	s_set_inst_prefetch_distance 0x1
	.p2align	6
.LBB94_13:                              ; =>This Inner Loop Header: Depth=1
	s_delay_alu instid0(VALU_DEP_2) | instskip(NEXT) | instid1(VALU_DEP_2)
	v_add_co_u32 v16, vcc_lo, v1, s14
	v_add_co_ci_u32_e32 v17, vcc_lo, s15, v2, vcc_lo
	s_add_i32 s12, s12, 8
	s_add_u32 s14, s14, 64
	s_addc_u32 s15, s15, 0
	s_clause 0x3
	global_load_b128 v[4:7], v[16:17], off
	global_load_b128 v[8:11], v[16:17], off offset:16
	global_load_b128 v[12:15], v[16:17], off offset:32
	;; [unrolled: 1-line block ×3, first 2 shown]
	s_cmp_lg_u32 s13, s14
	s_waitcnt vmcnt(3)
	v_mul_f64 v[4:5], v[4:5], s[8:9]
	v_mul_f64 v[6:7], v[6:7], s[8:9]
	s_waitcnt vmcnt(2)
	v_mul_f64 v[8:9], v[8:9], s[8:9]
	v_mul_f64 v[10:11], v[10:11], s[8:9]
	;; [unrolled: 3-line block ×4, first 2 shown]
	ds_store_2addr_b64 v3, v[4:5], v[6:7] offset1:24
	ds_store_2addr_b64 v3, v[8:9], v[10:11] offset0:48 offset1:72
	ds_store_2addr_b64 v3, v[12:13], v[14:15] offset0:96 offset1:120
	;; [unrolled: 1-line block ×3, first 2 shown]
	v_add_nc_u32_e32 v3, 0x600, v3
	s_cbranch_scc1 .LBB94_13
.LBB94_14:
	s_set_inst_prefetch_distance 0x2
	s_and_b32 s14, s20, 7
	s_mov_b32 s13, 0
	s_cmp_eq_u32 s14, 0
	s_cbranch_scc1 .LBB94_17
; %bb.15:
	v_lshlrev_b32_e32 v3, 3, v0
	s_lshl_b64 s[22:23], s[10:11], 3
	s_lshl_b64 s[24:25], s[12:13], 3
	s_mulk_i32 s12, 0xc0
	s_delay_alu instid0(VALU_DEP_1) | instskip(NEXT) | instid1(VALU_DEP_1)
	v_add_co_u32 v4, s13, s22, v3
	v_add_co_ci_u32_e64 v5, null, s23, 0, s13
	s_add_u32 s13, s2, s24
	s_addc_u32 s15, s3, s25
	s_add_u32 s22, s13, s0
	s_addc_u32 s23, s15, s1
	v_mul_lo_u32 v5, v5, s16
	v_mad_u64_u32 v[1:2], null, v4, s16, s[22:23]
	v_mul_lo_u32 v4, v4, s17
	v_add3_u32 v3, s12, v3, 0x1200
	s_delay_alu instid0(VALU_DEP_2)
	v_add3_u32 v2, v5, v2, v4
.LBB94_16:                              ; =>This Inner Loop Header: Depth=1
	global_load_b64 v[4:5], v[1:2], off
	v_add_co_u32 v1, vcc_lo, v1, 8
	v_add_co_ci_u32_e32 v2, vcc_lo, 0, v2, vcc_lo
	s_add_i32 s14, s14, -1
	s_delay_alu instid0(SALU_CYCLE_1)
	s_cmp_lg_u32 s14, 0
	s_waitcnt vmcnt(0)
	v_mul_f64 v[4:5], v[4:5], s[8:9]
	ds_store_b64 v3, v[4:5]
	v_add_nc_u32_e32 v3, 0xc0, v3
	s_cbranch_scc1 .LBB94_16
.LBB94_17:
	s_or_b32 exec_lo, exec_lo, s19
	s_cmpk_eq_i32 s4, 0x6f
	s_mov_b32 s4, -1
	s_waitcnt vmcnt(0) lgkmcnt(0)
	s_waitcnt_vscnt null, 0x0
	; wave barrier
	s_waitcnt lgkmcnt(0)
	buffer_gl0_inv
	s_cbranch_scc1 .LBB94_40
; %bb.18:
	s_cmp_gt_i32 s6, 23
	s_mov_b32 s4, s28
	s_cbranch_scc0 .LBB94_20
; %bb.19:
	s_mul_i32 s14, s28, 0xc8
	s_mul_i32 s4, s28, 24
	v_mov_b32_e32 v1, s14
	v_add_lshl_u32 v2, s4, v0, 3
	s_mul_i32 s4, s20, 24
	s_add_i32 s13, s14, 0xffffff38
	s_sub_i32 s8, s4, 48
	ds_load_b64 v[5:6], v1
	ds_load_b64 v[7:8], v2 offset:4608
	s_add_i32 s9, s4, 0xffffffb8
	s_add_i32 s12, s4, 0xffffffa0
	v_add_lshl_u32 v51, s8, v0, 3
	v_add_lshl_u32 v52, s9, v0, 3
	;; [unrolled: 1-line block ×3, first 2 shown]
	v_mov_b32_e32 v1, s13
	ds_load_b64 v[9:10], v51 offset:4608
	ds_load_b64 v[11:12], v52 offset:4608
	;; [unrolled: 1-line block ×3, first 2 shown]
	ds_load_2addr_b64 v[1:4], v1 offset1:1
	s_add_i32 s9, s9, s28
	s_add_i32 s12, s12, s28
	s_lshl_b32 s8, s9, 3
	s_add_i32 s13, s4, 0xffffff40
	s_add_i32 s21, s4, 0xfffffef8
	v_add_lshl_u32 v57, s13, v0, 3
	s_add_i32 s13, s13, s28
	v_add_lshl_u32 v60, s21, v0, 3
	s_lshl_b32 s15, s13, 3
	s_add_i32 s21, s21, s28
	s_add_i32 s24, s14, 0xfffffb50
	s_waitcnt lgkmcnt(4)
	v_mul_f64 v[29:30], v[5:6], v[7:8]
	s_waitcnt lgkmcnt(0)
	s_delay_alu instid0(VALU_DEP_1)
	v_fma_f64 v[7:8], -v[29:30], v[3:4], v[9:10]
	v_mov_b32_e32 v3, s8
	s_add_i32 s8, s14, 0xfffffe70
	ds_load_b64 v[9:10], v3
	v_mov_b32_e32 v3, s8
	s_lshl_b32 s8, s12, 3
	s_add_i32 s12, s4, 0xffffff58
	s_add_i32 s8, s8, -8
	v_add_lshl_u32 v56, s12, v0, 3
	ds_load_2addr_b64 v[3:6], v3 offset1:1
	s_add_i32 s12, s12, s28
	s_waitcnt lgkmcnt(1)
	v_fma_f64 v[17:18], -v[29:30], v[9:10], v[11:12]
	v_mul_f64 v[31:32], v[1:2], v[7:8]
	v_mov_b32_e32 v1, s8
	s_add_i32 s8, s14, 0xfffffda8
	ds_load_2addr_b64 v[7:10], v1 offset1:1
	v_mov_b32_e32 v1, s8
	s_add_i32 s8, s4, 0xffffff88
	s_delay_alu instid0(SALU_CYCLE_1) | instskip(SKIP_4) | instid1(SALU_CYCLE_1)
	s_add_i32 s9, s8, s28
	v_add_lshl_u32 v54, s8, v0, 3
	ds_load_2addr_b64 v[11:14], v1 offset1:1
	s_lshl_b32 s9, s9, 3
	s_add_i32 s8, s4, 0xffffff70
	v_add_lshl_u32 v55, s8, v0, 3
	s_add_i32 s8, s8, s28
	s_delay_alu instid0(SALU_CYCLE_1)
	s_lshl_b32 s8, s8, 3
	s_waitcnt lgkmcnt(1)
	v_fma_f64 v[1:2], -v[29:30], v[9:10], v[15:16]
	v_mov_b32_e32 v9, s9
	s_add_i32 s9, s9, -16
	ds_load_b64 v[9:10], v9
	ds_load_b64 v[19:20], v54 offset:4608
	v_mov_b32_e32 v15, s9
	s_add_i32 s9, s8, -8
	s_sub_i32 s8, s8, 24
	v_fma_f64 v[5:6], -v[31:32], v[5:6], v[17:18]
	ds_load_b64 v[21:22], v55 offset:4608
	ds_load_b64 v[23:24], v56 offset:4608
	;; [unrolled: 1-line block ×3, first 2 shown]
	ds_load_2addr_b64 v[15:18], v15 offset1:1
	s_waitcnt lgkmcnt(4)
	v_fma_f64 v[9:10], -v[29:30], v[9:10], v[19:20]
	v_fma_f64 v[7:8], -v[31:32], v[7:8], v[1:2]
	v_mov_b32_e32 v1, s9
	s_lshl_b32 s9, s12, 3
	s_delay_alu instid0(SALU_CYCLE_1)
	s_add_i32 s12, s9, -8
	v_mul_f64 v[33:34], v[3:4], v[5:6]
	ds_load_2addr_b64 v[1:4], v1 offset1:1
	s_waitcnt lgkmcnt(1)
	v_fma_f64 v[17:18], -v[31:32], v[17:18], v[9:10]
	s_waitcnt lgkmcnt(0)
	v_fma_f64 v[19:20], -v[29:30], v[3:4], v[21:22]
	v_mov_b32_e32 v3, s12
	s_sub_i32 s12, s9, 24
	s_sub_i32 s9, s9, 40
	ds_load_2addr_b64 v[3:6], v3 offset1:1
	v_fma_f64 v[13:14], -v[33:34], v[13:14], v[7:8]
	v_mov_b32_e32 v7, s12
	s_add_i32 s12, s14, 0xfffffce0
	ds_load_2addr_b64 v[7:10], v7 offset1:1
	s_waitcnt lgkmcnt(1)
	v_fma_f64 v[5:6], -v[29:30], v[5:6], v[23:24]
	v_fma_f64 v[37:38], -v[33:34], v[15:16], v[17:18]
	v_mov_b32_e32 v15, s12
	s_add_i32 s12, s15, -16
	s_delay_alu instid0(SALU_CYCLE_1)
	v_mov_b32_e32 v23, s12
	s_add_i32 s12, s4, 0xffffff28
	v_fma_f64 v[1:2], -v[31:32], v[1:2], v[19:20]
	v_add_lshl_u32 v58, s12, v0, 3
	v_mul_f64 v[35:36], v[11:12], v[13:14]
	v_dual_mov_b32 v11, s15 :: v_dual_mov_b32 v12, s8
	s_add_i32 s8, s14, 0xfffffc18
	ds_load_b64 v[39:40], v11
	ds_load_2addr_b64 v[11:14], v12 offset1:1
	ds_load_2addr_b64 v[15:18], v15 offset1:1
	v_mov_b32_e32 v19, s8
	s_add_i32 s8, s12, s28
	v_fma_f64 v[5:6], -v[31:32], v[3:4], v[5:6]
	s_lshl_b32 s8, s8, 3
	ds_load_2addr_b64 v[19:22], v19 offset1:1
	ds_load_2addr_b64 v[23:26], v23 offset1:1
	s_add_i32 s13, s8, -8
	s_add_i32 s12, s4, 0xffffff10
	s_sub_i32 s19, s8, 24
	v_add_lshl_u32 v59, s12, v0, 3
	s_add_i32 s12, s12, s28
	v_mov_b32_e32 v41, s19
	s_lshl_b32 s19, s12, 3
	s_delay_alu instid0(SALU_CYCLE_1)
	s_add_i32 s12, s19, -16
	s_sub_i32 s25, s19, 32
	s_waitcnt lgkmcnt(4)
	v_fma_f64 v[27:28], -v[29:30], v[39:40], v[27:28]
	s_waitcnt lgkmcnt(3)
	v_fma_f64 v[13:14], -v[33:34], v[13:14], v[1:2]
	v_mov_b32_e32 v1, s13
	s_add_i32 s13, s4, 0xfffffee0
	s_delay_alu instid0(SALU_CYCLE_1) | instskip(SKIP_1) | instid1(SALU_CYCLE_1)
	v_add_lshl_u32 v61, s13, v0, 3
	s_add_i32 s13, s13, s28
	s_lshl_b32 s22, s13, 3
	s_add_i32 s13, s4, 0xfffffe80
	s_delay_alu instid0(SALU_CYCLE_1) | instskip(SKIP_1) | instid1(SALU_CYCLE_1)
	v_add_lshl_u32 v65, s13, v0, 3
	s_add_i32 s13, s13, s28
	s_lshl_b32 s13, s13, 3
	s_waitcnt lgkmcnt(2)
	v_fma_f64 v[17:18], -v[35:36], v[17:18], v[37:38]
	ds_load_2addr_b64 v[1:4], v1 offset1:1
	ds_load_b64 v[37:38], v58 offset:4608
	ds_load_b64 v[39:40], v59 offset:4608
	;; [unrolled: 1-line block ×4, first 2 shown]
	ds_load_2addr_b64 v[41:44], v41 offset1:1
	s_sub_i32 s26, s13, 24
	s_sub_i32 s30, s13, 40
	;; [unrolled: 1-line block ×3, first 2 shown]
	v_fma_f64 v[9:10], -v[33:34], v[9:10], v[5:6]
	s_waitcnt lgkmcnt(4)
	v_fma_f64 v[49:50], -v[29:30], v[3:4], v[37:38]
	v_mov_b32_e32 v3, s19
	v_fma_f64 v[25:26], -v[31:32], v[25:26], v[27:28]
	v_fma_f64 v[11:12], -v[35:36], v[11:12], v[13:14]
	ds_load_b64 v[13:14], v3
	v_mov_b32_e32 v3, s12
	s_lshl_b32 s12, s21, 3
	s_sub_i32 s21, s15, 32
	ds_load_2addr_b64 v[3:6], v3 offset1:1
	v_mul_f64 v[37:38], v[15:16], v[17:18]
	s_waitcnt lgkmcnt(1)
	v_fma_f64 v[27:28], -v[29:30], v[13:14], v[39:40]
	v_fma_f64 v[39:40], -v[35:36], v[7:8], v[9:10]
	v_dual_mov_b32 v7, s12 :: v_dual_mov_b32 v8, s21
	s_add_i32 s21, s4, 0xfffffeb0
	v_fma_f64 v[1:2], -v[31:32], v[1:2], v[49:50]
	v_fma_f64 v[25:26], -v[33:34], v[23:24], v[25:26]
	;; [unrolled: 1-line block ×3, first 2 shown]
	v_mov_b32_e32 v11, s9
	ds_load_b64 v[62:63], v7
	ds_load_2addr_b64 v[7:10], v8 offset1:1
	ds_load_2addr_b64 v[11:14], v11 offset1:1
	s_sub_i32 s9, s15, 48
	s_add_i32 s15, s12, -16
	v_mov_b32_e32 v15, s9
	s_add_i32 s9, s22, -8
	s_waitcnt lgkmcnt(3)
	v_fma_f64 v[5:6], -v[31:32], v[5:6], v[27:28]
	v_mov_b32_e32 v21, s15
	ds_load_2addr_b64 v[15:18], v15 offset1:1
	ds_load_2addr_b64 v[21:24], v21 offset1:1
	s_add_i32 s15, s4, 0xfffffec8
	s_delay_alu instid0(SALU_CYCLE_1) | instskip(NEXT) | instid1(SALU_CYCLE_1)
	s_add_i32 s23, s15, s28
	s_lshl_b32 s23, s23, 3
	v_fma_f64 v[1:2], -v[33:34], v[43:44], v[1:2]
	s_waitcnt lgkmcnt(4)
	v_fma_f64 v[62:63], -v[29:30], v[62:63], v[45:46]
	s_waitcnt lgkmcnt(3)
	v_fma_f64 v[9:10], -v[35:36], v[9:10], v[25:26]
	s_waitcnt lgkmcnt(2)
	v_fma_f64 v[13:14], -v[37:38], v[13:14], v[39:40]
	v_mul_f64 v[39:40], v[19:20], v[49:50]
	v_mov_b32_e32 v19, s9
	s_sub_i32 s9, s22, 24
	ds_load_2addr_b64 v[25:28], v19 offset1:1
	v_mov_b32_e32 v19, s9
	s_add_i32 s9, s4, 0xfffffe98
	s_delay_alu instid0(SALU_CYCLE_1)
	v_add_lshl_u32 v64, s9, v0, 3
	s_add_i32 s9, s9, s28
	ds_load_2addr_b64 v[43:46], v19 offset1:1
	s_lshl_b32 s9, s9, 3
	v_fma_f64 v[41:42], -v[35:36], v[41:42], v[1:2]
	s_waitcnt lgkmcnt(2)
	v_fma_f64 v[23:24], -v[31:32], v[23:24], v[62:63]
	v_fma_f64 v[70:71], -v[37:38], v[7:8], v[9:10]
	v_add_lshl_u32 v62, s15, v0, 3
	s_sub_i32 s15, s8, 40
	s_waitcnt lgkmcnt(1)
	v_fma_f64 v[19:20], -v[29:30], v[27:28], v[47:48]
	v_fma_f64 v[27:28], -v[33:34], v[3:4], v[5:6]
	v_dual_mov_b32 v1, s23 :: v_dual_mov_b32 v2, s25
	v_mov_b32_e32 v5, s15
	ds_load_b64 v[72:73], v1
	ds_load_b64 v[74:75], v62 offset:4608
	ds_load_2addr_b64 v[1:4], v2 offset1:1
	ds_load_2addr_b64 v[5:8], v5 offset1:1
	v_mov_b32_e32 v9, s24
	v_add_lshl_u32 v63, s21, v0, 3
	s_sub_i32 s8, s8, 56
	v_fma_f64 v[13:14], -v[39:40], v[11:12], v[13:14]
	s_add_i32 s21, s21, s28
	ds_load_b64 v[76:77], v9
	s_sub_i32 s15, s19, 48
	v_mov_b32_e32 v9, s8
	s_lshl_b32 s8, s21, 3
	v_mov_b32_e32 v10, s15
	s_add_i32 s15, s8, -8
	s_add_i32 s24, s23, -16
	;; [unrolled: 1-line block ×3, first 2 shown]
	v_mov_b32_e32 v11, s24
	ds_load_b64 v[78:79], v63 offset:4608
	ds_load_b64 v[80:81], v64 offset:4608
	;; [unrolled: 1-line block ×3, first 2 shown]
	ds_load_2addr_b64 v[47:50], v9 offset1:1
	ds_load_2addr_b64 v[66:69], v10 offset1:1
	;; [unrolled: 1-line block ×3, first 2 shown]
	s_sub_i32 s24, s8, 24
	s_sub_i32 s25, s8, 40
	;; [unrolled: 1-line block ×3, first 2 shown]
	s_waitcnt lgkmcnt(9)
	v_fma_f64 v[72:73], -v[29:30], v[72:73], v[74:75]
	s_sub_i32 s27, s8, 56
	s_add_i32 s29, s8, 0xffffffb8
	s_addk_i32 s8, 0xffa8
	s_waitcnt lgkmcnt(7)
	v_fma_f64 v[7:8], -v[37:38], v[7:8], v[41:42]
	v_fma_f64 v[84:85], -v[33:34], v[21:22], v[23:24]
	;; [unrolled: 1-line block ×5, first 2 shown]
	s_waitcnt lgkmcnt(6)
	v_mul_f64 v[41:42], v[76:77], v[13:14]
	v_mov_b32_e32 v13, s15
	s_sub_i32 s15, s12, 32
	s_delay_alu instid0(SALU_CYCLE_1)
	v_mov_b32_e32 v14, s15
	ds_load_2addr_b64 v[17:20], v13 offset1:1
	ds_load_2addr_b64 v[21:24], v14 offset1:1
	s_sub_i32 s15, s12, 48
	s_sub_i32 s12, s12, 64
	v_mov_b32_e32 v13, s15
	s_add_i32 s15, s14, 0xfffffa88
	s_waitcnt lgkmcnt(2)
	v_fma_f64 v[11:12], -v[31:32], v[11:12], v[72:73]
	ds_load_2addr_b64 v[25:28], v13 offset1:1
	v_fma_f64 v[1:2], -v[37:38], v[1:2], v[3:4]
	v_fma_f64 v[3:4], -v[39:40], v[5:6], v[7:8]
	v_mov_b32_e32 v7, s9
	s_waitcnt lgkmcnt(1)
	v_fma_f64 v[23:24], -v[35:36], v[23:24], v[84:85]
	ds_load_b64 v[7:8], v7
	v_fma_f64 v[13:14], -v[29:30], v[19:20], v[78:79]
	v_fma_f64 v[19:20], -v[33:34], v[45:46], v[74:75]
	;; [unrolled: 1-line block ×3, first 2 shown]
	v_mov_b32_e32 v15, s15
	s_add_i32 s15, s9, -16
	s_delay_alu instid0(SALU_CYCLE_1)
	v_mov_b32_e32 v45, s15
	s_sub_i32 s15, s22, 40
	ds_load_b64 v[15:16], v15
	ds_load_2addr_b64 v[70:73], v45 offset1:1
	v_fma_f64 v[86:87], -v[33:34], v[9:10], v[11:12]
	s_waitcnt lgkmcnt(2)
	v_fma_f64 v[45:46], -v[29:30], v[7:8], v[80:81]
	v_mov_b32_e32 v9, s25
	v_fma_f64 v[68:69], -v[39:40], v[68:69], v[1:2]
	v_fma_f64 v[49:50], -v[41:42], v[49:50], v[3:4]
	v_mov_b32_e32 v1, s21
	v_fma_f64 v[90:91], -v[37:38], v[21:22], v[23:24]
	s_sub_i32 s21, s23, 32
	s_delay_alu instid0(SALU_CYCLE_1)
	v_dual_mov_b32 v2, s24 :: v_dual_mov_b32 v3, s21
	v_mov_b32_e32 v4, s15
	v_fma_f64 v[84:85], -v[31:32], v[17:18], v[13:14]
	v_fma_f64 v[88:89], -v[35:36], v[43:44], v[19:20]
	ds_load_2addr_b64 v[17:20], v1 offset1:1
	ds_load_2addr_b64 v[21:24], v2 offset1:1
	;; [unrolled: 1-line block ×4, first 2 shown]
	s_waitcnt lgkmcnt(5)
	v_mul_f64 v[43:44], v[15:16], v[5:6]
	s_add_i32 s21, s4, 0xfffffe68
	s_sub_i32 s15, s22, 56
	s_sub_i32 s24, s23, 48
	v_mov_b32_e32 v1, s15
	s_add_i32 s15, s21, s28
	v_mov_b32_e32 v5, s24
	s_lshl_b32 s15, s15, 3
	v_mov_b32_e32 v13, s26
	ds_load_2addr_b64 v[1:4], v1 offset1:1
	ds_load_2addr_b64 v[5:8], v5 offset1:1
	;; [unrolled: 1-line block ×4, first 2 shown]
	s_add_i32 s25, s15, -16
	s_add_i32 s24, s4, 0xfffffe20
	s_sub_i32 s26, s9, 48
	s_sub_i32 s34, s15, 32
	s_addk_i32 s22, 0xffb8
	s_waitcnt lgkmcnt(8)
	v_fma_f64 v[45:46], -v[31:32], v[72:73], v[45:46]
	s_waitcnt lgkmcnt(7)
	v_fma_f64 v[19:20], -v[29:30], v[19:20], v[82:83]
	;; [unrolled: 2-line block ×3, first 2 shown]
	v_fma_f64 v[27:28], -v[39:40], v[27:28], v[90:91]
	v_fma_f64 v[23:24], -v[33:34], v[23:24], v[84:85]
	s_waitcnt lgkmcnt(4)
	v_fma_f64 v[76:77], -v[37:38], v[80:81], v[88:89]
	v_fma_f64 v[84:85], -v[41:42], v[66:67], v[68:69]
	;; [unrolled: 1-line block ×3, first 2 shown]
	v_mov_b32_e32 v47, s15
	v_add_lshl_u32 v66, s21, v0, 3
	s_add_i32 s21, s14, 0xfffff9c0
	ds_load_b64 v[88:89], v47
	ds_load_b64 v[90:91], v66 offset:4608
	v_mov_b32_e32 v47, s19
	v_mov_b32_e32 v67, s21
	ds_load_2addr_b64 v[47:50], v47 offset1:1
	ds_load_b64 v[92:93], v67
	s_add_i32 s19, s4, 0xfffffe50
	v_mov_b32_e32 v80, s25
	v_add_lshl_u32 v67, s19, v0, 3
	v_fma_f64 v[70:71], -v[33:34], v[70:71], v[45:46]
	s_add_i32 s19, s19, s28
	v_fma_f64 v[72:73], -v[37:38], v[74:75], v[72:73]
	s_lshl_b32 s19, s19, 3
	s_add_i32 s21, s4, 0xfffffe38
	s_add_i32 s25, s19, -8
	v_add_lshl_u32 v68, s21, v0, 3
	v_add_lshl_u32 v69, s24, v0, 3
	ds_load_b64 v[94:95], v67 offset:4608
	ds_load_b64 v[96:97], v68 offset:4608
	;; [unrolled: 1-line block ×3, first 2 shown]
	ds_load_2addr_b64 v[80:83], v80 offset1:1
	s_waitcnt lgkmcnt(6)
	v_fma_f64 v[88:89], -v[29:30], v[88:89], v[90:91]
	v_fma_f64 v[90:91], -v[31:32], v[17:18], v[19:20]
	v_mov_b32_e32 v17, s25
	v_fma_f64 v[100:101], -v[41:42], v[25:26], v[27:28]
	s_sub_i32 s25, s9, 32
	v_mov_b32_e32 v25, s12
	s_mul_i32 s12, s20, 0xc8
	ds_load_2addr_b64 v[17:20], v17 offset1:1
	v_fma_f64 v[98:99], -v[35:36], v[21:22], v[23:24]
	v_fma_f64 v[78:79], -v[39:40], v[78:79], v[76:77]
	s_waitcnt lgkmcnt(6)
	v_fma_f64 v[49:50], -v[43:44], v[49:50], v[84:85]
	s_waitcnt lgkmcnt(5)
	v_mul_f64 v[45:46], v[92:93], v[86:87]
	v_mov_b32_e32 v21, s25
	ds_load_2addr_b64 v[21:24], v21 offset1:1
	ds_load_2addr_b64 v[25:28], v25 offset1:1
	s_add_i32 s21, s21, s28
	s_add_i32 s25, s12, 0xfffff768
	s_lshl_b32 s21, s21, 3
	s_addk_i32 s14, 0xf8f8
	v_mov_b32_e32 v74, s25
	v_mov_b32_e32 v84, s26
	ds_load_2addr_b64 v[74:77], v74 offset1:1
	ds_load_2addr_b64 v[84:87], v84 offset1:1
	s_waitcnt lgkmcnt(4)
	v_fma_f64 v[19:20], -v[29:30], v[19:20], v[94:95]
	v_fma_f64 v[7:8], -v[39:40], v[7:8], v[72:73]
	s_add_i32 s24, s24, s28
	s_add_i32 s33, s21, -16
	s_lshl_b32 s24, s24, 3
	v_mov_b32_e32 v72, s33
	s_add_i32 s37, s24, -8
	s_add_i32 s26, s12, 0xfffff6a0
	s_waitcnt lgkmcnt(3)
	v_fma_f64 v[23:24], -v[35:36], v[23:24], v[70:71]
	v_mov_b32_e32 v70, s14
	v_fma_f64 v[82:83], -v[31:32], v[82:83], v[88:89]
	v_fma_f64 v[15:16], -v[33:34], v[15:16], v[90:91]
	ds_load_2addr_b64 v[88:91], v72 offset1:1
	s_waitcnt lgkmcnt(3)
	v_fma_f64 v[27:28], -v[43:44], v[27:28], v[100:101]
	ds_load_b64 v[70:71], v70
	s_sub_i32 s35, s19, 24
	v_mov_b32_e32 v130, s26
	s_sub_i32 s26, s23, 64
	v_fma_f64 v[11:12], -v[37:38], v[11:12], v[98:99]
	v_fma_f64 v[3:4], -v[41:42], v[3:4], v[78:79]
	s_add_i32 s25, s4, 0xfffffe08
	v_fma_f64 v[47:48], -v[45:46], v[47:48], v[49:50]
	v_mov_b32_e32 v49, s21
	s_add_i32 s14, s25, s28
	s_addk_i32 s23, 0xffb0
	s_lshl_b32 s14, s14, 3
	s_sub_i32 s33, s15, 48
	ds_load_b64 v[49:50], v49
	s_sub_i32 s36, s19, 40
	s_sub_i32 s38, s24, 24
	v_fma_f64 v[72:73], -v[31:32], v[17:18], v[19:20]
	v_fma_f64 v[124:125], -v[41:42], v[5:6], v[7:8]
	v_dual_mov_b32 v6, s34 :: v_dual_mov_b32 v7, s30
	v_mov_b32_e32 v5, s23
	v_mov_b32_e32 v17, s33
	s_add_i32 s23, s4, 0xfffffdd8
	s_sub_i32 s34, s24, 40
	v_fma_f64 v[120:121], -v[37:38], v[21:22], v[23:24]
	v_mov_b32_e32 v21, s36
	v_fma_f64 v[82:83], -v[33:34], v[80:81], v[82:83]
	v_fma_f64 v[118:119], -v[35:36], v[13:14], v[15:16]
	v_mov_b32_e32 v13, s31
	v_fma_f64 v[128:129], -v[45:46], v[25:26], v[27:28]
	v_mov_b32_e32 v25, s38
	s_sub_i32 s31, s19, 56
	s_sub_i32 s36, s14, 32
	s_add_i32 s30, s15, 0xffffffb0
	v_fma_f64 v[122:123], -v[39:40], v[9:10], v[11:12]
	v_fma_f64 v[126:127], -v[43:44], v[1:2], v[3:4]
	v_mov_b32_e32 v3, s37
	s_waitcnt lgkmcnt(1)
	v_mul_f64 v[47:48], v[70:71], v[47:48]
	v_mov_b32_e32 v4, s35
	v_dual_mov_b32 v2, s26 :: v_dual_mov_b32 v1, s22
	ds_load_2addr_b64 v[78:81], v3 offset1:1
	s_waitcnt lgkmcnt(1)
	v_fma_f64 v[49:50], -v[29:30], v[49:50], v[96:97]
	v_mov_b32_e32 v3, s27
	ds_load_2addr_b64 v[92:95], v4 offset1:1
	ds_load_2addr_b64 v[96:99], v6 offset1:1
	;; [unrolled: 1-line block ×6, first 2 shown]
	v_mov_b32_e32 v71, s14
	v_add_lshl_u32 v70, s25, v0, 3
	v_mov_b32_e32 v9, s29
	ds_load_2addr_b64 v[1:4], v130 offset1:1
	ds_load_2addr_b64 v[5:8], v5 offset1:1
	;; [unrolled: 1-line block ×7, first 2 shown]
	s_add_i32 s22, s4, 0xfffffdf0
	s_add_i32 s26, s14, -16
	s_add_i32 s25, s4, 0xfffffdc0
	s_add_i32 s27, s12, 0xfffff5d8
	s_sub_i32 s29, s21, 48
	s_add_i32 s33, s19, 0xffffffb8
	s_waitcnt lgkmcnt(13)
	v_fma_f64 v[116:117], -v[29:30], v[80:81], v[116:117]
	v_fma_f64 v[86:87], -v[39:40], v[86:87], v[120:121]
	v_mov_b32_e32 v80, s26
	s_sub_i32 s35, s24, 56
	s_sub_i32 s37, s14, 48
	;; [unrolled: 1-line block ×3, first 2 shown]
	v_fma_f64 v[76:77], -v[47:48], v[76:77], v[128:129]
	v_fma_f64 v[49:50], -v[31:32], v[90:91], v[49:50]
	s_waitcnt lgkmcnt(12)
	v_fma_f64 v[90:91], -v[33:34], v[94:95], v[72:73]
	s_waitcnt lgkmcnt(11)
	;; [unrolled: 2-line block ×6, first 2 shown]
	v_fma_f64 v[110:111], -v[45:46], v[114:115], v[126:127]
	ds_load_b64 v[114:115], v71
	ds_load_b64 v[118:119], v70 offset:4608
	v_add_lshl_u32 v72, s22, v0, 3
	s_add_i32 s22, s22, s28
	v_add_lshl_u32 v73, s23, v0, 3
	s_lshl_b32 s22, s22, 3
	v_add_lshl_u32 v71, s25, v0, 3
	s_add_i32 s26, s22, -8
	ds_load_b64 v[120:121], v72 offset:4608
	ds_load_b64 v[122:123], v73 offset:4608
	;; [unrolled: 1-line block ×3, first 2 shown]
	ds_load_2addr_b64 v[80:83], v80 offset1:1
	s_add_i32 s23, s23, s28
	s_sub_i32 s38, s22, 24
	s_lshl_b32 s23, s23, 3
	v_fma_f64 v[78:79], -v[31:32], v[78:79], v[116:117]
	v_fma_f64 v[130:131], -v[41:42], v[84:85], v[86:87]
	s_add_i32 s40, s23, -16
	s_add_i32 s25, s25, s28
	s_sub_i32 s39, s22, 40
	s_lshl_b32 s25, s25, 3
	s_delay_alu instid0(SALU_CYCLE_1)
	s_add_i32 s41, s25, -8
	s_waitcnt lgkmcnt(4)
	v_fma_f64 v[114:115], -v[29:30], v[114:115], v[118:119]
	s_sub_i32 s42, s25, 24
	v_fma_f64 v[116:117], -v[33:34], v[88:89], v[49:50]
	v_fma_f64 v[118:119], -v[35:36], v[92:93], v[90:91]
	;; [unrolled: 1-line block ×7, first 2 shown]
	v_mul_f64 v[49:50], v[74:75], v[76:77]
	v_mov_b32_e32 v74, s26
	s_sub_i32 s26, s21, 32
	v_mov_b32_e32 v92, s27
	v_mov_b32_e32 v84, s26
	s_sub_i32 s26, s9, 64
	ds_load_2addr_b64 v[74:77], v74 offset1:1
	v_mov_b32_e32 v88, s26
	s_add_i32 s27, s9, 0xffffffb0
	ds_load_2addr_b64 v[84:87], v84 offset1:1
	ds_load_2addr_b64 v[88:91], v88 offset1:1
	;; [unrolled: 1-line block ×3, first 2 shown]
	v_fma_f64 v[27:28], -v[33:34], v[27:28], v[78:79]
	v_mov_b32_e32 v96, s27
	v_mov_b32_e32 v100, s29
	ds_load_2addr_b64 v[96:99], v96 offset1:1
	ds_load_2addr_b64 v[100:103], v100 offset1:1
	s_waitcnt lgkmcnt(6)
	v_fma_f64 v[82:83], -v[31:32], v[82:83], v[114:115]
	s_add_i32 s26, s12, 0xfffff510
	s_sub_i32 s29, s15, 64
	v_mov_b32_e32 v112, s26
	s_add_i32 s26, s13, 0xffffffb8
	s_add_i32 s27, s13, 0xffffffa8
	s_waitcnt lgkmcnt(5)
	v_fma_f64 v[110:111], -v[29:30], v[76:77], v[120:121]
	v_dual_mov_b32 v76, s23 :: v_dual_mov_b32 v113, s35
	v_mov_b32_e32 v120, s39
	s_sub_i32 s35, s25, 40
	s_waitcnt lgkmcnt(4)
	v_fma_f64 v[86:87], -v[35:36], v[86:87], v[116:117]
	v_fma_f64 v[23:24], -v[37:38], v[23:24], v[118:119]
	;; [unrolled: 1-line block ×4, first 2 shown]
	s_waitcnt lgkmcnt(3)
	v_fma_f64 v[90:91], -v[43:44], v[90:91], v[130:131]
	v_fma_f64 v[11:12], -v[45:46], v[11:12], v[104:105]
	;; [unrolled: 1-line block ×4, first 2 shown]
	ds_load_b64 v[104:105], v76
	v_mov_b32_e32 v76, s40
	v_dual_mov_b32 v106, s8 :: v_dual_mov_b32 v109, s29
	v_dual_mov_b32 v107, s26 :: v_dual_mov_b32 v108, s27
	ds_load_2addr_b64 v[76:79], v76 offset1:1
	v_mov_b32_e32 v116, s37
	v_mov_b32_e32 v124, s42
	s_sub_i32 s8, s23, 32
	s_add_i32 s27, s24, 0xffffffb8
	s_add_i32 s26, s19, 0xffffff98
	v_fma_f64 v[134:135], -v[35:36], v[25:26], v[27:28]
	s_add_i32 s29, s24, 0xffffffa8
	v_fma_f64 v[132:133], -v[33:34], v[80:81], v[82:83]
	s_waitcnt lgkmcnt(1)
	v_fma_f64 v[130:131], -v[29:30], v[104:105], v[122:123]
	v_mov_b32_e32 v80, s41
	v_mov_b32_e32 v104, s30
	s_sub_i32 s30, s14, 64
	v_fma_f64 v[74:75], -v[31:32], v[74:75], v[110:111]
	v_mov_b32_e32 v110, s33
	s_sub_i32 s33, s22, 56
	v_fma_f64 v[136:137], -v[37:38], v[84:85], v[86:87]
	v_fma_f64 v[138:139], -v[39:40], v[21:22], v[23:24]
	;; [unrolled: 1-line block ×7, first 2 shown]
	v_mul_f64 v[150:151], v[1:2], v[3:4]
	v_mov_b32_e32 v13, s31
	v_mov_b32_e32 v1, s38
	;; [unrolled: 1-line block ×4, first 2 shown]
	ds_load_2addr_b64 v[1:4], v1 offset1:1
	ds_load_2addr_b64 v[5:8], v5 offset1:1
	;; [unrolled: 1-line block ×16, first 2 shown]
	s_add_i32 s31, s14, 0xffffffb0
	s_add_i32 s34, s22, 0xffffffb8
	s_sub_i32 s36, s25, 56
	s_waitcnt lgkmcnt(16)
	v_fma_f64 v[78:79], -v[31:32], v[78:79], v[130:131]
	s_waitcnt lgkmcnt(8)
	v_fma_f64 v[82:83], -v[29:30], v[82:83], v[128:129]
	v_fma_f64 v[3:4], -v[33:34], v[3:4], v[74:75]
	;; [unrolled: 1-line block ×15, first 2 shown]
	v_mov_b32_e32 v1, s8
	s_sub_i32 s8, s21, 64
	v_fma_f64 v[74:75], -v[41:42], v[100:101], v[74:75]
	v_fma_f64 v[100:101], -v[43:44], v[13:14], v[15:16]
	;; [unrolled: 1-line block ×7, first 2 shown]
	v_mul_f64 v[134:135], v[92:93], v[94:95]
	v_mov_b32_e32 v5, s8
	s_add_i32 s8, s9, 0xffffffa0
	ds_load_2addr_b64 v[1:4], v1 offset1:1
	v_mov_b32_e32 v9, s8
	s_add_i32 s8, s12, 0xfffff448
	ds_load_2addr_b64 v[5:8], v5 offset1:1
	;; [unrolled: 3-line block ×3, first 2 shown]
	s_sub_i32 s9, s23, 48
	v_mov_b32_e32 v17, s8
	s_add_i32 s8, s12, 0xfffff380
	v_mov_b32_e32 v21, s9
	s_add_i32 s9, s15, 0xffffffa0
	ds_load_2addr_b64 v[13:16], v13 offset1:1
	ds_load_2addr_b64 v[17:20], v17 offset1:1
	;; [unrolled: 1-line block ×3, first 2 shown]
	v_mov_b32_e32 v94, s26
	v_mov_b32_e32 v98, s29
	s_add_i32 s26, s25, 0xffffffb8
	s_waitcnt lgkmcnt(5)
	v_fma_f64 v[3:4], -v[35:36], v[3:4], v[76:77]
	v_fma_f64 v[76:77], -v[37:38], v[122:123], v[78:79]
	;; [unrolled: 1-line block ×4, first 2 shown]
	v_mov_b32_e32 v102, s31
	s_waitcnt lgkmcnt(4)
	v_fma_f64 v[7:8], -v[43:44], v[7:8], v[74:75]
	v_fma_f64 v[74:75], -v[45:46], v[110:111], v[100:101]
	;; [unrolled: 1-line block ×4, first 2 shown]
	s_waitcnt lgkmcnt(3)
	v_fma_f64 v[11:12], -v[150:151], v[11:12], v[96:97]
	v_mov_b32_e32 v106, s34
	v_fma_f64 v[27:28], -v[33:34], v[126:127], v[27:28]
	v_fma_f64 v[25:26], -v[134:135], v[86:87], v[25:26]
	v_mov_b32_e32 v86, s8
	s_add_i32 s8, s13, 0xffffff98
	s_add_i32 s13, s15, 0xffffff90
	;; [unrolled: 1-line block ×3, first 2 shown]
	v_mov_b32_e32 v110, s36
	v_fma_f64 v[114:115], -v[37:38], v[1:2], v[3:4]
	v_mov_b32_e32 v1, s33
	v_fma_f64 v[118:119], -v[39:40], v[120:121], v[76:77]
	v_fma_f64 v[116:117], -v[41:42], v[116:117], v[78:79]
	;; [unrolled: 1-line block ×3, first 2 shown]
	v_mov_b32_e32 v78, s8
	s_sub_i32 s8, s23, 64
	v_fma_f64 v[122:123], -v[45:46], v[5:6], v[7:8]
	v_fma_f64 v[126:127], -v[47:48], v[108:109], v[74:75]
	;; [unrolled: 1-line block ×5, first 2 shown]
	v_mov_b32_e32 v82, s35
	v_fma_f64 v[124:125], -v[35:36], v[124:125], v[27:28]
	v_mul_f64 v[136:137], v[84:85], v[25:26]
	v_dual_mov_b32 v25, s15 :: v_dual_mov_b32 v74, s9
	v_mov_b32_e32 v5, s30
	v_mov_b32_e32 v9, s27
	ds_load_2addr_b64 v[1:4], v1 offset1:1
	ds_load_2addr_b64 v[5:8], v5 offset1:1
	;; [unrolled: 1-line block ×7, first 2 shown]
	v_mov_b32_e32 v90, s13
	ds_load_2addr_b64 v[86:89], v86 offset1:1
	ds_load_2addr_b64 v[90:93], v90 offset1:1
	;; [unrolled: 1-line block ×7, first 2 shown]
	s_add_i32 s9, s23, 0xffffffb0
	s_add_i32 s15, s14, 0xffffffa0
	;; [unrolled: 1-line block ×3, first 2 shown]
	s_waitcnt lgkmcnt(14)
	v_fma_f64 v[23:24], -v[39:40], v[23:24], v[114:115]
	s_waitcnt lgkmcnt(13)
	v_fma_f64 v[3:4], -v[41:42], v[3:4], v[118:119]
	;; [unrolled: 2-line block ×4, first 2 shown]
	v_fma_f64 v[19:20], -v[47:48], v[19:20], v[122:123]
	s_waitcnt lgkmcnt(10)
	v_fma_f64 v[27:28], -v[49:50], v[27:28], v[126:127]
	s_waitcnt lgkmcnt(9)
	;; [unrolled: 2-line block ×4, first 2 shown]
	v_fma_f64 v[84:85], -v[37:38], v[84:85], v[124:125]
	v_fma_f64 v[15:16], -v[136:137], v[15:16], v[132:133]
	;; [unrolled: 1-line block ×6, first 2 shown]
	v_mov_b32_e32 v1, s8
	s_add_i32 s8, s21, 0xffffffa0
	v_fma_f64 v[17:18], -v[49:50], v[17:18], v[19:20]
	v_fma_f64 v[19:20], -v[150:151], v[25:26], v[27:28]
	;; [unrolled: 1-line block ×4, first 2 shown]
	v_mov_b32_e32 v5, s8
	ds_load_2addr_b64 v[1:4], v1 offset1:1
	ds_load_2addr_b64 v[5:8], v5 offset1:1
	v_mul_f64 v[118:119], v[13:14], v[15:16]
	v_fma_f64 v[74:75], -v[39:40], v[82:83], v[84:85]
	s_add_i32 s8, s21, 0xffffff90
	v_mov_b32_e32 v13, s9
	v_mov_b32_e32 v9, s8
	s_add_i32 s8, s12, 0xfffff2b8
	s_add_i32 s9, s19, 0xffffff88
	;; [unrolled: 1-line block ×3, first 2 shown]
	ds_load_2addr_b64 v[9:12], v9 offset1:1
	ds_load_2addr_b64 v[13:16], v13 offset1:1
	s_waitcnt lgkmcnt(3)
	v_fma_f64 v[3:4], -v[43:44], v[3:4], v[21:22]
	v_fma_f64 v[21:22], -v[45:46], v[108:109], v[23:24]
	;; [unrolled: 1-line block ×4, first 2 shown]
	s_waitcnt lgkmcnt(2)
	v_fma_f64 v[7:8], -v[150:151], v[7:8], v[17:18]
	v_fma_f64 v[78:79], -v[134:135], v[96:97], v[19:20]
	;; [unrolled: 1-line block ×3, first 2 shown]
	v_mov_b32_e32 v17, s8
	s_add_i32 s8, s12, 0xfffff1f0
	ds_load_2addr_b64 v[17:20], v17 offset1:1
	v_fma_f64 v[27:28], -v[118:119], v[88:89], v[27:28]
	v_fma_f64 v[74:75], -v[41:42], v[112:113], v[74:75]
	;; [unrolled: 1-line block ×3, first 2 shown]
	v_mov_b32_e32 v1, s19
	v_fma_f64 v[104:105], -v[47:48], v[106:107], v[21:22]
	v_fma_f64 v[102:103], -v[49:50], v[102:103], v[23:24]
	;; [unrolled: 1-line block ×3, first 2 shown]
	v_mov_b32_e32 v21, s13
	s_add_i32 s13, s22, 0xffffff98
	v_fma_f64 v[106:107], -v[134:135], v[5:6], v[7:8]
	v_fma_f64 v[108:109], -v[136:137], v[94:95], v[78:79]
	;; [unrolled: 1-line block ×3, first 2 shown]
	v_mov_b32_e32 v25, s9
	v_mov_b32_e32 v5, s15
	ds_load_2addr_b64 v[1:4], v1 offset1:1
	ds_load_2addr_b64 v[5:8], v5 offset1:1
	;; [unrolled: 1-line block ×3, first 2 shown]
	v_mul_f64 v[114:115], v[86:87], v[27:28]
	v_fma_f64 v[110:111], -v[43:44], v[110:111], v[74:75]
	v_mov_b32_e32 v74, s26
	ds_load_2addr_b64 v[25:28], v25 offset1:1
	v_mov_b32_e32 v78, s8
	s_add_i32 s8, s24, 0xffffff88
	s_add_i32 s9, s14, 0xffffff90
	ds_load_2addr_b64 v[74:77], v74 offset1:1
	v_mov_b32_e32 v82, s8
	s_add_i32 s8, s23, 0xffffffa0
	s_add_i32 s15, s25, 0xffffffa8
	v_mov_b32_e32 v86, s9
	v_mov_b32_e32 v90, s13
	;; [unrolled: 1-line block ×3, first 2 shown]
	ds_load_2addr_b64 v[78:81], v78 offset1:1
	ds_load_2addr_b64 v[82:85], v82 offset1:1
	;; [unrolled: 1-line block ×5, first 2 shown]
	s_add_i32 s9, s23, 0xffffff90
	s_add_i32 s13, s22, 0xffffff88
	;; [unrolled: 1-line block ×3, first 2 shown]
	s_waitcnt lgkmcnt(11)
	v_fma_f64 v[15:16], -v[47:48], v[15:16], v[100:101]
	s_waitcnt lgkmcnt(9)
	v_fma_f64 v[3:4], -v[49:50], v[3:4], v[104:105]
	;; [unrolled: 2-line block ×4, first 2 shown]
	v_fma_f64 v[11:12], -v[136:137], v[11:12], v[106:107]
	s_waitcnt lgkmcnt(6)
	v_fma_f64 v[27:28], -v[118:119], v[27:28], v[108:109]
	v_fma_f64 v[19:20], -v[114:115], v[19:20], v[112:113]
	s_waitcnt lgkmcnt(5)
	v_fma_f64 v[76:77], -v[45:46], v[76:77], v[110:111]
	v_fma_f64 v[98:99], -v[49:50], v[13:14], v[15:16]
	v_mov_b32_e32 v13, s9
	s_add_i32 s9, s14, 0xffffff80
	v_fma_f64 v[100:101], -v[150:151], v[1:2], v[3:4]
	v_fma_f64 v[102:103], -v[134:135], v[5:6], v[7:8]
	;; [unrolled: 1-line block ×3, first 2 shown]
	v_mov_b32_e32 v1, s8
	s_add_i32 s8, s21, 0xffffff80
	v_fma_f64 v[23:24], -v[118:119], v[9:10], v[11:12]
	v_fma_f64 v[25:26], -v[114:115], v[25:26], v[27:28]
	v_mov_b32_e32 v5, s8
	ds_load_2addr_b64 v[1:4], v1 offset1:1
	ds_load_2addr_b64 v[5:8], v5 offset1:1
	s_add_i32 s8, s12, 0xfffff128
	v_mul_f64 v[104:105], v[17:18], v[19:20]
	v_fma_f64 v[17:18], -v[47:48], v[74:75], v[76:77]
	v_mov_b32_e32 v9, s8
	s_add_i32 s8, s24, 0xffffff78
	ds_load_2addr_b64 v[9:12], v9 offset1:1
	ds_load_2addr_b64 v[13:16], v13 offset1:1
	s_waitcnt lgkmcnt(3)
	v_fma_f64 v[3:4], -v[150:151], v[3:4], v[98:99]
	v_fma_f64 v[19:20], -v[134:135], v[92:93], v[100:101]
	;; [unrolled: 1-line block ×4, first 2 shown]
	s_waitcnt lgkmcnt(2)
	v_fma_f64 v[7:8], -v[114:115], v[7:8], v[23:24]
	v_fma_f64 v[23:24], -v[104:105], v[80:81], v[25:26]
	;; [unrolled: 1-line block ×4, first 2 shown]
	v_mov_b32_e32 v1, s13
	s_add_i32 s13, s25, 0xffffff88
	v_fma_f64 v[90:91], -v[136:137], v[90:91], v[19:20]
	v_fma_f64 v[86:87], -v[118:119], v[86:87], v[27:28]
	;; [unrolled: 1-line block ×3, first 2 shown]
	v_dual_mov_b32 v21, s15 :: v_dual_mov_b32 v82, s13
	v_fma_f64 v[96:97], -v[104:105], v[5:6], v[7:8]
	v_mov_b32_e32 v5, s9
	s_add_i32 s9, s22, 0xffffff78
	s_add_i32 s13, s25, 0xffffff78
	v_mul_f64 v[98:99], v[78:79], v[23:24]
	v_fma_f64 v[94:95], -v[150:151], v[94:95], v[17:18]
	v_mov_b32_e32 v17, s8
	ds_load_2addr_b64 v[1:4], v1 offset1:1
	ds_load_2addr_b64 v[5:8], v5 offset1:1
	;; [unrolled: 1-line block ×4, first 2 shown]
	s_add_i32 s8, s12, 0xfffff060
	s_delay_alu instid0(SALU_CYCLE_1)
	v_dual_mov_b32 v78, s9 :: v_dual_mov_b32 v25, s8
	s_add_i32 s8, s14, 0xffffff70
	s_add_i32 s9, s22, 0xffffff68
	v_mov_b32_e32 v74, s8
	s_add_i32 s8, s23, 0xffffff80
	ds_load_2addr_b64 v[25:28], v25 offset1:1
	ds_load_2addr_b64 v[74:77], v74 offset1:1
	;; [unrolled: 1-line block ×4, first 2 shown]
	s_waitcnt lgkmcnt(8)
	v_fma_f64 v[15:16], -v[136:137], v[15:16], v[88:89]
	s_waitcnt lgkmcnt(7)
	v_fma_f64 v[3:4], -v[118:119], v[3:4], v[90:91]
	;; [unrolled: 2-line block ×4, first 2 shown]
	v_fma_f64 v[11:12], -v[98:99], v[11:12], v[96:97]
	s_waitcnt lgkmcnt(4)
	v_fma_f64 v[23:24], -v[134:135], v[23:24], v[94:95]
	v_fma_f64 v[13:14], -v[118:119], v[13:14], v[15:16]
	;; [unrolled: 1-line block ×5, first 2 shown]
	v_mov_b32_e32 v1, s8
	s_add_i32 s8, s23, 0xffffff70
	s_delay_alu instid0(SALU_CYCLE_1)
	v_mov_b32_e32 v5, s8
	s_add_i32 s8, s12, 0xffffef98
	ds_load_2addr_b64 v[1:4], v1 offset1:1
	ds_load_2addr_b64 v[5:8], v5 offset1:1
	v_mul_f64 v[88:89], v[9:10], v[11:12]
	v_fma_f64 v[9:10], -v[136:137], v[21:22], v[23:24]
	s_waitcnt lgkmcnt(1)
	v_fma_f64 v[3:4], -v[114:115], v[3:4], v[13:14]
	v_fma_f64 v[11:12], -v[104:105], v[80:81], v[15:16]
	;; [unrolled: 1-line block ×6, first 2 shown]
	v_mov_b32_e32 v1, s9
	s_add_i32 s9, s25, 0xffffff68
	v_fma_f64 v[76:77], -v[98:99], v[78:79], v[11:12]
	v_fma_f64 v[74:75], -v[88:89], v[74:75], v[13:14]
	v_mov_b32_e32 v13, s13
	v_mov_b32_e32 v21, s9
	v_mul_f64 v[25:26], v[25:26], v[15:16]
	v_fma_f64 v[78:79], -v[114:115], v[82:83], v[9:10]
	v_mov_b32_e32 v9, s8
	ds_load_2addr_b64 v[1:4], v1 offset1:1
	ds_load_2addr_b64 v[9:12], v9 offset1:1
	ds_load_2addr_b64 v[13:16], v13 offset1:1
	s_add_i32 s8, s12, 0xffffeed0
	s_delay_alu instid0(SALU_CYCLE_1)
	v_mov_b32_e32 v17, s8
	s_add_i32 s8, s23, 0xffffff60
	ds_load_2addr_b64 v[17:20], v17 offset1:1
	ds_load_2addr_b64 v[21:24], v21 offset1:1
	s_waitcnt lgkmcnt(5)
	v_fma_f64 v[7:8], -v[98:99], v[7:8], v[27:28]
	s_waitcnt lgkmcnt(4)
	v_fma_f64 v[3:4], -v[88:89], v[3:4], v[76:77]
	;; [unrolled: 2-line block ×4, first 2 shown]
	s_delay_alu instid0(VALU_DEP_4) | instskip(NEXT) | instid1(VALU_DEP_4)
	v_fma_f64 v[27:28], -v[88:89], v[5:6], v[7:8]
	v_fma_f64 v[74:75], -v[25:26], v[1:2], v[3:4]
	v_mov_b32_e32 v1, s8
	s_add_i32 s8, s12, 0xffffee08
	s_delay_alu instid0(SALU_CYCLE_1)
	v_mov_b32_e32 v5, s8
	s_add_i32 s8, s25, 0xffffff58
	ds_load_2addr_b64 v[1:4], v1 offset1:1
	ds_load_2addr_b64 v[5:8], v5 offset1:1
	v_mul_f64 v[76:77], v[9:10], v[11:12]
	v_fma_f64 v[9:10], -v[98:99], v[13:14], v[15:16]
	s_waitcnt lgkmcnt(1)
	v_fma_f64 v[3:4], -v[25:26], v[3:4], v[27:28]
	s_delay_alu instid0(VALU_DEP_3) | instskip(NEXT) | instid1(VALU_DEP_3)
	v_fma_f64 v[11:12], -v[76:77], v[19:20], v[74:75]
	v_fma_f64 v[9:10], -v[88:89], v[23:24], v[9:10]
	s_delay_alu instid0(VALU_DEP_3)
	v_fma_f64 v[13:14], -v[76:77], v[1:2], v[3:4]
	v_mov_b32_e32 v1, s8
	s_add_i32 s8, s12, 0xffffed40
	ds_load_2addr_b64 v[1:4], v1 offset1:1
	v_mul_f64 v[15:16], v[17:18], v[11:12]
	v_fma_f64 v[17:18], -v[25:26], v[21:22], v[9:10]
	v_mov_b32_e32 v9, s8
	ds_load_2addr_b64 v[9:12], v9 offset1:1
	s_waitcnt lgkmcnt(2)
	v_fma_f64 v[7:8], -v[15:16], v[7:8], v[13:14]
	s_waitcnt lgkmcnt(1)
	v_fma_f64 v[3:4], -v[76:77], v[3:4], v[17:18]
	s_delay_alu instid0(VALU_DEP_2) | instskip(NEXT) | instid1(VALU_DEP_2)
	v_mul_f64 v[5:6], v[5:6], v[7:8]
	v_fma_f64 v[1:2], -v[15:16], v[1:2], v[3:4]
	v_add_lshl_u32 v3, s4, v0, 3
	s_sub_i32 s4, s20, 25
	ds_store_b64 v3, v[29:30] offset:4608
	ds_store_b64 v51, v[31:32] offset:4608
	;; [unrolled: 1-line block ×23, first 2 shown]
	s_waitcnt lgkmcnt(23)
	v_fma_f64 v[1:2], -v[5:6], v[11:12], v[1:2]
	s_delay_alu instid0(VALU_DEP_1)
	v_mul_f64 v[1:2], v[9:10], v[1:2]
	ds_store_b64 v71, v[1:2] offset:4608
.LBB94_20:
	s_cmp_gt_i32 s4, -1
	s_cbranch_scc0 .LBB94_39
; %bb.21:
	s_cmp_lt_u32 s4, 19
	s_cbranch_scc1 .LBB94_26
; %bb.22:
	s_mul_i32 s15, s4, 24
	s_delay_alu instid0(SALU_CYCLE_1)
	s_sub_i32 s25, s15, 24
	v_add_lshl_u32 v41, s15, v0, 3
	s_sub_i32 s8, s15, 48
	v_add_lshl_u32 v42, s25, v0, 3
	s_add_i32 s9, s15, 0xffffffb8
	v_add_lshl_u32 v1, s8, v0, 3
	v_add_lshl_u32 v2, s9, v0, 3
	s_add_i32 s8, s15, 0xffffffa0
	ds_load_b64 v[17:18], v41 offset:4608
	ds_load_b64 v[37:38], v42 offset:4608
	;; [unrolled: 1-line block ×4, first 2 shown]
	s_add_i32 s9, s15, 0xffffff88
	v_add_lshl_u32 v1, s8, v0, 3
	s_add_i32 s8, s15, 0xffffff70
	s_add_i32 s34, s15, 0xfffffee0
	;; [unrolled: 1-line block ×3, first 2 shown]
	v_add_lshl_u32 v2, s9, v0, 3
	s_add_i32 s9, s15, 0xffffff58
	v_add_lshl_u32 v3, s8, v0, 3
	s_add_i32 s8, s15, 0xffffff40
	;; [unrolled: 2-line block ×7, first 2 shown]
	s_add_i32 s33, s15, 0xfffffef8
	v_add_lshl_u32 v47, s29, v0, 3
	s_add_i32 s26, s15, 0xfffffe68
	s_add_i32 s23, s15, 0xfffffe50
	s_addk_i32 s15, 0xfe38
	v_add_lshl_u32 v6, s9, v0, 3
	v_add_lshl_u32 v7, s8, v0, 3
	;; [unrolled: 1-line block ×4, first 2 shown]
	ds_load_b64 v[33:34], v1 offset:4608
	ds_load_b64 v[31:32], v2 offset:4608
	;; [unrolled: 1-line block ×8, first 2 shown]
	v_add_lshl_u32 v49, s26, v0, 3
	v_add_lshl_u32 v51, s23, v0, 3
	;; [unrolled: 1-line block ×3, first 2 shown]
	ds_load_b64 v[5:6], v44 offset:4608
	ds_load_b64 v[3:4], v45 offset:4608
	;; [unrolled: 1-line block ×8, first 2 shown]
	s_cmp_le_i32 s28, s4
	s_cbranch_scc1 .LBB94_25
; %bb.23:
	v_lshlrev_b32_e32 v52, 3, v0
	s_mul_i32 s12, s20, 0xc0
	s_mul_i32 s8, s4, 0xc0
	s_lshl_b32 s9, s20, 3
	s_delay_alu instid0(SALU_CYCLE_1)
	s_add_i32 s8, s8, s9
	v_add3_u32 v52, s12, v52, 0x1140
	s_addk_i32 s8, 0xf1b8
	s_mov_b32 s9, s28
.LBB94_24:                              ; =>This Inner Loop Header: Depth=1
	v_add_nc_u32_e64 v65, 0x800, s8
	v_mov_b32_e32 v89, s8
	v_add_nc_u32_e64 v69, 0x400, s8
	ds_load_b64 v[93:94], v52
	v_add_nc_u32_e32 v52, 0xffffff40, v52
	ds_load_2addr_b64 v[53:56], v65 offset0:176 offset1:200
	ds_load_2addr_b64 v[57:60], v65 offset0:128 offset1:152
	;; [unrolled: 1-line block ×9, first 2 shown]
	ds_load_2addr_b64 v[89:92], v89 offset1:24
	s_add_i32 s9, s9, -1
	s_add_i32 s8, s8, -8
	s_cmp_gt_i32 s9, s4
	s_waitcnt lgkmcnt(9)
	v_fma_f64 v[17:18], -v[93:94], v[55:56], v[17:18]
	v_fma_f64 v[37:38], -v[93:94], v[53:54], v[37:38]
	s_waitcnt lgkmcnt(8)
	v_fma_f64 v[19:20], -v[93:94], v[59:60], v[19:20]
	v_fma_f64 v[23:24], -v[93:94], v[57:58], v[23:24]
	;; [unrolled: 3-line block ×10, first 2 shown]
	s_cbranch_scc1 .LBB94_24
.LBB94_25:
	s_mul_i32 s8, s4, 0xc8
	s_delay_alu instid0(SALU_CYCLE_1) | instskip(SKIP_1) | instid1(SALU_CYCLE_1)
	v_dual_mov_b32 v41, s8 :: v_dual_add_nc_u32 v52, 0x1200, v41
	s_add_i32 s9, s8, 0xffffff38
	v_dual_mov_b32 v54, s9 :: v_dual_add_nc_u32 v53, 0x1200, v42
	s_sub_i32 s9, s25, 24
	ds_load_b64 v[41:42], v41
	s_add_i32 s12, s9, s4
	s_add_i32 s33, s33, s4
	ds_load_2addr_b64 v[54:57], v54 offset1:1
	s_lshl_b32 s12, s12, 3
	s_lshl_b32 s33, s33, 3
	s_add_i32 s34, s34, s4
	s_add_i32 s31, s31, s4
	s_lshl_b32 s34, s34, 3
	s_lshl_b32 s31, s31, 3
	s_add_i32 s30, s30, s4
	s_add_i32 s29, s29, s4
	;; [unrolled: 4-line block ×3, first 2 shown]
	s_lshl_b32 s26, s26, 3
	s_lshl_b32 s27, s27, 3
	s_sub_i32 s42, s26, 24
	s_add_i32 s23, s23, s4
	s_waitcnt lgkmcnt(1)
	v_mul_f64 v[17:18], v[41:42], v[17:18]
	v_mov_b32_e32 v41, s12
	s_add_i32 s12, s8, 0xfffffe70
	s_lshl_b32 s23, s23, 3
	s_add_i32 s15, s15, s4
	s_sub_i32 s41, s27, 48
	s_lshl_b32 s15, s15, 3
	s_sub_i32 s43, s26, 40
	s_add_i32 s44, s15, -8
	s_sub_i32 s45, s15, 24
	v_mov_b32_e32 v96, s41
	v_mov_b32_e32 v100, s43
	;; [unrolled: 1-line block ×3, first 2 shown]
	s_waitcnt lgkmcnt(0)
	v_fma_f64 v[37:38], -v[17:18], v[56:57], v[37:38]
	v_mov_b32_e32 v56, s12
	ds_load_b64 v[41:42], v41
	s_sub_i32 s12, s25, 48
	s_delay_alu instid0(SALU_CYCLE_1) | instskip(SKIP_2) | instid1(SALU_CYCLE_1)
	s_add_i32 s13, s12, s4
	ds_load_2addr_b64 v[56:59], v56 offset1:1
	s_lshl_b32 s13, s13, 3
	s_add_i32 s13, s13, -8
	s_waitcnt lgkmcnt(1)
	v_fma_f64 v[41:42], -v[17:18], v[41:42], v[19:20]
	v_mul_f64 v[19:20], v[54:55], v[37:38]
	v_mov_b32_e32 v37, s13
	s_add_i32 s13, s8, 0xfffffda8
	ds_load_2addr_b64 v[60:63], v37 offset1:1
	v_mov_b32_e32 v37, s13
	s_add_i32 s13, s25, 0xffffffb8
	s_delay_alu instid0(SALU_CYCLE_1) | instskip(NEXT) | instid1(SALU_CYCLE_1)
	s_add_i32 s14, s13, s4
	s_lshl_b32 s14, s14, 3
	ds_load_2addr_b64 v[64:67], v37 offset1:1
	s_waitcnt lgkmcnt(1)
	v_fma_f64 v[23:24], -v[17:18], v[62:63], v[23:24]
	v_fma_f64 v[37:38], -v[19:20], v[58:59], v[41:42]
	v_mov_b32_e32 v41, s14
	s_add_i32 s14, s14, -16
	s_delay_alu instid0(SALU_CYCLE_1)
	v_mov_b32_e32 v54, s14
	s_add_i32 s14, s25, 0xffffffa0
	ds_load_b64 v[41:42], v41
	s_add_i32 s19, s14, s4
	ds_load_2addr_b64 v[68:71], v54 offset1:1
	s_lshl_b32 s22, s19, 3
	s_delay_alu instid0(SALU_CYCLE_1)
	s_add_i32 s19, s22, -8
	s_sub_i32 s22, s22, 24
	s_waitcnt lgkmcnt(1)
	v_fma_f64 v[33:34], -v[17:18], v[41:42], v[33:34]
	v_fma_f64 v[41:42], -v[19:20], v[60:61], v[23:24]
	v_mul_f64 v[23:24], v[56:57], v[37:38]
	v_mov_b32_e32 v37, s19
	s_add_i32 s19, s25, 0xffffff88
	s_delay_alu instid0(SALU_CYCLE_1) | instskip(SKIP_2) | instid1(SALU_CYCLE_1)
	s_add_i32 s21, s19, s4
	ds_load_2addr_b64 v[54:57], v37 offset1:1
	s_lshl_b32 s38, s21, 3
	s_add_i32 s21, s38, -8
	s_waitcnt lgkmcnt(0)
	v_fma_f64 v[37:38], -v[17:18], v[56:57], v[31:32]
	v_fma_f64 v[60:61], -v[19:20], v[70:71], v[33:34]
	;; [unrolled: 1-line block ×3, first 2 shown]
	s_delay_alu instid0(VALU_DEP_3) | instskip(NEXT) | instid1(VALU_DEP_3)
	v_fma_f64 v[37:38], -v[19:20], v[54:55], v[37:38]
	v_fma_f64 v[54:55], -v[23:24], v[68:69], v[60:61]
	v_mov_b32_e32 v60, s22
	s_add_i32 s22, s8, 0xfffffc18
	s_delay_alu instid0(SALU_CYCLE_1)
	v_dual_mov_b32 v31, s21 :: v_dual_mov_b32 v68, s22
	s_sub_i32 s21, s38, 24
	s_add_i32 s22, s25, 0xffffff58
	v_mov_b32_e32 v56, s21
	ds_load_2addr_b64 v[31:34], v31 offset1:1
	s_add_i32 s21, s25, 0xffffff70
	s_sub_i32 s38, s38, 40
	s_add_i32 s24, s21, s4
	ds_load_2addr_b64 v[56:59], v56 offset1:1
	s_lshl_b32 s39, s24, 3
	s_add_i32 s24, s8, 0xfffffce0
	s_sub_i32 s40, s39, 32
	s_waitcnt lgkmcnt(1)
	v_fma_f64 v[33:34], -v[17:18], v[33:34], v[27:28]
	v_mul_f64 v[27:28], v[64:65], v[41:42]
	v_mov_b32_e32 v64, s24
	s_add_i32 s24, s39, -16
	s_delay_alu instid0(SALU_CYCLE_1)
	v_dual_mov_b32 v41, s39 :: v_dual_mov_b32 v72, s24
	ds_load_b64 v[41:42], v41
	ds_load_2addr_b64 v[60:63], v60 offset1:1
	ds_load_2addr_b64 v[64:67], v64 offset1:1
	s_add_i32 s24, s22, s4
	ds_load_2addr_b64 v[68:71], v68 offset1:1
	ds_load_2addr_b64 v[72:75], v72 offset1:1
	s_lshl_b32 s37, s24, 3
	s_delay_alu instid0(SALU_CYCLE_1)
	s_add_i32 s24, s37, -8
	s_waitcnt lgkmcnt(4)
	v_fma_f64 v[15:16], -v[17:18], v[41:42], v[15:16]
	v_mov_b32_e32 v41, s24
	s_sub_i32 s24, s37, 24
	ds_load_2addr_b64 v[76:79], v41 offset1:1
	v_mov_b32_e32 v41, s24
	s_add_i32 s24, s25, 0xffffff40
	s_addk_i32 s25, 0xff28
	s_add_i32 s35, s24, s4
	v_fma_f64 v[31:32], -v[19:20], v[31:32], v[33:34]
	s_waitcnt lgkmcnt(4)
	v_fma_f64 v[33:34], -v[23:24], v[62:63], v[37:38]
	s_waitcnt lgkmcnt(3)
	v_fma_f64 v[37:38], -v[27:28], v[66:67], v[54:55]
	s_lshl_b32 s36, s35, 3
	s_delay_alu instid0(SALU_CYCLE_1) | instskip(SKIP_2) | instid1(VALU_DEP_4)
	s_add_i32 s35, s36, -16
	s_waitcnt lgkmcnt(1)
	v_fma_f64 v[54:55], -v[19:20], v[74:75], v[15:16]
	v_fma_f64 v[58:59], -v[23:24], v[58:59], v[31:32]
	s_delay_alu instid0(VALU_DEP_4) | instskip(NEXT) | instid1(VALU_DEP_4)
	v_fma_f64 v[33:34], -v[27:28], v[60:61], v[33:34]
	v_mul_f64 v[31:32], v[64:65], v[37:38]
	s_delay_alu instid0(VALU_DEP_3)
	v_fma_f64 v[66:67], -v[27:28], v[56:57], v[58:59]
	v_mov_b32_e32 v58, s38
	ds_load_2addr_b64 v[80:83], v41 offset1:1
	s_waitcnt lgkmcnt(1)
	v_fma_f64 v[41:42], -v[17:18], v[78:79], v[13:14]
	s_sub_i32 s38, s39, 48
	s_delay_alu instid0(SALU_CYCLE_1)
	v_dual_mov_b32 v13, s36 :: v_dual_mov_b32 v62, s38
	v_fma_f64 v[33:34], -v[31:32], v[70:71], v[33:34]
	s_add_i32 s38, s33, -8
	ds_load_b64 v[37:38], v13
	v_mov_b32_e32 v13, s35
	s_add_i32 s35, s25, s4
	s_sub_i32 s4, s4, 20
	s_lshl_b32 s35, s35, 3
	s_delay_alu instid0(SALU_CYCLE_1) | instskip(NEXT) | instid1(SALU_CYCLE_1)
	s_add_i32 s39, s35, -16
	v_mov_b32_e32 v70, s39
	ds_load_2addr_b64 v[13:16], v13 offset1:1
	s_sub_i32 s39, s36, 32
	s_waitcnt lgkmcnt(1)
	v_fma_f64 v[11:12], -v[17:18], v[37:38], v[11:12]
	v_fma_f64 v[37:38], -v[19:20], v[76:77], v[41:42]
	;; [unrolled: 1-line block ×3, first 2 shown]
	v_dual_mov_b32 v54, s35 :: v_dual_mov_b32 v55, s40
	ds_load_b64 v[74:75], v54
	ds_load_2addr_b64 v[54:57], v55 offset1:1
	ds_load_2addr_b64 v[58:61], v58 offset1:1
	v_mul_f64 v[33:34], v[68:69], v[33:34]
	ds_load_2addr_b64 v[62:65], v62 offset1:1
	ds_load_2addr_b64 v[70:73], v70 offset1:1
	s_sub_i32 s40, s37, 40
	s_sub_i32 s37, s37, 56
	s_waitcnt lgkmcnt(4)
	v_fma_f64 v[74:75], -v[17:18], v[74:75], v[9:10]
	v_mov_b32_e32 v9, s38
	v_fma_f64 v[15:16], -v[19:20], v[15:16], v[11:12]
	s_sub_i32 s38, s33, 24
	ds_load_2addr_b64 v[9:12], v9 offset1:1
	v_fma_f64 v[37:38], -v[23:24], v[82:83], v[37:38]
	s_waitcnt lgkmcnt(4)
	v_fma_f64 v[41:42], -v[27:28], v[56:57], v[41:42]
	s_waitcnt lgkmcnt(3)
	v_fma_f64 v[56:57], -v[31:32], v[60:61], v[66:67]
	v_mov_b32_e32 v60, s38
	s_add_i32 s38, s8, 0xfffffb50
	ds_load_2addr_b64 v[66:69], v60 offset1:1
	s_waitcnt lgkmcnt(1)
	v_fma_f64 v[7:8], -v[17:18], v[11:12], v[7:8]
	v_dual_mov_b32 v11, s34 :: v_dual_mov_b32 v12, s39
	s_sub_i32 s39, s36, 48
	s_sub_i32 s36, s36, 64
	v_mov_b32_e32 v76, s39
	s_sub_i32 s39, s31, 24
	v_fma_f64 v[82:83], -v[19:20], v[72:73], v[74:75]
	v_mov_b32_e32 v72, s37
	v_fma_f64 v[15:16], -v[23:24], v[13:14], v[15:16]
	s_add_i32 s37, s31, -8
	v_fma_f64 v[37:38], -v[27:28], v[80:81], v[37:38]
	v_fma_f64 v[41:42], -v[31:32], v[54:55], v[41:42]
	v_mov_b32_e32 v54, s40
	ds_load_b64 v[84:85], v11
	v_fma_f64 v[80:81], -v[33:34], v[58:59], v[56:57]
	v_mov_b32_e32 v58, s38
	s_add_i32 s38, s34, -16
	s_sub_i32 s40, s29, 24
	v_fma_f64 v[9:10], -v[19:20], v[9:10], v[7:8]
	s_waitcnt lgkmcnt(0)
	v_fma_f64 v[84:85], -v[17:18], v[84:85], v[5:6]
	v_mov_b32_e32 v5, s37
	ds_load_2addr_b64 v[11:14], v12 offset1:1
	ds_load_2addr_b64 v[54:57], v54 offset1:1
	ds_load_b64 v[86:87], v58
	s_sub_i32 s37, s35, 32
	v_mov_b32_e32 v58, s38
	v_fma_f64 v[70:71], -v[23:24], v[70:71], v[82:83]
	s_add_i32 s38, s29, -8
	v_fma_f64 v[41:42], -v[33:34], v[64:65], v[41:42]
	s_waitcnt lgkmcnt(2)
	v_fma_f64 v[88:89], -v[27:28], v[13:14], v[15:16]
	v_mov_b32_e32 v13, s37
	s_waitcnt lgkmcnt(1)
	v_fma_f64 v[56:57], -v[31:32], v[56:57], v[37:38]
	s_waitcnt lgkmcnt(0)
	v_mul_f64 v[37:38], v[86:87], v[80:81]
	ds_load_2addr_b64 v[58:61], v58 offset1:1
	ds_load_2addr_b64 v[72:75], v72 offset1:1
	;; [unrolled: 1-line block ×5, first 2 shown]
	s_sub_i32 s37, s35, 48
	s_sub_i32 s35, s35, 64
	v_fma_f64 v[9:10], -v[23:24], v[68:69], v[9:10]
	v_mov_b32_e32 v64, s37
	s_add_i32 s37, s8, 0xfffffa88
	ds_load_2addr_b64 v[80:83], v64 offset1:1
	s_waitcnt lgkmcnt(2)
	v_fma_f64 v[3:4], -v[17:18], v[7:8], v[3:4]
	v_fma_f64 v[7:8], -v[19:20], v[60:61], v[84:85]
	s_waitcnt lgkmcnt(1)
	v_fma_f64 v[15:16], -v[27:28], v[15:16], v[70:71]
	v_fma_f64 v[11:12], -v[31:32], v[11:12], v[88:89]
	;; [unrolled: 1-line block ×3, first 2 shown]
	v_mov_b32_e32 v54, s30
	v_fma_f64 v[41:42], -v[37:38], v[62:63], v[41:42]
	ds_load_b64 v[62:63], v54
	v_fma_f64 v[92:93], -v[27:28], v[66:67], v[9:10]
	v_fma_f64 v[88:89], -v[19:20], v[5:6], v[3:4]
	;; [unrolled: 1-line block ×4, first 2 shown]
	v_mov_b32_e32 v13, s40
	s_waitcnt lgkmcnt(0)
	v_fma_f64 v[70:71], -v[17:18], v[62:63], v[1:2]
	v_mov_b32_e32 v2, s39
	s_sub_i32 s39, s31, 40
	s_delay_alu instid0(SALU_CYCLE_1)
	v_dual_mov_b32 v54, s37 :: v_dual_mov_b32 v9, s39
	s_add_i32 s37, s30, -16
	v_mov_b32_e32 v1, s38
	s_sub_i32 s38, s34, 32
	ds_load_b64 v[64:65], v54
	v_mov_b32_e32 v54, s37
	s_sub_i32 s37, s33, 40
	s_delay_alu instid0(SALU_CYCLE_1)
	v_dual_mov_b32 v3, s38 :: v_dual_mov_b32 v4, s37
	v_fma_f64 v[74:75], -v[37:38], v[74:75], v[60:61]
	ds_load_2addr_b64 v[54:57], v54 offset1:1
	s_sub_i32 s37, s33, 56
	s_sub_i32 s38, s34, 48
	v_fma_f64 v[78:79], -v[33:34], v[78:79], v[11:12]
	v_mov_b32_e32 v5, s38
	s_sub_i32 s38, s29, 40
	s_add_i32 s39, s23, -16
	s_addk_i32 s33, 0xffb8
	s_sub_i32 s40, s29, 56
	s_waitcnt lgkmcnt(1)
	v_mul_f64 v[41:42], v[64:65], v[41:42]
	ds_load_2addr_b64 v[58:61], v1 offset1:1
	ds_load_2addr_b64 v[62:65], v2 offset1:1
	;; [unrolled: 1-line block ×4, first 2 shown]
	v_mov_b32_e32 v1, s37
	ds_load_2addr_b64 v[1:4], v1 offset1:1
	ds_load_2addr_b64 v[5:8], v5 offset1:1
	;; [unrolled: 1-line block ×4, first 2 shown]
	v_fma_f64 v[82:83], -v[33:34], v[82:83], v[94:95]
	s_add_i32 s37, s8, 0xfffff9c0
	s_waitcnt lgkmcnt(8)
	v_fma_f64 v[56:57], -v[19:20], v[56:57], v[70:71]
	s_waitcnt lgkmcnt(7)
	v_fma_f64 v[39:40], -v[17:18], v[60:61], v[39:40]
	;; [unrolled: 2-line block ×5, first 2 shown]
	v_mov_b32_e32 v68, s27
	v_fma_f64 v[76:77], -v[37:38], v[76:77], v[78:79]
	ds_load_b64 v[88:89], v68
	v_mov_b32_e32 v68, s36
	s_add_i32 s36, s27, -16
	v_fma_f64 v[78:79], -v[41:42], v[72:73], v[74:75]
	v_mov_b32_e32 v72, s37
	s_add_i32 s37, s31, 0xffffffb8
	s_waitcnt lgkmcnt(0)
	v_fma_f64 v[88:89], -v[17:18], v[88:89], v[35:36]
	v_fma_f64 v[92:93], -v[23:24], v[54:55], v[56:57]
	;; [unrolled: 1-line block ×7, first 2 shown]
	v_mov_b32_e32 v62, s35
	s_sub_i32 s35, s30, 48
	v_fma_f64 v[15:16], -v[23:24], v[15:16], v[39:40]
	v_fma_f64 v[11:12], -v[31:32], v[11:12], v[94:95]
	;; [unrolled: 1-line block ×4, first 2 shown]
	s_delay_alu instid0(VALU_DEP_4) | instskip(NEXT) | instid1(VALU_DEP_4)
	v_fma_f64 v[110:111], -v[27:28], v[13:14], v[15:16]
	v_fma_f64 v[112:113], -v[33:34], v[9:10], v[11:12]
	v_mov_b32_e32 v9, s38
	ds_load_2addr_b64 v[68:71], v68 offset1:1
	ds_load_b64 v[90:91], v72
	v_mov_b32_e32 v72, s36
	s_add_i32 s36, s26, -8
	v_fma_f64 v[114:115], -v[37:38], v[5:6], v[7:8]
	v_mov_b32_e32 v54, s36
	s_sub_i32 s36, s30, 32
	ds_load_2addr_b64 v[72:75], v72 offset1:1
	v_mov_b32_e32 v58, s36
	s_add_i32 s36, s8, 0xfffff830
	ds_load_2addr_b64 v[54:57], v54 offset1:1
	ds_load_2addr_b64 v[58:61], v58 offset1:1
	ds_load_2addr_b64 v[62:65], v62 offset1:1
	v_mov_b32_e32 v80, s36
	s_add_i32 s36, s8, 0xfffff768
	v_fma_f64 v[116:117], -v[41:42], v[1:2], v[3:4]
	v_mov_b32_e32 v84, s36
	s_sub_i32 s36, s31, 56
	v_mov_b32_e32 v1, s42
	s_waitcnt lgkmcnt(5)
	v_fma_f64 v[70:71], -v[41:42], v[70:71], v[76:77]
	s_waitcnt lgkmcnt(4)
	v_mul_f64 v[35:36], v[90:91], v[78:79]
	v_mov_b32_e32 v13, s36
	s_sub_i32 s36, s26, 56
	v_mov_b32_e32 v76, s35
	s_add_i32 s35, s8, 0xfffff8f8
	ds_load_2addr_b64 v[76:79], v76 offset1:1
	ds_load_2addr_b64 v[80:83], v80 offset1:1
	s_waitcnt lgkmcnt(4)
	v_fma_f64 v[29:30], -v[17:18], v[56:57], v[29:30]
	v_fma_f64 v[56:57], -v[19:20], v[74:75], v[88:89]
	s_waitcnt lgkmcnt(3)
	v_fma_f64 v[39:40], -v[27:28], v[60:61], v[92:93]
	s_waitcnt lgkmcnt(2)
	v_fma_f64 v[60:61], -v[41:42], v[64:65], v[86:87]
	v_mov_b32_e32 v64, s23
	v_mov_b32_e32 v88, s37
	;; [unrolled: 1-line block ×3, first 2 shown]
	s_addk_i32 s31, 0xffa8
	s_sub_i32 s37, s15, 40
	v_fma_f64 v[68:69], -v[35:36], v[68:69], v[70:71]
	ds_load_b64 v[70:71], v64
	v_mov_b32_e32 v64, s35
	s_sub_i32 s35, s34, 64
	s_addk_i32 s34, 0xffb0
	s_delay_alu instid0(SALU_CYCLE_1)
	v_mov_b32_e32 v85, s34
	ds_load_b64 v[74:75], v64
	v_mov_b32_e32 v64, s39
	v_fma_f64 v[29:30], -v[19:20], v[54:55], v[29:30]
	v_fma_f64 v[108:109], -v[23:24], v[72:73], v[56:57]
	;; [unrolled: 1-line block ×4, first 2 shown]
	s_sub_i32 s39, s27, 32
	s_delay_alu instid0(SALU_CYCLE_1)
	v_dual_mov_b32 v54, s35 :: v_dual_mov_b32 v5, s39
	v_mov_b32_e32 v58, s33
	ds_load_2addr_b64 v[64:67], v64 offset1:1
	ds_load_2addr_b64 v[1:4], v1 offset1:1
	;; [unrolled: 1-line block ×7, first 2 shown]
	s_waitcnt lgkmcnt(8)
	v_fma_f64 v[25:26], -v[17:18], v[70:71], v[25:26]
	s_sub_i32 s33, s23, 32
	s_sub_i32 s34, s23, 48
	;; [unrolled: 1-line block ×3, first 2 shown]
	s_waitcnt lgkmcnt(7)
	v_mul_f64 v[118:119], v[74:75], v[68:69]
	v_mov_b32_e32 v68, s44
	s_waitcnt lgkmcnt(3)
	v_fma_f64 v[11:12], -v[31:32], v[11:12], v[110:111]
	s_waitcnt lgkmcnt(2)
	v_fma_f64 v[15:16], -v[37:38], v[15:16], v[112:113]
	ds_load_2addr_b64 v[68:71], v68 offset1:1
	ds_load_2addr_b64 v[72:75], v84 offset1:1
	;; [unrolled: 1-line block ×8, first 2 shown]
	v_fma_f64 v[3:4], -v[23:24], v[3:4], v[29:30]
	v_fma_f64 v[7:8], -v[27:28], v[7:8], v[108:109]
	;; [unrolled: 1-line block ×3, first 2 shown]
	s_waitcnt lgkmcnt(9)
	v_fma_f64 v[39:40], -v[41:42], v[56:57], v[114:115]
	s_waitcnt lgkmcnt(8)
	v_fma_f64 v[56:57], -v[35:36], v[60:61], v[116:117]
	v_fma_f64 v[25:26], -v[19:20], v[66:67], v[25:26]
	s_waitcnt lgkmcnt(7)
	v_fma_f64 v[21:22], -v[17:18], v[70:71], v[21:22]
	v_fma_f64 v[60:61], -v[118:119], v[82:83], v[62:63]
	;; [unrolled: 1-line block ×4, first 2 shown]
	v_mov_b32_e32 v13, s34
	s_add_i32 s34, s29, 0xffffffb8
	v_fma_f64 v[62:63], -v[27:28], v[1:2], v[3:4]
	v_mov_b32_e32 v1, s33
	v_fma_f64 v[29:30], -v[37:38], v[76:77], v[29:30]
	v_fma_f64 v[39:40], -v[35:36], v[54:55], v[39:40]
	;; [unrolled: 1-line block ×3, first 2 shown]
	s_sub_i32 s33, s30, 64
	v_fma_f64 v[25:26], -v[23:24], v[64:65], v[25:26]
	v_fma_f64 v[64:65], -v[31:32], v[5:6], v[7:8]
	v_mov_b32_e32 v5, s33
	ds_load_2addr_b64 v[1:4], v1 offset1:1
	ds_load_2addr_b64 v[5:8], v5 offset1:1
	v_fma_f64 v[21:22], -v[19:20], v[68:69], v[21:22]
	s_add_i32 s33, s30, 0xffffffb0
	s_addk_i32 s30, 0xffa0
	v_mov_b32_e32 v9, s33
	s_add_i32 s33, s8, 0xfffff6a0
	ds_load_2addr_b64 v[9:12], v9 offset1:1
	ds_load_2addr_b64 v[13:16], v13 offset1:1
	v_mul_f64 v[108:109], v[80:81], v[60:61]
	s_waitcnt lgkmcnt(7)
	v_fma_f64 v[60:61], -v[37:38], v[94:95], v[66:67]
	v_mov_b32_e32 v66, s37
	s_waitcnt lgkmcnt(2)
	v_fma_f64 v[7:8], -v[41:42], v[7:8], v[29:30]
	v_fma_f64 v[29:30], -v[35:36], v[90:91], v[70:71]
	;; [unrolled: 1-line block ×8, first 2 shown]
	v_mov_b32_e32 v54, s33
	v_fma_f64 v[92:93], -v[41:42], v[92:93], v[60:61]
	s_add_i32 s33, s8, 0xfffff5d8
	s_delay_alu instid0(SALU_CYCLE_1) | instskip(SKIP_2) | instid1(SALU_CYCLE_1)
	v_mov_b32_e32 v70, s33
	ds_load_2addr_b64 v[54:57], v54 offset1:1
	s_add_i32 s33, s27, 0xffffffb0
	v_mov_b32_e32 v78, s33
	s_add_i32 s33, s15, 0xffffffb8
	v_fma_f64 v[29:30], -v[118:119], v[88:89], v[29:30]
	v_fma_f64 v[39:40], -v[108:109], v[84:85], v[39:40]
	;; [unrolled: 1-line block ×6, first 2 shown]
	v_mov_b32_e32 v1, s36
	v_dual_mov_b32 v5, s35 :: v_dual_mov_b32 v58, s34
	v_fma_f64 v[21:22], -v[27:28], v[104:105], v[21:22]
	ds_load_2addr_b64 v[1:4], v1 offset1:1
	ds_load_2addr_b64 v[5:8], v5 offset1:1
	;; [unrolled: 1-line block ×4, first 2 shown]
	s_add_i32 s34, s26, 0xffffffb8
	s_sub_i32 s35, s15, 56
	v_mov_b32_e32 v82, s34
	v_mov_b32_e32 v86, s35
	v_mul_f64 v[98:99], v[72:73], v[62:63]
	v_mov_b32_e32 v62, s31
	s_add_i32 s31, s29, 0xffffffa8
	s_addk_i32 s29, 0xff98
	v_mov_b32_e32 v74, s31
	s_sub_i32 s31, s23, 64
	ds_load_2addr_b64 v[62:65], v62 offset1:1
	ds_load_2addr_b64 v[70:73], v70 offset1:1
	ds_load_2addr_b64 v[74:77], v74 offset1:1
	ds_load_2addr_b64 v[78:81], v78 offset1:1
	ds_load_2addr_b64 v[82:85], v82 offset1:1
	ds_load_2addr_b64 v[86:89], v86 offset1:1
	s_waitcnt lgkmcnt(11)
	v_fma_f64 v[15:16], -v[33:34], v[15:16], v[90:91]
	s_waitcnt lgkmcnt(9)
	v_fma_f64 v[3:4], -v[37:38], v[3:4], v[25:26]
	;; [unrolled: 2-line block ×4, first 2 shown]
	v_fma_f64 v[11:12], -v[118:119], v[11:12], v[96:97]
	s_waitcnt lgkmcnt(5)
	v_fma_f64 v[29:30], -v[108:109], v[64:65], v[29:30]
	v_fma_f64 v[21:22], -v[31:32], v[68:69], v[21:22]
	;; [unrolled: 1-line block ×9, first 2 shown]
	v_mov_b32_e32 v1, s31
	v_fma_f64 v[21:22], -v[33:34], v[66:67], v[21:22]
	v_mov_b32_e32 v5, s30
	ds_load_2addr_b64 v[1:4], v1 offset1:1
	ds_load_2addr_b64 v[5:8], v5 offset1:1
	s_add_i32 s31, s23, 0xffffffb0
	s_add_i32 s30, s8, 0xfffff510
	v_mov_b32_e32 v13, s31
	s_add_i32 s31, s26, 0xffffffa8
	v_mul_f64 v[39:40], v[54:55], v[39:40]
	v_mov_b32_e32 v9, s30
	s_add_i32 s30, s27, 0xffffffa0
	ds_load_2addr_b64 v[9:12], v9 offset1:1
	ds_load_2addr_b64 v[13:16], v13 offset1:1
	s_addk_i32 s27, 0xff90
	s_delay_alu instid0(SALU_CYCLE_1)
	v_mov_b32_e32 v66, s27
	s_add_i32 s27, s23, 0xffffffa0
	s_waitcnt lgkmcnt(3)
	v_fma_f64 v[3:4], -v[41:42], v[3:4], v[56:57]
	v_fma_f64 v[54:55], -v[35:36], v[84:85], v[60:61]
	;; [unrolled: 1-line block ×4, first 2 shown]
	s_waitcnt lgkmcnt(2)
	v_fma_f64 v[7:8], -v[98:99], v[7:8], v[58:59]
	v_mov_b32_e32 v58, s33
	v_fma_f64 v[21:22], -v[37:38], v[88:89], v[21:22]
	v_fma_f64 v[29:30], -v[39:40], v[72:73], v[29:30]
	;; [unrolled: 1-line block ×7, first 2 shown]
	v_mov_b32_e32 v1, s31
	v_mov_b32_e32 v5, s30
	v_fma_f64 v[21:22], -v[41:42], v[86:87], v[21:22]
	v_mov_b32_e32 v54, s29
	ds_load_2addr_b64 v[1:4], v1 offset1:1
	ds_load_2addr_b64 v[5:8], v5 offset1:1
	;; [unrolled: 1-line block ×4, first 2 shown]
	s_add_i32 s29, s8, 0xfffff448
	s_add_i32 s30, s15, 0xffffffa8
	v_mov_b32_e32 v62, s29
	s_add_i32 s29, s26, 0xffffff98
	v_mov_b32_e32 v74, s30
	v_mul_f64 v[29:30], v[70:71], v[29:30]
	v_mov_b32_e32 v70, s29
	ds_load_2addr_b64 v[62:65], v62 offset1:1
	ds_load_2addr_b64 v[66:69], v66 offset1:1
	;; [unrolled: 1-line block ×4, first 2 shown]
	s_addk_i32 s26, 0xff88
	s_add_i32 s29, s15, 0xffffff98
	s_waitcnt lgkmcnt(8)
	v_fma_f64 v[15:16], -v[118:119], v[15:16], v[80:81]
	s_waitcnt lgkmcnt(7)
	v_fma_f64 v[3:4], -v[108:109], v[3:4], v[82:83]
	;; [unrolled: 2-line block ×5, first 2 shown]
	v_fma_f64 v[11:12], -v[29:30], v[11:12], v[84:85]
	v_fma_f64 v[13:14], -v[108:109], v[13:14], v[15:16]
	;; [unrolled: 1-line block ×5, first 2 shown]
	v_mov_b32_e32 v1, s27
	s_add_i32 s27, s23, 0xffffff90
	s_addk_i32 s23, 0xff80
	v_mov_b32_e32 v5, s27
	s_add_i32 s27, s8, 0xfffff380
	ds_load_2addr_b64 v[1:4], v1 offset1:1
	ds_load_2addr_b64 v[5:8], v5 offset1:1
	v_mul_f64 v[78:79], v[9:10], v[11:12]
	v_fma_f64 v[9:10], -v[118:119], v[58:59], v[21:22]
	s_waitcnt lgkmcnt(1)
	v_fma_f64 v[3:4], -v[98:99], v[3:4], v[13:14]
	v_fma_f64 v[11:12], -v[39:40], v[72:73], v[15:16]
	;; [unrolled: 1-line block ×8, first 2 shown]
	v_mov_b32_e32 v1, s26
	v_mov_b32_e32 v13, s29
	s_add_i32 s26, s8, 0xfffff2b8
	s_delay_alu instid0(SALU_CYCLE_1)
	v_mov_b32_e32 v54, s26
	v_mul_f64 v[62:63], v[62:63], v[15:16]
	v_fma_f64 v[66:67], -v[98:99], v[74:75], v[9:10]
	v_mov_b32_e32 v9, s27
	ds_load_2addr_b64 v[1:4], v1 offset1:1
	ds_load_2addr_b64 v[9:12], v9 offset1:1
	;; [unrolled: 1-line block ×3, first 2 shown]
	s_add_i32 s27, s15, 0xffffff88
	s_addk_i32 s15, 0xff78
	v_mov_b32_e32 v58, s27
	ds_load_2addr_b64 v[54:57], v54 offset1:1
	ds_load_2addr_b64 v[58:61], v58 offset1:1
	s_waitcnt lgkmcnt(5)
	v_fma_f64 v[7:8], -v[29:30], v[7:8], v[21:22]
	s_waitcnt lgkmcnt(4)
	v_fma_f64 v[3:4], -v[78:79], v[3:4], v[25:26]
	;; [unrolled: 2-line block ×4, first 2 shown]
	s_delay_alu instid0(VALU_DEP_4) | instskip(NEXT) | instid1(VALU_DEP_4)
	v_fma_f64 v[21:22], -v[78:79], v[5:6], v[7:8]
	v_fma_f64 v[25:26], -v[62:63], v[1:2], v[3:4]
	v_mov_b32_e32 v1, s23
	s_add_i32 s23, s8, 0xfffff1f0
	s_addk_i32 s8, 0xf128
	v_mov_b32_e32 v5, s23
	ds_load_2addr_b64 v[1:4], v1 offset1:1
	ds_load_2addr_b64 v[5:8], v5 offset1:1
	v_mul_f64 v[64:65], v[9:10], v[11:12]
	v_fma_f64 v[9:10], -v[29:30], v[13:14], v[15:16]
	s_waitcnt lgkmcnt(1)
	v_fma_f64 v[3:4], -v[62:63], v[3:4], v[21:22]
	s_delay_alu instid0(VALU_DEP_3) | instskip(NEXT) | instid1(VALU_DEP_3)
	v_fma_f64 v[11:12], -v[64:65], v[56:57], v[25:26]
	v_fma_f64 v[9:10], -v[78:79], v[60:61], v[9:10]
	s_delay_alu instid0(VALU_DEP_3)
	v_fma_f64 v[13:14], -v[64:65], v[1:2], v[3:4]
	v_mov_b32_e32 v1, s15
	ds_load_2addr_b64 v[1:4], v1 offset1:1
	v_mul_f64 v[15:16], v[54:55], v[11:12]
	v_fma_f64 v[21:22], -v[62:63], v[58:59], v[9:10]
	v_mov_b32_e32 v9, s8
	ds_load_2addr_b64 v[9:12], v9 offset1:1
	s_waitcnt lgkmcnt(2)
	v_fma_f64 v[7:8], -v[15:16], v[7:8], v[13:14]
	s_waitcnt lgkmcnt(1)
	v_fma_f64 v[3:4], -v[64:65], v[3:4], v[21:22]
	s_delay_alu instid0(VALU_DEP_2) | instskip(NEXT) | instid1(VALU_DEP_2)
	v_mul_f64 v[5:6], v[5:6], v[7:8]
	v_fma_f64 v[1:2], -v[15:16], v[1:2], v[3:4]
	v_add_lshl_u32 v3, s9, v0, 3
	v_add_lshl_u32 v4, s12, v0, 3
	;; [unrolled: 1-line block ×4, first 2 shown]
	ds_store_b64 v52, v[17:18]
	ds_store_b64 v53, v[19:20]
	ds_store_b64 v3, v[23:24] offset:4608
	ds_store_b64 v4, v[27:28] offset:4608
	;; [unrolled: 1-line block ×4, first 2 shown]
	v_add_lshl_u32 v3, s19, v0, 3
	v_add_lshl_u32 v4, s21, v0, 3
	;; [unrolled: 1-line block ×4, first 2 shown]
	s_waitcnt lgkmcnt(6)
	v_fma_f64 v[1:2], -v[5:6], v[11:12], v[1:2]
	s_delay_alu instid0(VALU_DEP_1)
	v_mul_f64 v[1:2], v[9:10], v[1:2]
	v_add_lshl_u32 v9, s25, v0, 3
	ds_store_b64 v3, v[37:38] offset:4608
	ds_store_b64 v4, v[41:42] offset:4608
	;; [unrolled: 1-line block ×14, first 2 shown]
.LBB94_26:
	s_cmp_lt_i32 s4, 0
	s_cbranch_scc1 .LBB94_39
; %bb.27:
	s_bitcmp1_b32 s4, 0
	s_cselect_b32 s8, -1, 0
	s_delay_alu instid0(SALU_CYCLE_1)
	s_and_b32 vcc_lo, exec_lo, s8
	s_mov_b32 s8, s4
	s_cbranch_vccnz .LBB94_32
; %bb.28:
	s_mul_i32 s8, s4, 24
	s_cmp_le_i32 s28, s4
	v_add_lshl_u32 v3, s8, v0, 3
	ds_load_b64 v[1:2], v3 offset:4608
	s_cbranch_scc1 .LBB94_31
; %bb.29:
	v_lshlrev_b32_e32 v4, 3, v0
	s_mul_i32 s12, s20, 0xc0
	s_mul_i32 s8, s4, 0xc0
	s_lshl_b32 s9, s20, 3
	s_delay_alu instid0(SALU_CYCLE_1)
	s_add_i32 s8, s8, s9
	v_add3_u32 v4, s12, v4, 0x1140
	s_add_i32 s8, s8, -8
	s_mov_b32 s9, s28
.LBB94_30:                              ; =>This Inner Loop Header: Depth=1
	v_mov_b32_e32 v7, s8
	s_add_i32 s9, s9, -1
	s_add_i32 s8, s8, -8
	s_cmp_gt_i32 s9, s4
	ds_load_b64 v[5:6], v4
	ds_load_b64 v[7:8], v7
	v_add_nc_u32_e32 v4, 0xffffff40, v4
	s_waitcnt lgkmcnt(0)
	v_fma_f64 v[1:2], -v[5:6], v[7:8], v[1:2]
	s_cbranch_scc1 .LBB94_30
.LBB94_31:
	s_mul_i32 s8, s4, 0xc8
	s_delay_alu instid0(SALU_CYCLE_1)
	v_dual_mov_b32 v4, s8 :: v_dual_add_nc_u32 v3, 0x1200, v3
	s_add_i32 s8, s4, -1
	ds_load_b64 v[4:5], v4
	s_waitcnt lgkmcnt(0)
	v_mul_f64 v[1:2], v[4:5], v[1:2]
	ds_store_b64 v3, v[1:2]
.LBB94_32:
	s_cmp_eq_u32 s4, 0
	s_cbranch_scc1 .LBB94_39
; %bb.33:
	v_lshlrev_b32_e32 v1, 3, v0
	s_mul_i32 s12, s20, 0xc0
	s_mul_i32 s4, s8, 0xc0
	s_lshl_b32 s9, s20, 3
	s_delay_alu instid0(SALU_CYCLE_1)
	s_add_i32 s9, s4, s9
	v_add3_u32 v5, s12, v1, 0x1140
	s_add_i32 s4, s9, -8
	s_addk_i32 s9, 0xff38
	s_branch .LBB94_35
.LBB94_34:                              ;   in Loop: Header=BB94_35 Depth=1
	s_addk_i32 s12, 0xff38
	s_delay_alu instid0(SALU_CYCLE_1)
	v_dual_mov_b32 v2, s12 :: v_dual_add_nc_u32 v1, 0x1200, v6
	s_add_i32 s12, s8, -2
	s_addk_i32 s4, 0xfe80
	s_addk_i32 s9, 0xfe80
	s_cmp_lt_i32 s8, 2
	ds_load_b64 v[6:7], v2
	s_mov_b32 s8, s12
	s_waitcnt lgkmcnt(0)
	v_mul_f64 v[2:3], v[6:7], v[3:4]
	ds_store_b64 v1, v[2:3]
	s_cbranch_scc1 .LBB94_39
.LBB94_35:                              ; =>This Loop Header: Depth=1
                                        ;     Child Loop BB94_36 Depth 2
                                        ;     Child Loop BB94_38 Depth 2
	s_mul_i32 s13, s8, 24
	v_mov_b32_e32 v4, v5
	v_add_lshl_u32 v3, s13, v0, 3
	s_cmp_le_i32 s28, s8
	s_mov_b32 s12, s4
	s_mov_b32 s14, s28
	ds_load_b64 v[1:2], v3 offset:4608
	s_cbranch_scc1 .LBB94_37
.LBB94_36:                              ;   Parent Loop BB94_35 Depth=1
                                        ; =>  This Inner Loop Header: Depth=2
	v_mov_b32_e32 v8, s12
	s_add_i32 s14, s14, -1
	s_add_i32 s12, s12, -8
	s_cmp_gt_i32 s14, s8
	ds_load_b64 v[6:7], v4
	ds_load_b64 v[8:9], v8
	v_add_nc_u32_e32 v4, 0xffffff40, v4
	s_waitcnt lgkmcnt(0)
	v_fma_f64 v[1:2], -v[6:7], v[8:9], v[1:2]
	s_cbranch_scc1 .LBB94_36
.LBB94_37:                              ;   in Loop: Header=BB94_35 Depth=1
	s_mul_i32 s12, s8, 0xc8
	v_add_nc_u32_e32 v7, 0x1200, v3
	v_mov_b32_e32 v3, s12
	s_sub_i32 s13, s13, 24
	s_cmp_lt_i32 s28, s8
	v_add_lshl_u32 v6, s13, v0, 3
	s_mov_b32 s13, s9
	ds_load_b64 v[8:9], v3
	s_mov_b32 s14, s20
	ds_load_b64 v[3:4], v6 offset:4608
	s_waitcnt lgkmcnt(1)
	v_mul_f64 v[8:9], v[8:9], v[1:2]
	v_mov_b32_e32 v1, v5
	ds_store_b64 v7, v[8:9]
	s_cbranch_scc1 .LBB94_34
.LBB94_38:                              ;   Parent Loop BB94_35 Depth=1
                                        ; =>  This Inner Loop Header: Depth=2
	v_mov_b32_e32 v2, s13
	s_add_i32 s14, s14, -1
	s_add_i32 s13, s13, -8
	s_cmp_gt_i32 s14, s8
	ds_load_b64 v[7:8], v1
	ds_load_b64 v[9:10], v2
	v_add_nc_u32_e32 v1, 0xffffff40, v1
	s_waitcnt lgkmcnt(0)
	v_fma_f64 v[3:4], -v[7:8], v[9:10], v[3:4]
	s_cbranch_scc1 .LBB94_38
	s_branch .LBB94_34
.LBB94_39:
	s_mov_b32 s4, 0
.LBB94_40:
	s_delay_alu instid0(SALU_CYCLE_1)
	s_and_b32 vcc_lo, exec_lo, s4
	s_cbranch_vccz .LBB94_60
; %bb.41:
	s_cmp_gt_i32 s6, 23
	s_mov_b32 s8, 0
	s_cselect_b32 s4, -1, 0
	s_delay_alu instid0(SALU_CYCLE_1)
	s_and_b32 vcc_lo, exec_lo, s4
	s_cbranch_vccz .LBB94_43
; %bb.42:
	v_dual_mov_b32 v30, 0 :: v_dual_lshlrev_b32 v31, 3, v0
	s_mov_b32 s8, 24
	s_delay_alu instid0(VALU_DEP_1)
	v_add_nc_u32_e32 v29, 0x1000, v31
	ds_load_2addr_b64 v[1:4], v29 offset0:64 offset1:88
	ds_load_b128 v[5:8], v30
	ds_load_b128 v[9:12], v30 offset:16
	s_waitcnt lgkmcnt(1)
	v_mul_f64 v[21:22], v[5:6], v[1:2]
	s_delay_alu instid0(VALU_DEP_1)
	v_fma_f64 v[17:18], -v[21:22], v[7:8], v[3:4]
	ds_load_2addr_b64 v[5:8], v29 offset0:112 offset1:136
	ds_load_2addr_b64 v[13:16], v30 offset0:25 offset1:26
	;; [unrolled: 1-line block ×3, first 2 shown]
	s_waitcnt lgkmcnt(2)
	v_fma_f64 v[5:6], -v[21:22], v[9:10], v[5:6]
	v_fma_f64 v[27:28], -v[21:22], v[11:12], v[7:8]
	s_waitcnt lgkmcnt(1)
	v_mul_f64 v[23:24], v[13:14], v[17:18]
	s_delay_alu instid0(VALU_DEP_1)
	v_fma_f64 v[25:26], -v[23:24], v[15:16], v[5:6]
	ds_load_2addr_b64 v[9:12], v29 offset0:160 offset1:184
	ds_load_b128 v[13:16], v30 offset:32
	ds_load_b128 v[5:8], v30 offset:400
	;; [unrolled: 1-line block ×3, first 2 shown]
	ds_load_2addr_b64 v[32:35], v30 offset0:45 offset1:46
	s_waitcnt lgkmcnt(3)
	v_fma_f64 v[9:10], -v[21:22], v[13:14], v[9:10]
	v_fma_f64 v[13:14], -v[23:24], v[1:2], v[27:28]
	;; [unrolled: 1-line block ×3, first 2 shown]
	s_waitcnt lgkmcnt(2)
	v_mul_f64 v[1:2], v[5:6], v[25:26]
	s_delay_alu instid0(VALU_DEP_4) | instskip(NEXT) | instid1(VALU_DEP_2)
	v_fma_f64 v[48:49], -v[23:24], v[3:4], v[9:10]
	v_fma_f64 v[50:51], -v[1:2], v[7:8], v[13:14]
	ds_load_2addr_b64 v[3:6], v29 offset0:208 offset1:232
	ds_load_2addr_b64 v[7:10], v30 offset0:29 offset1:30
	ds_load_b128 v[11:14], v30 offset:416
	ds_load_2addr_b64 v[25:28], v30 offset0:75 offset1:76
	ds_load_2addr_b64 v[36:39], v30 offset0:77 offset1:78
	ds_load_b128 v[40:43], v30 offset:432
	ds_load_2addr_b64 v[44:47], v30 offset0:31 offset1:32
	s_waitcnt lgkmcnt(6)
	v_fma_f64 v[17:18], -v[21:22], v[17:18], v[3:4]
	s_waitcnt lgkmcnt(5)
	v_fma_f64 v[7:8], -v[23:24], v[7:8], v[15:16]
	v_fma_f64 v[19:20], -v[21:22], v[19:20], v[5:6]
	s_waitcnt lgkmcnt(4)
	v_fma_f64 v[11:12], -v[1:2], v[11:12], v[48:49]
	s_waitcnt lgkmcnt(3)
	v_mul_f64 v[3:4], v[25:26], v[50:51]
	v_fma_f64 v[52:53], -v[23:24], v[9:10], v[17:18]
	v_fma_f64 v[54:55], -v[1:2], v[13:14], v[7:8]
	v_add_nc_u32_e32 v17, 0x1800, v31
	s_waitcnt lgkmcnt(0)
	v_fma_f64 v[18:19], -v[23:24], v[44:45], v[19:20]
	v_fma_f64 v[56:57], -v[3:4], v[27:28], v[11:12]
	ds_load_b128 v[5:8], v30 offset:64
	ds_load_2addr_b64 v[9:12], v17 offset1:24
	ds_load_b128 v[13:16], v30 offset:800
	ds_load_b128 v[25:28], v30 offset:816
	;; [unrolled: 1-line block ×3, first 2 shown]
	v_fma_f64 v[40:41], -v[1:2], v[40:41], v[52:53]
	v_fma_f64 v[36:37], -v[3:4], v[36:37], v[54:55]
	s_waitcnt lgkmcnt(3)
	v_fma_f64 v[9:10], -v[21:22], v[5:6], v[9:10]
	v_fma_f64 v[68:69], -v[21:22], v[7:8], v[11:12]
	;; [unrolled: 1-line block ×3, first 2 shown]
	s_waitcnt lgkmcnt(2)
	v_mul_f64 v[5:6], v[13:14], v[56:57]
	v_fma_f64 v[72:73], -v[3:4], v[38:39], v[40:41]
	v_fma_f64 v[70:71], -v[23:24], v[46:47], v[9:10]
	s_delay_alu instid0(VALU_DEP_3)
	v_fma_f64 v[15:16], -v[5:6], v[15:16], v[36:37]
	ds_load_2addr_b64 v[7:10], v17 offset0:48 offset1:72
	ds_load_2addr_b64 v[11:14], v30 offset0:33 offset1:34
	ds_load_b128 v[36:39], v30 offset:448
	ds_load_2addr_b64 v[40:43], v30 offset0:79 offset1:80
	ds_load_2addr_b64 v[44:47], v30 offset0:125 offset1:126
	;; [unrolled: 1-line block ×4, first 2 shown]
	ds_load_b128 v[60:63], v30 offset:464
	ds_load_2addr_b64 v[64:67], v30 offset0:35 offset1:36
	s_waitcnt lgkmcnt(8)
	v_fma_f64 v[48:49], -v[21:22], v[48:49], v[7:8]
	s_waitcnt lgkmcnt(7)
	v_fma_f64 v[11:12], -v[23:24], v[11:12], v[68:69]
	v_fma_f64 v[25:26], -v[5:6], v[25:26], v[72:73]
	s_waitcnt lgkmcnt(5)
	v_fma_f64 v[18:19], -v[3:4], v[40:41], v[18:19]
	v_fma_f64 v[68:69], -v[21:22], v[50:51], v[9:10]
	;; [unrolled: 1-line block ×3, first 2 shown]
	s_waitcnt lgkmcnt(4)
	v_mul_f64 v[7:8], v[44:45], v[15:16]
	v_fma_f64 v[70:71], -v[23:24], v[13:14], v[48:49]
	v_fma_f64 v[72:73], -v[1:2], v[38:39], v[11:12]
	v_fma_f64 v[18:19], -v[5:6], v[27:28], v[18:19]
	s_waitcnt lgkmcnt(0)
	v_fma_f64 v[64:65], -v[23:24], v[64:65], v[68:69]
	v_fma_f64 v[74:75], -v[3:4], v[42:43], v[36:37]
	;; [unrolled: 1-line block ×3, first 2 shown]
	ds_load_b128 v[9:12], v30 offset:96
	ds_load_2addr_b64 v[13:16], v17 offset0:96 offset1:120
	ds_load_b128 v[25:28], v30 offset:832
	ds_load_b128 v[36:39], v30 offset:1200
	;; [unrolled: 1-line block ×4, first 2 shown]
	ds_load_2addr_b64 v[48:51], v30 offset0:141 offset1:142
	v_fma_f64 v[60:61], -v[1:2], v[60:61], v[70:71]
	v_fma_f64 v[56:57], -v[3:4], v[56:57], v[72:73]
	s_waitcnt lgkmcnt(5)
	v_fma_f64 v[13:14], -v[21:22], v[9:10], v[13:14]
	v_fma_f64 v[18:19], -v[7:8], v[52:53], v[18:19]
	s_waitcnt lgkmcnt(4)
	v_fma_f64 v[25:26], -v[5:6], v[25:26], v[74:75]
	v_fma_f64 v[15:16], -v[21:22], v[11:12], v[15:16]
	;; [unrolled: 1-line block ×3, first 2 shown]
	s_waitcnt lgkmcnt(3)
	v_mul_f64 v[9:10], v[36:37], v[76:77]
	v_fma_f64 v[96:97], -v[3:4], v[58:59], v[60:61]
	v_fma_f64 v[98:99], -v[5:6], v[27:28], v[56:57]
	;; [unrolled: 1-line block ×5, first 2 shown]
	ds_load_2addr_b64 v[11:14], v17 offset0:144 offset1:168
	ds_load_2addr_b64 v[25:28], v30 offset0:37 offset1:38
	ds_load_b128 v[36:39], v30 offset:480
	ds_load_2addr_b64 v[52:55], v30 offset0:83 offset1:84
	ds_load_2addr_b64 v[56:59], v30 offset0:129 offset1:130
	ds_load_b128 v[60:63], v30 offset:1216
	;; [unrolled: 3-line block ×4, first 2 shown]
	ds_load_2addr_b64 v[88:91], v30 offset0:39 offset1:40
	s_waitcnt lgkmcnt(12)
	v_fma_f64 v[44:45], -v[21:22], v[44:45], v[11:12]
	s_waitcnt lgkmcnt(11)
	v_fma_f64 v[15:16], -v[23:24], v[25:26], v[15:16]
	v_fma_f64 v[40:41], -v[5:6], v[40:41], v[96:97]
	s_waitcnt lgkmcnt(10)
	v_fma_f64 v[25:26], -v[1:2], v[36:37], v[92:93]
	s_waitcnt lgkmcnt(9)
	;; [unrolled: 2-line block ×5, first 2 shown]
	v_mul_f64 v[11:12], v[64:65], v[18:19]
	v_fma_f64 v[18:19], -v[21:22], v[46:47], v[13:14]
	v_fma_f64 v[60:61], -v[23:24], v[27:28], v[44:45]
	v_fma_f64 v[64:65], -v[1:2], v[38:39], v[15:16]
	v_fma_f64 v[96:97], -v[7:8], v[58:59], v[40:41]
	v_fma_f64 v[92:93], -v[3:4], v[54:55], v[25:26]
	v_fma_f64 v[94:95], -v[5:6], v[42:43], v[36:37]
	v_fma_f64 v[62:63], -v[9:10], v[62:63], v[52:53]
	v_fma_f64 v[66:67], -v[11:12], v[66:67], v[56:57]
	ds_load_b128 v[13:16], v30 offset:128
	ds_load_2addr_b64 v[25:28], v17 offset0:192 offset1:216
	ds_load_b128 v[36:39], v30 offset:864
	ds_load_b128 v[40:43], v30 offset:1600
	;; [unrolled: 1-line block ×5, first 2 shown]
	s_waitcnt lgkmcnt(7)
	v_fma_f64 v[18:19], -v[23:24], v[88:89], v[18:19]
	v_fma_f64 v[60:61], -v[1:2], v[84:85], v[60:61]
	;; [unrolled: 1-line block ×4, first 2 shown]
	s_waitcnt lgkmcnt(5)
	v_fma_f64 v[25:26], -v[21:22], v[13:14], v[25:26]
	s_waitcnt lgkmcnt(4)
	v_fma_f64 v[36:37], -v[5:6], v[36:37], v[92:93]
	v_fma_f64 v[76:77], -v[7:8], v[76:77], v[94:95]
	v_fma_f64 v[62:63], -v[11:12], v[68:69], v[62:63]
	v_fma_f64 v[15:16], -v[21:22], v[15:16], v[27:28]
	s_waitcnt lgkmcnt(3)
	v_mul_f64 v[13:14], v[40:41], v[66:67]
	v_fma_f64 v[19:20], -v[1:2], v[86:87], v[18:19]
	v_add_nc_u32_e32 v18, 0x1c00, v31
	v_fma_f64 v[110:111], -v[3:4], v[82:83], v[60:61]
	v_fma_f64 v[112:113], -v[5:6], v[38:39], v[64:65]
	;; [unrolled: 1-line block ×7, first 2 shown]
	ds_load_2addr_b64 v[25:28], v18 offset0:112 offset1:136
	ds_load_2addr_b64 v[36:39], v30 offset0:41 offset1:42
	ds_load_b128 v[40:43], v30 offset:512
	ds_load_2addr_b64 v[60:63], v30 offset0:87 offset1:88
	ds_load_2addr_b64 v[64:67], v30 offset0:133 offset1:134
	ds_load_b128 v[68:71], v30 offset:1248
	ds_load_2addr_b64 v[72:75], v30 offset0:179 offset1:180
	ds_load_2addr_b64 v[76:79], v30 offset0:225 offset1:226
	;; [unrolled: 1-line block ×4, first 2 shown]
	ds_load_b128 v[88:91], v30 offset:1264
	ds_load_2addr_b64 v[92:95], v30 offset0:135 offset1:136
	ds_load_2addr_b64 v[96:99], v30 offset0:89 offset1:90
	ds_load_b128 v[100:103], v30 offset:528
	ds_load_2addr_b64 v[104:107], v30 offset0:43 offset1:44
	s_waitcnt lgkmcnt(14)
	v_fma_f64 v[25:26], -v[21:22], v[56:57], v[25:26]
	s_waitcnt lgkmcnt(13)
	v_fma_f64 v[36:37], -v[23:24], v[36:37], v[15:16]
	v_fma_f64 v[52:53], -v[5:6], v[52:53], v[110:111]
	s_waitcnt lgkmcnt(11)
	v_fma_f64 v[19:20], -v[3:4], v[60:61], v[19:20]
	s_waitcnt lgkmcnt(10)
	v_fma_f64 v[56:57], -v[7:8], v[64:65], v[112:113]
	v_fma_f64 v[44:45], -v[13:14], v[44:45], v[118:119]
	v_fma_f64 v[40:41], -v[1:2], v[40:41], v[108:109]
	s_waitcnt lgkmcnt(9)
	v_fma_f64 v[60:61], -v[9:10], v[68:69], v[114:115]
	s_waitcnt lgkmcnt(8)
	v_fma_f64 v[64:65], -v[11:12], v[72:73], v[116:117]
	v_fma_f64 v[72:73], -v[21:22], v[58:59], v[27:28]
	s_waitcnt lgkmcnt(7)
	v_mul_f64 v[15:16], v[76:77], v[120:121]
	v_fma_f64 v[76:77], -v[23:24], v[38:39], v[25:26]
	v_fma_f64 v[108:109], -v[1:2], v[42:43], v[36:37]
	;; [unrolled: 1-line block ×5, first 2 shown]
	v_add_nc_u32_e32 v19, 0x2000, v31
	v_mov_b32_e32 v20, 0x898
	v_fma_f64 v[110:111], -v[3:4], v[62:63], v[40:41]
	v_fma_f64 v[74:75], -v[11:12], v[74:75], v[60:61]
	;; [unrolled: 1-line block ×4, first 2 shown]
	ds_load_b128 v[25:28], v30 offset:160
	ds_load_2addr_b64 v[36:39], v19 offset0:32 offset1:56
	ds_load_b128 v[40:43], v30 offset:896
	ds_load_b128 v[44:47], v30 offset:1632
	;; [unrolled: 1-line block ×5, first 2 shown]
	ds_load_2addr_b64 v[64:67], v30 offset0:237 offset1:238
	ds_load_b128 v[68:71], v30 offset:176
	s_waitcnt lgkmcnt(13)
	v_fma_f64 v[88:89], -v[9:10], v[88:89], v[114:115]
	s_waitcnt lgkmcnt(12)
	v_fma_f64 v[92:93], -v[7:8], v[92:93], v[112:113]
	v_fma_f64 v[84:85], -v[11:12], v[84:85], v[116:117]
	s_waitcnt lgkmcnt(7)
	v_fma_f64 v[25:26], -v[21:22], v[25:26], v[36:37]
	v_fma_f64 v[36:37], -v[23:24], v[104:105], v[72:73]
	;; [unrolled: 1-line block ×4, first 2 shown]
	s_waitcnt lgkmcnt(6)
	v_fma_f64 v[40:41], -v[5:6], v[40:41], v[110:111]
	s_waitcnt lgkmcnt(5)
	v_fma_f64 v[44:45], -v[13:14], v[44:45], v[74:75]
	v_fma_f64 v[74:75], -v[15:16], v[80:81], v[118:119]
	;; [unrolled: 1-line block ×3, first 2 shown]
	s_waitcnt lgkmcnt(4)
	v_mul_f64 v[120:121], v[52:53], v[78:79]
	v_fma_f64 v[136:137], -v[11:12], v[86:87], v[88:89]
	v_fma_f64 v[134:135], -v[9:10], v[90:91], v[92:93]
	;; [unrolled: 1-line block ×9, first 2 shown]
	ds_load_2addr_b64 v[25:28], v19 offset0:80 offset1:104
	ds_load_b128 v[36:39], v30 offset:544
	ds_load_2addr_b64 v[40:43], v30 offset0:91 offset1:92
	v_fma_f64 v[31:32], -v[23:24], v[32:33], v[122:123]
	s_waitcnt lgkmcnt(2)
	v_fma_f64 v[25:26], -v[21:22], v[68:69], v[25:26]
	v_fma_f64 v[142:143], -v[120:121], v[54:55], v[74:75]
	ds_load_2addr_b64 v[44:47], v30 offset0:137 offset1:138
	ds_load_b128 v[52:55], v30 offset:1280
	ds_load_2addr_b64 v[72:75], v30 offset0:183 offset1:184
	ds_load_2addr_b64 v[76:79], v30 offset0:229 offset1:230
	ds_load_b128 v[80:83], v30 offset:2016
	ds_load_2addr_b64 v[84:87], v20 offset1:1
	ds_load_b128 v[88:91], v30 offset:2032
	ds_load_2addr_b64 v[92:95], v30 offset0:231 offset1:232
	ds_load_2addr_b64 v[96:99], v30 offset0:185 offset1:186
	ds_load_b128 v[100:103], v30 offset:1296
	ds_load_2addr_b64 v[104:107], v30 offset0:139 offset1:140
	ds_load_2addr_b64 v[108:111], v30 offset0:93 offset1:94
	ds_load_b128 v[112:115], v30 offset:560
	ds_load_b128 v[116:119], v30 offset:4400
	v_mov_b32_e32 v20, 0x8a8
	v_fma_f64 v[56:57], -v[13:14], v[56:57], v[136:137]
	s_waitcnt lgkmcnt(11)
	v_fma_f64 v[68:69], -v[11:12], v[72:73], v[134:135]
	s_waitcnt lgkmcnt(10)
	v_fma_f64 v[72:73], -v[15:16], v[76:77], v[138:139]
	v_fma_f64 v[36:37], -v[1:2], v[36:37], v[124:125]
	;; [unrolled: 1-line block ×6, first 2 shown]
	s_waitcnt lgkmcnt(9)
	v_fma_f64 v[76:77], -v[120:121], v[80:81], v[140:141]
	v_fma_f64 v[80:81], -v[23:24], v[34:35], v[25:26]
	s_waitcnt lgkmcnt(8)
	v_mul_f64 v[122:123], v[84:85], v[142:143]
	v_fma_f64 v[84:85], -v[1:2], v[38:39], v[31:32]
	v_fma_f64 v[78:79], -v[15:16], v[78:79], v[56:57]
	;; [unrolled: 1-line block ×10, first 2 shown]
	ds_load_b128 v[25:28], v30 offset:928
	ds_load_b128 v[31:34], v30 offset:1664
	;; [unrolled: 1-line block ×3, first 2 shown]
	ds_load_2addr_b64 v[39:42], v20 offset1:1
	ds_load_2addr_b64 v[43:46], v30 offset0:47 offset1:95
	v_mov_b32_e32 v20, 0xa28
	ds_load_2addr_b64 v[52:55], v20 offset1:1
	ds_load_b128 v[56:59], v30 offset:2416
	ds_load_b128 v[60:63], v30 offset:1680
	ds_load_b128 v[68:71], v30 offset:944
	v_mov_b32_e32 v20, 0x8b8
	s_waitcnt lgkmcnt(10)
	v_fma_f64 v[80:81], -v[1:2], v[112:113], v[80:81]
	v_fma_f64 v[76:77], -v[122:123], v[86:87], v[76:77]
	;; [unrolled: 1-line block ×4, first 2 shown]
	s_waitcnt lgkmcnt(5)
	v_fma_f64 v[39:40], -v[122:123], v[39:40], v[72:73]
	v_fma_f64 v[25:26], -v[5:6], v[25:26], v[124:125]
	v_fma_f64 v[86:87], -v[7:8], v[104:105], v[126:127]
	v_fma_f64 v[100:101], -v[9:10], v[100:101], v[128:129]
	v_fma_f64 v[96:97], -v[11:12], v[96:97], v[130:131]
	v_fma_f64 v[31:32], -v[13:14], v[31:32], v[74:75]
	v_fma_f64 v[74:75], -v[15:16], v[92:93], v[132:133]
	v_mul_f64 v[104:105], v[35:36], v[76:77]
	s_waitcnt lgkmcnt(4)
	v_fma_f64 v[35:36], -v[23:24], v[43:44], v[82:83]
	v_fma_f64 v[43:44], -v[3:4], v[110:111], v[80:81]
	v_fma_f64 v[108:109], -v[5:6], v[27:28], v[84:85]
	v_fma_f64 v[112:113], -v[122:123], v[41:42], v[78:79]
	v_fma_f64 v[106:107], -v[7:8], v[106:107], v[25:26]
	v_fma_f64 v[102:103], -v[9:10], v[102:103], v[86:87]
	v_fma_f64 v[98:99], -v[11:12], v[98:99], v[100:101]
	v_fma_f64 v[96:97], -v[13:14], v[33:34], v[96:97]
	v_fma_f64 v[100:101], -v[15:16], v[94:95], v[31:32]
	v_fma_f64 v[110:111], -v[120:121], v[90:91], v[74:75]
	v_fma_f64 v[124:125], -v[104:105], v[37:38], v[39:40]
	v_fma_f64 v[114:115], -v[1:2], v[114:115], v[35:36]
	ds_load_b128 v[25:28], v30 offset:1312
	ds_load_2addr_b64 v[31:34], v30 offset0:187 offset1:188
	ds_load_2addr_b64 v[35:38], v30 offset0:233 offset1:234
	ds_load_b128 v[39:42], v30 offset:2048
	ds_load_2addr_b64 v[72:75], v20 offset1:1
	s_waitcnt lgkmcnt(5)
	v_fma_f64 v[43:44], -v[5:6], v[68:69], v[43:44]
	v_fma_f64 v[47:48], -v[7:8], v[48:49], v[108:109]
	v_mov_b32_e32 v20, 0xa38
	ds_load_2addr_b64 v[76:79], v20 offset1:1
	ds_load_b128 v[80:83], v30 offset:2064
	ds_load_2addr_b64 v[84:87], v30 offset0:235 offset1:236
	ds_load_2addr_b64 v[88:91], v30 offset0:189 offset1:190
	ds_load_b128 v[92:95], v30 offset:1328
	v_fma_f64 v[56:57], -v[104:105], v[56:57], v[112:113]
	v_mov_b32_e32 v20, 0x8c8
	v_fma_f64 v[60:61], -v[13:14], v[60:61], v[98:99]
	s_waitcnt lgkmcnt(9)
	v_fma_f64 v[25:26], -v[9:10], v[25:26], v[106:107]
	s_waitcnt lgkmcnt(8)
	;; [unrolled: 2-line block ×5, first 2 shown]
	v_fma_f64 v[68:69], -v[122:123], v[72:73], v[110:111]
	v_mul_f64 v[96:97], v[52:53], v[124:125]
	v_fma_f64 v[45:46], -v[3:4], v[45:46], v[114:115]
	v_fma_f64 v[72:73], -v[7:8], v[50:51], v[43:44]
	;; [unrolled: 1-line block ×11, first 2 shown]
	ds_load_b128 v[25:28], v30 offset:1696
	ds_load_2addr_b64 v[31:34], v20 offset1:1
	ds_load_b128 v[35:38], v30 offset:2432
	ds_load_b128 v[39:42], v30 offset:2800
	ds_load_2addr_b64 v[43:46], v30 offset0:143 offset1:191
	ds_load_b128 v[47:50], v30 offset:2816
	ds_load_b128 v[51:54], v30 offset:2448
	;; [unrolled: 1-line block ×3, first 2 shown]
	s_waitcnt lgkmcnt(8)
	v_fma_f64 v[72:73], -v[9:10], v[92:93], v[72:73]
	v_fma_f64 v[88:89], -v[11:12], v[88:89], v[98:99]
	v_mov_b32_e32 v20, 0x8d8
	v_fma_f64 v[59:60], -v[120:121], v[80:81], v[60:61]
	s_waitcnt lgkmcnt(7)
	v_fma_f64 v[25:26], -v[13:14], v[25:26], v[100:101]
	v_fma_f64 v[62:63], -v[15:16], v[84:85], v[62:63]
	s_waitcnt lgkmcnt(6)
	v_fma_f64 v[31:32], -v[122:123], v[31:32], v[102:103]
	s_waitcnt lgkmcnt(5)
	v_fma_f64 v[35:36], -v[104:105], v[35:36], v[74:75]
	v_fma_f64 v[68:69], -v[96:97], v[76:77], v[68:69]
	s_waitcnt lgkmcnt(4)
	v_mul_f64 v[80:81], v[39:40], v[106:107]
	s_waitcnt lgkmcnt(3)
	v_fma_f64 v[39:40], -v[7:8], v[43:44], v[70:71]
	v_fma_f64 v[43:44], -v[11:12], v[90:91], v[72:73]
	;; [unrolled: 1-line block ×8, first 2 shown]
	v_mov_b32_e32 v35, 0xa48
	v_mov_b32_e32 v63, 0xa68
	v_fma_f64 v[86:87], -v[80:81], v[41:42], v[68:69]
	v_fma_f64 v[88:89], -v[9:10], v[94:95], v[39:40]
	v_mov_b32_e32 v39, 0xbb8
	ds_load_b128 v[25:28], v30 offset:2080
	ds_load_2addr_b64 v[31:34], v20 offset1:1
	ds_load_2addr_b64 v[35:38], v35 offset1:1
	;; [unrolled: 1-line block ×3, first 2 shown]
	s_waitcnt lgkmcnt(4)
	v_fma_f64 v[43:44], -v[13:14], v[55:56], v[43:44]
	v_fma_f64 v[55:56], -v[15:16], v[64:65], v[72:73]
	v_mov_b32_e32 v20, 0xbc8
	ds_load_2addr_b64 v[59:62], v20 offset1:1
	ds_load_b128 v[68:71], v30 offset:2096
	v_mov_b32_e32 v20, 0x8e8
	v_fma_f64 v[51:52], -v[104:105], v[51:52], v[82:83]
	s_waitcnt lgkmcnt(5)
	v_fma_f64 v[25:26], -v[120:121], v[25:26], v[74:75]
	s_waitcnt lgkmcnt(4)
	;; [unrolled: 2-line block ×3, first 2 shown]
	v_fma_f64 v[35:36], -v[96:97], v[35:36], v[84:85]
	v_fma_f64 v[47:48], -v[80:81], v[47:48], v[78:79]
	s_waitcnt lgkmcnt(2)
	v_mul_f64 v[82:83], v[39:40], v[86:87]
	v_fma_f64 v[39:40], -v[11:12], v[45:46], v[88:89]
	v_fma_f64 v[84:85], -v[15:16], v[66:67], v[43:44]
	;; [unrolled: 1-line block ×7, first 2 shown]
	v_mov_b32_e32 v35, 0xa58
	v_fma_f64 v[98:99], -v[82:83], v[41:42], v[47:48]
	v_fma_f64 v[100:101], -v[13:14], v[57:58], v[39:40]
	v_add_nc_u32_e64 v47, 0x400, 0
	ds_load_2addr_b64 v[25:28], v20 offset1:1
	ds_load_b128 v[31:34], v30 offset:2464
	ds_load_2addr_b64 v[35:38], v35 offset1:1
	ds_load_b128 v[39:42], v30 offset:2832
	ds_load_b128 v[43:46], v30 offset:3200
	ds_load_2addr_b64 v[47:50], v47 offset0:111 offset1:159
	v_mov_b32_e32 v20, 0xbd8
	s_waitcnt lgkmcnt(6)
	v_fma_f64 v[67:68], -v[120:121], v[68:69], v[84:85]
	ds_load_2addr_b64 v[51:54], v20 offset1:1
	ds_load_b128 v[55:58], v30 offset:2848
	ds_load_2addr_b64 v[63:66], v63 offset1:1
	ds_load_b128 v[72:75], v30 offset:2480
	ds_load_b128 v[76:79], v30 offset:2864
	v_mov_b32_e32 v20, 0xd48
	s_waitcnt lgkmcnt(10)
	v_fma_f64 v[25:26], -v[122:123], v[25:26], v[86:87]
	s_waitcnt lgkmcnt(9)
	v_fma_f64 v[31:32], -v[104:105], v[31:32], v[88:89]
	s_waitcnt lgkmcnt(8)
	v_fma_f64 v[35:36], -v[96:97], v[35:36], v[90:91]
	s_waitcnt lgkmcnt(7)
	v_fma_f64 v[39:40], -v[80:81], v[39:40], v[92:93]
	v_fma_f64 v[59:60], -v[82:83], v[59:60], v[94:95]
	s_waitcnt lgkmcnt(6)
	v_mul_f64 v[84:85], v[43:44], v[98:99]
	s_waitcnt lgkmcnt(5)
	v_fma_f64 v[43:44], -v[15:16], v[47:48], v[100:101]
	v_fma_f64 v[47:48], -v[122:123], v[27:28], v[67:68]
	;; [unrolled: 1-line block ×6, first 2 shown]
	ds_load_b128 v[25:28], v30 offset:3216
	ds_load_2addr_b64 v[31:34], v20 offset1:1
	ds_load_b128 v[35:38], v30 offset:3232
	v_mov_b32_e32 v20, 0xbe8
	v_fma_f64 v[45:46], -v[84:85], v[45:46], v[59:60]
	v_fma_f64 v[43:44], -v[120:121], v[70:71], v[43:44]
	s_waitcnt lgkmcnt(4)
	v_fma_f64 v[47:48], -v[104:105], v[72:73], v[47:48]
	v_add_nc_u32_e64 v73, 0x800, 0
	v_fma_f64 v[59:60], -v[96:97], v[63:64], v[67:68]
	v_fma_f64 v[55:56], -v[80:81], v[55:56], v[86:87]
	;; [unrolled: 1-line block ×3, first 2 shown]
	s_waitcnt lgkmcnt(2)
	v_fma_f64 v[25:26], -v[84:85], v[25:26], v[39:40]
	v_mov_b32_e32 v51, 0xd68
	s_waitcnt lgkmcnt(1)
	v_mul_f64 v[61:62], v[31:32], v[45:46]
	v_fma_f64 v[31:32], -v[122:123], v[49:50], v[43:44]
	v_fma_f64 v[63:64], -v[96:97], v[65:66], v[47:48]
	;; [unrolled: 1-line block ×7, first 2 shown]
	v_mov_b32_e32 v31, 0xd58
	ds_load_2addr_b64 v[25:28], v20 offset1:1
	ds_load_2addr_b64 v[31:34], v31 offset1:1
	ds_load_b128 v[39:42], v30 offset:3600
	ds_load_2addr_b64 v[43:46], v73 offset0:79 offset1:127
	v_fma_f64 v[63:64], -v[80:81], v[76:77], v[63:64]
	v_mov_b32_e32 v20, 0xed8
	ds_load_2addr_b64 v[47:50], v20 offset1:1
	ds_load_2addr_b64 v[51:54], v51 offset1:1
	ds_load_b128 v[55:58], v30 offset:3248
	v_mov_b32_e32 v20, 0xee8
	s_waitcnt lgkmcnt(7)
	v_fma_f64 v[35:36], -v[84:85], v[35:36], v[65:66]
	s_waitcnt lgkmcnt(6)
	v_fma_f64 v[25:26], -v[82:83], v[25:26], v[59:60]
	s_waitcnt lgkmcnt(5)
	v_fma_f64 v[31:32], -v[61:62], v[31:32], v[67:68]
	s_waitcnt lgkmcnt(4)
	v_mul_f64 v[59:60], v[39:40], v[69:70]
	s_waitcnt lgkmcnt(3)
	v_fma_f64 v[39:40], -v[96:97], v[43:44], v[71:72]
	v_fma_f64 v[43:44], -v[82:83], v[27:28], v[63:64]
	;; [unrolled: 1-line block ×6, first 2 shown]
	ds_load_b128 v[25:28], v30 offset:3616
	ds_load_b128 v[31:34], v30 offset:3632
	s_waitcnt lgkmcnt(2)
	v_fma_f64 v[43:44], -v[84:85], v[55:56], v[43:44]
	s_waitcnt lgkmcnt(1)
	v_fma_f64 v[25:26], -v[59:60], v[25:26], v[35:36]
	v_fma_f64 v[37:38], -v[61:62], v[51:52], v[37:38]
	v_mul_f64 v[51:52], v[47:48], v[41:42]
	v_fma_f64 v[35:36], -v[82:83], v[45:46], v[39:40]
	v_fma_f64 v[53:54], -v[61:62], v[53:54], v[43:44]
	s_delay_alu instid0(VALU_DEP_4) | instskip(NEXT) | instid1(VALU_DEP_4)
	v_fma_f64 v[55:56], -v[59:60], v[27:28], v[37:38]
	v_fma_f64 v[63:64], -v[51:52], v[49:50], v[25:26]
	s_delay_alu instid0(VALU_DEP_4)
	v_fma_f64 v[57:58], -v[84:85], v[57:58], v[35:36]
	ds_load_2addr_b64 v[25:28], v20 offset1:1
	ds_load_b128 v[35:38], v30 offset:4000
	ds_load_2addr_b64 v[39:42], v73 offset0:175 offset1:223
	v_mov_b32_e32 v20, 0x1068
	ds_load_2addr_b64 v[43:46], v20 offset1:1
	ds_load_b128 v[47:50], v30 offset:4016
	s_waitcnt lgkmcnt(5)
	v_fma_f64 v[30:31], -v[59:60], v[31:32], v[53:54]
	v_add_nc_u32_e64 v20, 0x1000, 0
	s_waitcnt lgkmcnt(4)
	v_fma_f64 v[25:26], -v[51:52], v[25:26], v[55:56]
	s_waitcnt lgkmcnt(3)
	v_mul_f64 v[35:36], v[35:36], v[63:64]
	s_waitcnt lgkmcnt(2)
	v_fma_f64 v[39:40], -v[61:62], v[39:40], v[57:58]
	v_fma_f64 v[27:28], -v[51:52], v[27:28], v[30:31]
	s_delay_alu instid0(VALU_DEP_3) | instskip(NEXT) | instid1(VALU_DEP_3)
	v_fma_f64 v[25:26], -v[35:36], v[37:38], v[25:26]
	v_fma_f64 v[30:31], -v[59:60], v[33:34], v[39:40]
	s_waitcnt lgkmcnt(0)
	s_delay_alu instid0(VALU_DEP_3) | instskip(NEXT) | instid1(VALU_DEP_3)
	v_fma_f64 v[27:28], -v[35:36], v[47:48], v[27:28]
	v_mul_f64 v[32:33], v[43:44], v[25:26]
	s_delay_alu instid0(VALU_DEP_3) | instskip(NEXT) | instid1(VALU_DEP_2)
	v_fma_f64 v[25:26], -v[51:52], v[41:42], v[30:31]
	v_fma_f64 v[30:31], -v[32:33], v[45:46], v[27:28]
	s_delay_alu instid0(VALU_DEP_2)
	v_fma_f64 v[37:38], -v[35:36], v[49:50], v[25:26]
	ds_load_2addr_b64 v[25:28], v20 offset0:15 offset1:63
	ds_store_2addr_b64 v29, v[21:22], v[23:24] offset0:64 offset1:88
	ds_store_2addr_b64 v29, v[1:2], v[3:4] offset0:112 offset1:136
	;; [unrolled: 1-line block ×4, first 2 shown]
	ds_store_2addr_b64 v17, v[13:14], v[15:16] offset1:24
	ds_store_2addr_b64 v17, v[120:121], v[122:123] offset0:48 offset1:72
	ds_store_2addr_b64 v17, v[104:105], v[96:97] offset0:96 offset1:120
	;; [unrolled: 1-line block ×6, first 2 shown]
	v_mul_f64 v[30:31], v[116:117], v[30:31]
	s_waitcnt lgkmcnt(11)
	v_fma_f64 v[25:26], -v[32:33], v[25:26], v[37:38]
	s_delay_alu instid0(VALU_DEP_1) | instskip(NEXT) | instid1(VALU_DEP_1)
	v_fma_f64 v[25:26], -v[30:31], v[118:119], v[25:26]
	v_mul_f64 v[25:26], v[27:28], v[25:26]
	ds_store_2addr_b64 v19, v[30:31], v[25:26] offset0:80 offset1:104
.LBB94_43:
	s_cmp_lt_i32 s8, s20
	s_cbranch_scc0 .LBB94_60
; %bb.44:
	s_add_i32 s9, s8, 19
	s_delay_alu instid0(SALU_CYCLE_1)
	s_cmp_ge_u32 s9, s20
	s_cbranch_scc1 .LBB94_49
; %bb.45:
	s_mul_i32 s12, s8, 24
	s_and_not1_b32 vcc_lo, exec_lo, s4
	v_add_lshl_u32 v41, s12, v0, 3
	s_delay_alu instid0(VALU_DEP_1)
	v_add_nc_u32_e32 v1, 0x1000, v41
	v_add_nc_u32_e32 v2, 0x1800, v41
	v_add_nc_u32_e32 v3, 0x1c00, v41
	ds_load_2addr_b64 v[33:36], v1 offset0:64 offset1:88
	ds_load_2addr_b64 v[37:40], v1 offset0:112 offset1:136
	;; [unrolled: 1-line block ×4, first 2 shown]
	ds_load_2addr_b64 v[21:24], v2 offset1:24
	ds_load_2addr_b64 v[17:20], v2 offset0:48 offset1:72
	ds_load_2addr_b64 v[13:16], v2 offset0:96 offset1:120
	;; [unrolled: 1-line block ×5, first 2 shown]
	s_cbranch_vccnz .LBB94_48
; %bb.46:
	v_lshl_or_b32 v42, v0, 3, 0x1200
	s_lshl_b32 s4, s8, 3
	s_mov_b32 s13, 0
.LBB94_47:                              ; =>This Inner Loop Header: Depth=1
	v_mov_b32_e32 v79, s4
	s_add_i32 s13, s13, 1
	s_addk_i32 s4, 0xc0
	s_cmp_lt_u32 s13, s8
	ds_load_b64 v[83:84], v42
	ds_load_b128 v[43:46], v79
	ds_load_b128 v[47:50], v79 offset:16
	ds_load_b128 v[51:54], v79 offset:32
	;; [unrolled: 1-line block ×9, first 2 shown]
	v_add_nc_u32_e32 v42, 0xc0, v42
	s_waitcnt lgkmcnt(9)
	v_fma_f64 v[33:34], -v[83:84], v[43:44], v[33:34]
	v_fma_f64 v[35:36], -v[83:84], v[45:46], v[35:36]
	s_waitcnt lgkmcnt(8)
	v_fma_f64 v[37:38], -v[83:84], v[47:48], v[37:38]
	v_fma_f64 v[39:40], -v[83:84], v[49:50], v[39:40]
	;; [unrolled: 3-line block ×10, first 2 shown]
	s_cbranch_scc1 .LBB94_47
.LBB94_48:
	s_mul_i32 s4, s8, 0xc8
	s_delay_alu instid0(SALU_CYCLE_1)
	v_dual_mov_b32 v66, s4 :: v_dual_add_nc_u32 v65, 0x1200, v41
	s_add_i32 s13, s12, 24
	s_add_i32 s21, s8, s12
	;; [unrolled: 1-line block ×3, first 2 shown]
	s_lshl_b32 s21, s21, 3
	ds_load_b128 v[41:44], v66
	ds_load_b128 v[45:48], v66 offset:16
	s_lshl_b32 s14, s14, 3
	s_delay_alu instid0(SALU_CYCLE_1)
	v_dual_mov_b32 v104, s21 :: v_dual_mov_b32 v67, s14
	s_add_i32 s14, s12, 48
	s_add_i32 s28, s4, 0x898
	;; [unrolled: 1-line block ×4, first 2 shown]
	s_lshl_b32 s15, s15, 3
	s_add_i32 s33, s4, 0xbb8
	v_mov_b32_e32 v118, s15
	s_add_i32 s15, s12, 0x48
	s_addk_i32 s4, 0xd48
	s_add_i32 s19, s8, s15
	s_delay_alu instid0(SALU_CYCLE_1) | instskip(NEXT) | instid1(SALU_CYCLE_1)
	s_lshl_b32 s19, s19, 3
	v_mov_b32_e32 v120, s19
	s_add_i32 s19, s12, 0x60
	s_waitcnt lgkmcnt(1)
	v_mul_f64 v[57:58], v[41:42], v[33:34]
	s_add_i32 s22, s8, s19
	s_delay_alu instid0(SALU_CYCLE_1) | instskip(NEXT) | instid1(SALU_CYCLE_1)
	s_lshl_b32 s21, s22, 3
	v_mov_b32_e32 v119, s21
	s_add_i32 s21, s12, 0xa8
	s_delay_alu instid0(SALU_CYCLE_1) | instskip(NEXT) | instid1(SALU_CYCLE_1)
	s_add_i32 s22, s8, s21
	s_lshl_b32 s22, s22, 3
	s_delay_alu instid0(SALU_CYCLE_1) | instskip(SKIP_1) | instid1(SALU_CYCLE_1)
	v_mov_b32_e32 v121, s22
	s_add_i32 s22, s12, 0x78
	s_add_i32 s23, s8, s22
	s_delay_alu instid0(SALU_CYCLE_1) | instskip(NEXT) | instid1(SALU_CYCLE_1)
	s_lshl_b32 s23, s23, 3
	v_mov_b32_e32 v122, s23
	s_add_i32 s23, s12, 0x90
	s_delay_alu instid0(SALU_CYCLE_1) | instskip(NEXT) | instid1(SALU_CYCLE_1)
	s_add_i32 s24, s8, s23
	s_lshl_b32 s24, s24, 3
	s_delay_alu instid0(SALU_CYCLE_1) | instskip(SKIP_1) | instid1(SALU_CYCLE_1)
	v_mov_b32_e32 v123, s24
	s_add_i32 s24, s12, 0xc0
	s_add_i32 s25, s8, s24
	s_delay_alu instid0(SALU_CYCLE_1) | instskip(NEXT) | instid1(SALU_CYCLE_1)
	s_lshl_b32 s25, s25, 3
	v_mov_b32_e32 v124, s25
	s_add_i32 s25, s12, 0xd8
	s_delay_alu instid0(SALU_CYCLE_1) | instskip(NEXT) | instid1(SALU_CYCLE_1)
	s_add_i32 s26, s8, s25
	s_lshl_b32 s26, s26, 3
	v_fma_f64 v[49:50], -v[57:58], v[43:44], v[35:36]
	ds_load_2addr_b64 v[41:44], v66 offset0:25 offset1:26
	ds_load_b128 v[33:36], v66 offset:64
	s_waitcnt lgkmcnt(2)
	v_fma_f64 v[37:38], -v[57:58], v[45:46], v[37:38]
	v_fma_f64 v[63:64], -v[57:58], v[47:48], v[39:40]
	s_waitcnt lgkmcnt(0)
	v_fma_f64 v[21:22], -v[57:58], v[33:34], v[21:22]
	v_mul_f64 v[59:60], v[41:42], v[49:50]
	s_delay_alu instid0(VALU_DEP_1)
	v_fma_f64 v[61:62], -v[59:60], v[43:44], v[37:38]
	ds_load_b128 v[45:48], v66 offset:32
	ds_load_2addr_b64 v[53:56], v67 offset0:3 offset1:4
	ds_load_b128 v[49:52], v66 offset:400
	ds_load_2addr_b64 v[37:40], v66 offset0:75 offset1:76
	ds_load_b128 v[41:44], v66 offset:48
	ds_load_b128 v[68:71], v66 offset:3600
	s_waitcnt lgkmcnt(5)
	v_fma_f64 v[29:30], -v[57:58], v[45:46], v[29:30]
	s_waitcnt lgkmcnt(4)
	v_fma_f64 v[45:46], -v[59:60], v[53:54], v[63:64]
	;; [unrolled: 2-line block ×3, first 2 shown]
	v_mul_f64 v[88:89], v[49:50], v[61:62]
	v_fma_f64 v[61:62], -v[57:58], v[47:48], v[31:32]
	v_fma_f64 v[63:64], -v[59:60], v[55:56], v[29:30]
	s_delay_alu instid0(VALU_DEP_3)
	v_fma_f64 v[72:73], -v[88:89], v[51:52], v[45:46]
	ds_load_2addr_b64 v[29:32], v67 offset0:5 offset1:6
	ds_load_b128 v[45:48], v118 offset:32
	ds_load_b128 v[49:52], v118 offset:48
	ds_load_2addr_b64 v[53:56], v67 offset0:7 offset1:8
	s_waitcnt lgkmcnt(3)
	v_fma_f64 v[29:30], -v[59:60], v[29:30], v[61:62]
	s_waitcnt lgkmcnt(2)
	v_fma_f64 v[41:42], -v[88:89], v[45:46], v[63:64]
	v_fma_f64 v[45:46], -v[57:58], v[43:44], v[27:28]
	;; [unrolled: 1-line block ×3, first 2 shown]
	s_waitcnt lgkmcnt(0)
	v_fma_f64 v[74:75], -v[59:60], v[55:56], v[21:22]
	v_mul_f64 v[90:91], v[37:38], v[72:73]
	v_fma_f64 v[72:73], -v[57:58], v[35:36], v[23:24]
	v_fma_f64 v[47:48], -v[88:89], v[47:48], v[29:30]
	v_fma_f64 v[33:34], -v[59:60], v[53:54], v[45:46]
	v_fma_f64 v[45:46], -v[88:89], v[49:50], v[61:62]
	v_fma_f64 v[63:64], -v[90:91], v[39:40], v[41:42]
	ds_load_2addr_b64 v[25:28], v120 offset0:5 offset1:6
	ds_load_b128 v[29:32], v66 offset:800
	ds_load_2addr_b64 v[37:40], v66 offset0:125 offset1:126
	ds_load_2addr_b64 v[41:44], v120 offset0:7 offset1:8
	s_waitcnt lgkmcnt(3)
	v_fma_f64 v[25:26], -v[90:91], v[25:26], v[47:48]
	v_fma_f64 v[76:77], -v[88:89], v[51:52], v[33:34]
	;; [unrolled: 1-line block ×3, first 2 shown]
	s_waitcnt lgkmcnt(2)
	v_mul_f64 v[92:93], v[29:30], v[63:64]
	s_delay_alu instid0(VALU_DEP_1)
	v_fma_f64 v[80:81], -v[92:93], v[31:32], v[25:26]
	ds_load_b128 v[21:24], v104 offset:80
	ds_load_2addr_b64 v[25:28], v67 offset0:9 offset1:10
	ds_load_b128 v[29:32], v118 offset:64
	ds_load_b128 v[33:36], v119 offset:48
	;; [unrolled: 1-line block ×4, first 2 shown]
	ds_load_2addr_b64 v[53:56], v67 offset0:11 offset1:12
	ds_load_b128 v[61:64], v121 offset:144
	s_waitcnt lgkmcnt(7)
	v_fma_f64 v[17:18], -v[57:58], v[21:22], v[17:18]
	s_waitcnt lgkmcnt(6)
	v_fma_f64 v[21:22], -v[59:60], v[25:26], v[72:73]
	;; [unrolled: 2-line block ×3, first 2 shown]
	v_fma_f64 v[29:30], -v[90:91], v[41:42], v[76:77]
	s_waitcnt lgkmcnt(4)
	v_fma_f64 v[33:34], -v[92:93], v[33:34], v[78:79]
	v_fma_f64 v[72:73], -v[57:58], v[23:24], v[19:20]
	v_mul_f64 v[94:95], v[37:38], v[80:81]
	v_fma_f64 v[74:75], -v[59:60], v[27:28], v[17:18]
	v_fma_f64 v[76:77], -v[88:89], v[31:32], v[21:22]
	;; [unrolled: 1-line block ×5, first 2 shown]
	ds_load_b128 v[17:20], v104 offset:96
	ds_load_2addr_b64 v[21:24], v120 offset0:9 offset1:10
	ds_load_2addr_b64 v[25:28], v122 offset0:7 offset1:8
	;; [unrolled: 1-line block ×3, first 2 shown]
	ds_load_b128 v[33:36], v104 offset:112
	ds_load_2addr_b64 v[37:40], v120 offset0:11 offset1:12
	ds_load_b128 v[41:44], v119 offset:144
	s_waitcnt lgkmcnt(6)
	v_fma_f64 v[13:14], -v[57:58], v[17:18], v[13:14]
	v_fma_f64 v[17:18], -v[59:60], v[53:54], v[72:73]
	;; [unrolled: 1-line block ×3, first 2 shown]
	s_waitcnt lgkmcnt(5)
	v_fma_f64 v[21:22], -v[90:91], v[21:22], v[76:77]
	v_fma_f64 v[45:46], -v[92:93], v[45:46], v[78:79]
	s_waitcnt lgkmcnt(4)
	v_fma_f64 v[25:26], -v[94:95], v[25:26], v[80:81]
	ds_load_2addr_b64 v[72:75], v123 offset0:7 offset1:8
	ds_load_2addr_b64 v[76:79], v123 offset0:9 offset1:10
	s_waitcnt lgkmcnt(4)
	v_fma_f64 v[9:10], -v[57:58], v[33:34], v[9:10]
	v_mul_f64 v[96:97], v[29:30], v[82:83]
	v_fma_f64 v[29:30], -v[57:58], v[19:20], v[15:16]
	v_fma_f64 v[84:85], -v[59:60], v[55:56], v[13:14]
	;; [unrolled: 1-line block ×6, first 2 shown]
	s_waitcnt lgkmcnt(1)
	v_fma_f64 v[72:73], -v[96:97], v[72:73], v[25:26]
	ds_load_2addr_b64 v[13:16], v67 offset0:13 offset1:14
	ds_load_b128 v[17:20], v118 offset:96
	ds_load_b128 v[21:24], v119 offset:80
	ds_load_2addr_b64 v[25:28], v122 offset0:9 offset1:10
	ds_load_2addr_b64 v[45:48], v122 offset0:11 offset1:12
	ds_load_b128 v[49:52], v119 offset:96
	ds_load_b128 v[53:56], v118 offset:112
	ds_load_2addr_b64 v[80:83], v67 offset0:15 offset1:16
	s_waitcnt lgkmcnt(7)
	v_fma_f64 v[13:14], -v[59:60], v[13:14], v[29:30]
	s_waitcnt lgkmcnt(6)
	v_fma_f64 v[17:18], -v[88:89], v[17:18], v[84:85]
	v_fma_f64 v[33:34], -v[90:91], v[37:38], v[86:87]
	s_waitcnt lgkmcnt(5)
	v_fma_f64 v[21:22], -v[92:93], v[21:22], v[98:99]
	s_waitcnt lgkmcnt(4)
	v_fma_f64 v[25:26], -v[94:95], v[25:26], v[100:101]
	v_fma_f64 v[37:38], -v[96:97], v[74:75], v[102:103]
	;; [unrolled: 1-line block ×3, first 2 shown]
	v_mul_f64 v[98:99], v[31:32], v[72:73]
	ds_load_b128 v[29:32], v121 offset:64
	ds_load_b64 v[100:101], v123 offset:152
	v_fma_f64 v[72:73], -v[57:58], v[35:36], v[11:12]
	v_fma_f64 v[84:85], -v[88:89], v[19:20], v[13:14]
	v_fma_f64 v[39:40], -v[90:91], v[39:40], v[17:18]
	v_fma_f64 v[86:87], -v[92:93], v[23:24], v[33:34]
	v_fma_f64 v[102:103], -v[94:95], v[27:28], v[21:22]
	v_fma_f64 v[76:77], -v[96:97], v[76:77], v[25:26]
	ds_load_b128 v[9:12], v104 offset:128
	ds_load_2addr_b64 v[13:16], v120 offset0:13 offset1:14
	ds_load_b128 v[17:20], v66 offset:1600
	ds_load_2addr_b64 v[21:24], v66 offset0:225 offset1:226
	;; [unrolled: 2-line block ×3, first 2 shown]
	s_waitcnt lgkmcnt(9)
	v_fma_f64 v[53:54], -v[88:89], v[53:54], v[74:75]
	s_waitcnt lgkmcnt(5)
	v_fma_f64 v[5:6], -v[57:58], v[9:10], v[5:6]
	v_fma_f64 v[104:105], -v[57:58], v[11:12], v[7:8]
	;; [unrolled: 1-line block ×3, first 2 shown]
	s_waitcnt lgkmcnt(1)
	v_fma_f64 v[1:2], -v[57:58], v[25:26], v[1:2]
	v_fma_f64 v[9:10], -v[59:60], v[80:81], v[72:73]
	;; [unrolled: 1-line block ×10, first 2 shown]
	v_mul_f64 v[102:103], v[17:18], v[29:30]
	ds_load_2addr_b64 v[29:32], v123 offset0:11 offset1:12
	ds_load_b128 v[37:40], v121 offset:80
	ds_load_b128 v[72:75], v121 offset:96
	ds_load_2addr_b64 v[76:79], v123 offset0:13 offset1:14
	v_fma_f64 v[108:109], -v[88:89], v[55:56], v[9:10]
	ds_load_2addr_b64 v[5:8], v67 offset0:17 offset1:18
	ds_load_b128 v[9:12], v118 offset:128
	v_fma_f64 v[112:113], -v[92:93], v[51:52], v[13:14]
	v_fma_f64 v[114:115], -v[94:95], v[47:48], v[49:50]
	s_waitcnt lgkmcnt(5)
	v_fma_f64 v[29:30], -v[96:97], v[29:30], v[45:46]
	s_waitcnt lgkmcnt(4)
	;; [unrolled: 2-line block ×4, first 2 shown]
	v_fma_f64 v[9:10], -v[88:89], v[9:10], v[106:107]
	v_fma_f64 v[116:117], -v[102:103], v[19:20], v[84:85]
	ds_load_b128 v[13:16], v119 offset:112
	ds_load_2addr_b64 v[17:20], v122 offset0:13 offset1:14
	ds_load_b128 v[45:48], v124 offset:80
	ds_load_b128 v[49:52], v124 offset:96
	ds_load_2addr_b64 v[53:56], v122 offset0:15 offset1:16
	ds_load_b128 v[80:83], v119 offset:128
	ds_load_b128 v[84:87], v118 offset:144
	ds_load_b64 v[118:119], v67 offset:152
	v_mov_b32_e32 v67, s26
	v_fma_f64 v[25:26], -v[90:91], v[33:34], v[108:109]
	s_add_i32 s26, s12, 0xf0
	s_delay_alu instid0(SALU_CYCLE_1) | instskip(NEXT) | instid1(SALU_CYCLE_1)
	s_add_i32 s27, s8, s26
	s_lshl_b32 s27, s27, 3
	s_waitcnt lgkmcnt(7)
	v_fma_f64 v[13:14], -v[92:93], v[13:14], v[110:111]
	s_waitcnt lgkmcnt(6)
	v_fma_f64 v[17:18], -v[94:95], v[17:18], v[112:113]
	v_fma_f64 v[31:32], -v[96:97], v[31:32], v[114:115]
	v_mov_b32_e32 v110, s27
	v_fma_f64 v[29:30], -v[98:99], v[39:40], v[29:30]
	s_waitcnt lgkmcnt(5)
	v_fma_f64 v[33:34], -v[102:103], v[45:46], v[37:38]
	s_add_i32 s27, s12, 0x108
	v_fma_f64 v[37:38], -v[88:89], v[11:12], v[5:6]
	v_fma_f64 v[35:36], -v[90:91], v[35:36], v[9:10]
	v_mul_f64 v[104:105], v[21:22], v[116:117]
	v_fma_f64 v[21:22], -v[59:60], v[7:8], v[1:2]
	ds_load_2addr_b64 v[1:4], v120 offset0:17 offset1:18
	v_fma_f64 v[25:26], -v[92:93], v[15:16], v[25:26]
	v_fma_f64 v[39:40], -v[94:95], v[19:20], v[13:14]
	;; [unrolled: 1-line block ×4, first 2 shown]
	ds_load_2addr_b64 v[5:8], v67 offset0:11 offset1:12
	ds_load_b128 v[9:12], v66 offset:2000
	ds_load_b128 v[13:16], v66 offset:2400
	;; [unrolled: 1-line block ×3, first 2 shown]
	ds_load_b64 v[72:73], v120 offset:152
	v_fma_f64 v[29:30], -v[102:103], v[47:48], v[29:30]
	s_waitcnt lgkmcnt(5)
	v_fma_f64 v[1:2], -v[90:91], v[1:2], v[37:38]
	v_fma_f64 v[37:38], -v[92:93], v[80:81], v[35:36]
	;; [unrolled: 1-line block ×8, first 2 shown]
	s_waitcnt lgkmcnt(4)
	v_fma_f64 v[5:6], -v[104:105], v[5:6], v[29:30]
	v_fma_f64 v[78:79], -v[92:93], v[82:83], v[1:2]
	;; [unrolled: 1-line block ×3, first 2 shown]
	s_waitcnt lgkmcnt(3)
	v_mul_f64 v[74:75], v[9:10], v[23:24]
	v_fma_f64 v[9:10], -v[59:60], v[118:119], v[27:28]
	ds_load_2addr_b64 v[21:24], v123 offset0:15 offset1:16
	ds_load_b128 v[25:28], v121 offset:112
	ds_load_b128 v[29:32], v121 offset:128
	ds_load_2addr_b64 v[33:36], v123 offset0:17 offset1:18
	v_fma_f64 v[76:77], -v[90:91], v[3:4], v[47:48]
	ds_load_2addr_b64 v[1:4], v122 offset0:17 offset1:18
	v_fma_f64 v[82:83], -v[102:103], v[51:52], v[45:46]
	v_mov_b32_e32 v45, s28
	v_fma_f64 v[84:85], -v[104:105], v[7:8], v[49:50]
	s_add_i32 s28, s8, s27
	s_waitcnt lgkmcnt(4)
	v_fma_f64 v[21:22], -v[96:97], v[21:22], v[53:54]
	s_waitcnt lgkmcnt(3)
	v_fma_f64 v[25:26], -v[98:99], v[25:26], v[39:40]
	s_lshl_b32 s28, s28, 3
	s_waitcnt lgkmcnt(0)
	v_fma_f64 v[1:2], -v[94:95], v[1:2], v[78:79]
	v_fma_f64 v[23:24], -v[96:97], v[23:24], v[80:81]
	;; [unrolled: 1-line block ×4, first 2 shown]
	ds_load_b128 v[5:8], v124 offset:112
	ds_load_2addr_b64 v[9:12], v67 offset0:13 offset1:14
	ds_load_b128 v[37:40], v110 offset:96
	ds_load_2addr_b64 v[45:48], v45 offset1:1
	ds_load_2addr_b64 v[49:52], v67 offset0:15 offset1:16
	ds_load_b128 v[53:56], v124 offset:128
	ds_load_b64 v[108:109], v122 offset:152
	v_fma_f64 v[41:42], -v[92:93], v[41:42], v[76:77]
	v_mov_b32_e32 v76, s28
	s_add_i32 s28, s12, 0x120
	s_delay_alu instid0(SALU_CYCLE_1) | instskip(NEXT) | instid1(SALU_CYCLE_1)
	s_add_i32 s29, s8, s28
	s_lshl_b32 s29, s29, 3
	s_waitcnt lgkmcnt(5)
	v_fma_f64 v[9:10], -v[104:105], v[9:10], v[82:83]
	v_fma_f64 v[21:22], -v[98:99], v[27:28], v[21:22]
	;; [unrolled: 1-line block ×3, first 2 shown]
	s_waitcnt lgkmcnt(4)
	v_fma_f64 v[25:26], -v[74:75], v[37:38], v[84:85]
	v_fma_f64 v[33:34], -v[96:97], v[33:34], v[1:2]
	;; [unrolled: 1-line block ×3, first 2 shown]
	s_waitcnt lgkmcnt(3)
	v_mul_f64 v[37:38], v[45:46], v[106:107]
	v_fma_f64 v[27:28], -v[90:91], v[72:73], v[86:87]
	v_fma_f64 v[41:42], -v[94:95], v[3:4], v[41:42]
	v_fma_f64 v[39:40], -v[74:75], v[39:40], v[9:10]
	v_fma_f64 v[45:46], -v[102:103], v[7:8], v[21:22]
	v_fma_f64 v[72:73], -v[104:105], v[11:12], v[5:6]
	ds_load_b128 v[1:4], v110 offset:112
	ds_load_2addr_b64 v[5:8], v76 offset0:13 offset1:14
	ds_load_b128 v[9:12], v110 offset:128
	ds_load_b128 v[21:24], v110 offset:144
	v_fma_f64 v[31:32], -v[98:99], v[31:32], v[33:34]
	s_waitcnt lgkmcnt(5)
	v_fma_f64 v[29:30], -v[102:103], v[53:54], v[29:30]
	v_fma_f64 v[25:26], -v[37:38], v[47:48], v[25:26]
	;; [unrolled: 1-line block ×4, first 2 shown]
	s_waitcnt lgkmcnt(2)
	v_fma_f64 v[5:6], -v[37:38], v[5:6], v[39:40]
	v_fma_f64 v[33:34], -v[104:105], v[49:50], v[45:46]
	v_fma_f64 v[1:2], -v[74:75], v[1:2], v[72:73]
	v_mov_b32_e32 v72, s29
	s_add_i32 s29, s12, 0x138
	v_fma_f64 v[43:44], -v[102:103], v[55:56], v[31:32]
	v_fma_f64 v[45:46], -v[104:105], v[51:52], v[29:30]
	v_mul_f64 v[39:40], v[13:14], v[25:26]
	v_fma_f64 v[13:14], -v[94:95], v[108:109], v[27:28]
	v_mov_b32_e32 v25, s30
	v_fma_f64 v[41:42], -v[98:99], v[61:62], v[35:36]
	s_add_i32 s30, s8, s29
	s_delay_alu instid0(SALU_CYCLE_1)
	s_lshl_b32 s30, s30, 3
	v_fma_f64 v[47:48], -v[74:75], v[3:4], v[33:34]
	v_fma_f64 v[49:50], -v[37:38], v[7:8], v[1:2]
	s_waitcnt lgkmcnt(1)
	v_fma_f64 v[9:10], -v[74:75], v[9:10], v[45:46]
	v_fma_f64 v[51:52], -v[39:40], v[15:16], v[5:6]
	;; [unrolled: 1-line block ×4, first 2 shown]
	s_delay_alu instid0(VALU_DEP_2) | instskip(NEXT) | instid1(VALU_DEP_1)
	v_fma_f64 v[41:42], -v[98:99], v[63:64], v[53:54]
	v_fma_f64 v[19:20], -v[102:103], v[19:20], v[41:42]
	v_mov_b32_e32 v41, s30
	ds_load_2addr_b64 v[1:4], v67 offset0:17 offset1:18
	ds_load_2addr_b64 v[5:8], v76 offset0:15 offset1:16
	ds_load_b128 v[13:16], v72 offset:112
	ds_load_2addr_b64 v[25:28], v25 offset1:1
	ds_load_b128 v[29:32], v72 offset:128
	ds_load_2addr_b64 v[33:36], v76 offset0:17 offset1:18
	ds_load_b64 v[55:56], v67 offset:152
	ds_load_b64 v[61:62], v76 offset:152
	s_add_i32 s30, s12, 0x150
	s_delay_alu instid0(SALU_CYCLE_1) | instskip(NEXT) | instid1(SALU_CYCLE_1)
	s_add_i32 s31, s8, s30
	s_lshl_b32 s31, s31, 3
	s_delay_alu instid0(SALU_CYCLE_1)
	v_mov_b32_e32 v42, s31
	s_add_i32 s31, s12, 0x168
	s_waitcnt lgkmcnt(7)
	v_fma_f64 v[1:2], -v[104:105], v[1:2], v[43:44]
	s_waitcnt lgkmcnt(6)
	v_fma_f64 v[5:6], -v[37:38], v[5:6], v[47:48]
	;; [unrolled: 2-line block ×3, first 2 shown]
	s_waitcnt lgkmcnt(4)
	v_mul_f64 v[25:26], v[25:26], v[51:52]
	v_fma_f64 v[17:18], -v[104:105], v[3:4], v[17:18]
	v_fma_f64 v[45:46], -v[37:38], v[7:8], v[9:10]
	;; [unrolled: 1-line block ×5, first 2 shown]
	ds_load_2addr_b64 v[1:4], v41 offset0:15 offset1:16
	ds_load_b128 v[5:8], v66 offset:2800
	ds_load_b128 v[9:12], v66 offset:3200
	;; [unrolled: 1-line block ×3, first 2 shown]
	v_fma_f64 v[17:18], -v[74:75], v[21:22], v[17:18]
	s_waitcnt lgkmcnt(7)
	v_fma_f64 v[29:30], -v[39:40], v[29:30], v[45:46]
	s_waitcnt lgkmcnt(6)
	;; [unrolled: 2-line block ×4, first 2 shown]
	v_mul_f64 v[27:28], v[5:6], v[27:28]
	v_fma_f64 v[5:6], -v[104:105], v[55:56], v[19:20]
	v_fma_f64 v[33:34], -v[37:38], v[35:36], v[17:18]
	v_mov_b32_e32 v17, s33
	v_fma_f64 v[29:30], -v[25:26], v[3:4], v[29:30]
	s_add_i32 s33, s8, s31
	s_delay_alu instid0(SALU_CYCLE_1)
	s_lshl_b32 s33, s33, 3
	v_fma_f64 v[21:22], -v[39:40], v[31:32], v[21:22]
	v_fma_f64 v[31:32], -v[27:28], v[7:8], v[1:2]
	;; [unrolled: 1-line block ×3, first 2 shown]
	ds_load_2addr_b64 v[1:4], v41 offset0:17 offset1:18
	ds_load_b128 v[5:8], v42 offset:128
	ds_load_2addr_b64 v[17:20], v17 offset1:1
	ds_load_b64 v[35:36], v41 offset:152
	s_waitcnt lgkmcnt(4)
	v_fma_f64 v[13:14], -v[39:40], v[13:14], v[33:34]
	s_waitcnt lgkmcnt(2)
	v_fma_f64 v[5:6], -v[27:28], v[5:6], v[29:30]
	v_fma_f64 v[1:2], -v[25:26], v[1:2], v[21:22]
	s_waitcnt lgkmcnt(1)
	v_mul_f64 v[17:18], v[17:18], v[31:32]
	v_fma_f64 v[21:22], -v[37:38], v[61:62], v[23:24]
	v_fma_f64 v[13:14], -v[25:26], v[3:4], v[13:14]
	s_delay_alu instid0(VALU_DEP_4) | instskip(NEXT) | instid1(VALU_DEP_4)
	v_fma_f64 v[23:24], -v[27:28], v[7:8], v[1:2]
	v_fma_f64 v[19:20], -v[17:18], v[19:20], v[5:6]
	s_delay_alu instid0(VALU_DEP_4) | instskip(SKIP_4) | instid1(SALU_CYCLE_1)
	v_fma_f64 v[15:16], -v[39:40], v[15:16], v[21:22]
	v_mov_b32_e32 v21, s33
	ds_load_b128 v[1:4], v42 offset:144
	ds_load_2addr_b64 v[5:8], v21 offset0:17 offset1:18
	s_add_i32 s33, s12, 0x180
	s_add_i32 s34, s8, s33
	s_delay_alu instid0(SALU_CYCLE_1)
	s_lshl_b32 s34, s34, 3
	s_waitcnt lgkmcnt(1)
	v_fma_f64 v[1:2], -v[27:28], v[1:2], v[13:14]
	s_waitcnt lgkmcnt(0)
	v_fma_f64 v[5:6], -v[17:18], v[5:6], v[23:24]
	v_mul_f64 v[9:10], v[9:10], v[19:20]
	v_fma_f64 v[13:14], -v[25:26], v[35:36], v[15:16]
	s_delay_alu instid0(VALU_DEP_4) | instskip(SKIP_1) | instid1(VALU_DEP_4)
	v_fma_f64 v[15:16], -v[17:18], v[7:8], v[1:2]
	v_mov_b32_e32 v1, s34
	v_fma_f64 v[11:12], -v[9:10], v[11:12], v[5:6]
	s_delay_alu instid0(VALU_DEP_4)
	v_fma_f64 v[13:14], -v[27:28], v[3:4], v[13:14]
	v_mov_b32_e32 v5, s4
	ds_load_b128 v[1:4], v1 offset:144
	ds_load_2addr_b64 v[5:8], v5 offset1:1
	ds_load_b64 v[19:20], v21 offset:152
	s_add_i32 s4, s12, 0x198
	s_addk_i32 s12, 0x1b0
	s_add_i32 s34, s8, s4
	s_add_i32 s8, s8, 20
	s_lshl_b32 s34, s34, 3
	s_delay_alu instid0(SALU_CYCLE_1)
	v_mov_b32_e32 v21, s34
	s_mul_i32 s34, s9, 0xc8
	s_mul_i32 s9, s9, 24
	ds_load_b64 v[21:22], v21 offset:152
	s_waitcnt lgkmcnt(3)
	v_fma_f64 v[1:2], -v[9:10], v[1:2], v[15:16]
	v_add_lshl_u32 v15, s21, v0, 3
	v_add_lshl_u32 v16, s31, v0, 3
	s_waitcnt lgkmcnt(2)
	v_mul_f64 v[5:6], v[5:6], v[11:12]
	s_waitcnt lgkmcnt(1)
	v_fma_f64 v[11:12], -v[17:18], v[19:20], v[13:14]
	v_add_lshl_u32 v13, s15, v0, 3
	v_add_lshl_u32 v14, s19, v0, 3
	s_delay_alu instid0(VALU_DEP_4) | instskip(NEXT) | instid1(VALU_DEP_4)
	v_fma_f64 v[1:2], -v[5:6], v[7:8], v[1:2]
	v_fma_f64 v[3:4], -v[9:10], v[3:4], v[11:12]
	v_mov_b32_e32 v7, s34
	v_add_lshl_u32 v11, s13, v0, 3
	v_add_lshl_u32 v12, s14, v0, 3
	ds_load_b64 v[7:8], v7
	v_mul_f64 v[1:2], v[68:69], v[1:2]
	s_waitcnt lgkmcnt(1)
	v_fma_f64 v[3:4], -v[5:6], v[21:22], v[3:4]
	s_delay_alu instid0(VALU_DEP_1) | instskip(SKIP_1) | instid1(VALU_DEP_1)
	v_fma_f64 v[3:4], -v[1:2], v[70:71], v[3:4]
	s_waitcnt lgkmcnt(0)
	v_mul_f64 v[3:4], v[7:8], v[3:4]
	v_add_lshl_u32 v7, s22, v0, 3
	v_add_lshl_u32 v8, s23, v0, 3
	ds_store_b64 v65, v[57:58]
	ds_store_b64 v11, v[59:60] offset:4608
	ds_store_b64 v12, v[88:89] offset:4608
	;; [unrolled: 1-line block ×7, first 2 shown]
	v_add_lshl_u32 v7, s24, v0, 3
	v_add_lshl_u32 v8, s25, v0, 3
	;; [unrolled: 1-line block ×7, first 2 shown]
	ds_store_b64 v7, v[102:103] offset:4608
	ds_store_b64 v8, v[104:105] offset:4608
	;; [unrolled: 1-line block ×8, first 2 shown]
	v_add_lshl_u32 v7, s33, v0, 3
	v_add_lshl_u32 v8, s4, v0, 3
	;; [unrolled: 1-line block ×4, first 2 shown]
	ds_store_b64 v7, v[9:10] offset:4608
	ds_store_b64 v8, v[5:6] offset:4608
	;; [unrolled: 1-line block ×4, first 2 shown]
.LBB94_49:
	s_cmp_ge_i32 s8, s20
	s_cbranch_scc1 .LBB94_60
; %bb.50:
	v_lshl_or_b32 v3, v0, 3, 0x1200
	s_add_i32 s4, s8, -1
	s_lshl_b32 s9, s8, 3
	s_mov_b32 s12, 0
	s_mov_b32 s13, s8
	s_branch .LBB94_52
.LBB94_51:                              ;   in Loop: Header=BB94_52 Depth=1
	s_mul_i32 s14, s8, 0xc8
	s_delay_alu instid0(SALU_CYCLE_1)
	v_dual_mov_b32 v5, s14 :: v_dual_add_nc_u32 v4, 0x1200, v4
	s_add_i32 s8, s8, 1
	s_add_i32 s12, s12, 1
	;; [unrolled: 1-line block ×3, first 2 shown]
	s_cmp_ge_i32 s8, s20
	ds_load_b64 v[5:6], v5
	s_waitcnt lgkmcnt(0)
	v_mul_f64 v[1:2], v[5:6], v[1:2]
	v_add_nc_u16 v5, s13, 1
	s_delay_alu instid0(VALU_DEP_1)
	v_readfirstlane_b32 s13, v5
	ds_store_b64 v4, v[1:2]
	s_cbranch_scc1 .LBB94_60
.LBB94_52:                              ; =>This Loop Header: Depth=1
                                        ;     Child Loop BB94_55 Depth 2
                                        ;     Child Loop BB94_59 Depth 2
	s_mul_i32 s14, s8, 24
	s_cmp_eq_u32 s8, 0
	v_add_lshl_u32 v4, s14, v0, 3
	ds_load_b64 v[1:2], v4 offset:4608
	s_cbranch_scc1 .LBB94_51
; %bb.53:                               ;   in Loop: Header=BB94_52 Depth=1
	s_add_i32 s14, s4, s12
	s_delay_alu instid0(SALU_CYCLE_1)
	s_cmp_lt_u32 s14, 7
	s_cbranch_scc1 .LBB94_57
; %bb.54:                               ;   in Loop: Header=BB94_52 Depth=1
	v_mov_b32_e32 v5, v3
	s_and_b32 s14, s8, -8
	s_mov_b32 s15, 0
	s_mov_b32 s19, s9
	s_set_inst_prefetch_distance 0x1
	.p2align	6
.LBB94_55:                              ;   Parent Loop BB94_52 Depth=1
                                        ; =>  This Inner Loop Header: Depth=2
	v_mov_b32_e32 v14, s19
	s_add_i32 s15, s15, 8
	s_addk_i32 s19, 0x600
	s_cmp_lg_u32 s14, s15
	ds_load_2addr_b64 v[6:9], v5 offset1:24
	ds_load_2addr_b64 v[10:13], v14 offset1:24
	s_waitcnt lgkmcnt(0)
	v_fma_f64 v[1:2], -v[6:7], v[10:11], v[1:2]
	s_delay_alu instid0(VALU_DEP_1) | instskip(SKIP_4) | instid1(VALU_DEP_1)
	v_fma_f64 v[1:2], -v[8:9], v[12:13], v[1:2]
	ds_load_2addr_b64 v[6:9], v5 offset0:48 offset1:72
	ds_load_2addr_b64 v[10:13], v14 offset0:48 offset1:72
	s_waitcnt lgkmcnt(0)
	v_fma_f64 v[1:2], -v[6:7], v[10:11], v[1:2]
	v_fma_f64 v[1:2], -v[8:9], v[12:13], v[1:2]
	ds_load_2addr_b64 v[6:9], v5 offset0:96 offset1:120
	ds_load_2addr_b64 v[10:13], v14 offset0:96 offset1:120
	s_waitcnt lgkmcnt(0)
	v_fma_f64 v[1:2], -v[6:7], v[10:11], v[1:2]
	s_delay_alu instid0(VALU_DEP_1)
	v_fma_f64 v[1:2], -v[8:9], v[12:13], v[1:2]
	ds_load_2addr_b64 v[6:9], v5 offset0:144 offset1:168
	ds_load_2addr_b64 v[10:13], v14 offset0:144 offset1:168
	v_add_nc_u32_e32 v5, 0x600, v5
	s_waitcnt lgkmcnt(0)
	v_fma_f64 v[1:2], -v[6:7], v[10:11], v[1:2]
	s_delay_alu instid0(VALU_DEP_1)
	v_fma_f64 v[1:2], -v[8:9], v[12:13], v[1:2]
	s_cbranch_scc1 .LBB94_55
; %bb.56:                               ;   in Loop: Header=BB94_52 Depth=1
	s_set_inst_prefetch_distance 0x2
	s_and_b32 s15, s8, 7
	s_delay_alu instid0(SALU_CYCLE_1)
	s_cmp_eq_u32 s15, 0
	s_cbranch_scc0 .LBB94_58
	s_branch .LBB94_51
.LBB94_57:                              ;   in Loop: Header=BB94_52 Depth=1
	s_mov_b32 s14, 0
	s_and_b32 s15, s8, 7
	s_delay_alu instid0(SALU_CYCLE_1)
	s_cmp_eq_u32 s15, 0
	s_cbranch_scc1 .LBB94_51
.LBB94_58:                              ;   in Loop: Header=BB94_52 Depth=1
	s_and_b32 s15, s13, 7
	s_mulk_i32 s14, 0xc0
.LBB94_59:                              ;   Parent Loop BB94_52 Depth=1
                                        ; =>  This Inner Loop Header: Depth=2
	s_delay_alu instid0(SALU_CYCLE_1)
	s_add_i32 s19, s9, s14
	v_add_nc_u32_e32 v5, s14, v3
	v_mov_b32_e32 v7, s19
	s_add_i32 s15, s15, -1
	s_addk_i32 s14, 0xc0
	s_cmp_lg_u32 s15, 0
	ds_load_b64 v[5:6], v5
	ds_load_b64 v[7:8], v7
	s_waitcnt lgkmcnt(0)
	v_fma_f64 v[1:2], -v[5:6], v[7:8], v[1:2]
	s_cbranch_scc1 .LBB94_59
	s_branch .LBB94_51
.LBB94_60:
	s_waitcnt vmcnt(0) lgkmcnt(0)
	s_waitcnt_vscnt null, 0x0
	; wave barrier
	s_waitcnt lgkmcnt(0)
	buffer_gl0_inv
	s_and_saveexec_b32 s4, s18
	s_cbranch_execz .LBB94_67
; %bb.61:
	s_cmp_lt_i32 s6, 8
	s_mov_b32 s4, 0
	s_cbranch_scc1 .LBB94_64
; %bb.62:
	v_mad_i64_i32 v[1:2], null, s16, v0, 0
	v_lshl_or_b32 v3, v0, 3, 0x1200
	s_lshl_b32 s4, s20, 3
	s_delay_alu instid0(VALU_DEP_2) | instskip(NEXT) | instid1(VALU_DEP_1)
	v_lshlrev_b64 v[1:2], 3, v[1:2]
	v_add_co_u32 v1, vcc_lo, s5, v1
	s_delay_alu instid0(VALU_DEP_2)
	v_add_co_ci_u32_e32 v2, vcc_lo, s7, v2, vcc_lo
	s_and_b32 s5, s4, 0xc0
	s_mov_b32 s4, 0
	s_mov_b64 s[6:7], 0
	.p2align	6
.LBB94_63:                              ; =>This Inner Loop Header: Depth=1
	ds_load_2addr_b64 v[4:7], v3 offset1:24
	ds_load_2addr_b64 v[8:11], v3 offset0:48 offset1:72
	ds_load_2addr_b64 v[12:15], v3 offset0:96 offset1:120
	;; [unrolled: 1-line block ×3, first 2 shown]
	v_add_co_u32 v20, vcc_lo, v1, s6
	v_add_co_ci_u32_e32 v21, vcc_lo, s7, v2, vcc_lo
	s_add_i32 s4, s4, 8
	v_add_nc_u32_e32 v3, 0x600, v3
	s_add_u32 s6, s6, 64
	s_addc_u32 s7, s7, 0
	s_cmp_lg_u32 s5, s6
	s_waitcnt lgkmcnt(3)
	global_store_b128 v[20:21], v[4:7], off
	s_waitcnt lgkmcnt(2)
	global_store_b128 v[20:21], v[8:11], off offset:16
	s_waitcnt lgkmcnt(1)
	global_store_b128 v[20:21], v[12:15], off offset:32
	;; [unrolled: 2-line block ×3, first 2 shown]
	s_cbranch_scc1 .LBB94_63
.LBB94_64:
	s_and_b32 s6, s20, 7
	s_mov_b32 s5, 0
	s_cmp_eq_u32 s6, 0
	s_cbranch_scc1 .LBB94_67
; %bb.65:
	v_lshlrev_b32_e32 v2, 3, v0
	s_lshl_b64 s[8:9], s[10:11], 3
	s_lshl_b64 s[10:11], s[4:5], 3
	s_delay_alu instid0(SALU_CYCLE_1) | instskip(NEXT) | instid1(VALU_DEP_1)
	s_add_u32 s2, s2, s10
	v_add_co_u32 v3, s5, s8, v2
	s_delay_alu instid0(VALU_DEP_1) | instskip(SKIP_3) | instid1(VALU_DEP_1)
	v_add_co_ci_u32_e64 v4, null, s9, 0, s5
	s_addc_u32 s3, s3, s11
	s_add_u32 s0, s2, s0
	s_addc_u32 s1, s3, s1
	v_mul_lo_u32 v4, v4, s16
	v_mad_u64_u32 v[0:1], null, v3, s16, s[0:1]
	v_mul_lo_u32 v3, v3, s17
	s_mul_i32 s0, s4, 0xc0
	s_delay_alu instid0(SALU_CYCLE_1) | instskip(NEXT) | instid1(VALU_DEP_2)
	v_add3_u32 v2, s0, v2, 0x1200
	v_add3_u32 v1, v4, v1, v3
.LBB94_66:                              ; =>This Inner Loop Header: Depth=1
	ds_load_b64 v[3:4], v2
	v_add_nc_u32_e32 v2, 0xc0, v2
	s_add_i32 s6, s6, -1
	s_delay_alu instid0(SALU_CYCLE_1)
	s_cmp_lg_u32 s6, 0
	s_waitcnt lgkmcnt(0)
	global_store_b64 v[0:1], v[3:4], off
	v_add_co_u32 v0, vcc_lo, v0, 8
	v_add_co_ci_u32_e32 v1, vcc_lo, 0, v1, vcc_lo
	s_cbranch_scc1 .LBB94_66
.LBB94_67:
	s_nop 0
	s_sendmsg sendmsg(MSG_DEALLOC_VGPRS)
	s_endpgm
	.section	.rodata,"a",@progbits
	.p2align	6, 0x0
	.amdhsa_kernel _ZL38rocblas_trsm_small_left_device_sharedBILi24ELi24ELb1EddPKPKdPKPdEv13rocblas_fill_18rocblas_operation_17rocblas_diagonal_iiT3_T4_lilT5_lili
		.amdhsa_group_segment_fixed_size 9216
		.amdhsa_private_segment_fixed_size 0
		.amdhsa_kernarg_size 360
		.amdhsa_user_sgpr_count 14
		.amdhsa_user_sgpr_dispatch_ptr 0
		.amdhsa_user_sgpr_queue_ptr 0
		.amdhsa_user_sgpr_kernarg_segment_ptr 1
		.amdhsa_user_sgpr_dispatch_id 0
		.amdhsa_user_sgpr_private_segment_size 0
		.amdhsa_wavefront_size32 1
		.amdhsa_uses_dynamic_stack 0
		.amdhsa_enable_private_segment 0
		.amdhsa_system_sgpr_workgroup_id_x 1
		.amdhsa_system_sgpr_workgroup_id_y 0
		.amdhsa_system_sgpr_workgroup_id_z 1
		.amdhsa_system_sgpr_workgroup_info 0
		.amdhsa_system_vgpr_workitem_id 0
		.amdhsa_next_free_vgpr 152
		.amdhsa_next_free_sgpr 46
		.amdhsa_reserve_vcc 1
		.amdhsa_float_round_mode_32 0
		.amdhsa_float_round_mode_16_64 0
		.amdhsa_float_denorm_mode_32 3
		.amdhsa_float_denorm_mode_16_64 3
		.amdhsa_dx10_clamp 1
		.amdhsa_ieee_mode 1
		.amdhsa_fp16_overflow 0
		.amdhsa_workgroup_processor_mode 1
		.amdhsa_memory_ordered 1
		.amdhsa_forward_progress 0
		.amdhsa_shared_vgpr_count 0
		.amdhsa_exception_fp_ieee_invalid_op 0
		.amdhsa_exception_fp_denorm_src 0
		.amdhsa_exception_fp_ieee_div_zero 0
		.amdhsa_exception_fp_ieee_overflow 0
		.amdhsa_exception_fp_ieee_underflow 0
		.amdhsa_exception_fp_ieee_inexact 0
		.amdhsa_exception_int_div_zero 0
	.end_amdhsa_kernel
	.section	.text._ZL38rocblas_trsm_small_left_device_sharedBILi24ELi24ELb1EddPKPKdPKPdEv13rocblas_fill_18rocblas_operation_17rocblas_diagonal_iiT3_T4_lilT5_lili,"axG",@progbits,_ZL38rocblas_trsm_small_left_device_sharedBILi24ELi24ELb1EddPKPKdPKPdEv13rocblas_fill_18rocblas_operation_17rocblas_diagonal_iiT3_T4_lilT5_lili,comdat
.Lfunc_end94:
	.size	_ZL38rocblas_trsm_small_left_device_sharedBILi24ELi24ELb1EddPKPKdPKPdEv13rocblas_fill_18rocblas_operation_17rocblas_diagonal_iiT3_T4_lilT5_lili, .Lfunc_end94-_ZL38rocblas_trsm_small_left_device_sharedBILi24ELi24ELb1EddPKPKdPKPdEv13rocblas_fill_18rocblas_operation_17rocblas_diagonal_iiT3_T4_lilT5_lili
                                        ; -- End function
	.section	.AMDGPU.csdata,"",@progbits
; Kernel info:
; codeLenInByte = 23308
; NumSgprs: 48
; NumVgprs: 152
; ScratchSize: 0
; MemoryBound: 0
; FloatMode: 240
; IeeeMode: 1
; LDSByteSize: 9216 bytes/workgroup (compile time only)
; SGPRBlocks: 5
; VGPRBlocks: 18
; NumSGPRsForWavesPerEU: 48
; NumVGPRsForWavesPerEU: 152
; Occupancy: 4
; WaveLimiterHint : 1
; COMPUTE_PGM_RSRC2:SCRATCH_EN: 0
; COMPUTE_PGM_RSRC2:USER_SGPR: 14
; COMPUTE_PGM_RSRC2:TRAP_HANDLER: 0
; COMPUTE_PGM_RSRC2:TGID_X_EN: 1
; COMPUTE_PGM_RSRC2:TGID_Y_EN: 0
; COMPUTE_PGM_RSRC2:TGID_Z_EN: 1
; COMPUTE_PGM_RSRC2:TIDIG_COMP_CNT: 0
	.section	.text._ZL30rocblas_trsm_small_left_deviceILi24ELi24ELb1EddPKPKdPKPdEv13rocblas_fill_18rocblas_operation_17rocblas_diagonal_iiT3_T4_lilT5_lili,"axG",@progbits,_ZL30rocblas_trsm_small_left_deviceILi24ELi24ELb1EddPKPKdPKPdEv13rocblas_fill_18rocblas_operation_17rocblas_diagonal_iiT3_T4_lilT5_lili,comdat
	.globl	_ZL30rocblas_trsm_small_left_deviceILi24ELi24ELb1EddPKPKdPKPdEv13rocblas_fill_18rocblas_operation_17rocblas_diagonal_iiT3_T4_lilT5_lili ; -- Begin function _ZL30rocblas_trsm_small_left_deviceILi24ELi24ELb1EddPKPKdPKPdEv13rocblas_fill_18rocblas_operation_17rocblas_diagonal_iiT3_T4_lilT5_lili
	.p2align	8
	.type	_ZL30rocblas_trsm_small_left_deviceILi24ELi24ELb1EddPKPKdPKPdEv13rocblas_fill_18rocblas_operation_17rocblas_diagonal_iiT3_T4_lilT5_lili,@function
_ZL30rocblas_trsm_small_left_deviceILi24ELi24ELb1EddPKPKdPKPdEv13rocblas_fill_18rocblas_operation_17rocblas_diagonal_iiT3_T4_lilT5_lili: ; @_ZL30rocblas_trsm_small_left_deviceILi24ELi24ELb1EddPKPKdPKPdEv13rocblas_fill_18rocblas_operation_17rocblas_diagonal_iiT3_T4_lilT5_lili
; %bb.0:
	s_load_b128 s[16:19], s[0:1], 0x40
	s_mov_b32 s2, s15
	s_mov_b32 s3, 0
	s_clause 0x1
	s_load_b128 s[8:11], s[0:1], 0x4
	s_load_b64 s[20:21], s[0:1], 0x28
	s_lshl_b64 s[24:25], s[2:3], 3
	s_mov_b32 s15, exec_lo
	s_waitcnt lgkmcnt(0)
	s_add_u32 s12, s16, s24
	s_addc_u32 s13, s17, s25
	s_load_b128 s[4:7], s[0:1], 0x18
	s_load_b64 s[12:13], s[12:13], 0x0
	s_min_i32 s2, s10, 24
	s_delay_alu instid0(SALU_CYCLE_1)
	s_add_i32 s16, s2, -1
	v_cmpx_gt_i32_e64 s2, v0
	s_cbranch_execz .LBB95_10
; %bb.1:
	s_load_b32 s22, s[0:1], 0x30
	v_lshlrev_b32_e32 v3, 3, v0
	s_waitcnt lgkmcnt(0)
	s_ashr_i32 s23, s22, 31
	s_add_u32 s6, s6, s24
	s_addc_u32 s7, s7, s25
	s_cmp_lt_u32 s16, 3
	s_load_b64 s[6:7], s[6:7], 0x0
	s_cbranch_scc1 .LBB95_4
; %bb.2:
	s_lshl_b64 s[24:25], s[20:21], 3
	v_mov_b32_e32 v4, v3
	s_waitcnt lgkmcnt(0)
	s_add_u32 s3, s6, s24
	s_addc_u32 s17, s7, s25
	v_add_co_u32 v1, s3, s3, v3
	s_delay_alu instid0(VALU_DEP_1)
	v_add_co_ci_u32_e64 v2, null, s17, 0, s3
	s_and_b32 s3, s2, -4
	s_mul_hi_i32 s17, s22, 24
	s_mul_i32 s30, s22, 24
	s_lshl_b64 s[24:25], s[22:23], 5
	s_lshl_b64 s[26:27], s[22:23], 4
	;; [unrolled: 1-line block ×3, first 2 shown]
	s_mov_b32 s31, 0
	.p2align	6
.LBB95_3:                               ; =>This Inner Loop Header: Depth=1
	v_add_co_u32 v5, vcc_lo, v1, s28
	v_add_co_ci_u32_e32 v6, vcc_lo, s29, v2, vcc_lo
	v_add_co_u32 v7, vcc_lo, v1, s26
	v_add_co_ci_u32_e32 v8, vcc_lo, s27, v2, vcc_lo
	;; [unrolled: 2-line block ×3, first 2 shown]
	s_clause 0x3
	global_load_b64 v[11:12], v[1:2], off
	global_load_b64 v[5:6], v[5:6], off
	;; [unrolled: 1-line block ×4, first 2 shown]
	v_add_co_u32 v1, vcc_lo, v1, s24
	v_add_co_ci_u32_e32 v2, vcc_lo, s25, v2, vcc_lo
	s_add_i32 s31, s31, 4
	s_waitcnt vmcnt(2)
	ds_store_2addr_b64 v4, v[11:12], v[5:6] offset1:24
	s_waitcnt vmcnt(0)
	ds_store_2addr_b64 v4, v[7:8], v[9:10] offset0:48 offset1:72
	v_add_nc_u32_e32 v4, 0x300, v4
	s_cmp_eq_u32 s3, s31
	s_cbranch_scc0 .LBB95_3
.LBB95_4:
	s_and_b32 s17, s2, 3
	s_delay_alu instid0(SALU_CYCLE_1)
	s_cmp_eq_u32 s17, 0
	s_cbranch_scc1 .LBB95_7
; %bb.5:
	s_mul_i32 s24, s23, s3
	s_mul_hi_u32 s25, s22, s3
	s_lshl_b64 s[20:21], s[20:21], 3
	s_add_i32 s25, s25, s24
	s_mul_i32 s24, s22, s3
	s_mulk_i32 s3, 0xc0
	s_lshl_b64 s[24:25], s[24:25], 3
	v_lshl_add_u32 v4, v0, 3, s3
	s_add_u32 s3, s24, s20
	s_addc_u32 s20, s25, s21
	s_waitcnt lgkmcnt(0)
	s_add_u32 s3, s6, s3
	s_addc_u32 s6, s7, s20
	v_add_co_u32 v1, s3, s3, v3
	s_delay_alu instid0(VALU_DEP_1)
	v_add_co_ci_u32_e64 v2, null, s6, 0, s3
	s_lshl_b64 s[6:7], s[22:23], 3
.LBB95_6:                               ; =>This Inner Loop Header: Depth=1
	global_load_b64 v[5:6], v[1:2], off
	v_add_co_u32 v1, vcc_lo, v1, s6
	v_add_co_ci_u32_e32 v2, vcc_lo, s7, v2, vcc_lo
	s_add_i32 s17, s17, -1
	s_delay_alu instid0(SALU_CYCLE_1)
	s_cmp_lg_u32 s17, 0
	s_waitcnt vmcnt(0)
	ds_store_b64 v4, v[5:6]
	v_add_nc_u32_e32 v4, 0xc0, v4
	s_cbranch_scc1 .LBB95_6
.LBB95_7:
	v_mul_u32_u24_e32 v3, 25, v0
	v_mov_b32_e32 v1, 0
	v_mov_b32_e32 v2, 0x3ff00000
	s_cmpk_lg_i32 s9, 0x84
	s_delay_alu instid0(VALU_DEP_3)
	v_lshlrev_b32_e32 v3, 3, v3
	s_cbranch_scc0 .LBB95_9
; %bb.8:
	ds_load_b64 v[1:2], v3
	s_waitcnt lgkmcnt(0)
	v_div_scale_f64 v[4:5], null, v[1:2], v[1:2], 1.0
	s_delay_alu instid0(VALU_DEP_1) | instskip(SKIP_2) | instid1(VALU_DEP_1)
	v_rcp_f64_e32 v[6:7], v[4:5]
	s_waitcnt_depctr 0xfff
	v_fma_f64 v[8:9], -v[4:5], v[6:7], 1.0
	v_fma_f64 v[6:7], v[6:7], v[8:9], v[6:7]
	s_delay_alu instid0(VALU_DEP_1) | instskip(NEXT) | instid1(VALU_DEP_1)
	v_fma_f64 v[8:9], -v[4:5], v[6:7], 1.0
	v_fma_f64 v[6:7], v[6:7], v[8:9], v[6:7]
	v_div_scale_f64 v[8:9], vcc_lo, 1.0, v[1:2], 1.0
	s_delay_alu instid0(VALU_DEP_1) | instskip(NEXT) | instid1(VALU_DEP_1)
	v_mul_f64 v[10:11], v[8:9], v[6:7]
	v_fma_f64 v[4:5], -v[4:5], v[10:11], v[8:9]
	s_delay_alu instid0(VALU_DEP_1) | instskip(NEXT) | instid1(VALU_DEP_1)
	v_div_fmas_f64 v[4:5], v[4:5], v[6:7], v[10:11]
	v_div_fixup_f64 v[1:2], v[4:5], v[1:2], 1.0
.LBB95_9:
	ds_store_b64 v3, v[1:2]
.LBB95_10:
	s_or_b32 exec_lo, exec_lo, s15
	s_load_b32 s3, s[0:1], 0x68
	s_waitcnt lgkmcnt(0)
	s_mul_i32 s6, s14, 0xffffffe8
	s_delay_alu instid0(SALU_CYCLE_1) | instskip(SKIP_2) | instid1(SALU_CYCLE_1)
	s_add_i32 s6, s6, s11
	; wave barrier
	buffer_gl0_inv
	s_add_i32 s3, s3, -1
	s_cmp_ge_u32 s14, s3
	s_cselect_b32 s3, s6, 24
	s_delay_alu instid0(SALU_CYCLE_1)
	v_cmp_gt_i32_e32 vcc_lo, s3, v0
	s_mov_b32 s3, -1
	s_and_saveexec_b32 s6, vcc_lo
	s_cbranch_execz .LBB95_54
; %bb.11:
	s_load_b32 s0, s[0:1], 0x50
	v_mad_u64_u32 v[1:2], null, s14, 24, v[0:1]
	s_waitcnt lgkmcnt(0)
	s_delay_alu instid0(VALU_DEP_1) | instskip(SKIP_1) | instid1(SALU_CYCLE_1)
	v_mad_i64_i32 v[2:3], null, s0, v1, 0
	s_lshl_b64 s[0:1], s[18:19], 3
	s_add_u32 s6, s12, s0
	s_addc_u32 s7, s13, s1
	s_cmpk_eq_i32 s8, 0x6f
	s_delay_alu instid0(VALU_DEP_1) | instskip(NEXT) | instid1(VALU_DEP_1)
	v_lshlrev_b64 v[54:55], 3, v[2:3]
	v_add_co_u32 v52, vcc_lo, s6, v54
	s_delay_alu instid0(VALU_DEP_2)
	v_add_co_ci_u32_e32 v53, vcc_lo, s7, v55, vcc_lo
	s_cbranch_scc1 .LBB95_34
; %bb.12:
	s_cmp_gt_i32 s10, 23
	s_mov_b32 s6, s16
	s_cbranch_scc0 .LBB95_14
; %bb.13:
	s_ashr_i32 s17, s16, 31
	s_mov_b32 s3, 0
	s_lshl_b64 s[6:7], s[16:17], 3
	s_delay_alu instid0(SALU_CYCLE_1) | instskip(SKIP_2) | instid1(SALU_CYCLE_1)
	v_add_co_u32 v56, vcc_lo, v52, s6
	v_add_co_ci_u32_e32 v57, vcc_lo, s7, v53, vcc_lo
	s_lshl_b64 s[6:7], s[2:3], 3
	v_add_co_u32 v32, vcc_lo, v52, s6
	global_load_b64 v[12:13], v[56:57], off
	v_add_co_ci_u32_e32 v33, vcc_lo, s7, v53, vcc_lo
	s_clause 0x4
	global_load_b64 v[20:21], v[32:33], off offset:-16
	global_load_b128 v[0:3], v[32:33], off offset:-32
	global_load_b128 v[4:7], v[32:33], off offset:-48
	;; [unrolled: 1-line block ×4, first 2 shown]
	s_mul_i32 s6, s16, 0xc8
	s_delay_alu instid0(SALU_CYCLE_1)
	s_add_i32 s3, s6, 0xffffff38
	s_waitcnt vmcnt(5)
	v_mul_f64 v[22:23], v[12:13], s[4:5]
	v_mov_b32_e32 v12, s6
	ds_load_b64 v[24:25], v12
	v_mov_b32_e32 v12, s3
	s_mul_i32 s3, s2, 24
	s_delay_alu instid0(SALU_CYCLE_1) | instskip(SKIP_2) | instid1(SALU_CYCLE_1)
	s_add_i32 s3, s3, s16
	ds_load_2addr_b64 v[12:15], v12 offset1:1
	s_lshl_b32 s3, s3, 3
	s_add_i32 s7, s3, 0xfffffdc0
	s_add_i32 s15, s3, 0xfffff3e8
	;; [unrolled: 1-line block ×14, first 2 shown]
	s_waitcnt lgkmcnt(1)
	v_mul_f64 v[58:59], v[24:25], v[22:23]
	v_mov_b32_e32 v22, s7
	global_load_b128 v[24:27], v[32:33], off offset:-80
	s_add_i32 s7, s6, 0xfffffe70
	s_delay_alu instid0(SALU_CYCLE_1)
	v_mov_b32_e32 v28, s7
	ds_load_b64 v[22:23], v22
	s_add_i32 s7, s3, 0xfffffcf8
	ds_load_2addr_b64 v[28:31], v28 offset1:1
	s_waitcnt lgkmcnt(2)
	v_mul_f64 v[14:15], v[58:59], v[14:15]
	s_waitcnt lgkmcnt(1)
	v_mul_f64 v[42:43], v[58:59], v[22:23]
	s_waitcnt vmcnt(5)
	s_delay_alu instid0(VALU_DEP_2) | instskip(SKIP_3) | instid1(VALU_DEP_3)
	v_fma_f64 v[14:15], v[20:21], s[4:5], -v[14:15]
	v_mov_b32_e32 v20, s7
	s_add_i32 s7, s6, 0xfffffda8
	s_waitcnt vmcnt(4)
	v_fma_f64 v[2:3], v[2:3], s[4:5], -v[42:43]
	v_mov_b32_e32 v38, s7
	s_add_i32 s7, s3, 0xfffffc40
	ds_load_2addr_b64 v[34:37], v20 offset1:1
	ds_load_2addr_b64 v[38:41], v38 offset1:1
	v_mul_f64 v[60:61], v[12:13], v[14:15]
	v_mov_b32_e32 v12, s7
	s_add_i32 s7, s3, 0xfffffc30
	s_delay_alu instid0(SALU_CYCLE_1)
	v_mov_b32_e32 v14, s7
	s_add_i32 s7, s3, 0xfffffb78
	ds_load_b64 v[12:13], v12
	ds_load_2addr_b64 v[42:45], v14 offset1:1
	global_load_b128 v[20:23], v[32:33], off offset:-96
	s_waitcnt lgkmcnt(3)
	v_mul_f64 v[36:37], v[58:59], v[36:37]
	v_fma_f64 v[30:31], -v[60:61], v[30:31], v[2:3]
	s_delay_alu instid0(VALU_DEP_2)
	v_fma_f64 v[36:37], v[0:1], s[4:5], -v[36:37]
	v_mov_b32_e32 v0, s7
	s_add_i32 s7, s3, 0xfffffac0
	ds_load_2addr_b64 v[0:3], v0 offset1:1
	s_waitcnt lgkmcnt(2)
	v_mul_f64 v[46:47], v[58:59], v[12:13]
	global_load_b128 v[12:15], v[32:33], off offset:-112
	s_waitcnt lgkmcnt(0)
	v_mul_f64 v[48:49], v[58:59], v[2:3]
	v_mul_f64 v[2:3], v[28:29], v[30:31]
	v_mov_b32_e32 v28, s7
	s_add_i32 s7, s3, 0xfffffa00
	ds_load_b64 v[28:29], v28
	v_fma_f64 v[34:35], -v[60:61], v[34:35], v[36:37]
	s_waitcnt vmcnt(5)
	v_fma_f64 v[6:7], v[6:7], s[4:5], -v[46:47]
	s_waitcnt lgkmcnt(0)
	v_mul_f64 v[36:37], v[58:59], v[28:29]
	v_mov_b32_e32 v28, s7
	s_add_i32 s7, s6, 0xfffffce0
	v_fma_f64 v[4:5], v[4:5], s[4:5], -v[48:49]
	v_fma_f64 v[34:35], -v[2:3], v[40:41], v[34:35]
	ds_load_b64 v[40:41], v28
	global_load_b128 v[28:31], v[32:33], off offset:-128
	v_fma_f64 v[6:7], -v[60:61], v[44:45], v[6:7]
	s_waitcnt vmcnt(5)
	v_fma_f64 v[18:19], v[18:19], s[4:5], -v[36:37]
	s_waitcnt lgkmcnt(0)
	v_mul_f64 v[46:47], v[58:59], v[40:41]
	v_fma_f64 v[48:49], -v[60:61], v[0:1], v[4:5]
	v_mov_b32_e32 v4, s8
	s_add_i32 s8, s3, 0xfffffb68
	v_mov_b32_e32 v5, s9
	s_add_i32 s9, s3, 0xfffff918
	v_mul_f64 v[0:1], v[38:39], v[34:35]
	v_mov_b32_e32 v34, s7
	s_add_i32 s7, s6, 0xfffffc18
	s_delay_alu instid0(SALU_CYCLE_1)
	v_mov_b32_e32 v38, s7
	s_add_i32 s7, s3, 0xfffff880
	v_fma_f64 v[50:51], -v[2:3], v[42:43], v[6:7]
	v_mov_b32_e32 v6, s8
	ds_load_b64 v[62:63], v4
	ds_load_b64 v[64:65], v5
	ds_load_2addr_b64 v[4:7], v6 offset1:1
	ds_load_2addr_b64 v[34:37], v34 offset1:1
	s_add_i32 s8, s3, 0xfffffaa8
	s_delay_alu instid0(SALU_CYCLE_1)
	v_mov_b32_e32 v42, s8
	s_add_i32 s8, s3, 0xfffff9f0
	ds_load_2addr_b64 v[38:41], v38 offset1:1
	ds_load_2addr_b64 v[42:45], v42 offset1:1
	v_fma_f64 v[68:69], v[16:17], s[4:5], -v[46:47]
	v_mov_b32_e32 v16, s7
	v_mov_b32_e32 v46, s8
	s_add_i32 s7, s3, 0xfffff9e0
	s_add_i32 s8, s3, 0xfffff938
	s_waitcnt lgkmcnt(5)
	v_mul_f64 v[66:67], v[58:59], v[62:63]
	s_waitcnt lgkmcnt(4)
	v_fma_f64 v[70:71], -v[60:61], v[64:65], v[18:19]
	s_waitcnt lgkmcnt(3)
	v_fma_f64 v[6:7], -v[2:3], v[6:7], v[48:49]
	ds_load_2addr_b64 v[46:49], v46 offset1:1
	v_mov_b32_e32 v62, s7
	s_add_i32 s7, s3, 0xfffff7c0
	ds_load_2addr_b64 v[62:65], v62 offset1:1
	s_waitcnt lgkmcnt(4)
	v_fma_f64 v[36:37], -v[0:1], v[36:37], v[50:51]
	ds_load_b64 v[50:51], v16
	global_load_b128 v[16:19], v[32:33], off offset:-144
	s_waitcnt lgkmcnt(2)
	v_fma_f64 v[48:49], -v[60:61], v[48:49], v[68:69]
	s_waitcnt vmcnt(4)
	v_fma_f64 v[26:27], v[26:27], s[4:5], -v[66:67]
	s_waitcnt lgkmcnt(0)
	v_mul_f64 v[50:51], v[58:59], v[50:51]
	v_fma_f64 v[4:5], -v[0:1], v[4:5], v[6:7]
	v_fma_f64 v[44:45], -v[2:3], v[44:45], v[70:71]
	v_mul_f64 v[6:7], v[34:35], v[36:37]
	v_dual_mov_b32 v34, s7 :: v_dual_mov_b32 v35, s8
	ds_load_b64 v[66:67], v34
	ds_load_b64 v[68:69], v35
	s_add_i32 s7, s3, 0xfffff928
	s_add_i32 s8, s3, 0xfffff870
	v_mov_b32_e32 v34, s7
	s_add_i32 s7, s3, 0xfffff6f8
	v_fma_f64 v[76:77], -v[2:3], v[46:47], v[48:49]
	ds_load_2addr_b64 v[34:37], v34 offset1:1
	v_fma_f64 v[72:73], v[24:25], s[4:5], -v[50:51]
	v_mov_b32_e32 v24, s7
	v_fma_f64 v[78:79], -v[0:1], v[42:43], v[44:45]
	s_waitcnt lgkmcnt(2)
	v_mul_f64 v[70:71], v[58:59], v[66:67]
	s_waitcnt lgkmcnt(1)
	v_fma_f64 v[74:75], -v[60:61], v[68:69], v[26:27]
	s_add_i32 s7, s3, 0xfffffa98
	v_mov_b32_e32 v44, s8
	v_mov_b32_e32 v48, s7
	s_add_i32 s7, s3, 0xfffff860
	s_add_i32 s8, s3, 0xfffff7b8
	v_mov_b32_e32 v66, s7
	s_add_i32 s7, s3, 0xfffff640
	v_fma_f64 v[4:5], -v[6:7], v[40:41], v[4:5]
	ds_load_2addr_b64 v[40:43], v24 offset1:1
	global_load_b128 v[24:27], v[32:33], off offset:-160
	ds_load_2addr_b64 v[44:47], v44 offset1:1
	ds_load_2addr_b64 v[48:51], v48 offset1:1
	;; [unrolled: 1-line block ×3, first 2 shown]
	v_fma_f64 v[64:65], -v[0:1], v[64:65], v[76:77]
	s_waitcnt lgkmcnt(3)
	v_mul_f64 v[42:43], v[58:59], v[42:43]
	s_waitcnt lgkmcnt(2)
	v_fma_f64 v[46:47], -v[60:61], v[46:47], v[72:73]
	s_waitcnt lgkmcnt(1)
	v_fma_f64 v[50:51], -v[6:7], v[50:51], v[78:79]
	v_mul_f64 v[4:5], v[38:39], v[4:5]
	s_waitcnt vmcnt(4)
	v_fma_f64 v[22:23], v[22:23], s[4:5], -v[70:71]
	v_fma_f64 v[70:71], -v[2:3], v[36:37], v[74:75]
	v_dual_mov_b32 v36, s7 :: v_dual_mov_b32 v37, s8
	ds_load_b64 v[72:73], v36
	ds_load_b64 v[74:75], v37
	s_add_i32 s7, s3, 0xfffff7a8
	s_add_i32 s8, s6, 0xfffffb50
	v_mov_b32_e32 v36, s7
	s_add_i32 s7, s3, 0xfffff578
	v_fma_f64 v[84:85], -v[6:7], v[62:63], v[64:65]
	v_fma_f64 v[78:79], v[20:21], s[4:5], -v[42:43]
	v_mov_b32_e32 v20, s7
	s_add_i32 s7, s3, 0xfffff9d0
	v_fma_f64 v[80:81], -v[2:3], v[44:45], v[46:47]
	v_mov_b32_e32 v46, s7
	v_mov_b32_e32 v62, s8
	ds_load_2addr_b64 v[36:39], v36 offset1:1
	ds_load_2addr_b64 v[42:45], v20 offset1:1
	s_add_i32 s7, s3, 0xfffff908
	s_add_i32 s8, s3, 0xfffff568
	s_waitcnt lgkmcnt(3)
	v_mul_f64 v[76:77], v[58:59], v[72:73]
	v_fma_f64 v[50:51], -v[4:5], v[48:49], v[50:51]
	s_waitcnt lgkmcnt(2)
	v_fma_f64 v[74:75], -v[60:61], v[74:75], v[22:23]
	v_fma_f64 v[82:83], -v[0:1], v[34:35], v[70:71]
	v_mov_b32_e32 v34, s9
	global_load_b128 v[20:23], v[32:33], off offset:-176
	ds_load_2addr_b64 v[32:35], v34 offset1:1
	ds_load_2addr_b64 v[46:49], v46 offset1:1
	ds_load_b64 v[86:87], v62
	s_waitcnt lgkmcnt(3)
	v_mul_f64 v[44:45], v[58:59], v[44:45]
	v_mov_b32_e32 v62, s7
	s_add_i32 s7, s3, 0xfffff4c0
	v_mov_b32_e32 v70, s8
	s_add_i32 s8, s3, 0xfffff630
	v_fma_f64 v[90:91], -v[60:61], v[40:41], v[78:79]
	ds_load_2addr_b64 v[62:65], v62 offset1:1
	ds_load_2addr_b64 v[70:73], v70 offset1:1
	v_fma_f64 v[68:69], -v[0:1], v[68:69], v[80:81]
	s_add_i32 s9, s3, 0xfffff850
	s_waitcnt vmcnt(4)
	v_fma_f64 v[88:89], v[14:15], s[4:5], -v[76:77]
	s_waitcnt lgkmcnt(2)
	v_mul_f64 v[14:15], v[86:87], v[50:51]
	v_fma_f64 v[92:93], -v[2:3], v[38:39], v[74:75]
	v_fma_f64 v[34:35], -v[6:7], v[34:35], v[82:83]
	;; [unrolled: 1-line block ×3, first 2 shown]
	v_mov_b32_e32 v38, s7
	s_add_i32 s7, s3, 0xfffff6e8
	s_delay_alu instid0(SALU_CYCLE_1)
	v_dual_mov_b32 v39, s8 :: v_dual_mov_b32 v48, s7
	s_add_i32 s7, s3, 0xfffff6d8
	ds_load_b64 v[84:85], v38
	ds_load_2addr_b64 v[38:41], v39 offset1:1
	ds_load_2addr_b64 v[48:51], v48 offset1:1
	v_mov_b32_e32 v74, s7
	s_add_i32 s7, s3, 0xfffff3f8
	s_add_i32 s8, s3, 0xfffff620
	v_fma_f64 v[12:13], v[12:13], s[4:5], -v[44:45]
	v_mov_b32_e32 v78, s8
	ds_load_2addr_b64 v[74:77], v74 offset1:1
	ds_load_2addr_b64 v[78:81], v78 offset1:1
	s_add_i32 s8, s3, 0xfffff798
	s_delay_alu instid0(SALU_CYCLE_1) | instskip(SKIP_1) | instid1(SALU_CYCLE_1)
	v_mov_b32_e32 v44, s8
	s_add_i32 s8, s3, 0xfffff788
	v_mov_b32_e32 v86, s8
	s_add_i32 s8, s3, 0xfffff4b0
	s_waitcnt lgkmcnt(4)
	v_mul_f64 v[94:95], v[58:59], v[84:85]
	s_waitcnt lgkmcnt(3)
	v_fma_f64 v[40:41], -v[60:61], v[40:41], v[88:89]
	s_waitcnt lgkmcnt(2)
	v_fma_f64 v[50:51], -v[2:3], v[50:51], v[90:91]
	v_fma_f64 v[90:91], -v[6:7], v[66:67], v[68:69]
	v_mov_b32_e32 v66, s9
	s_add_i32 s9, s3, 0xfffff610
	v_fma_f64 v[36:37], -v[0:1], v[36:37], v[92:93]
	v_fma_f64 v[92:93], -v[4:5], v[32:33], v[34:35]
	v_mov_b32_e32 v32, s7
	v_fma_f64 v[96:97], -v[14:15], v[46:47], v[82:83]
	s_add_i32 s7, s6, 0xfffffa88
	s_delay_alu instid0(SALU_CYCLE_1)
	v_mov_b32_e32 v82, s7
	ds_load_2addr_b64 v[32:35], v32 offset1:1
	ds_load_2addr_b64 v[44:47], v44 offset1:1
	;; [unrolled: 1-line block ×3, first 2 shown]
	ds_load_b64 v[98:99], v82
	s_add_i32 s7, s3, 0xfffff840
	s_delay_alu instid0(SALU_CYCLE_1)
	v_mov_b32_e32 v82, s7
	v_fma_f64 v[42:43], -v[60:61], v[42:43], v[12:13]
	s_add_i32 s7, s3, 0xfffff340
	ds_load_2addr_b64 v[82:85], v82 offset1:1
	ds_load_2addr_b64 v[86:89], v86 offset1:1
	s_waitcnt vmcnt(3)
	v_fma_f64 v[30:31], v[30:31], s[4:5], -v[94:95]
	s_waitcnt lgkmcnt(5)
	v_mul_f64 v[100:101], v[58:59], v[34:35]
	v_fma_f64 v[38:39], -v[2:3], v[38:39], v[40:41]
	v_fma_f64 v[40:41], -v[0:1], v[48:49], v[50:51]
	s_waitcnt lgkmcnt(3)
	v_fma_f64 v[48:49], -v[4:5], v[68:69], v[90:91]
	v_dual_mov_b32 v34, s7 :: v_dual_mov_b32 v35, s8
	s_add_i32 s7, s3, 0xfffff4a0
	s_add_i32 s8, s3, 0xfffff6c8
	v_mov_b32_e32 v68, s7
	s_add_i32 s7, s3, 0xfffff278
	v_fma_f64 v[46:47], -v[6:7], v[46:47], v[36:37]
	v_fma_f64 v[50:51], -v[14:15], v[64:65], v[92:93]
	ds_load_b64 v[64:65], v34
	ds_load_2addr_b64 v[34:37], v35 offset1:1
	s_waitcnt lgkmcnt(4)
	v_mul_f64 v[12:13], v[98:99], v[96:97]
	ds_load_2addr_b64 v[90:93], v68 offset1:1
	v_fma_f64 v[42:43], -v[2:3], v[72:73], v[42:43]
	s_waitcnt lgkmcnt(2)
	v_mul_f64 v[68:69], v[58:59], v[64:65]
	s_waitcnt lgkmcnt(1)
	v_fma_f64 v[36:37], -v[60:61], v[36:37], v[30:31]
	v_fma_f64 v[94:95], v[28:29], s[4:5], -v[100:101]
	v_fma_f64 v[38:39], -v[0:1], v[80:81], v[38:39]
	v_fma_f64 v[40:41], -v[6:7], v[76:77], v[40:41]
	v_mov_b32_e32 v28, s7
	s_add_i32 s7, s6, 0xfffff9c0
	s_addk_i32 s6, 0xf8f8
	v_fma_f64 v[44:45], -v[4:5], v[44:45], v[46:47]
	v_fma_f64 v[46:47], -v[14:15], v[66:67], v[48:49]
	;; [unrolled: 1-line block ×3, first 2 shown]
	ds_load_2addr_b64 v[62:65], v28 offset1:1
	v_fma_f64 v[104:105], -v[0:1], v[70:71], v[42:43]
	s_waitcnt vmcnt(2)
	v_fma_f64 v[98:99], v[18:19], s[4:5], -v[68:69]
	v_fma_f64 v[102:103], -v[2:3], v[34:35], v[36:37]
	v_fma_f64 v[100:101], -v[60:61], v[32:33], v[94:95]
	v_mov_b32_e32 v32, s17
	v_fma_f64 v[108:109], -v[4:5], v[74:75], v[40:41]
	v_fma_f64 v[106:107], -v[6:7], v[78:79], v[38:39]
	v_mov_b32_e32 v34, s18
	v_mov_b32_e32 v36, s14
	ds_load_b64 v[110:111], v32
	v_mov_b32_e32 v28, s7
	s_waitcnt lgkmcnt(1)
	v_mul_f64 v[80:81], v[58:59], v[64:65]
	s_add_i32 s7, s3, 0xfffff268
	v_fma_f64 v[88:89], -v[14:15], v[88:89], v[44:45]
	v_fma_f64 v[84:85], -v[12:13], v[84:85], v[46:47]
	ds_load_b64 v[50:51], v28
	v_dual_mov_b32 v28, s7 :: v_dual_mov_b32 v35, s15
	v_dual_mov_b32 v32, s9 :: v_dual_mov_b32 v33, s8
	s_add_i32 s7, s3, 0xfffff6b8
	ds_load_2addr_b64 v[28:31], v28 offset1:1
	ds_load_2addr_b64 v[64:67], v34 offset1:1
	;; [unrolled: 1-line block ×6, first 2 shown]
	v_mov_b32_e32 v32, s7
	s_add_i32 s7, s3, 0xfffff0f8
	s_add_i32 s8, s3, 0xfffff548
	;; [unrolled: 1-line block ×3, first 2 shown]
	v_mov_b32_e32 v36, s11
	s_waitcnt lgkmcnt(7)
	v_mul_f64 v[110:111], v[58:59], v[110:111]
	s_add_i32 s14, s3, 0xfffff320
	v_mov_b32_e32 v40, s8
	v_mov_b32_e32 v44, s9
	s_add_i32 s9, s3, 0xfffff480
	s_add_i32 s11, s3, 0xfffff1a0
	s_waitcnt lgkmcnt(6)
	v_mul_f64 v[18:19], v[50:51], v[48:49]
	v_mov_b32_e32 v48, s14
	ds_load_2addr_b64 v[32:35], v32 offset1:1
	ds_load_2addr_b64 v[36:39], v36 offset1:1
	;; [unrolled: 1-line block ×5, first 2 shown]
	s_add_i32 s18, s3, 0xfffff258
	s_add_i32 s15, s3, 0xfffff310
	v_fma_f64 v[92:93], -v[0:1], v[92:93], v[102:103]
	s_waitcnt lgkmcnt(9)
	v_fma_f64 v[66:67], -v[60:61], v[66:67], v[98:99]
	s_waitcnt lgkmcnt(8)
	;; [unrolled: 2-line block ×3, first 2 shown]
	v_fma_f64 v[96:97], -v[14:15], v[96:97], v[108:109]
	v_fma_f64 v[74:75], -v[6:7], v[74:75], v[104:105]
	;; [unrolled: 1-line block ×3, first 2 shown]
	v_mov_b32_e32 v78, s7
	s_add_i32 s7, s3, 0xfffff778
	v_mov_b32_e32 v100, s6
	v_fma_f64 v[16:17], v[16:17], s[4:5], -v[80:81]
	s_add_i32 s6, s3, 0xfffff040
	v_fma_f64 v[86:87], -v[12:13], v[86:87], v[88:89]
	ds_load_2addr_b64 v[78:81], v78 offset1:1
	s_add_i32 s14, s3, 0xfffff3b8
	s_add_i32 s17, s3, 0xfffff300
	v_mov_b32_e32 v108, s24
	s_add_i32 s24, s3, 0xffffedd8
	s_waitcnt vmcnt(1)
	v_fma_f64 v[26:27], v[26:27], s[4:5], -v[110:111]
	s_waitcnt lgkmcnt(0)
	v_mul_f64 v[80:81], v[58:59], v[80:81]
	v_fma_f64 v[88:89], -v[18:19], v[82:83], v[84:85]
	v_mov_b32_e32 v82, s7
	ds_load_2addr_b64 v[82:85], v82 offset1:1
	ds_load_b64 v[100:101], v100
	v_fma_f64 v[90:91], -v[6:7], v[90:91], v[92:93]
	v_fma_f64 v[94:95], -v[12:13], v[94:95], v[96:97]
	;; [unrolled: 1-line block ×6, first 2 shown]
	s_add_i32 s7, s3, 0xfffff1b0
	v_fma_f64 v[102:103], -v[60:61], v[62:63], v[16:17]
	v_mov_b32_e32 v62, s6
	s_add_i32 s6, s3, 0xfffff490
	s_delay_alu instid0(SALU_CYCLE_1)
	v_dual_mov_b32 v63, s7 :: v_dual_mov_b32 v66, s6
	s_mul_i32 s6, s2, 0xc8
	v_mov_b32_e32 v70, s9
	s_add_i32 s7, s6, 0xfffff768
	v_mov_b32_e32 v74, s11
	s_add_i32 s8, s6, 0xfffff6a0
	s_add_i32 s11, s3, 0xfffff3c8
	s_waitcnt lgkmcnt(1)
	v_fma_f64 v[84:85], -v[18:19], v[84:85], v[86:87]
	ds_load_b64 v[86:87], v62
	ds_load_2addr_b64 v[62:65], v63 offset1:1
	ds_load_2addr_b64 v[66:69], v66 offset1:1
	;; [unrolled: 1-line block ×4, first 2 shown]
	s_add_i32 s9, s3, 0xfffff528
	v_fma_f64 v[96:97], v[24:25], s[4:5], -v[80:81]
	s_waitcnt lgkmcnt(5)
	v_mul_f64 v[16:17], v[100:101], v[88:89]
	v_mov_b32_e32 v100, s7
	s_add_i32 s7, s3, 0xffffef78
	s_delay_alu instid0(SALU_CYCLE_1)
	v_dual_mov_b32 v101, s8 :: v_dual_mov_b32 v80, s7
	s_add_i32 s7, s6, 0xfffff5d8
	s_add_i32 s8, s3, 0xfffff538
	s_waitcnt lgkmcnt(4)
	v_mul_f64 v[88:89], v[58:59], v[86:87]
	s_waitcnt lgkmcnt(2)
	v_fma_f64 v[68:69], -v[4:5], v[68:69], v[90:91]
	v_fma_f64 v[34:35], -v[18:19], v[34:35], v[94:95]
	;; [unrolled: 1-line block ×8, first 2 shown]
	ds_load_b64 v[92:93], v100
	v_mov_b32_e32 v94, s7
	s_add_i32 s7, s3, 0xfffff5f0
	ds_load_2addr_b64 v[24:27], v101 offset1:1
	v_dual_mov_b32 v98, s8 :: v_dual_mov_b32 v95, s7
	s_add_i32 s7, s3, 0xffffedf8
	v_dual_mov_b32 v99, s9 :: v_dual_mov_b32 v104, s21
	s_add_i32 s9, s3, 0xffffeea0
	s_add_i32 s21, s3, 0xffffef58
	;; [unrolled: 1-line block ×3, first 2 shown]
	v_fma_f64 v[78:79], -v[60:61], v[78:79], v[96:97]
	v_fma_f64 v[90:91], -v[16:17], v[82:83], v[84:85]
	ds_load_2addr_b64 v[80:83], v80 offset1:1
	v_mov_b32_e32 v84, s23
	s_add_i32 s23, s3, 0xffffeec0
	v_mov_b32_e32 v96, s17
	s_add_i32 s17, s3, 0xfffff0c8
	ds_load_2addr_b64 v[84:87], v84 offset1:1
	s_waitcnt vmcnt(0)
	v_fma_f64 v[112:113], v[22:23], s[4:5], -v[88:89]
	v_fma_f64 v[122:123], -v[14:15], v[66:67], v[68:69]
	v_fma_f64 v[128:129], -v[16:17], v[32:33], v[34:35]
	;; [unrolled: 1-line block ×6, first 2 shown]
	v_mov_b32_e32 v28, s23
	v_fma_f64 v[124:125], -v[12:13], v[40:41], v[42:43]
	v_fma_f64 v[126:127], -v[18:19], v[36:37], v[38:39]
	v_dual_mov_b32 v29, s22 :: v_dual_mov_b32 v36, s18
	ds_load_b64 v[130:131], v28
	s_waitcnt lgkmcnt(2)
	v_mul_f64 v[82:83], v[58:59], v[82:83]
	v_mov_b32_e32 v32, s20
	v_mov_b32_e32 v40, s15
	;; [unrolled: 1-line block ×3, first 2 shown]
	ds_load_2addr_b64 v[28:31], v29 offset1:1
	ds_load_2addr_b64 v[32:35], v32 offset1:1
	;; [unrolled: 1-line block ×7, first 2 shown]
	v_mov_b32_e32 v100, s19
	s_add_i32 s23, s3, 0xffffede8
	s_add_i32 s19, s3, 0xfffff010
	s_add_i32 s11, s3, 0xfffff2e0
	s_add_i32 s15, s3, 0xfffff228
	s_add_i32 s18, s3, 0xfffff0b8
	s_add_i32 s20, s3, 0xfffff000
	s_add_i32 s22, s3, 0xffffef48
	v_mul_f64 v[22:23], v[92:93], v[90:91]
	v_mov_b32_e32 v92, s14
	s_waitcnt lgkmcnt(7)
	v_mul_f64 v[130:131], v[58:59], v[130:131]
	ds_load_2addr_b64 v[66:69], v94 offset1:1
	ds_load_2addr_b64 v[88:91], v99 offset1:1
	;; [unrolled: 1-line block ×7, first 2 shown]
	s_add_i32 s14, s3, 0xfffff238
	s_waitcnt lgkmcnt(13)
	v_fma_f64 v[30:31], -v[60:61], v[30:31], v[112:113]
	s_waitcnt lgkmcnt(12)
	v_fma_f64 v[34:35], -v[2:3], v[34:35], v[78:79]
	v_fma_f64 v[72:73], -v[12:13], v[72:73], v[122:123]
	s_waitcnt lgkmcnt(10)
	v_fma_f64 v[42:43], -v[4:5], v[42:43], v[118:119]
	s_waitcnt lgkmcnt(9)
	v_fma_f64 v[46:47], -v[14:15], v[46:47], v[120:121]
	v_fma_f64 v[38:39], -v[6:7], v[38:39], v[116:117]
	s_waitcnt lgkmcnt(8)
	v_fma_f64 v[50:51], -v[18:19], v[50:51], v[124:125]
	s_waitcnt lgkmcnt(7)
	v_fma_f64 v[64:65], -v[16:17], v[64:65], v[126:127]
	v_fma_f64 v[20:21], v[20:21], s[4:5], -v[82:83]
	v_fma_f64 v[82:83], -v[0:1], v[76:77], v[114:115]
	v_mov_b32_e32 v76, s7
	s_add_i32 s7, s3, 0xffffeeb0
	ds_load_2addr_b64 v[76:79], v76 offset1:1
	v_fma_f64 v[26:27], -v[22:23], v[26:27], v[128:129]
	v_fma_f64 v[10:11], v[10:11], s[4:5], -v[130:131]
	v_fma_f64 v[112:113], -v[2:3], v[28:29], v[30:31]
	v_fma_f64 v[114:115], -v[0:1], v[32:33], v[34:35]
	;; [unrolled: 1-line block ×5, first 2 shown]
	v_mov_b32_e32 v44, s9
	s_add_i32 s9, s3, 0xfffff2f0
	v_fma_f64 v[48:49], -v[16:17], v[48:49], v[50:51]
	v_fma_f64 v[50:51], -v[22:23], v[62:63], v[64:65]
	v_mov_b32_e32 v40, s8
	s_add_i32 s8, s3, 0xfffff398
	v_fma_f64 v[80:81], -v[60:61], v[80:81], v[20:21]
	v_fma_f64 v[74:75], -v[6:7], v[74:75], v[82:83]
	;; [unrolled: 1-line block ×3, first 2 shown]
	v_mul_f64 v[20:21], v[24:25], v[26:27]
	v_mov_b32_e32 v24, s7
	s_add_i32 s7, s3, 0xfffff190
	s_delay_alu instid0(SALU_CYCLE_1)
	v_mov_b32_e32 v28, s7
	s_add_i32 s7, s3, 0xfffff470
	ds_load_2addr_b64 v[24:27], v24 offset1:1
	s_waitcnt lgkmcnt(1)
	v_mul_f64 v[62:63], v[58:59], v[78:79]
	v_mov_b32_e32 v32, s7
	ds_load_2addr_b64 v[28:31], v28 offset1:1
	ds_load_2addr_b64 v[32:35], v32 offset1:1
	v_fma_f64 v[72:73], -v[0:1], v[110:111], v[112:113]
	v_fma_f64 v[78:79], -v[6:7], v[106:107], v[114:115]
	s_add_i32 s7, s3, 0xfffff460
	v_fma_f64 v[48:49], -v[22:23], v[90:91], v[48:49]
	v_mov_b32_e32 v36, s7
	s_add_i32 s7, s6, 0xfffff510
	ds_load_2addr_b64 v[36:39], v36 offset1:1
	ds_load_2addr_b64 v[40:43], v40 offset1:1
	;; [unrolled: 1-line block ×3, first 2 shown]
	v_fma_f64 v[64:65], -v[2:3], v[86:87], v[80:81]
	v_fma_f64 v[80:81], -v[12:13], v[98:99], v[116:117]
	v_mov_b32_e32 v86, s15
	s_waitcnt lgkmcnt(5)
	v_fma_f64 v[26:27], -v[60:61], v[26:27], v[10:11]
	v_mov_b32_e32 v90, s18
	v_mov_b32_e32 v98, s22
	s_add_i32 s18, s3, 0xffffef38
	s_add_i32 s15, s3, 0xffffeff0
	s_waitcnt lgkmcnt(4)
	v_fma_f64 v[30:31], -v[4:5], v[30:31], v[74:75]
	v_fma_f64 v[74:75], -v[14:15], v[102:103], v[82:83]
	;; [unrolled: 1-line block ×3, first 2 shown]
	s_waitcnt lgkmcnt(3)
	v_fma_f64 v[34:35], -v[16:17], v[34:35], v[70:71]
	v_mov_b32_e32 v94, s20
	v_mov_b32_e32 v102, s24
	v_fma_f64 v[50:51], -v[20:21], v[68:69], v[50:51]
	v_fma_f64 v[62:63], v[8:9], s[4:5], -v[62:63]
	v_mov_b32_e32 v8, s7
	s_add_i32 s7, s3, 0xfffff3a8
	s_delay_alu instid0(SALU_CYCLE_1)
	v_mov_b32_e32 v70, s7
	s_add_i32 s7, s3, 0xffffee90
	v_fma_f64 v[108:109], -v[6:7], v[108:109], v[72:73]
	v_fma_f64 v[110:111], -v[4:5], v[104:105], v[78:79]
	ds_load_2addr_b64 v[8:11], v8 offset1:1
	v_fma_f64 v[122:123], -v[20:21], v[88:89], v[48:49]
	v_mov_b32_e32 v48, s17
	v_mov_b32_e32 v78, s8
	s_add_i32 s8, s3, 0xffffee80
	s_add_i32 s17, s3, 0xffffefe0
	v_fma_f64 v[106:107], -v[0:1], v[84:85], v[64:65]
	v_fma_f64 v[116:117], -v[18:19], v[96:97], v[80:81]
	;; [unrolled: 1-line block ×7, first 2 shown]
	v_mov_b32_e32 v28, s21
	v_mov_b32_e32 v74, s23
	v_mov_b32_e32 v32, s19
	v_mul_f64 v[26:27], v[66:67], v[50:51]
	v_mov_b32_e32 v66, s9
	ds_load_2addr_b64 v[28:31], v28 offset1:1
	ds_load_2addr_b64 v[32:35], v32 offset1:1
	;; [unrolled: 1-line block ×3, first 2 shown]
	v_mov_b32_e32 v82, s11
	s_add_i32 s19, s3, 0xffffedc8
	s_add_i32 s11, s3, 0xfffff0a8
	v_fma_f64 v[124:125], -v[60:61], v[76:77], v[62:63]
	v_mov_b32_e32 v62, s14
	ds_load_2addr_b64 v[62:65], v62 offset1:1
	ds_load_2addr_b64 v[66:69], v66 offset1:1
	;; [unrolled: 1-line block ×11, first 2 shown]
	s_add_i32 s9, s3, 0xfffff208
	s_add_i32 s14, s3, 0xfffff098
	s_waitcnt lgkmcnt(12)
	v_fma_f64 v[34:35], -v[4:5], v[34:35], v[108:109]
	v_fma_f64 v[30:31], -v[6:7], v[30:31], v[106:107]
	;; [unrolled: 1-line block ×3, first 2 shown]
	s_waitcnt lgkmcnt(11)
	v_fma_f64 v[46:47], -v[14:15], v[50:51], v[110:111]
	v_fma_f64 v[42:43], -v[12:13], v[42:43], v[112:113]
	s_waitcnt lgkmcnt(10)
	v_fma_f64 v[50:51], -v[18:19], v[64:65], v[114:115]
	s_waitcnt lgkmcnt(9)
	;; [unrolled: 2-line block ×3, first 2 shown]
	v_fma_f64 v[68:69], -v[22:23], v[72:73], v[118:119]
	v_fma_f64 v[38:39], -v[20:21], v[38:39], v[120:121]
	;; [unrolled: 1-line block ×3, first 2 shown]
	s_waitcnt lgkmcnt(7)
	v_fma_f64 v[72:73], -v[2:3], v[76:77], v[124:125]
	v_fma_f64 v[106:107], -v[14:15], v[32:33], v[34:35]
	v_fma_f64 v[76:77], -v[4:5], v[28:29], v[30:31]
	v_fma_f64 v[44:45], -v[6:7], v[44:45], v[24:25]
	v_fma_f64 v[46:47], -v[12:13], v[48:49], v[46:47]
	v_fma_f64 v[48:49], -v[18:19], v[40:41], v[42:43]
	v_fma_f64 v[50:51], -v[16:17], v[62:63], v[50:51]
	v_fma_f64 v[62:63], -v[22:23], v[66:67], v[64:65]
	v_fma_f64 v[64:65], -v[20:21], v[70:71], v[68:69]
	v_fma_f64 v[66:67], -v[26:27], v[36:37], v[38:39]
	v_mov_b32_e32 v40, s8
	s_add_i32 s8, s3, 0xfffff218
	v_mul_f64 v[24:25], v[8:9], v[10:11]
	v_mov_b32_e32 v8, s7
	s_add_i32 s7, s3, 0xfffff170
	s_delay_alu instid0(SALU_CYCLE_1)
	v_mov_b32_e32 v28, s7
	s_add_i32 s7, s6, 0xfffff448
	ds_load_2addr_b64 v[8:11], v8 offset1:1
	v_fma_f64 v[68:69], -v[0:1], v[74:75], v[72:73]
	v_mov_b32_e32 v32, s7
	ds_load_2addr_b64 v[28:31], v28 offset1:1
	ds_load_2addr_b64 v[32:35], v32 offset1:1
	s_add_i32 s7, s3, 0xfffff160
	s_delay_alu instid0(SALU_CYCLE_1)
	v_mov_b32_e32 v36, s7
	s_add_i32 s7, s6, 0xfffff380
	ds_load_2addr_b64 v[36:39], v36 offset1:1
	ds_load_2addr_b64 v[40:43], v40 offset1:1
	s_waitcnt lgkmcnt(7)
	v_fma_f64 v[72:73], -v[12:13], v[96:97], v[106:107]
	s_waitcnt lgkmcnt(6)
	v_fma_f64 v[70:71], -v[14:15], v[100:101], v[76:77]
	;; [unrolled: 2-line block ×3, first 2 shown]
	v_fma_f64 v[74:75], -v[18:19], v[92:93], v[46:47]
	v_mov_b32_e32 v44, s7
	s_add_i32 s7, s6, 0xfffff2b8
	s_waitcnt lgkmcnt(3)
	v_fma_f64 v[30:31], -v[16:17], v[30:31], v[48:49]
	v_fma_f64 v[48:49], -v[22:23], v[88:89], v[50:51]
	;; [unrolled: 1-line block ×4, first 2 shown]
	v_mov_b32_e32 v76, s7
	s_add_i32 s7, s3, 0xfffff2d0
	ds_load_2addr_b64 v[44:47], v44 offset1:1
	s_waitcnt lgkmcnt(3)
	v_fma_f64 v[34:35], -v[24:25], v[34:35], v[66:67]
	v_mov_b32_e32 v66, s7
	s_add_i32 s7, s3, 0xffffef28
	v_fma_f64 v[64:65], -v[6:7], v[104:105], v[68:69]
	v_fma_f64 v[100:101], -v[18:19], v[94:95], v[72:73]
	;; [unrolled: 1-line block ×3, first 2 shown]
	v_mov_b32_e32 v70, s19
	v_fma_f64 v[8:9], -v[14:15], v[8:9], v[10:11]
	v_fma_f64 v[104:105], -v[16:17], v[90:91], v[74:75]
	v_mov_b32_e32 v90, s7
	s_add_i32 s7, s3, 0xffffee70
	v_fma_f64 v[106:107], -v[22:23], v[28:29], v[30:31]
	v_fma_f64 v[108:109], -v[20:21], v[86:87], v[48:49]
	v_fma_f64 v[110:111], -v[26:27], v[82:83], v[50:51]
	v_fma_f64 v[112:113], -v[24:25], v[78:79], v[62:63]
	v_mov_b32_e32 v28, s18
	v_mov_b32_e32 v62, s8
	;; [unrolled: 1-line block ×3, first 2 shown]
	v_mul_f64 v[10:11], v[32:33], v[34:35]
	v_mov_b32_e32 v32, s15
	ds_load_2addr_b64 v[28:31], v28 offset1:1
	ds_load_2addr_b64 v[32:35], v32 offset1:1
	;; [unrolled: 1-line block ×3, first 2 shown]
	v_mov_b32_e32 v78, s9
	v_fma_f64 v[102:103], -v[4:5], v[102:103], v[64:65]
	ds_load_2addr_b64 v[62:65], v62 offset1:1
	ds_load_2addr_b64 v[66:69], v66 offset1:1
	ds_load_2addr_b64 v[70:73], v70 offset1:1
	s_add_i32 s8, s3, 0xffffedb8
	v_mov_b32_e32 v82, s14
	v_mov_b32_e32 v86, s17
	;; [unrolled: 1-line block ×3, first 2 shown]
	ds_load_2addr_b64 v[74:77], v76 offset1:1
	ds_load_2addr_b64 v[78:81], v78 offset1:1
	;; [unrolled: 1-line block ×6, first 2 shown]
	s_add_i32 s8, s3, 0xffffee60
	s_add_i32 s11, s3, 0xffffef18
	;; [unrolled: 1-line block ×4, first 2 shown]
	s_waitcnt lgkmcnt(11)
	v_fma_f64 v[30:31], -v[18:19], v[30:31], v[98:99]
	s_waitcnt lgkmcnt(10)
	v_fma_f64 v[34:35], -v[16:17], v[34:35], v[100:101]
	v_fma_f64 v[8:9], -v[12:13], v[42:43], v[8:9]
	s_waitcnt lgkmcnt(9)
	v_fma_f64 v[42:43], -v[22:23], v[50:51], v[104:105]
	;; [unrolled: 3-line block ×3, first 2 shown]
	s_waitcnt lgkmcnt(7)
	v_fma_f64 v[64:65], -v[24:25], v[68:69], v[110:111]
	v_fma_f64 v[46:47], -v[10:11], v[46:47], v[112:113]
	s_waitcnt lgkmcnt(6)
	v_fma_f64 v[68:69], -v[14:15], v[72:73], v[102:103]
	v_fma_f64 v[98:99], -v[16:17], v[28:29], v[30:31]
	;; [unrolled: 1-line block ×3, first 2 shown]
	v_mov_b32_e32 v28, s7
	v_fma_f64 v[72:73], -v[18:19], v[40:41], v[8:9]
	v_fma_f64 v[48:49], -v[20:21], v[48:49], v[42:43]
	s_add_i32 s7, s3, 0xfffff150
	v_mov_b32_e32 v40, s8
	v_mov_b32_e32 v32, s7
	v_fma_f64 v[102:103], -v[26:27], v[36:37], v[38:39]
	v_fma_f64 v[50:51], -v[24:25], v[62:63], v[50:51]
	;; [unrolled: 1-line block ×3, first 2 shown]
	ds_load_2addr_b64 v[28:31], v28 offset1:1
	ds_load_2addr_b64 v[32:35], v32 offset1:1
	s_add_i32 s7, s3, 0xfffff140
	s_add_i32 s8, s3, 0xfffff088
	v_mov_b32_e32 v36, s7
	v_mul_f64 v[8:9], v[44:45], v[46:47]
	s_add_i32 s7, s6, 0xfffff1f0
	v_mov_b32_e32 v66, s14
	ds_load_2addr_b64 v[36:39], v36 offset1:1
	ds_load_2addr_b64 v[40:43], v40 offset1:1
	v_fma_f64 v[44:45], -v[12:13], v[70:71], v[68:69]
	s_waitcnt lgkmcnt(5)
	v_fma_f64 v[46:47], -v[22:23], v[92:93], v[98:99]
	v_fma_f64 v[64:65], -v[20:21], v[88:89], v[100:101]
	s_waitcnt lgkmcnt(3)
	v_fma_f64 v[30:31], -v[16:17], v[30:31], v[72:73]
	;; [unrolled: 3-line block ×3, first 2 shown]
	v_fma_f64 v[50:51], -v[10:11], v[80:81], v[50:51]
	v_fma_f64 v[62:63], -v[8:9], v[76:77], v[62:63]
	;; [unrolled: 1-line block ×7, first 2 shown]
	v_mov_b32_e32 v48, s8
	s_add_i32 s8, s3, 0xffffefc0
	v_fma_f64 v[92:93], -v[10:11], v[32:33], v[34:35]
	v_fma_f64 v[96:97], -v[8:9], v[78:79], v[50:51]
	v_mov_b32_e32 v32, s11
	s_add_i32 s11, s3, 0xffffed98
	s_delay_alu instid0(SALU_CYCLE_1)
	v_mov_b32_e32 v82, s11
	s_add_i32 s11, s3, 0xffffed88
	v_mul_f64 v[30:31], v[74:75], v[62:63]
	v_mov_b32_e32 v62, s7
	s_add_i32 s7, s3, 0xfffff078
	v_mov_b32_e32 v74, s8
	v_mov_b32_e32 v70, s7
	s_add_i32 s7, s3, 0xffffee50
	s_add_i32 s8, s3, 0xffffefb0
	v_fma_f64 v[94:95], -v[16:17], v[94:95], v[44:45]
	v_mov_b32_e32 v44, s9
	ds_load_2addr_b64 v[32:35], v32 offset1:1
	ds_load_2addr_b64 v[44:47], v44 offset1:1
	;; [unrolled: 1-line block ×5, first 2 shown]
	s_add_i32 s9, s3, 0xffffef08
	s_delay_alu instid0(SALU_CYCLE_1)
	v_mov_b32_e32 v78, s9
	ds_load_2addr_b64 v[70:73], v70 offset1:1
	ds_load_2addr_b64 v[74:77], v74 offset1:1
	;; [unrolled: 1-line block ×4, first 2 shown]
	s_add_i32 s9, s3, 0xffffeef8
	s_waitcnt lgkmcnt(9)
	v_fma_f64 v[28:29], -v[20:21], v[42:43], v[28:29]
	s_waitcnt lgkmcnt(8)
	v_fma_f64 v[34:35], -v[26:27], v[34:35], v[88:89]
	;; [unrolled: 2-line block ×4, first 2 shown]
	v_fma_f64 v[38:39], -v[8:9], v[38:39], v[92:93]
	s_waitcnt lgkmcnt(5)
	v_fma_f64 v[50:51], -v[30:31], v[64:65], v[96:97]
	s_waitcnt lgkmcnt(4)
	v_fma_f64 v[64:65], -v[22:23], v[68:69], v[94:95]
	v_fma_f64 v[68:69], -v[26:27], v[40:41], v[28:29]
	;; [unrolled: 1-line block ×6, first 2 shown]
	v_mov_b32_e32 v32, s7
	s_add_i32 s7, s6, 0xfffff128
	s_delay_alu instid0(SALU_CYCLE_1) | instskip(SKIP_4) | instid1(SALU_CYCLE_1)
	v_mov_b32_e32 v36, s7
	ds_load_2addr_b64 v[32:35], v32 offset1:1
	ds_load_2addr_b64 v[36:39], v36 offset1:1
	v_mul_f64 v[28:29], v[62:63], v[50:51]
	s_add_i32 s7, s3, 0xffffee40
	v_mov_b32_e32 v40, s7
	s_add_i32 s7, s6, 0xfffff060
	v_fma_f64 v[50:51], -v[20:21], v[66:67], v[64:65]
	ds_load_2addr_b64 v[40:43], v40 offset1:1
	s_waitcnt lgkmcnt(2)
	v_fma_f64 v[34:35], -v[24:25], v[34:35], v[68:69]
	v_fma_f64 v[62:63], -v[10:11], v[80:81], v[86:87]
	;; [unrolled: 1-line block ×4, first 2 shown]
	s_waitcnt lgkmcnt(1)
	v_fma_f64 v[38:39], -v[28:29], v[38:39], v[48:49]
	v_fma_f64 v[48:49], -v[26:27], v[84:85], v[50:51]
	;; [unrolled: 1-line block ×6, first 2 shown]
	v_mov_b32_e32 v44, s8
	v_mov_b32_e32 v62, s11
	s_add_i32 s8, s3, 0xffffed78
	s_delay_alu instid0(SALU_CYCLE_1)
	v_mov_b32_e32 v74, s8
	s_add_i32 s8, s3, 0xffffed68
	v_mul_f64 v[34:35], v[36:37], v[38:39]
	v_mov_b32_e32 v36, s9
	v_fma_f64 v[82:83], -v[24:25], v[82:83], v[48:49]
	v_mov_b32_e32 v48, s7
	ds_load_2addr_b64 v[36:39], v36 offset1:1
	ds_load_2addr_b64 v[44:47], v44 offset1:1
	;; [unrolled: 1-line block ×4, first 2 shown]
	s_add_i32 s7, s6, 0xffffef98
	s_delay_alu instid0(SALU_CYCLE_1) | instskip(SKIP_1) | instid1(SALU_CYCLE_1)
	v_mov_b32_e32 v66, s7
	s_add_i32 s7, s3, 0xffffeee8
	v_mov_b32_e32 v70, s7
	s_add_i32 s7, s3, 0xffffee30
	ds_load_2addr_b64 v[66:69], v66 offset1:1
	ds_load_2addr_b64 v[70:73], v70 offset1:1
	ds_load_2addr_b64 v[74:77], v74 offset1:1
	s_waitcnt lgkmcnt(7)
	v_fma_f64 v[32:33], -v[8:9], v[42:43], v[32:33]
	s_waitcnt lgkmcnt(6)
	v_fma_f64 v[38:39], -v[30:31], v[38:39], v[78:79]
	s_waitcnt lgkmcnt(5)
	v_fma_f64 v[42:43], -v[28:29], v[46:47], v[80:81]
	s_waitcnt lgkmcnt(4)
	v_fma_f64 v[46:47], -v[34:35], v[50:51], v[84:85]
	s_waitcnt lgkmcnt(3)
	v_fma_f64 v[50:51], -v[10:11], v[64:65], v[82:83]
	v_fma_f64 v[64:65], -v[30:31], v[40:41], v[32:33]
	v_fma_f64 v[78:79], -v[28:29], v[36:37], v[38:39]
	;; [unrolled: 1-line block ×3, first 2 shown]
	v_mov_b32_e32 v36, s7
	s_add_i32 s7, s3, 0xffffee20
	s_addk_i32 s3, 0xed58
	v_mov_b32_e32 v40, s7
	s_add_i32 s7, s6, 0xffffeed0
	ds_load_2addr_b64 v[36:39], v36 offset1:1
	ds_load_2addr_b64 v[40:43], v40 offset1:1
	v_mul_f64 v[32:33], v[48:49], v[46:47]
	v_fma_f64 v[46:47], -v[8:9], v[62:63], v[50:51]
	v_mov_b32_e32 v62, s3
	s_add_i32 s3, s6, 0xffffee08
	s_waitcnt lgkmcnt(1)
	v_fma_f64 v[38:39], -v[28:29], v[38:39], v[64:65]
	v_fma_f64 v[48:49], -v[34:35], v[72:73], v[78:79]
	;; [unrolled: 1-line block ×4, first 2 shown]
	s_delay_alu instid0(VALU_DEP_4) | instskip(NEXT) | instid1(VALU_DEP_4)
	v_fma_f64 v[36:37], -v[34:35], v[36:37], v[38:39]
	v_fma_f64 v[68:69], -v[32:33], v[70:71], v[48:49]
	v_mov_b32_e32 v48, s8
	v_mul_f64 v[38:39], v[66:67], v[44:45]
	v_mov_b32_e32 v44, s7
	v_fma_f64 v[66:67], -v[28:29], v[74:75], v[46:47]
	ds_load_2addr_b64 v[44:47], v44 offset1:1
	ds_load_2addr_b64 v[48:51], v48 offset1:1
	;; [unrolled: 1-line block ×3, first 2 shown]
	s_waitcnt lgkmcnt(3)
	v_fma_f64 v[36:37], -v[32:33], v[42:43], v[36:37]
	s_waitcnt lgkmcnt(2)
	v_fma_f64 v[42:43], -v[38:39], v[46:47], v[68:69]
	;; [unrolled: 2-line block ×3, first 2 shown]
	s_delay_alu instid0(VALU_DEP_3) | instskip(SKIP_2) | instid1(VALU_DEP_4)
	v_fma_f64 v[50:51], -v[38:39], v[40:41], v[36:37]
	v_mov_b32_e32 v40, s3
	s_add_i32 s3, s6, 0xffffed40
	v_mul_f64 v[36:37], v[44:45], v[42:43]
	ds_load_2addr_b64 v[40:43], v40 offset1:1
	v_fma_f64 v[44:45], -v[32:33], v[48:49], v[46:47]
	s_waitcnt lgkmcnt(0)
	v_fma_f64 v[42:43], -v[36:37], v[42:43], v[50:51]
	s_delay_alu instid0(VALU_DEP_2) | instskip(NEXT) | instid1(VALU_DEP_2)
	v_fma_f64 v[44:45], -v[38:39], v[64:65], v[44:45]
	v_mul_f64 v[42:43], v[40:41], v[42:43]
	s_delay_alu instid0(VALU_DEP_2) | instskip(SKIP_2) | instid1(SALU_CYCLE_1)
	v_fma_f64 v[40:41], -v[36:37], v[62:63], v[44:45]
	v_mov_b32_e32 v44, s3
	s_ashr_i32 s3, s2, 31
	s_lshl_b64 s[6:7], s[2:3], 3
	ds_load_2addr_b64 v[44:47], v44 offset1:1
	s_waitcnt lgkmcnt(0)
	v_fma_f64 v[40:41], -v[42:43], v[46:47], v[40:41]
	s_delay_alu instid0(VALU_DEP_1)
	v_mul_f64 v[40:41], v[44:45], v[40:41]
	v_add_co_u32 v44, vcc_lo, v52, s6
	v_add_co_ci_u32_e32 v45, vcc_lo, s7, v53, vcc_lo
	s_sub_i32 s6, s2, 25
	s_clause 0xc
	global_store_b64 v[56:57], v[58:59], off
	global_store_b64 v[44:45], v[60:61], off offset:-16
	global_store_b128 v[44:45], v[0:3], off offset:-32
	global_store_b128 v[44:45], v[4:7], off offset:-48
	;; [unrolled: 1-line block ×11, first 2 shown]
.LBB95_14:
	s_cmp_gt_i32 s6, -1
	s_cbranch_scc0 .LBB95_33
; %bb.15:
	s_cmp_lt_u32 s6, 19
	s_cbranch_scc1 .LBB95_20
; %bb.16:
	s_mov_b32 s7, 0
	s_delay_alu instid0(SALU_CYCLE_1)
	s_lshl_b64 s[8:9], s[6:7], 3
	s_cmp_le_i32 s16, s6
	v_add_co_u32 v16, vcc_lo, v52, s8
	v_add_co_ci_u32_e32 v17, vcc_lo, s9, v53, vcc_lo
	s_clause 0x9
	global_load_b128 v[0:3], v[16:17], off offset:-8
	global_load_b128 v[4:7], v[16:17], off offset:-24
	;; [unrolled: 1-line block ×10, first 2 shown]
	s_waitcnt vmcnt(9)
	v_mul_f64 v[18:19], v[2:3], s[4:5]
	v_mul_f64 v[40:41], v[0:1], s[4:5]
	s_waitcnt vmcnt(8)
	v_mul_f64 v[20:21], v[6:7], s[4:5]
	v_mul_f64 v[38:39], v[4:5], s[4:5]
	;; [unrolled: 3-line block ×10, first 2 shown]
	s_cbranch_scc1 .LBB95_19
; %bb.17:
	s_mul_i32 s3, s6, 0xc0
	s_lshl_b32 s7, s2, 3
	s_ashr_i32 s17, s16, 31
	s_add_i32 s3, s3, s7
	s_lshl_b64 s[8:9], s[16:17], 3
	s_addk_i32 s3, 0xf1b8
	s_add_u32 s7, s12, s8
	s_addc_u32 s8, s13, s9
	s_add_u32 s7, s7, s0
	s_addc_u32 s8, s8, s1
	v_add_co_u32 v42, vcc_lo, s7, v54
	v_add_co_ci_u32_e32 v43, vcc_lo, s8, v55, vcc_lo
	s_mov_b32 s7, s16
.LBB95_18:                              ; =>This Inner Loop Header: Depth=1
	global_load_b64 v[88:89], v[42:43], off
	v_add_nc_u32_e64 v60, 0x800, s3
	v_mov_b32_e32 v84, s3
	v_add_nc_u32_e64 v64, 0x400, s3
	v_add_co_u32 v42, vcc_lo, v42, -8
	ds_load_2addr_b64 v[44:47], v60 offset0:176 offset1:200
	ds_load_2addr_b64 v[48:51], v60 offset0:128 offset1:152
	;; [unrolled: 1-line block ×9, first 2 shown]
	ds_load_2addr_b64 v[84:87], v84 offset1:24
	v_add_co_ci_u32_e32 v43, vcc_lo, -1, v43, vcc_lo
	s_add_i32 s7, s7, -1
	s_add_i32 s3, s3, -8
	s_cmp_gt_i32 s7, s6
	s_waitcnt vmcnt(0) lgkmcnt(9)
	v_fma_f64 v[18:19], -v[88:89], v[46:47], v[18:19]
	v_fma_f64 v[40:41], -v[88:89], v[44:45], v[40:41]
	s_waitcnt lgkmcnt(8)
	v_fma_f64 v[20:21], -v[88:89], v[50:51], v[20:21]
	v_fma_f64 v[38:39], -v[88:89], v[48:49], v[38:39]
	s_waitcnt lgkmcnt(7)
	;; [unrolled: 3-line block ×9, first 2 shown]
	v_fma_f64 v[12:13], -v[88:89], v[86:87], v[12:13]
	v_fma_f64 v[22:23], -v[88:89], v[84:85], v[22:23]
	s_cbranch_scc1 .LBB95_18
.LBB95_19:
	s_mul_i32 s3, s6, 0xc8
	s_delay_alu instid0(SALU_CYCLE_1)
	s_add_i32 s11, s3, 0xfffffb78
	v_mov_b32_e32 v42, s3
	s_add_i32 s7, s3, 0xffffff38
	s_add_i32 s9, s3, 0xfffffac0
	;; [unrolled: 1-line block ×4, first 2 shown]
	ds_load_b64 v[46:47], v42
	v_mov_b32_e32 v42, s7
	s_add_i32 s7, s3, 0xfffffe80
	s_add_i32 s20, s3, 0xfffff338
	;; [unrolled: 1-line block ×4, first 2 shown]
	ds_load_2addr_b64 v[42:45], v42 offset1:1
	s_add_i32 s15, s3, 0xfffff608
	s_add_i32 s18, s3, 0xfffff498
	;; [unrolled: 1-line block ×3, first 2 shown]
	s_waitcnt lgkmcnt(1)
	v_mul_f64 v[18:19], v[46:47], v[18:19]
	s_waitcnt lgkmcnt(0)
	s_delay_alu instid0(VALU_DEP_1)
	v_fma_f64 v[40:41], -v[18:19], v[44:45], v[40:41]
	v_mov_b32_e32 v44, s7
	s_add_i32 s7, s3, 0xfffffe70
	ds_load_b64 v[48:49], v44
	v_mov_b32_e32 v44, s7
	s_add_i32 s7, s3, 0xfffffdb8
	ds_load_2addr_b64 v[44:47], v44 offset1:1
	s_waitcnt lgkmcnt(1)
	v_fma_f64 v[56:57], -v[18:19], v[48:49], v[20:21]
	v_mul_f64 v[20:21], v[42:43], v[40:41]
	v_mov_b32_e32 v40, s7
	s_add_i32 s7, s3, 0xfffffda8
	s_delay_alu instid0(SALU_CYCLE_1)
	v_mov_b32_e32 v48, s7
	s_add_i32 s7, s3, 0xfffffd00
	ds_load_2addr_b64 v[40:43], v40 offset1:1
	ds_load_2addr_b64 v[48:51], v48 offset1:1
	s_waitcnt lgkmcnt(1)
	v_fma_f64 v[38:39], -v[18:19], v[42:43], v[38:39]
	v_fma_f64 v[42:43], -v[20:21], v[46:47], v[56:57]
	v_mov_b32_e32 v46, s7
	s_add_i32 s7, s3, 0xfffffcf0
	s_delay_alu instid0(SALU_CYCLE_1)
	v_mov_b32_e32 v56, s7
	s_add_i32 s7, s3, 0xfffffc38
	ds_load_b64 v[46:47], v46
	ds_load_2addr_b64 v[56:59], v56 offset1:1
	s_waitcnt lgkmcnt(1)
	v_fma_f64 v[46:47], -v[18:19], v[46:47], v[2:3]
	v_fma_f64 v[60:61], -v[20:21], v[40:41], v[38:39]
	v_mov_b32_e32 v38, s7
	s_add_i32 s7, s3, 0xfffffb80
	ds_load_2addr_b64 v[38:41], v38 offset1:1
	v_mul_f64 v[2:3], v[44:45], v[42:43]
	v_mov_b32_e32 v44, s7
	s_add_i32 s7, s3, 0xfffffce0
	ds_load_b64 v[44:45], v44
	s_waitcnt lgkmcnt(1)
	v_fma_f64 v[36:37], -v[18:19], v[40:41], v[36:37]
	v_fma_f64 v[40:41], -v[20:21], v[58:59], v[46:47]
	s_waitcnt lgkmcnt(0)
	v_fma_f64 v[58:59], -v[18:19], v[44:45], v[0:1]
	v_fma_f64 v[42:43], -v[2:3], v[50:51], v[60:61]
	s_delay_alu instid0(VALU_DEP_4)
	v_fma_f64 v[60:61], -v[20:21], v[38:39], v[36:37]
	v_dual_mov_b32 v36, s9 :: v_dual_mov_b32 v37, s11
	v_mov_b32_e32 v38, s8
	s_add_i32 s8, s3, 0xfffffb68
	s_add_i32 s9, s3, 0xfffff9d8
	;; [unrolled: 1-line block ×3, first 2 shown]
	v_fma_f64 v[56:57], -v[2:3], v[56:57], v[40:41]
	v_mov_b32_e32 v40, s7
	s_add_i32 s7, s3, 0xfffffc18
	s_delay_alu instid0(SALU_CYCLE_1)
	v_mov_b32_e32 v44, s7
	s_add_i32 s7, s3, 0xfffffa00
	v_mul_f64 v[0:1], v[48:49], v[42:43]
	ds_load_b64 v[62:63], v36
	ds_load_b64 v[64:65], v37
	ds_load_2addr_b64 v[36:39], v38 offset1:1
	ds_load_2addr_b64 v[40:43], v40 offset1:1
	v_mov_b32_e32 v48, s8
	s_add_i32 s8, s3, 0xfffffab0
	ds_load_2addr_b64 v[44:47], v44 offset1:1
	ds_load_2addr_b64 v[48:51], v48 offset1:1
	s_waitcnt lgkmcnt(5)
	v_fma_f64 v[34:35], -v[18:19], v[62:63], v[34:35]
	s_waitcnt lgkmcnt(4)
	v_fma_f64 v[64:65], -v[20:21], v[64:65], v[58:59]
	;; [unrolled: 2-line block ×4, first 2 shown]
	v_dual_mov_b32 v56, s7 :: v_dual_mov_b32 v57, s8
	s_add_i32 s7, s3, 0xfffffaa0
	ds_load_b64 v[66:67], v56
	ds_load_2addr_b64 v[56:59], v57 offset1:1
	v_mov_b32_e32 v60, s7
	s_add_i32 s7, s3, 0xfffff940
	s_add_i32 s8, s3, 0xfffff9f8
	ds_load_2addr_b64 v[60:63], v60 offset1:1
	s_waitcnt lgkmcnt(3)
	v_fma_f64 v[50:51], -v[2:3], v[50:51], v[64:65]
	v_fma_f64 v[38:39], -v[0:1], v[36:37], v[38:39]
	s_waitcnt lgkmcnt(2)
	v_fma_f64 v[66:67], -v[18:19], v[66:67], v[6:7]
	s_waitcnt lgkmcnt(1)
	v_fma_f64 v[58:59], -v[20:21], v[58:59], v[34:35]
	v_dual_mov_b32 v34, s7 :: v_dual_mov_b32 v35, s8
	s_add_i32 s7, s3, 0xfffff9e8
	s_add_i32 s8, s3, 0xfffff930
	v_mul_f64 v[6:7], v[40:41], v[42:43]
	ds_load_b64 v[40:41], v34
	ds_load_b64 v[42:43], v35
	v_mov_b32_e32 v34, s7
	s_add_i32 s7, s3, 0xfffff880
	ds_load_2addr_b64 v[34:37], v34 offset1:1
	v_fma_f64 v[50:51], -v[0:1], v[48:49], v[50:51]
	s_waitcnt lgkmcnt(2)
	v_fma_f64 v[32:33], -v[18:19], v[40:41], v[32:33]
	s_waitcnt lgkmcnt(1)
	v_fma_f64 v[42:43], -v[20:21], v[42:43], v[66:67]
	v_fma_f64 v[64:65], -v[2:3], v[56:57], v[58:59]
	;; [unrolled: 1-line block ×3, first 2 shown]
	v_mov_b32_e32 v38, s7
	s_add_i32 s7, s3, 0xfffffb58
	s_delay_alu instid0(SALU_CYCLE_1)
	v_dual_mov_b32 v39, s8 :: v_dual_mov_b32 v46, s7
	ds_load_b64 v[68:69], v38
	ds_load_2addr_b64 v[38:41], v39 offset1:1
	ds_load_2addr_b64 v[46:49], v46 offset1:1
	s_add_i32 s7, s3, 0xfffff920
	s_add_i32 s8, s3, 0xfffff878
	v_mov_b32_e32 v56, s7
	s_add_i32 s7, s3, 0xfffff7b8
	ds_load_2addr_b64 v[56:59], v56 offset1:1
	s_waitcnt lgkmcnt(3)
	v_fma_f64 v[68:69], -v[18:19], v[68:69], v[4:5]
	s_waitcnt lgkmcnt(2)
	v_fma_f64 v[32:33], -v[20:21], v[40:41], v[32:33]
	v_fma_f64 v[36:37], -v[2:3], v[36:37], v[42:43]
	;; [unrolled: 1-line block ×3, first 2 shown]
	s_waitcnt lgkmcnt(1)
	v_fma_f64 v[64:65], -v[6:7], v[48:49], v[50:51]
	v_mov_b32_e32 v40, s7
	s_add_i32 s7, s3, 0xfffff868
	s_delay_alu instid0(SALU_CYCLE_1)
	v_mov_b32_e32 v48, s7
	s_add_i32 s7, s3, 0xfffff700
	v_mul_f64 v[4:5], v[44:45], v[66:67]
	v_mov_b32_e32 v44, s8
	s_add_i32 s8, s3, 0xfffffb50
	ds_load_2addr_b64 v[40:43], v40 offset1:1
	ds_load_b64 v[44:45], v44
	ds_load_2addr_b64 v[48:51], v48 offset1:1
	s_waitcnt lgkmcnt(2)
	v_fma_f64 v[66:67], -v[18:19], v[42:43], v[30:31]
	s_waitcnt lgkmcnt(1)
	v_fma_f64 v[68:69], -v[20:21], v[44:45], v[68:69]
	v_fma_f64 v[38:39], -v[2:3], v[38:39], v[32:33]
	;; [unrolled: 1-line block ×4, first 2 shown]
	v_mov_b32_e32 v30, s7
	s_add_i32 s7, s3, 0xfffffa90
	s_delay_alu instid0(SALU_CYCLE_1)
	v_dual_mov_b32 v31, s9 :: v_dual_mov_b32 v34, s7
	v_mov_b32_e32 v42, s8
	ds_load_b64 v[62:63], v30
	s_add_i32 s7, s3, 0xfffff9c8
	s_add_i32 s8, s3, 0xfffff638
	;; [unrolled: 1-line block ×3, first 2 shown]
	v_fma_f64 v[46:47], -v[4:5], v[46:47], v[64:65]
	ds_load_2addr_b64 v[30:33], v31 offset1:1
	ds_load_2addr_b64 v[34:37], v34 offset1:1
	ds_load_b64 v[64:65], v42
	v_mov_b32_e32 v42, s7
	s_add_i32 s7, s3, 0xfffff7a8
	ds_load_2addr_b64 v[42:45], v42 offset1:1
	s_waitcnt lgkmcnt(4)
	v_fma_f64 v[78:79], -v[18:19], v[62:63], v[10:11]
	v_fma_f64 v[40:41], -v[20:21], v[40:41], v[66:67]
	;; [unrolled: 1-line block ×4, first 2 shown]
	s_waitcnt lgkmcnt(3)
	v_fma_f64 v[32:33], -v[6:7], v[32:33], v[70:71]
	s_waitcnt lgkmcnt(2)
	v_fma_f64 v[82:83], -v[4:5], v[36:37], v[60:61]
	v_mov_b32_e32 v36, s8
	s_add_i32 s8, s3, 0xfffff6e0
	s_waitcnt lgkmcnt(1)
	v_mul_f64 v[10:11], v[64:65], v[46:47]
	v_dual_mov_b32 v46, s9 :: v_dual_mov_b32 v47, s7
	ds_load_2addr_b64 v[36:39], v36 offset1:1
	ds_load_2addr_b64 v[58:61], v46 offset1:1
	;; [unrolled: 1-line block ×3, first 2 shown]
	s_add_i32 s7, s3, 0xfffff798
	s_add_i32 s9, s3, 0xfffff628
	v_mov_b32_e32 v46, s7
	s_add_i32 s7, s3, 0xfffff580
	v_mov_b32_e32 v74, s9
	;; [unrolled: 2-line block ×3, first 2 shown]
	s_add_i32 s8, s3, 0xfffffa88
	ds_load_2addr_b64 v[66:69], v46 offset1:1
	ds_load_2addr_b64 v[70:73], v47 offset1:1
	ds_load_2addr_b64 v[74:77], v74 offset1:1
	s_waitcnt lgkmcnt(5)
	v_fma_f64 v[84:85], -v[18:19], v[38:39], v[28:29]
	s_waitcnt lgkmcnt(4)
	v_fma_f64 v[60:61], -v[20:21], v[60:61], v[78:79]
	;; [unrolled: 2-line block ×3, first 2 shown]
	v_fma_f64 v[50:51], -v[0:1], v[48:49], v[50:51]
	v_fma_f64 v[56:57], -v[6:7], v[56:57], v[80:81]
	;; [unrolled: 1-line block ×3, first 2 shown]
	v_mov_b32_e32 v28, s7
	s_add_i32 s7, s3, 0xfffff910
	s_delay_alu instid0(SALU_CYCLE_1)
	v_dual_mov_b32 v29, s9 :: v_dual_mov_b32 v32, s7
	v_mov_b32_e32 v38, s8
	s_add_i32 s7, s3, 0xfffff900
	s_add_i32 s8, s3, 0xfffff848
	;; [unrolled: 1-line block ×3, first 2 shown]
	v_mov_b32_e32 v46, s8
	v_fma_f64 v[80:81], -v[10:11], v[34:35], v[82:83]
	ds_load_b64 v[82:83], v28
	ds_load_2addr_b64 v[28:31], v29 offset1:1
	ds_load_2addr_b64 v[32:35], v32 offset1:1
	ds_load_b64 v[86:87], v38
	v_mov_b32_e32 v38, s7
	s_add_i32 s7, s3, 0xfffff4b8
	s_add_i32 s8, s3, 0xfffff570
	ds_load_2addr_b64 v[38:41], v38 offset1:1
	ds_load_2addr_b64 v[46:49], v46 offset1:1
	s_waitcnt lgkmcnt(5)
	v_fma_f64 v[82:83], -v[18:19], v[82:83], v[8:9]
	v_fma_f64 v[84:85], -v[20:21], v[36:37], v[84:85]
	;; [unrolled: 1-line block ×4, first 2 shown]
	s_waitcnt lgkmcnt(4)
	v_fma_f64 v[30:31], -v[6:7], v[30:31], v[50:51]
	s_waitcnt lgkmcnt(3)
	v_fma_f64 v[50:51], -v[4:5], v[34:35], v[56:57]
	v_fma_f64 v[44:45], -v[10:11], v[44:45], v[78:79]
	v_mov_b32_e32 v34, s7
	v_mov_b32_e32 v56, s8
	ds_load_2addr_b64 v[34:37], v34 offset1:1
	ds_load_2addr_b64 v[56:59], v56 offset1:1
	s_add_i32 s7, s3, 0xfffff560
	s_add_i32 s8, s3, 0xfffff778
	v_mov_b32_e32 v60, s7
	s_waitcnt lgkmcnt(4)
	v_mul_f64 v[8:9], v[86:87], v[80:81]
	s_add_i32 s7, s3, 0xfffff400
	ds_load_2addr_b64 v[60:63], v60 offset1:1
	s_waitcnt lgkmcnt(2)
	v_fma_f64 v[26:27], -v[18:19], v[36:37], v[26:27]
	s_waitcnt lgkmcnt(1)
	v_fma_f64 v[36:37], -v[20:21], v[58:59], v[82:83]
	v_fma_f64 v[58:59], -v[2:3], v[76:77], v[84:85]
	;; [unrolled: 1-line block ×6, first 2 shown]
	v_mov_b32_e32 v76, s18
	s_add_i32 s18, s3, 0xfffff3c0
	v_fma_f64 v[32:33], -v[8:9], v[42:43], v[44:45]
	v_mov_b32_e32 v42, s7
	s_add_i32 s7, s3, 0xfffff9c0
	s_delay_alu instid0(SALU_CYCLE_1)
	v_mov_b32_e32 v44, s7
	s_add_i32 s7, s3, 0xfffff788
	ds_load_b64 v[42:43], v42
	ds_load_b64 v[44:45], v44
	v_fma_f64 v[90:91], -v[20:21], v[34:35], v[26:27]
	v_mov_b32_e32 v26, s20
	v_mov_b32_e32 v34, s17
	s_add_i32 s17, s3, 0xfffff3d0
	s_add_i32 s20, s3, 0xfffff308
	v_fma_f64 v[92:93], -v[2:3], v[56:57], v[36:37]
	v_fma_f64 v[94:95], -v[0:1], v[74:75], v[58:59]
	;; [unrolled: 1-line block ×4, first 2 shown]
	s_waitcnt lgkmcnt(1)
	v_fma_f64 v[88:89], -v[18:19], v[42:43], v[14:15]
	v_fma_f64 v[100:101], -v[10:11], v[48:49], v[28:29]
	;; [unrolled: 1-line block ×3, first 2 shown]
	v_mov_b32_e32 v40, s14
	v_mov_b32_e32 v30, s19
	;; [unrolled: 1-line block ×3, first 2 shown]
	s_add_i32 s19, s3, 0xfffff318
	s_add_i32 s14, s3, 0xfffff488
	;; [unrolled: 1-line block ×3, first 2 shown]
	s_waitcnt lgkmcnt(0)
	v_mul_f64 v[14:15], v[44:45], v[32:33]
	v_dual_mov_b32 v45, s9 :: v_dual_mov_b32 v44, s7
	ds_load_2addr_b64 v[26:29], v26 offset1:1
	ds_load_2addr_b64 v[30:33], v30 offset1:1
	;; [unrolled: 1-line block ×6, first 2 shown]
	v_dual_mov_b32 v44, s8 :: v_dual_mov_b32 v45, s11
	s_add_i32 s7, s3, 0xfffff3e0
	s_add_i32 s9, s3, 0xfffff328
	v_mov_b32_e32 v80, s7
	v_mov_b32_e32 v84, s9
	ds_load_2addr_b64 v[64:67], v44 offset1:1
	ds_load_2addr_b64 v[68:71], v45 offset1:1
	;; [unrolled: 1-line block ×6, first 2 shown]
	s_add_i32 s7, s3, 0xfffff280
	s_add_i32 s8, s3, 0xfffff8f8
	;; [unrolled: 1-line block ×4, first 2 shown]
	s_waitcnt lgkmcnt(11)
	v_fma_f64 v[24:25], -v[18:19], v[28:29], v[24:25]
	v_fma_f64 v[44:45], -v[0:1], v[62:63], v[92:93]
	s_waitcnt lgkmcnt(8)
	v_fma_f64 v[42:43], -v[6:7], v[42:43], v[94:95]
	s_waitcnt lgkmcnt(7)
	;; [unrolled: 2-line block ×3, first 2 shown]
	v_fma_f64 v[58:59], -v[10:11], v[58:59], v[98:99]
	v_fma_f64 v[28:29], -v[20:21], v[32:33], v[88:89]
	;; [unrolled: 1-line block ×4, first 2 shown]
	v_mov_b32_e32 v36, s7
	s_add_i32 s7, s3, 0xfffff838
	v_mov_b32_e32 v90, s8
	s_add_i32 s8, s3, 0xfffff260
	ds_load_b64 v[88:89], v36
	v_mov_b32_e32 v36, s7
	s_add_i32 s7, s3, 0xfffff270
	v_fma_f64 v[62:63], -v[14:15], v[38:39], v[102:103]
	ds_load_2addr_b64 v[36:39], v36 offset1:1
	ds_load_b64 v[90:91], v90
	s_waitcnt lgkmcnt(2)
	v_fma_f64 v[88:89], -v[18:19], v[88:89], v[12:13]
	v_fma_f64 v[92:93], -v[20:21], v[26:27], v[24:25]
	;; [unrolled: 1-line block ×8, first 2 shown]
	s_waitcnt lgkmcnt(1)
	v_fma_f64 v[46:47], -v[14:15], v[38:39], v[46:47]
	v_mov_b32_e32 v24, s7
	s_add_i32 s7, s3, 0xfffff550
	v_mov_b32_e32 v42, s8
	v_mov_b32_e32 v28, s7
	s_add_i32 s7, s3, 0xfffff1b8
	ds_load_2addr_b64 v[24:27], v24 offset1:1
	v_mov_b32_e32 v32, s7
	ds_load_2addr_b64 v[28:31], v28 offset1:1
	ds_load_2addr_b64 v[32:35], v32 offset1:1
	s_waitcnt lgkmcnt(3)
	v_mul_f64 v[12:13], v[90:91], v[62:63]
	s_add_i32 s7, s3, 0xfffff540
	s_add_i32 s8, s3, 0xfffff6a0
	v_mov_b32_e32 v38, s7
	s_add_i32 s7, s3, 0xfffff830
	ds_load_2addr_b64 v[38:41], v38 offset1:1
	ds_load_2addr_b64 v[42:45], v42 offset1:1
	s_waitcnt lgkmcnt(4)
	v_fma_f64 v[26:27], -v[20:21], v[26:27], v[88:89]
	v_fma_f64 v[56:57], -v[2:3], v[86:87], v[92:93]
	s_waitcnt lgkmcnt(3)
	v_fma_f64 v[30:31], -v[4:5], v[30:31], v[60:61]
	v_fma_f64 v[60:61], -v[10:11], v[74:75], v[98:99]
	;; [unrolled: 1-line block ×6, first 2 shown]
	s_waitcnt lgkmcnt(2)
	v_fma_f64 v[22:23], -v[18:19], v[34:35], v[22:23]
	v_mov_b32_e32 v34, s7
	s_add_i32 s7, s3, 0xfffff768
	s_delay_alu instid0(SALU_CYCLE_1)
	v_mov_b32_e32 v35, s7
	s_add_i32 s7, s3, 0xfffff6b0
	v_fma_f64 v[46:47], -v[12:13], v[36:37], v[46:47]
	ds_load_b64 v[66:67], v34
	ds_load_2addr_b64 v[34:37], v35 offset1:1
	v_fma_f64 v[92:93], -v[2:3], v[24:25], v[26:27]
	v_mov_b32_e32 v26, s19
	v_fma_f64 v[94:95], -v[0:1], v[84:85], v[56:57]
	v_fma_f64 v[100:101], -v[10:11], v[28:29], v[30:31]
	;; [unrolled: 1-line block ×8, first 2 shown]
	v_mov_b32_e32 v56, s9
	v_mov_b32_e32 v64, s21
	v_mov_b32_e32 v60, s7
	v_mov_b32_e32 v30, s17
	s_add_i32 s7, s3, 0xfffff198
	v_mov_b32_e32 v68, s8
	v_mov_b32_e32 v88, s7
	s_add_i32 s7, s3, 0xfffff250
	v_mov_b32_e32 v72, s11
	v_mov_b32_e32 v76, s15
	;; [unrolled: 1-line block ×3, first 2 shown]
	s_waitcnt lgkmcnt(1)
	v_mul_f64 v[24:25], v[66:67], v[46:47]
	v_mov_b32_e32 v46, s14
	ds_load_2addr_b64 v[26:29], v26 offset1:1
	ds_load_2addr_b64 v[30:33], v30 offset1:1
	;; [unrolled: 1-line block ×6, first 2 shown]
	v_mov_b32_e32 v84, s20
	ds_load_2addr_b64 v[68:71], v68 offset1:1
	ds_load_2addr_b64 v[72:75], v72 offset1:1
	ds_load_2addr_b64 v[76:79], v76 offset1:1
	ds_load_2addr_b64 v[80:83], v80 offset1:1
	ds_load_2addr_b64 v[84:87], v84 offset1:1
	ds_load_2addr_b64 v[88:91], v88 offset1:1
	s_add_i32 s8, s3, 0xfffff240
	s_add_i32 s11, s3, 0xfffff2f8
	;; [unrolled: 1-line block ×4, first 2 shown]
	v_fma_f64 v[44:45], -v[0:1], v[44:45], v[92:93]
	v_fma_f64 v[40:41], -v[8:9], v[40:41], v[100:101]
	s_waitcnt lgkmcnt(11)
	v_fma_f64 v[28:29], -v[6:7], v[28:29], v[94:95]
	s_waitcnt lgkmcnt(10)
	;; [unrolled: 2-line block ×5, first 2 shown]
	v_fma_f64 v[62:63], -v[12:13], v[62:63], v[104:105]
	v_fma_f64 v[36:37], -v[24:25], v[36:37], v[50:51]
	s_waitcnt lgkmcnt(6)
	v_fma_f64 v[50:51], -v[2:3], v[66:67], v[22:23]
	v_fma_f64 v[42:43], -v[6:7], v[42:43], v[44:45]
	;; [unrolled: 1-line block ×3, first 2 shown]
	v_mov_b32_e32 v26, s7
	v_fma_f64 v[66:67], -v[10:11], v[30:31], v[32:33]
	v_fma_f64 v[46:47], -v[8:9], v[46:47], v[48:49]
	;; [unrolled: 1-line block ×5, first 2 shown]
	s_add_i32 s7, s3, 0xfffff530
	v_mov_b32_e32 v38, s8
	v_mov_b32_e32 v30, s7
	ds_load_2addr_b64 v[26:29], v26 offset1:1
	ds_load_2addr_b64 v[30:33], v30 offset1:1
	s_add_i32 s7, s3, 0xfffff520
	s_add_i32 s8, s3, 0xfffff468
	v_mul_f64 v[22:23], v[34:35], v[36:37]
	v_fma_f64 v[50:51], -v[0:1], v[64:65], v[50:51]
	v_mov_b32_e32 v34, s7
	s_add_i32 s7, s3, 0xfffff5d8
	v_mov_b32_e32 v60, s14
	ds_load_2addr_b64 v[34:37], v34 offset1:1
	ds_load_2addr_b64 v[38:41], v38 offset1:1
	s_waitcnt lgkmcnt(3)
	v_fma_f64 v[28:29], -v[4:5], v[28:29], v[42:43]
	v_fma_f64 v[42:43], -v[10:11], v[86:87], v[44:45]
	v_fma_f64 v[44:45], -v[8:9], v[82:83], v[66:67]
	v_fma_f64 v[46:47], -v[14:15], v[78:79], v[46:47]
	s_waitcnt lgkmcnt(2)
	v_fma_f64 v[32:33], -v[12:13], v[32:33], v[48:49]
	v_fma_f64 v[48:49], -v[24:25], v[74:75], v[56:57]
	v_fma_f64 v[56:57], -v[22:23], v[70:71], v[58:59]
	v_fma_f64 v[50:51], -v[6:7], v[90:91], v[50:51]
	v_fma_f64 v[26:27], -v[10:11], v[26:27], v[28:29]
	v_fma_f64 v[82:83], -v[8:9], v[84:85], v[42:43]
	v_mov_b32_e32 v42, s9
	v_fma_f64 v[80:81], -v[14:15], v[80:81], v[44:45]
	v_fma_f64 v[84:85], -v[12:13], v[76:77], v[46:47]
	;; [unrolled: 1-line block ×4, first 2 shown]
	v_mov_b32_e32 v30, s11
	v_mov_b32_e32 v46, s8
	s_add_i32 s8, s3, 0xfffff3a0
	s_add_i32 s9, s3, 0xfffff2e8
	;; [unrolled: 1-line block ×3, first 2 shown]
	v_mov_b32_e32 v72, s9
	v_mov_b32_e32 v76, s11
	s_add_i32 s9, s3, 0xfffff2d8
	s_add_i32 s11, s3, 0xfffff168
	v_mul_f64 v[28:29], v[68:69], v[56:57]
	v_fma_f64 v[50:51], -v[4:5], v[88:89], v[50:51]
	v_mov_b32_e32 v56, s7
	ds_load_2addr_b64 v[30:33], v30 offset1:1
	ds_load_2addr_b64 v[42:45], v42 offset1:1
	;; [unrolled: 1-line block ×5, first 2 shown]
	s_add_i32 s7, s3, 0xfffff458
	v_mov_b32_e32 v68, s8
	v_mov_b32_e32 v64, s7
	s_add_i32 s7, s3, 0xfffff230
	ds_load_2addr_b64 v[64:67], v64 offset1:1
	ds_load_2addr_b64 v[68:71], v68 offset1:1
	;; [unrolled: 1-line block ×4, first 2 shown]
	s_add_i32 s8, s3, 0xfffff390
	s_waitcnt lgkmcnt(9)
	v_fma_f64 v[26:27], -v[8:9], v[40:41], v[26:27]
	s_waitcnt lgkmcnt(8)
	v_fma_f64 v[32:33], -v[14:15], v[32:33], v[82:83]
	;; [unrolled: 2-line block ×4, first 2 shown]
	v_fma_f64 v[36:37], -v[22:23], v[36:37], v[86:87]
	s_waitcnt lgkmcnt(5)
	v_fma_f64 v[48:49], -v[28:29], v[58:59], v[90:91]
	s_waitcnt lgkmcnt(4)
	v_fma_f64 v[50:51], -v[10:11], v[62:63], v[50:51]
	v_fma_f64 v[58:59], -v[14:15], v[38:39], v[26:27]
	;; [unrolled: 1-line block ×3, first 2 shown]
	v_mov_b32_e32 v30, s7
	v_fma_f64 v[42:43], -v[24:25], v[42:43], v[40:41]
	v_fma_f64 v[44:45], -v[22:23], v[46:47], v[44:45]
	;; [unrolled: 1-line block ×3, first 2 shown]
	s_add_i32 s7, s3, 0xfffff510
	s_delay_alu instid0(SALU_CYCLE_1) | instskip(SKIP_3) | instid1(SALU_CYCLE_1)
	v_mov_b32_e32 v34, s7
	ds_load_2addr_b64 v[30:33], v30 offset1:1
	ds_load_2addr_b64 v[34:37], v34 offset1:1
	s_add_i32 s7, s3, 0xfffff220
	v_mov_b32_e32 v38, s7
	s_add_i32 s7, s3, 0xfffff448
	v_mul_f64 v[26:27], v[56:57], v[48:49]
	v_fma_f64 v[48:49], -v[8:9], v[60:61], v[50:51]
	v_mov_b32_e32 v56, s11
	ds_load_2addr_b64 v[38:41], v38 offset1:1
	s_waitcnt lgkmcnt(2)
	v_fma_f64 v[32:33], -v[12:13], v[32:33], v[58:59]
	v_fma_f64 v[50:51], -v[24:25], v[74:75], v[62:63]
	;; [unrolled: 1-line block ×4, first 2 shown]
	s_waitcnt lgkmcnt(1)
	v_fma_f64 v[36:37], -v[26:27], v[36:37], v[46:47]
	v_fma_f64 v[46:47], -v[14:15], v[78:79], v[48:49]
	;; [unrolled: 1-line block ×6, first 2 shown]
	v_mov_b32_e32 v42, s8
	s_add_i32 s8, s3, 0xfffff2c8
	s_delay_alu instid0(SALU_CYCLE_1)
	v_mov_b32_e32 v64, s8
	s_add_i32 s8, s3, 0xfffff148
	v_mul_f64 v[32:33], v[34:35], v[36:37]
	v_fma_f64 v[76:77], -v[12:13], v[76:77], v[46:47]
	v_mov_b32_e32 v34, s9
	v_mov_b32_e32 v46, s7
	ds_load_2addr_b64 v[34:37], v34 offset1:1
	ds_load_2addr_b64 v[42:45], v42 offset1:1
	;; [unrolled: 1-line block ×4, first 2 shown]
	s_add_i32 s7, s3, 0xfffff380
	s_add_i32 s9, s3, 0xfffff158
	v_mov_b32_e32 v60, s7
	s_add_i32 s7, s3, 0xfffff210
	v_mov_b32_e32 v68, s9
	ds_load_2addr_b64 v[60:63], v60 offset1:1
	ds_load_2addr_b64 v[64:67], v64 offset1:1
	;; [unrolled: 1-line block ×3, first 2 shown]
	s_waitcnt lgkmcnt(7)
	v_fma_f64 v[30:31], -v[22:23], v[40:41], v[30:31]
	s_waitcnt lgkmcnt(6)
	v_fma_f64 v[36:37], -v[28:29], v[36:37], v[50:51]
	;; [unrolled: 2-line block ×5, first 2 shown]
	v_fma_f64 v[50:51], -v[28:29], v[38:39], v[30:31]
	v_fma_f64 v[58:59], -v[26:27], v[34:35], v[36:37]
	;; [unrolled: 1-line block ×3, first 2 shown]
	v_mov_b32_e32 v34, s7
	s_add_i32 s7, s3, 0xfffff200
	s_delay_alu instid0(SALU_CYCLE_1)
	v_mov_b32_e32 v38, s7
	s_add_i32 s7, s3, 0xfffff2b8
	ds_load_2addr_b64 v[34:37], v34 offset1:1
	ds_load_2addr_b64 v[38:41], v38 offset1:1
	v_mul_f64 v[30:31], v[46:47], v[44:45]
	v_fma_f64 v[44:45], -v[22:23], v[56:57], v[48:49]
	s_waitcnt lgkmcnt(1)
	v_fma_f64 v[36:37], -v[26:27], v[36:37], v[50:51]
	v_fma_f64 v[46:47], -v[32:33], v[66:67], v[58:59]
	s_delay_alu instid0(VALU_DEP_4) | instskip(NEXT) | instid1(VALU_DEP_4)
	v_fma_f64 v[42:43], -v[30:31], v[62:63], v[42:43]
	v_fma_f64 v[44:45], -v[28:29], v[70:71], v[44:45]
	s_delay_alu instid0(VALU_DEP_4) | instskip(NEXT) | instid1(VALU_DEP_4)
	v_fma_f64 v[34:35], -v[32:33], v[34:35], v[36:37]
	v_fma_f64 v[50:51], -v[30:31], v[64:65], v[46:47]
	v_mov_b32_e32 v46, s8
	v_mul_f64 v[36:37], v[60:61], v[42:43]
	v_fma_f64 v[60:61], -v[26:27], v[68:69], v[44:45]
	v_mov_b32_e32 v42, s7
	ds_load_2addr_b64 v[42:45], v42 offset1:1
	ds_load_2addr_b64 v[46:49], v46 offset1:1
	s_add_i32 s7, s3, 0xfffff138
	s_delay_alu instid0(SALU_CYCLE_1)
	v_mov_b32_e32 v56, s7
	s_add_i32 s7, s3, 0xfffff1f0
	s_addk_i32 s3, 0xf128
	ds_load_2addr_b64 v[56:59], v56 offset1:1
	s_waitcnt lgkmcnt(3)
	v_fma_f64 v[34:35], -v[30:31], v[40:41], v[34:35]
	s_waitcnt lgkmcnt(2)
	v_fma_f64 v[40:41], -v[36:37], v[44:45], v[50:51]
	;; [unrolled: 2-line block ×3, first 2 shown]
	s_delay_alu instid0(VALU_DEP_3) | instskip(SKIP_2) | instid1(SALU_CYCLE_1)
	v_fma_f64 v[48:49], -v[36:37], v[38:39], v[34:35]
	v_mov_b32_e32 v38, s7
	s_ashr_i32 s7, s6, 31
	s_lshl_b64 s[8:9], s[6:7], 3
	s_sub_i32 s6, s6, 20
	s_delay_alu instid0(VALU_DEP_4) | instskip(SKIP_4) | instid1(VALU_DEP_2)
	v_mul_f64 v[34:35], v[42:43], v[40:41]
	ds_load_2addr_b64 v[38:41], v38 offset1:1
	v_fma_f64 v[42:43], -v[30:31], v[46:47], v[44:45]
	s_waitcnt lgkmcnt(0)
	v_fma_f64 v[40:41], -v[34:35], v[40:41], v[48:49]
	v_fma_f64 v[42:43], -v[36:37], v[58:59], v[42:43]
	s_delay_alu instid0(VALU_DEP_2) | instskip(NEXT) | instid1(VALU_DEP_2)
	v_mul_f64 v[40:41], v[38:39], v[40:41]
	v_fma_f64 v[38:39], -v[34:35], v[56:57], v[42:43]
	v_mov_b32_e32 v42, s3
	ds_load_2addr_b64 v[42:45], v42 offset1:1
	s_waitcnt lgkmcnt(0)
	v_fma_f64 v[38:39], -v[40:41], v[44:45], v[38:39]
	s_delay_alu instid0(VALU_DEP_1)
	v_mul_f64 v[38:39], v[42:43], v[38:39]
	v_add_co_u32 v42, vcc_lo, v52, s8
	v_add_co_ci_u32_e32 v43, vcc_lo, s9, v53, vcc_lo
	s_clause 0xa
	global_store_b64 v[42:43], v[20:21], off offset:-8
	global_store_b128 v[42:43], v[0:3], off offset:-24
	global_store_b128 v[42:43], v[4:7], off offset:-40
	;; [unrolled: 1-line block ×8, first 2 shown]
	global_store_b64 v[16:17], v[18:19], off
	global_store_b128 v[42:43], v[38:41], off offset:-152
.LBB95_20:
	s_cmp_lt_i32 s6, 0
	s_cbranch_scc1 .LBB95_33
; %bb.21:
	s_bitcmp1_b32 s6, 0
	s_mov_b32 s8, s6
	s_cselect_b32 s3, -1, 0
	s_delay_alu instid0(SALU_CYCLE_1)
	s_and_b32 vcc_lo, exec_lo, s3
	s_cbranch_vccnz .LBB95_26
; %bb.22:
	s_mov_b32 s7, 0
	s_delay_alu instid0(SALU_CYCLE_1)
	s_lshl_b64 s[8:9], s[6:7], 3
	s_cmp_le_i32 s16, s6
	v_add_co_u32 v0, vcc_lo, v52, s8
	v_add_co_ci_u32_e32 v1, vcc_lo, s9, v53, vcc_lo
	global_load_b64 v[2:3], v[0:1], off
	s_waitcnt vmcnt(0)
	v_mul_f64 v[2:3], v[2:3], s[4:5]
	s_cbranch_scc1 .LBB95_25
; %bb.23:
	s_mul_i32 s3, s6, 0xc0
	s_lshl_b32 s7, s2, 3
	s_ashr_i32 s17, s16, 31
	s_add_i32 s3, s3, s7
	s_lshl_b64 s[8:9], s[16:17], 3
	s_add_i32 s3, s3, -8
	s_add_u32 s7, s12, s8
	s_addc_u32 s8, s13, s9
	s_add_u32 s7, s7, s0
	s_addc_u32 s8, s8, s1
	v_add_co_u32 v4, vcc_lo, s7, v54
	v_add_co_ci_u32_e32 v5, vcc_lo, s8, v55, vcc_lo
	s_mov_b32 s7, s16
.LBB95_24:                              ; =>This Inner Loop Header: Depth=1
	global_load_b64 v[6:7], v[4:5], off
	v_mov_b32_e32 v8, s3
	v_add_co_u32 v4, vcc_lo, v4, -8
	v_add_co_ci_u32_e32 v5, vcc_lo, -1, v5, vcc_lo
	ds_load_b64 v[8:9], v8
	s_add_i32 s7, s7, -1
	s_add_i32 s3, s3, -8
	s_cmp_gt_i32 s7, s6
	s_waitcnt vmcnt(0) lgkmcnt(0)
	v_fma_f64 v[2:3], -v[6:7], v[8:9], v[2:3]
	s_cbranch_scc1 .LBB95_24
.LBB95_25:
	s_mul_i32 s3, s6, 0xc8
	s_add_i32 s8, s6, -1
	v_mov_b32_e32 v4, s3
	ds_load_b64 v[4:5], v4
	s_waitcnt lgkmcnt(0)
	v_mul_f64 v[2:3], v[4:5], v[2:3]
	global_store_b64 v[0:1], v[2:3], off
.LBB95_26:
	s_cmp_eq_u32 s6, 0
	s_mov_b32 s9, 0
	s_cbranch_scc1 .LBB95_33
; %bb.27:
	s_mul_i32 s3, s8, 0xc0
	s_lshl_b32 s6, s2, 3
	s_ashr_i32 s17, s16, 31
	s_add_i32 s11, s3, s6
	s_lshl_b64 s[6:7], s[16:17], 3
	s_add_i32 s3, s11, -8
	s_add_u32 s6, s12, s6
	s_addc_u32 s7, s13, s7
	s_add_u32 s6, s6, s0
	s_addc_u32 s7, s7, s1
	v_add_co_u32 v0, vcc_lo, s6, v54
	v_add_co_ci_u32_e32 v1, vcc_lo, s7, v55, vcc_lo
	s_add_i32 s6, s11, 0xffffff38
	s_branch .LBB95_29
.LBB95_28:                              ;   in Loop: Header=BB95_29 Depth=1
	s_addk_i32 s7, 0xff38
	s_addk_i32 s3, 0xfe80
	v_mov_b32_e32 v6, s7
	s_add_i32 s7, s8, -2
	s_addk_i32 s6, 0xfe80
	s_cmp_lt_i32 s8, 2
	s_mov_b32 s8, s7
	ds_load_b64 v[6:7], v6
	s_waitcnt lgkmcnt(0)
	v_mul_f64 v[4:5], v[6:7], v[4:5]
	global_store_b64 v[2:3], v[4:5], off offset:-8
	s_cbranch_scc1 .LBB95_33
.LBB95_29:                              ; =>This Loop Header: Depth=1
                                        ;     Child Loop BB95_30 Depth 2
                                        ;     Child Loop BB95_32 Depth 2
	s_lshl_b64 s[14:15], s[8:9], 3
	s_delay_alu instid0(VALU_DEP_1)
	v_dual_mov_b32 v5, v1 :: v_dual_mov_b32 v4, v0
	v_add_co_u32 v2, vcc_lo, v52, s14
	v_add_co_ci_u32_e32 v3, vcc_lo, s15, v53, vcc_lo
	s_cmp_le_i32 s16, s8
	s_mov_b32 s7, s3
	s_mov_b32 s11, s16
	global_load_b64 v[2:3], v[2:3], off
	s_waitcnt vmcnt(0)
	v_mul_f64 v[2:3], v[2:3], s[4:5]
	s_cbranch_scc1 .LBB95_31
.LBB95_30:                              ;   Parent Loop BB95_29 Depth=1
                                        ; =>  This Inner Loop Header: Depth=2
	global_load_b64 v[6:7], v[4:5], off
	v_mov_b32_e32 v8, s7
	v_add_co_u32 v4, vcc_lo, v4, -8
	v_add_co_ci_u32_e32 v5, vcc_lo, -1, v5, vcc_lo
	ds_load_b64 v[8:9], v8
	s_add_i32 s11, s11, -1
	s_add_i32 s7, s7, -8
	s_cmp_gt_i32 s11, s8
	s_waitcnt vmcnt(0) lgkmcnt(0)
	v_fma_f64 v[2:3], -v[6:7], v[8:9], v[2:3]
	s_cbranch_scc1 .LBB95_30
.LBB95_31:                              ;   in Loop: Header=BB95_29 Depth=1
	s_add_i32 s14, s8, -1
	s_mov_b32 s15, s9
	s_mul_i32 s7, s8, 0xc8
	s_lshl_b64 s[14:15], s[14:15], 3
	v_mov_b32_e32 v6, s7
	v_add_co_u32 v4, vcc_lo, v52, s14
	v_add_co_ci_u32_e32 v5, vcc_lo, s15, v53, vcc_lo
	ds_load_b64 v[6:7], v6
	s_ashr_i32 s15, s8, 31
	s_mov_b32 s14, s8
	global_load_b64 v[4:5], v[4:5], off
	s_lshl_b64 s[14:15], s[14:15], 3
	s_cmp_lt_i32 s16, s8
	s_mov_b32 s11, s6
	s_waitcnt lgkmcnt(0)
	v_mul_f64 v[8:9], v[6:7], v[2:3]
	v_add_co_u32 v2, vcc_lo, v52, s14
	v_add_co_ci_u32_e32 v3, vcc_lo, s15, v53, vcc_lo
	v_dual_mov_b32 v7, v1 :: v_dual_mov_b32 v6, v0
	s_mov_b32 s14, s2
	global_store_b64 v[2:3], v[8:9], off
	s_waitcnt vmcnt(0)
	v_mul_f64 v[4:5], v[4:5], s[4:5]
	s_cbranch_scc1 .LBB95_28
.LBB95_32:                              ;   Parent Loop BB95_29 Depth=1
                                        ; =>  This Inner Loop Header: Depth=2
	global_load_b64 v[8:9], v[6:7], off
	v_mov_b32_e32 v10, s11
	v_add_co_u32 v6, vcc_lo, v6, -8
	v_add_co_ci_u32_e32 v7, vcc_lo, -1, v7, vcc_lo
	ds_load_b64 v[10:11], v10
	s_add_i32 s14, s14, -1
	s_add_i32 s11, s11, -8
	s_cmp_gt_i32 s14, s8
	s_waitcnt vmcnt(0) lgkmcnt(0)
	v_fma_f64 v[4:5], -v[8:9], v[10:11], v[4:5]
	s_cbranch_scc1 .LBB95_32
	s_branch .LBB95_28
.LBB95_33:
	s_mov_b32 s3, 0
.LBB95_34:
	s_delay_alu instid0(SALU_CYCLE_1)
	s_and_b32 vcc_lo, exec_lo, s3
	s_cbranch_vccz .LBB95_54
; %bb.35:
	s_cmp_gt_i32 s10, 23
	s_mov_b32 s6, 0
	s_cselect_b32 s3, -1, 0
	s_delay_alu instid0(SALU_CYCLE_1)
	s_and_b32 vcc_lo, exec_lo, s3
	s_cbranch_vccz .LBB95_37
; %bb.36:
	s_clause 0x3
	global_load_b128 v[0:3], v[52:53], off
	global_load_b128 v[26:29], v[52:53], off offset:16
	global_load_b128 v[8:11], v[52:53], off offset:32
	;; [unrolled: 1-line block ×3, first 2 shown]
	v_dual_mov_b32 v44, 0 :: v_dual_mov_b32 v51, 0x898
	s_mov_b32 s6, 24
	ds_load_b128 v[14:17], v44
	ds_load_b128 v[22:25], v44 offset:16
	s_waitcnt vmcnt(3)
	v_mul_f64 v[0:1], v[0:1], s[4:5]
	s_waitcnt lgkmcnt(1)
	s_delay_alu instid0(VALU_DEP_1)
	v_mul_f64 v[0:1], v[14:15], v[0:1]
	global_load_b128 v[12:15], v[52:53], off offset:64
	v_mul_f64 v[16:17], v[0:1], v[16:17]
	s_waitcnt lgkmcnt(0)
	v_mul_f64 v[30:31], v[0:1], v[22:23]
	v_mul_f64 v[38:39], v[0:1], v[24:25]
	s_delay_alu instid0(VALU_DEP_3)
	v_fma_f64 v[2:3], v[2:3], s[4:5], -v[16:17]
	global_load_b128 v[16:19], v[52:53], off offset:80
	ds_load_2addr_b64 v[34:37], v44 offset0:25 offset1:26
	ds_load_2addr_b64 v[20:23], v44 offset0:27 offset1:28
	s_waitcnt vmcnt(4)
	v_fma_f64 v[30:31], v[26:27], s[4:5], -v[30:31]
	v_fma_f64 v[40:41], v[28:29], s[4:5], -v[38:39]
	s_waitcnt lgkmcnt(1)
	v_mul_f64 v[2:3], v[34:35], v[2:3]
	ds_load_b128 v[24:27], v44 offset:32
	ds_load_b128 v[32:35], v44 offset:48
	s_waitcnt lgkmcnt(1)
	v_mul_f64 v[42:43], v[0:1], v[24:25]
	v_mul_f64 v[26:27], v[0:1], v[26:27]
	s_waitcnt lgkmcnt(0)
	v_mul_f64 v[32:33], v[0:1], v[32:33]
	v_mul_f64 v[72:73], v[0:1], v[34:35]
	v_fma_f64 v[24:25], -v[2:3], v[36:37], v[30:31]
	global_load_b128 v[28:31], v[52:53], off offset:96
	ds_load_b128 v[36:39], v44 offset:400
	ds_load_2addr_b64 v[45:48], v44 offset0:45 offset1:46
	v_fma_f64 v[20:21], -v[2:3], v[20:21], v[40:41]
	s_waitcnt vmcnt(4)
	v_fma_f64 v[42:43], v[8:9], s[4:5], -v[42:43]
	v_fma_f64 v[10:11], v[10:11], s[4:5], -v[26:27]
	s_waitcnt vmcnt(3)
	v_fma_f64 v[4:5], v[4:5], s[4:5], -v[32:33]
	s_waitcnt lgkmcnt(1)
	v_mul_f64 v[8:9], v[36:37], v[24:25]
	s_delay_alu instid0(VALU_DEP_4) | instskip(NEXT) | instid1(VALU_DEP_2)
	v_fma_f64 v[49:50], -v[2:3], v[22:23], v[42:43]
	v_fma_f64 v[68:69], -v[8:9], v[38:39], v[20:21]
	global_load_b128 v[20:23], v[52:53], off offset:112
	ds_load_2addr_b64 v[24:27], v44 offset0:29 offset1:30
	ds_load_b128 v[36:39], v44 offset:416
	ds_load_2addr_b64 v[40:43], v44 offset0:75 offset1:76
	ds_load_2addr_b64 v[56:59], v44 offset0:77 offset1:78
	ds_load_b128 v[60:63], v44 offset:432
	ds_load_2addr_b64 v[64:67], v44 offset0:31 offset1:32
	s_waitcnt lgkmcnt(5)
	v_fma_f64 v[24:25], -v[2:3], v[24:25], v[10:11]
	s_waitcnt lgkmcnt(4)
	v_fma_f64 v[36:37], -v[8:9], v[36:37], v[49:50]
	v_fma_f64 v[49:50], -v[2:3], v[26:27], v[4:5]
	s_waitcnt lgkmcnt(3)
	v_mul_f64 v[10:11], v[40:41], v[68:69]
	ds_load_b128 v[32:35], v44 offset:64
	ds_load_b128 v[68:71], v44 offset:80
	v_fma_f64 v[40:41], v[6:7], s[4:5], -v[72:73]
	v_fma_f64 v[72:73], -v[8:9], v[38:39], v[24:25]
	global_load_b128 v[24:27], v[52:53], off offset:128
	s_waitcnt lgkmcnt(1)
	v_mul_f64 v[32:33], v[0:1], v[32:33]
	v_mul_f64 v[34:35], v[0:1], v[34:35]
	s_waitcnt lgkmcnt(0)
	v_mul_f64 v[68:69], v[0:1], v[68:69]
	v_fma_f64 v[42:43], -v[10:11], v[42:43], v[36:37]
	ds_load_b128 v[4:7], v44 offset:800
	ds_load_b128 v[36:39], v44 offset:816
	s_waitcnt vmcnt(4)
	v_fma_f64 v[12:13], v[12:13], s[4:5], -v[32:33]
	v_fma_f64 v[32:33], -v[2:3], v[64:65], v[40:41]
	v_fma_f64 v[40:41], -v[8:9], v[60:61], v[49:50]
	;; [unrolled: 1-line block ×3, first 2 shown]
	v_fma_f64 v[84:85], v[14:15], s[4:5], -v[34:35]
	s_waitcnt lgkmcnt(1)
	v_mul_f64 v[4:5], v[4:5], v[42:43]
	v_fma_f64 v[86:87], -v[2:3], v[66:67], v[12:13]
	v_fma_f64 v[88:89], -v[8:9], v[62:63], v[32:33]
	;; [unrolled: 1-line block ×3, first 2 shown]
	global_load_b128 v[32:35], v[52:53], off offset:144
	ds_load_2addr_b64 v[12:15], v44 offset0:33 offset1:34
	ds_load_b128 v[40:43], v44 offset:448
	ds_load_2addr_b64 v[56:59], v44 offset0:79 offset1:80
	ds_load_2addr_b64 v[60:63], v44 offset0:125 offset1:126
	;; [unrolled: 1-line block ×4, first 2 shown]
	ds_load_b128 v[76:79], v44 offset:464
	ds_load_2addr_b64 v[80:83], v44 offset0:35 offset1:36
	s_waitcnt lgkmcnt(7)
	v_fma_f64 v[12:13], -v[2:3], v[12:13], v[84:85]
	v_fma_f64 v[6:7], -v[4:5], v[6:7], v[49:50]
	v_mul_f64 v[49:50], v[0:1], v[70:71]
	s_waitcnt vmcnt(4)
	v_fma_f64 v[16:17], v[16:17], s[4:5], -v[68:69]
	s_waitcnt lgkmcnt(6)
	v_fma_f64 v[40:41], -v[8:9], v[40:41], v[86:87]
	s_waitcnt lgkmcnt(5)
	v_fma_f64 v[56:57], -v[10:11], v[56:57], v[88:89]
	v_fma_f64 v[36:37], -v[4:5], v[36:37], v[90:91]
	ds_load_b128 v[68:71], v44 offset:96
	ds_load_b128 v[84:87], v44 offset:112
	v_fma_f64 v[88:89], -v[8:9], v[42:43], v[12:13]
	s_waitcnt lgkmcnt(6)
	v_mul_f64 v[6:7], v[60:61], v[6:7]
	v_fma_f64 v[49:50], v[18:19], s[4:5], -v[49:50]
	s_waitcnt lgkmcnt(1)
	v_mul_f64 v[60:61], v[0:1], v[68:69]
	v_mul_f64 v[70:71], v[0:1], v[70:71]
	s_waitcnt lgkmcnt(0)
	v_mul_f64 v[84:85], v[0:1], v[84:85]
	v_mul_f64 v[118:119], v[0:1], v[86:87]
	v_fma_f64 v[68:69], -v[2:3], v[14:15], v[16:17]
	v_fma_f64 v[90:91], -v[10:11], v[58:59], v[40:41]
	;; [unrolled: 1-line block ×4, first 2 shown]
	global_load_b128 v[36:39], v[52:53], off offset:160
	ds_load_b128 v[12:15], v44 offset:832
	ds_load_b128 v[16:19], v44 offset:1200
	;; [unrolled: 1-line block ×3, first 2 shown]
	ds_load_2addr_b64 v[56:59], v44 offset0:141 offset1:142
	v_fma_f64 v[49:50], -v[2:3], v[80:81], v[49:50]
	s_waitcnt vmcnt(4)
	v_fma_f64 v[28:29], v[28:29], s[4:5], -v[60:61]
	v_fma_f64 v[60:61], -v[8:9], v[76:77], v[68:69]
	v_fma_f64 v[68:69], -v[10:11], v[72:73], v[88:89]
	s_waitcnt lgkmcnt(3)
	v_fma_f64 v[72:73], -v[4:5], v[12:13], v[90:91]
	v_fma_f64 v[64:65], -v[6:7], v[64:65], v[92:93]
	v_fma_f64 v[108:109], v[30:31], s[4:5], -v[70:71]
	s_waitcnt lgkmcnt(2)
	v_mul_f64 v[12:13], v[16:17], v[62:63]
	v_fma_f64 v[49:50], -v[8:9], v[78:79], v[49:50]
	v_fma_f64 v[110:111], -v[2:3], v[82:83], v[28:29]
	;; [unrolled: 1-line block ×5, first 2 shown]
	global_load_b128 v[28:31], v[52:53], off offset:176
	v_fma_f64 v[18:19], -v[12:13], v[18:19], v[64:65]
	ds_load_2addr_b64 v[14:17], v44 offset0:37 offset1:38
	ds_load_b128 v[60:63], v44 offset:480
	ds_load_2addr_b64 v[64:67], v44 offset0:83 offset1:84
	ds_load_2addr_b64 v[68:71], v44 offset0:129 offset1:130
	ds_load_b128 v[72:75], v44 offset:1216
	ds_load_2addr_b64 v[76:79], v44 offset0:175 offset1:176
	;; [unrolled: 3-line block ×4, first 2 shown]
	s_waitcnt lgkmcnt(11)
	v_fma_f64 v[108:109], -v[2:3], v[14:15], v[108:109]
	s_waitcnt lgkmcnt(9)
	v_fma_f64 v[49:50], -v[10:11], v[64:65], v[49:50]
	s_waitcnt vmcnt(4)
	v_fma_f64 v[120:121], v[20:21], s[4:5], -v[84:85]
	v_fma_f64 v[60:61], -v[8:9], v[60:61], v[110:111]
	v_fma_f64 v[40:41], -v[4:5], v[40:41], v[112:113]
	s_waitcnt lgkmcnt(8)
	v_fma_f64 v[64:65], -v[6:7], v[68:69], v[114:115]
	s_waitcnt lgkmcnt(7)
	v_fma_f64 v[68:69], -v[12:13], v[72:73], v[116:117]
	v_fma_f64 v[22:23], v[22:23], s[4:5], -v[118:119]
	s_waitcnt lgkmcnt(6)
	v_mul_f64 v[14:15], v[76:77], v[18:19]
	ds_load_b128 v[18:21], v44 offset:128
	ds_load_b128 v[84:87], v44 offset:144
	v_fma_f64 v[108:109], -v[8:9], v[62:63], v[108:109]
	v_fma_f64 v[49:50], -v[4:5], v[42:43], v[49:50]
	;; [unrolled: 1-line block ×5, first 2 shown]
	s_waitcnt lgkmcnt(1)
	v_mul_f64 v[72:73], v[0:1], v[18:19]
	v_fma_f64 v[74:75], -v[12:13], v[74:75], v[64:65]
	ds_load_b128 v[16:19], v44 offset:864
	ds_load_b128 v[40:43], v44 offset:1600
	;; [unrolled: 1-line block ×4, first 2 shown]
	v_mul_f64 v[20:21], v[0:1], v[20:21]
	v_fma_f64 v[22:23], -v[2:3], v[104:105], v[22:23]
	s_waitcnt lgkmcnt(4)
	v_mul_f64 v[84:85], v[0:1], v[84:85]
	v_mul_f64 v[130:131], v[0:1], v[86:87]
	v_fma_f64 v[68:69], -v[14:15], v[78:79], v[68:69]
	v_fma_f64 v[49:50], -v[6:7], v[92:93], v[49:50]
	s_waitcnt lgkmcnt(3)
	v_fma_f64 v[78:79], -v[4:5], v[16:17], v[110:111]
	v_fma_f64 v[70:71], -v[12:13], v[88:89], v[70:71]
	s_waitcnt vmcnt(3)
	v_fma_f64 v[24:25], v[24:25], s[4:5], -v[72:73]
	v_fma_f64 v[72:73], -v[8:9], v[100:101], v[76:77]
	v_fma_f64 v[76:77], -v[10:11], v[96:97], v[108:109]
	;; [unrolled: 1-line block ×3, first 2 shown]
	v_fma_f64 v[26:27], v[26:27], s[4:5], -v[20:21]
	v_fma_f64 v[118:119], -v[8:9], v[102:103], v[22:23]
	s_waitcnt lgkmcnt(2)
	v_mul_f64 v[16:17], v[40:41], v[68:69]
	v_fma_f64 v[49:50], -v[12:13], v[90:91], v[49:50]
	v_fma_f64 v[124:125], -v[6:7], v[94:95], v[78:79]
	;; [unrolled: 1-line block ×7, first 2 shown]
	ds_load_2addr_b64 v[18:21], v44 offset0:41 offset1:42
	ds_load_b128 v[22:25], v44 offset:512
	ds_load_2addr_b64 v[40:43], v44 offset0:87 offset1:88
	ds_load_2addr_b64 v[68:71], v44 offset0:133 offset1:134
	ds_load_b128 v[72:75], v44 offset:1248
	ds_load_2addr_b64 v[76:79], v44 offset0:179 offset1:180
	ds_load_2addr_b64 v[80:83], v44 offset0:225 offset1:226
	;; [unrolled: 1-line block ×4, first 2 shown]
	ds_load_b128 v[96:99], v44 offset:1264
	ds_load_2addr_b64 v[100:103], v44 offset0:135 offset1:136
	ds_load_2addr_b64 v[104:107], v44 offset0:89 offset1:90
	ds_load_b128 v[108:111], v44 offset:528
	ds_load_2addr_b64 v[112:115], v44 offset0:43 offset1:44
	s_waitcnt vmcnt(2)
	v_fma_f64 v[32:33], v[32:33], s[4:5], -v[84:85]
	s_waitcnt lgkmcnt(13)
	v_fma_f64 v[26:27], -v[2:3], v[18:19], v[26:27]
	s_waitcnt lgkmcnt(11)
	v_fma_f64 v[40:41], -v[10:11], v[40:41], v[118:119]
	s_waitcnt lgkmcnt(8)
	v_fma_f64 v[49:50], -v[14:15], v[76:77], v[49:50]
	v_fma_f64 v[72:73], -v[12:13], v[72:73], v[124:125]
	v_fma_f64 v[60:61], -v[16:17], v[60:61], v[126:127]
	;; [unrolled: 1-line block ×5, first 2 shown]
	ds_load_b128 v[84:87], v44 offset:160
	ds_load_b128 v[116:119], v44 offset:176
	s_waitcnt lgkmcnt(9)
	v_mul_f64 v[18:19], v[80:81], v[128:129]
	v_fma_f64 v[80:81], v[34:35], s[4:5], -v[130:131]
	s_waitcnt lgkmcnt(1)
	v_mul_f64 v[76:77], v[0:1], v[84:85]
	v_fma_f64 v[84:85], -v[2:3], v[20:21], v[32:33]
	s_waitcnt lgkmcnt(0)
	v_mul_f64 v[116:117], v[0:1], v[116:117]
	v_fma_f64 v[120:121], -v[8:9], v[24:25], v[26:27]
	v_fma_f64 v[124:125], -v[4:5], v[66:67], v[40:41]
	;; [unrolled: 1-line block ×4, first 2 shown]
	v_mul_f64 v[78:79], v[0:1], v[86:87]
	v_fma_f64 v[122:123], -v[10:11], v[42:43], v[22:23]
	v_fma_f64 v[70:71], -v[6:7], v[70:71], v[64:65]
	;; [unrolled: 1-line block ×4, first 2 shown]
	ds_load_b128 v[20:23], v44 offset:896
	ds_load_b128 v[24:27], v44 offset:1632
	;; [unrolled: 1-line block ×5, first 2 shown]
	ds_load_2addr_b64 v[64:67], v44 offset0:237 offset1:238
	v_fma_f64 v[82:83], -v[10:11], v[104:105], v[120:121]
	v_fma_f64 v[86:87], -v[6:7], v[100:101], v[124:125]
	;; [unrolled: 1-line block ×3, first 2 shown]
	s_waitcnt vmcnt(1)
	v_fma_f64 v[36:37], v[36:37], s[4:5], -v[76:77]
	v_fma_f64 v[76:77], -v[2:3], v[112:113], v[80:81]
	v_fma_f64 v[80:81], -v[8:9], v[108:109], v[84:85]
	s_waitcnt lgkmcnt(5)
	v_fma_f64 v[84:85], -v[4:5], v[20:21], v[122:123]
	v_fma_f64 v[70:71], -v[12:13], v[96:97], v[70:71]
	;; [unrolled: 1-line block ×3, first 2 shown]
	s_waitcnt lgkmcnt(4)
	v_fma_f64 v[24:25], -v[16:17], v[24:25], v[72:73]
	v_fma_f64 v[124:125], v[38:39], s[4:5], -v[78:79]
	s_waitcnt lgkmcnt(3)
	v_mul_f64 v[20:21], v[32:33], v[74:75]
	v_fma_f64 v[132:133], -v[4:5], v[22:23], v[82:83]
	v_fma_f64 v[136:137], -v[12:13], v[98:99], v[86:87]
	v_fma_f64 v[126:127], -v[2:3], v[114:115], v[36:37]
	v_fma_f64 v[128:129], -v[8:9], v[110:111], v[76:77]
	v_fma_f64 v[130:131], -v[10:11], v[106:107], v[80:81]
	v_fma_f64 v[134:135], -v[6:7], v[102:103], v[84:85]
	v_fma_f64 v[138:139], -v[14:15], v[94:95], v[70:71]
	v_fma_f64 v[26:27], -v[16:17], v[26:27], v[68:69]
	v_fma_f64 v[140:141], -v[18:19], v[90:91], v[24:25]
	v_fma_f64 v[45:46], -v[2:3], v[45:46], v[124:125]
	s_waitcnt vmcnt(0)
	v_fma_f64 v[28:29], v[28:29], s[4:5], -v[116:117]
	v_fma_f64 v[49:50], -v[20:21], v[34:35], v[49:50]
	ds_load_b128 v[22:25], v44 offset:544
	ds_load_2addr_b64 v[32:35], v44 offset0:91 offset1:92
	ds_load_2addr_b64 v[36:39], v44 offset0:137 offset1:138
	ds_load_b128 v[68:71], v44 offset:1280
	ds_load_2addr_b64 v[72:75], v44 offset0:183 offset1:184
	ds_load_2addr_b64 v[76:79], v44 offset0:229 offset1:230
	ds_load_b128 v[80:83], v44 offset:2016
	ds_load_2addr_b64 v[84:87], v51 offset1:1
	ds_load_b128 v[88:91], v44 offset:2032
	ds_load_2addr_b64 v[92:95], v44 offset0:231 offset1:232
	ds_load_2addr_b64 v[96:99], v44 offset0:185 offset1:186
	ds_load_b128 v[100:103], v44 offset:1296
	ds_load_2addr_b64 v[104:107], v44 offset0:139 offset1:140
	ds_load_2addr_b64 v[108:111], v44 offset0:93 offset1:94
	ds_load_b128 v[112:115], v44 offset:560
	ds_load_b128 v[120:123], v44 offset:4400
	v_mov_b32_e32 v51, 0x8b8
	s_waitcnt lgkmcnt(13)
	v_fma_f64 v[36:37], -v[6:7], v[36:37], v[132:133]
	s_waitcnt lgkmcnt(11)
	v_fma_f64 v[72:73], -v[14:15], v[72:73], v[136:137]
	v_fma_f64 v[60:61], -v[4:5], v[60:61], v[130:131]
	;; [unrolled: 1-line block ×6, first 2 shown]
	s_waitcnt lgkmcnt(10)
	v_fma_f64 v[26:27], -v[18:19], v[76:77], v[26:27]
	s_waitcnt lgkmcnt(9)
	v_fma_f64 v[76:77], -v[20:21], v[80:81], v[140:141]
	v_fma_f64 v[80:81], -v[2:3], v[47:48], v[28:29]
	s_waitcnt lgkmcnt(8)
	v_mul_f64 v[22:23], v[84:85], v[49:50]
	v_mul_f64 v[49:50], v[0:1], v[118:119]
	v_fma_f64 v[84:85], -v[8:9], v[24:25], v[45:46]
	v_mov_b32_e32 v45, 0xa28
	v_fma_f64 v[126:127], -v[12:13], v[70:71], v[36:37]
	v_mov_b32_e32 v36, 0x8a8
	v_fma_f64 v[130:131], -v[16:17], v[42:43], v[72:73]
	v_fma_f64 v[124:125], -v[6:7], v[38:39], v[60:61]
	;; [unrolled: 1-line block ×7, first 2 shown]
	ds_load_b128 v[24:27], v44 offset:928
	s_waitcnt lgkmcnt(2)
	v_fma_f64 v[80:81], -v[8:9], v[112:113], v[80:81]
	v_fma_f64 v[76:77], -v[22:23], v[86:87], v[76:77]
	v_fma_f64 v[49:50], v[30:31], s[4:5], -v[49:50]
	ds_load_b128 v[28:31], v44 offset:1664
	ds_load_b128 v[32:35], v44 offset:2400
	ds_load_2addr_b64 v[36:39], v36 offset1:1
	ds_load_2addr_b64 v[40:43], v44 offset0:47 offset1:95
	v_fma_f64 v[84:85], -v[10:11], v[108:109], v[84:85]
	ds_load_2addr_b64 v[45:48], v45 offset1:1
	ds_load_b128 v[60:63], v44 offset:2416
	ds_load_b128 v[68:71], v44 offset:1680
	;; [unrolled: 1-line block ×3, first 2 shown]
	v_fma_f64 v[96:97], -v[14:15], v[96:97], v[126:127]
	v_fma_f64 v[92:93], -v[18:19], v[92:93], v[130:131]
	;; [unrolled: 1-line block ×3, first 2 shown]
	s_waitcnt lgkmcnt(8)
	v_fma_f64 v[86:87], -v[4:5], v[24:25], v[116:117]
	v_fma_f64 v[104:105], -v[6:7], v[104:105], v[118:119]
	s_waitcnt lgkmcnt(7)
	v_fma_f64 v[28:29], -v[16:17], v[28:29], v[128:129]
	v_fma_f64 v[78:79], -v[20:21], v[88:89], v[78:79]
	s_waitcnt lgkmcnt(5)
	v_fma_f64 v[36:37], -v[22:23], v[36:37], v[82:83]
	v_mul_f64 v[24:25], v[32:33], v[76:77]
	s_waitcnt lgkmcnt(4)
	v_fma_f64 v[32:33], -v[2:3], v[40:41], v[49:50]
	v_fma_f64 v[49:50], -v[10:11], v[110:111], v[80:81]
	;; [unrolled: 1-line block ×12, first 2 shown]
	ds_load_b128 v[26:29], v44 offset:1312
	ds_load_2addr_b64 v[30:33], v44 offset0:187 offset1:188
	ds_load_2addr_b64 v[34:37], v44 offset0:233 offset1:234
	ds_load_b128 v[38:41], v44 offset:2048
	ds_load_2addr_b64 v[76:79], v51 offset1:1
	s_waitcnt lgkmcnt(5)
	v_fma_f64 v[49:50], -v[4:5], v[72:73], v[49:50]
	v_fma_f64 v[56:57], -v[6:7], v[56:57], v[108:109]
	v_mov_b32_e32 v51, 0xa38
	ds_load_2addr_b64 v[80:83], v51 offset1:1
	ds_load_b128 v[84:87], v44 offset:2064
	ds_load_2addr_b64 v[88:91], v44 offset0:235 offset1:236
	ds_load_2addr_b64 v[92:95], v44 offset0:189 offset1:190
	ds_load_b128 v[96:99], v44 offset:1328
	v_mov_b32_e32 v51, 0xbb8
	v_fma_f64 v[68:69], -v[16:17], v[68:69], v[100:101]
	s_waitcnt lgkmcnt(9)
	v_fma_f64 v[72:73], -v[12:13], v[26:27], v[106:107]
	s_waitcnt lgkmcnt(8)
	;; [unrolled: 2-line block ×5, first 2 shown]
	v_fma_f64 v[76:77], -v[22:23], v[76:77], v[112:113]
	v_fma_f64 v[60:61], -v[24:25], v[60:61], v[116:117]
	v_mul_f64 v[26:27], v[45:46], v[118:119]
	v_fma_f64 v[42:43], -v[10:11], v[42:43], v[114:115]
	v_fma_f64 v[49:50], -v[6:7], v[58:59], v[49:50]
	;; [unrolled: 1-line block ×9, first 2 shown]
	v_mov_b32_e32 v32, 0x8c8
	v_fma_f64 v[108:109], -v[26:27], v[47:48], v[60:61]
	v_fma_f64 v[74:75], -v[4:5], v[74:75], v[42:43]
	ds_load_b128 v[28:31], v44 offset:1696
	ds_load_2addr_b64 v[32:35], v32 offset1:1
	ds_load_b128 v[36:39], v44 offset:2432
	ds_load_b128 v[40:43], v44 offset:2800
	ds_load_2addr_b64 v[45:48], v44 offset0:143 offset1:191
	ds_load_b128 v[56:59], v44 offset:2816
	ds_load_b128 v[60:63], v44 offset:2448
	;; [unrolled: 1-line block ×3, first 2 shown]
	s_waitcnt lgkmcnt(8)
	v_fma_f64 v[49:50], -v[12:13], v[96:97], v[49:50]
	v_fma_f64 v[92:93], -v[14:15], v[92:93], v[100:101]
	;; [unrolled: 1-line block ×3, first 2 shown]
	s_waitcnt lgkmcnt(7)
	v_fma_f64 v[72:73], -v[16:17], v[28:29], v[72:73]
	v_fma_f64 v[88:89], -v[18:19], v[88:89], v[102:103]
	s_waitcnt lgkmcnt(6)
	v_fma_f64 v[32:33], -v[22:23], v[32:33], v[106:107]
	s_waitcnt lgkmcnt(5)
	v_fma_f64 v[36:37], -v[24:25], v[36:37], v[78:79]
	v_fma_f64 v[76:77], -v[26:27], v[80:81], v[76:77]
	s_waitcnt lgkmcnt(4)
	v_mul_f64 v[28:29], v[40:41], v[108:109]
	s_waitcnt lgkmcnt(3)
	v_fma_f64 v[40:41], -v[6:7], v[45:46], v[74:75]
	v_fma_f64 v[45:46], -v[14:15], v[94:95], v[49:50]
	;; [unrolled: 1-line block ×8, first 2 shown]
	v_mov_b32_e32 v34, 0x8d8
	v_mov_b32_e32 v38, 0xa48
	v_fma_f64 v[42:43], -v[28:29], v[42:43], v[76:77]
	v_fma_f64 v[94:95], -v[12:13], v[98:99], v[40:41]
	ds_load_b128 v[30:33], v44 offset:2080
	ds_load_2addr_b64 v[34:37], v34 offset1:1
	ds_load_2addr_b64 v[38:41], v38 offset1:1
	;; [unrolled: 1-line block ×3, first 2 shown]
	s_waitcnt lgkmcnt(4)
	v_fma_f64 v[45:46], -v[16:17], v[68:69], v[45:46]
	v_fma_f64 v[49:50], -v[18:19], v[64:65], v[49:50]
	v_mov_b32_e32 v51, 0xbc8
	ds_load_2addr_b64 v[76:79], v51 offset1:1
	ds_load_b128 v[80:83], v44 offset:2096
	v_add_nc_u32_e64 v51, 0x400, 0
	v_fma_f64 v[60:61], -v[24:25], v[60:61], v[84:85]
	s_waitcnt lgkmcnt(5)
	v_fma_f64 v[64:65], -v[20:21], v[30:31], v[90:91]
	s_waitcnt lgkmcnt(4)
	;; [unrolled: 2-line block ×3, first 2 shown]
	v_fma_f64 v[38:39], -v[26:27], v[38:39], v[88:89]
	v_fma_f64 v[56:57], -v[28:29], v[56:57], v[92:93]
	s_waitcnt lgkmcnt(2)
	v_mul_f64 v[30:31], v[72:73], v[42:43]
	v_fma_f64 v[42:43], -v[14:15], v[47:48], v[94:95]
	v_mov_b32_e32 v72, 0xa68
	v_fma_f64 v[92:93], -v[18:19], v[66:67], v[45:46]
	v_fma_f64 v[49:50], -v[20:21], v[32:33], v[49:50]
	v_mov_b32_e32 v32, 0x8e8
	v_fma_f64 v[98:99], -v[26:27], v[40:41], v[60:61]
	v_fma_f64 v[94:95], -v[22:23], v[36:37], v[64:65]
	;; [unrolled: 1-line block ×4, first 2 shown]
	v_mov_b32_e32 v40, 0xa58
	v_fma_f64 v[102:103], -v[30:31], v[74:75], v[56:57]
	v_fma_f64 v[104:105], -v[16:17], v[70:71], v[42:43]
	ds_load_2addr_b64 v[32:35], v32 offset1:1
	ds_load_b128 v[36:39], v44 offset:2464
	ds_load_2addr_b64 v[40:43], v40 offset1:1
	ds_load_b128 v[45:48], v44 offset:2832
	ds_load_b128 v[56:59], v44 offset:3200
	ds_load_2addr_b64 v[60:63], v51 offset0:111 offset1:159
	s_waitcnt lgkmcnt(6)
	v_fma_f64 v[80:81], -v[20:21], v[80:81], v[92:93]
	v_mov_b32_e32 v51, 0xbd8
	ds_load_2addr_b64 v[64:67], v51 offset1:1
	ds_load_b128 v[68:71], v44 offset:2848
	ds_load_2addr_b64 v[72:75], v72 offset1:1
	ds_load_b128 v[84:87], v44 offset:2480
	ds_load_b128 v[88:91], v44 offset:2864
	v_add_nc_u32_e64 v51, 0x800, 0
	s_waitcnt lgkmcnt(10)
	v_fma_f64 v[49:50], -v[22:23], v[32:33], v[49:50]
	s_waitcnt lgkmcnt(7)
	v_fma_f64 v[45:46], -v[28:29], v[45:46], v[98:99]
	v_fma_f64 v[36:37], -v[24:25], v[36:37], v[94:95]
	;; [unrolled: 1-line block ×4, first 2 shown]
	s_waitcnt lgkmcnt(6)
	v_mul_f64 v[32:33], v[56:57], v[102:103]
	s_waitcnt lgkmcnt(5)
	v_fma_f64 v[56:57], -v[18:19], v[60:61], v[104:105]
	v_fma_f64 v[60:61], -v[22:23], v[34:35], v[80:81]
	;; [unrolled: 1-line block ×3, first 2 shown]
	v_mov_b32_e32 v38, 0xd48
	v_fma_f64 v[78:79], -v[30:31], v[78:79], v[45:46]
	v_fma_f64 v[42:43], -v[26:27], v[42:43], v[36:37]
	;; [unrolled: 1-line block ×3, first 2 shown]
	ds_load_b128 v[34:37], v44 offset:3216
	ds_load_2addr_b64 v[38:41], v38 offset1:1
	ds_load_b128 v[45:48], v44 offset:3232
	v_fma_f64 v[58:59], -v[32:33], v[58:59], v[76:77]
	v_fma_f64 v[56:57], -v[20:21], v[82:83], v[56:57]
	s_waitcnt lgkmcnt(4)
	v_fma_f64 v[60:61], -v[24:25], v[84:85], v[60:61]
	v_fma_f64 v[49:50], -v[26:27], v[72:73], v[49:50]
	;; [unrolled: 1-line block ×4, first 2 shown]
	s_waitcnt lgkmcnt(2)
	v_fma_f64 v[68:69], -v[32:33], v[34:35], v[78:79]
	s_waitcnt lgkmcnt(1)
	v_mul_f64 v[34:35], v[38:39], v[58:59]
	v_fma_f64 v[38:39], -v[22:23], v[62:63], v[56:57]
	v_fma_f64 v[76:77], -v[26:27], v[74:75], v[60:61]
	;; [unrolled: 1-line block ×5, first 2 shown]
	v_mov_b32_e32 v36, 0xbe8
	v_mov_b32_e32 v64, 0xed8
	v_fma_f64 v[82:83], -v[34:35], v[40:41], v[68:69]
	v_fma_f64 v[84:85], -v[24:25], v[86:87], v[38:39]
	v_mov_b32_e32 v40, 0xd58
	v_fma_f64 v[76:77], -v[28:29], v[88:89], v[76:77]
	ds_load_2addr_b64 v[36:39], v36 offset1:1
	ds_load_2addr_b64 v[40:43], v40 offset1:1
	ds_load_b128 v[56:59], v44 offset:3600
	ds_load_2addr_b64 v[60:63], v51 offset0:79 offset1:127
	v_mov_b32_e32 v68, 0xd68
	ds_load_2addr_b64 v[64:67], v64 offset1:1
	ds_load_2addr_b64 v[68:71], v68 offset1:1
	ds_load_b128 v[72:75], v44 offset:3248
	s_waitcnt lgkmcnt(7)
	v_fma_f64 v[45:46], -v[32:33], v[45:46], v[78:79]
	s_waitcnt lgkmcnt(6)
	v_fma_f64 v[49:50], -v[30:31], v[36:37], v[49:50]
	;; [unrolled: 2-line block ×3, first 2 shown]
	s_waitcnt lgkmcnt(4)
	v_mul_f64 v[36:37], v[56:57], v[82:83]
	s_waitcnt lgkmcnt(3)
	v_fma_f64 v[56:57], -v[26:27], v[60:61], v[84:85]
	v_fma_f64 v[60:61], -v[30:31], v[38:39], v[76:77]
	;; [unrolled: 1-line block ×6, first 2 shown]
	ds_load_b128 v[38:41], v44 offset:3616
	ds_load_b128 v[45:48], v44 offset:3632
	s_waitcnt lgkmcnt(2)
	v_fma_f64 v[60:61], -v[32:33], v[72:73], v[60:61]
	s_waitcnt lgkmcnt(1)
	v_fma_f64 v[42:43], -v[36:37], v[38:39], v[42:43]
	v_fma_f64 v[49:50], -v[34:35], v[68:69], v[49:50]
	v_mul_f64 v[38:39], v[64:65], v[58:59]
	v_fma_f64 v[56:57], -v[30:31], v[62:63], v[56:57]
	v_fma_f64 v[72:73], -v[34:35], v[70:71], v[60:61]
	s_delay_alu instid0(VALU_DEP_4)
	v_fma_f64 v[49:50], -v[36:37], v[40:41], v[49:50]
	v_mov_b32_e32 v40, 0xee8
	v_fma_f64 v[76:77], -v[38:39], v[66:67], v[42:43]
	v_fma_f64 v[74:75], -v[32:33], v[74:75], v[56:57]
	ds_load_2addr_b64 v[40:43], v40 offset1:1
	ds_load_b128 v[56:59], v44 offset:4000
	ds_load_2addr_b64 v[60:63], v51 offset0:175 offset1:223
	v_mov_b32_e32 v51, 0x1068
	ds_load_2addr_b64 v[64:67], v51 offset1:1
	ds_load_b128 v[68:71], v44 offset:4016
	s_waitcnt lgkmcnt(5)
	v_fma_f64 v[44:45], -v[36:37], v[45:46], v[72:73]
	s_waitcnt lgkmcnt(4)
	v_fma_f64 v[49:50], -v[38:39], v[40:41], v[49:50]
	s_waitcnt lgkmcnt(3)
	v_mul_f64 v[40:41], v[56:57], v[76:77]
	s_waitcnt lgkmcnt(2)
	v_fma_f64 v[56:57], -v[34:35], v[60:61], v[74:75]
	s_delay_alu instid0(VALU_DEP_4) | instskip(NEXT) | instid1(VALU_DEP_3)
	v_fma_f64 v[42:43], -v[38:39], v[42:43], v[44:45]
	v_fma_f64 v[44:45], -v[40:41], v[58:59], v[49:50]
	s_delay_alu instid0(VALU_DEP_3) | instskip(SKIP_1) | instid1(VALU_DEP_3)
	v_fma_f64 v[46:47], -v[36:37], v[47:48], v[56:57]
	s_waitcnt lgkmcnt(0)
	v_fma_f64 v[48:49], -v[40:41], v[68:69], v[42:43]
	s_delay_alu instid0(VALU_DEP_3) | instskip(NEXT) | instid1(VALU_DEP_3)
	v_mul_f64 v[42:43], v[64:65], v[44:45]
	v_fma_f64 v[44:45], -v[38:39], v[62:63], v[46:47]
	s_delay_alu instid0(VALU_DEP_2) | instskip(NEXT) | instid1(VALU_DEP_2)
	v_fma_f64 v[48:49], -v[42:43], v[66:67], v[48:49]
	v_fma_f64 v[50:51], -v[40:41], v[70:71], v[44:45]
	v_add_nc_u32_e64 v44, 0x1000, 0
	ds_load_2addr_b64 v[44:47], v44 offset0:15 offset1:63
	s_clause 0x9
	global_store_b128 v[52:53], v[0:3], off
	global_store_b128 v[52:53], v[8:11], off offset:16
	global_store_b128 v[52:53], v[4:7], off offset:32
	;; [unrolled: 1-line block ×9, first 2 shown]
	v_mul_f64 v[48:49], v[120:121], v[48:49]
	s_waitcnt lgkmcnt(0)
	v_fma_f64 v[44:45], -v[42:43], v[44:45], v[50:51]
	s_delay_alu instid0(VALU_DEP_1) | instskip(NEXT) | instid1(VALU_DEP_1)
	v_fma_f64 v[44:45], -v[48:49], v[122:123], v[44:45]
	v_mul_f64 v[50:51], v[46:47], v[44:45]
	s_clause 0x1
	global_store_b128 v[52:53], v[40:43], off offset:160
	global_store_b128 v[52:53], v[48:51], off offset:176
.LBB95_37:
	s_cmp_lt_i32 s6, s2
	s_cbranch_scc0 .LBB95_54
; %bb.38:
	s_add_i32 s7, s6, 19
	s_delay_alu instid0(SALU_CYCLE_1)
	s_cmp_ge_u32 s7, s2
	s_cbranch_scc1 .LBB95_43
; %bb.39:
	s_lshl_b32 s8, s6, 3
	s_delay_alu instid0(SALU_CYCLE_1)
	v_add_co_u32 v20, vcc_lo, v52, s8
	v_add_co_ci_u32_e32 v21, vcc_lo, 0, v53, vcc_lo
	s_and_not1_b32 vcc_lo, exec_lo, s3
	s_mov_b32 s3, 0
	s_clause 0x9
	global_load_b128 v[0:3], v[20:21], off
	global_load_b128 v[8:11], v[20:21], off offset:16
	global_load_b128 v[12:15], v[20:21], off offset:32
	;; [unrolled: 1-line block ×9, first 2 shown]
	s_waitcnt vmcnt(9)
	v_mul_f64 v[0:1], v[0:1], s[4:5]
	v_mul_f64 v[6:7], v[2:3], s[4:5]
	s_waitcnt vmcnt(8)
	v_mul_f64 v[2:3], v[8:9], s[4:5]
	v_mul_f64 v[4:5], v[10:11], s[4:5]
	;; [unrolled: 3-line block ×10, first 2 shown]
	s_cbranch_vccnz .LBB95_42
; %bb.40:
	v_dual_mov_b32 v8, v52 :: v_dual_mov_b32 v9, v53
.LBB95_41:                              ; =>This Inner Loop Header: Depth=1
	global_load_b64 v[18:19], v[8:9], off
	v_mov_b32_e32 v86, s8
	v_add_co_u32 v8, vcc_lo, v8, 8
	v_add_co_ci_u32_e32 v9, vcc_lo, 0, v9, vcc_lo
	ds_load_b128 v[10:13], v86
	ds_load_b128 v[14:17], v86 offset:16
	ds_load_b128 v[58:61], v86 offset:32
	;; [unrolled: 1-line block ×9, first 2 shown]
	s_add_i32 s3, s3, 1
	s_addk_i32 s8, 0xc0
	s_cmp_lt_u32 s3, s6
	s_waitcnt vmcnt(0) lgkmcnt(9)
	v_fma_f64 v[0:1], -v[18:19], v[10:11], v[0:1]
	v_fma_f64 v[6:7], -v[18:19], v[12:13], v[6:7]
	s_waitcnt lgkmcnt(8)
	v_fma_f64 v[2:3], -v[18:19], v[14:15], v[2:3]
	v_fma_f64 v[4:5], -v[18:19], v[16:17], v[4:5]
	s_waitcnt lgkmcnt(7)
	;; [unrolled: 3-line block ×9, first 2 shown]
	v_fma_f64 v[24:25], -v[18:19], v[86:87], v[24:25]
	v_fma_f64 v[22:23], -v[18:19], v[88:89], v[22:23]
	s_cbranch_scc1 .LBB95_41
.LBB95_42:
	s_mul_i32 s3, s6, 0xc8
	s_or_b32 s8, s6, 7
	v_mov_b32_e32 v62, s3
	s_mulk_i32 s8, 0xc8
	s_add_i32 s9, s3, 0x968
	s_add_i32 s6, s6, 20
	ds_load_b128 v[8:11], v62
	ds_load_b128 v[12:15], v62 offset:16
	s_waitcnt lgkmcnt(1)
	v_mul_f64 v[0:1], v[8:9], v[0:1]
	s_delay_alu instid0(VALU_DEP_1)
	v_fma_f64 v[6:7], -v[0:1], v[10:11], v[6:7]
	ds_load_2addr_b64 v[16:19], v62 offset0:25 offset1:26
	ds_load_2addr_b64 v[8:11], v62 offset0:27 offset1:28
	s_waitcnt lgkmcnt(2)
	v_fma_f64 v[12:13], -v[0:1], v[12:13], v[2:3]
	v_fma_f64 v[60:61], -v[0:1], v[14:15], v[4:5]
	s_waitcnt lgkmcnt(1)
	v_mul_f64 v[2:3], v[16:17], v[6:7]
	s_delay_alu instid0(VALU_DEP_1)
	v_fma_f64 v[58:59], -v[2:3], v[18:19], v[12:13]
	ds_load_b128 v[16:19], v62 offset:32
	ds_load_b128 v[12:15], v62 offset:400
	;; [unrolled: 1-line block ×3, first 2 shown]
	ds_load_2addr_b64 v[63:66], v62 offset0:41 offset1:42
	s_waitcnt lgkmcnt(3)
	v_fma_f64 v[16:17], -v[0:1], v[16:17], v[56:57]
	v_fma_f64 v[56:57], -v[2:3], v[8:9], v[60:61]
	;; [unrolled: 1-line block ×3, first 2 shown]
	s_waitcnt lgkmcnt(1)
	v_fma_f64 v[4:5], -v[0:1], v[4:5], v[48:49]
	v_mul_f64 v[8:9], v[12:13], v[58:59]
	v_fma_f64 v[50:51], -v[2:3], v[10:11], v[16:17]
	s_delay_alu instid0(VALU_DEP_2)
	v_fma_f64 v[60:61], -v[8:9], v[14:15], v[56:57]
	ds_load_2addr_b64 v[10:13], v62 offset0:29 offset1:30
	ds_load_b128 v[14:17], v62 offset:416
	ds_load_2addr_b64 v[56:59], v62 offset0:75 offset1:76
	ds_load_2addr_b64 v[67:70], v62 offset0:77 offset1:78
	ds_load_b128 v[71:74], v62 offset:432
	ds_load_2addr_b64 v[75:78], v62 offset0:31 offset1:32
	s_waitcnt lgkmcnt(5)
	v_fma_f64 v[18:19], -v[2:3], v[10:11], v[18:19]
	s_waitcnt lgkmcnt(4)
	v_fma_f64 v[14:15], -v[8:9], v[14:15], v[50:51]
	v_fma_f64 v[50:51], -v[0:1], v[6:7], v[46:47]
	s_waitcnt lgkmcnt(3)
	v_mul_f64 v[10:11], v[56:57], v[60:61]
	v_fma_f64 v[56:57], -v[2:3], v[12:13], v[4:5]
	v_fma_f64 v[60:61], -v[8:9], v[16:17], v[18:19]
	s_waitcnt lgkmcnt(0)
	s_delay_alu instid0(VALU_DEP_4) | instskip(NEXT) | instid1(VALU_DEP_4)
	v_fma_f64 v[50:51], -v[2:3], v[75:76], v[50:51]
	v_fma_f64 v[58:59], -v[10:11], v[58:59], v[14:15]
	ds_load_b128 v[4:7], v62 offset:64
	ds_load_b128 v[12:15], v62 offset:800
	;; [unrolled: 1-line block ×4, first 2 shown]
	v_fma_f64 v[56:57], -v[8:9], v[71:72], v[56:57]
	v_fma_f64 v[60:61], -v[10:11], v[67:68], v[60:61]
	s_waitcnt lgkmcnt(3)
	v_fma_f64 v[44:45], -v[0:1], v[4:5], v[44:45]
	v_fma_f64 v[6:7], -v[0:1], v[6:7], v[42:43]
	;; [unrolled: 1-line block ×3, first 2 shown]
	s_waitcnt lgkmcnt(0)
	v_fma_f64 v[46:47], -v[0:1], v[46:47], v[40:41]
	v_fma_f64 v[48:49], -v[0:1], v[48:49], v[38:39]
	v_mul_f64 v[4:5], v[12:13], v[58:59]
	v_fma_f64 v[85:86], -v[10:11], v[69:70], v[56:57]
	v_fma_f64 v[83:84], -v[2:3], v[77:78], v[44:45]
	s_delay_alu instid0(VALU_DEP_3)
	v_fma_f64 v[60:61], -v[4:5], v[14:15], v[60:61]
	ds_load_2addr_b64 v[12:15], v62 offset0:33 offset1:34
	ds_load_b128 v[42:45], v62 offset:448
	ds_load_2addr_b64 v[56:59], v62 offset0:79 offset1:80
	ds_load_2addr_b64 v[67:70], v62 offset0:125 offset1:150
	;; [unrolled: 1-line block ×3, first 2 shown]
	ds_load_b128 v[75:78], v62 offset:464
	ds_load_2addr_b64 v[79:82], v62 offset0:35 offset1:36
	v_fma_f64 v[16:17], -v[4:5], v[16:17], v[85:86]
	s_waitcnt lgkmcnt(6)
	v_fma_f64 v[12:13], -v[2:3], v[12:13], v[6:7]
	s_waitcnt lgkmcnt(4)
	v_fma_f64 v[50:51], -v[10:11], v[56:57], v[50:51]
	v_fma_f64 v[87:88], -v[8:9], v[42:43], v[83:84]
	ds_load_b128 v[40:43], v62 offset:1008
	ds_load_b128 v[83:86], v62 offset:1024
	v_fma_f64 v[56:57], -v[2:3], v[14:15], v[46:47]
	s_waitcnt lgkmcnt(2)
	v_fma_f64 v[79:80], -v[2:3], v[79:80], v[48:49]
	v_mul_f64 v[6:7], v[67:68], v[60:61]
	v_fma_f64 v[60:61], -v[8:9], v[44:45], v[12:13]
	v_fma_f64 v[50:51], -v[4:5], v[18:19], v[50:51]
	;; [unrolled: 1-line block ×5, first 2 shown]
	s_waitcnt lgkmcnt(1)
	v_fma_f64 v[67:68], -v[6:7], v[40:41], v[16:17]
	ds_load_b128 v[12:15], v62 offset:96
	ds_load_b128 v[16:19], v62 offset:832
	;; [unrolled: 1-line block ×4, first 2 shown]
	v_fma_f64 v[60:61], -v[10:11], v[71:72], v[60:61]
	v_fma_f64 v[42:43], -v[6:7], v[42:43], v[50:51]
	s_waitcnt lgkmcnt(3)
	v_fma_f64 v[36:37], -v[0:1], v[12:13], v[36:37]
	s_waitcnt lgkmcnt(2)
	v_fma_f64 v[16:17], -v[4:5], v[16:17], v[58:59]
	ds_load_2addr_b64 v[48:51], v62 offset0:151 offset1:152
	ds_load_b128 v[56:59], v62 offset:1104
	v_fma_f64 v[87:88], -v[0:1], v[14:15], v[34:35]
	v_fma_f64 v[93:94], -v[10:11], v[73:74], v[75:76]
	s_waitcnt lgkmcnt(2)
	v_fma_f64 v[95:96], -v[0:1], v[44:45], v[32:33]
	v_fma_f64 v[28:29], -v[0:1], v[46:47], v[28:29]
	v_mul_f64 v[12:13], v[69:70], v[67:68]
	v_fma_f64 v[18:19], -v[4:5], v[18:19], v[60:61]
	v_fma_f64 v[89:90], -v[2:3], v[81:82], v[36:37]
	;; [unrolled: 1-line block ×4, first 2 shown]
	s_waitcnt lgkmcnt(1)
	v_fma_f64 v[42:43], -v[12:13], v[48:49], v[42:43]
	v_mov_b32_e32 v48, s8
	ds_load_2addr_b64 v[14:17], v62 offset0:37 offset1:38
	ds_load_b128 v[34:37], v62 offset:480
	ds_load_2addr_b64 v[67:70], v62 offset0:83 offset1:84
	ds_load_b64 v[48:49], v48
	ds_load_2addr_b64 v[71:74], v62 offset0:85 offset1:86
	ds_load_b128 v[75:78], v62 offset:496
	ds_load_2addr_b64 v[79:82], v62 offset0:39 offset1:40
	s_add_i32 s8, s3, 0x7f8
	v_fma_f64 v[18:19], -v[6:7], v[85:86], v[18:19]
	s_waitcnt lgkmcnt(6)
	v_fma_f64 v[97:98], -v[2:3], v[14:15], v[87:88]
	s_waitcnt lgkmcnt(5)
	;; [unrolled: 2-line block ×3, first 2 shown]
	v_fma_f64 v[67:68], -v[10:11], v[67:68], v[91:92]
	v_fma_f64 v[60:61], -v[12:13], v[50:51], v[60:61]
	v_fma_f64 v[95:96], -v[2:3], v[16:17], v[95:96]
	s_waitcnt lgkmcnt(0)
	v_fma_f64 v[79:80], -v[2:3], v[79:80], v[28:29]
	v_mul_f64 v[14:15], v[48:49], v[42:43]
	ds_load_b128 v[32:35], v62 offset:1040
	ds_load_2addr_b64 v[42:45], v62 offset0:153 offset1:154
	ds_load_b128 v[48:51], v62 offset:1408
	ds_load_2addr_b64 v[83:86], v62 offset0:155 offset1:156
	;; [unrolled: 2-line block ×3, first 2 shown]
	s_waitcnt lgkmcnt(5)
	v_fma_f64 v[32:33], -v[6:7], v[32:33], v[38:39]
	v_fma_f64 v[97:98], -v[8:9], v[36:37], v[97:98]
	;; [unrolled: 1-line block ×4, first 2 shown]
	s_waitcnt lgkmcnt(4)
	v_fma_f64 v[103:104], -v[12:13], v[42:43], v[18:19]
	v_fma_f64 v[75:76], -v[8:9], v[75:76], v[95:96]
	s_waitcnt lgkmcnt(3)
	v_fma_f64 v[60:61], -v[14:15], v[48:49], v[60:61]
	ds_load_b128 v[16:19], v62 offset:128
	ds_load_b128 v[36:39], v62 offset:864
	ds_load_2addr_b64 v[40:43], v62 offset0:163 offset1:200
	ds_load_b128 v[46:49], v62 offset:880
	ds_load_b128 v[67:70], v62 offset:144
	s_waitcnt lgkmcnt(4)
	v_fma_f64 v[105:106], -v[0:1], v[16:17], v[30:31]
	v_fma_f64 v[71:72], -v[10:11], v[71:72], v[97:98]
	s_waitcnt lgkmcnt(3)
	v_fma_f64 v[36:37], -v[4:5], v[36:37], v[99:100]
	v_fma_f64 v[99:100], -v[6:7], v[34:35], v[101:102]
	;; [unrolled: 1-line block ×6, first 2 shown]
	s_waitcnt lgkmcnt(0)
	v_fma_f64 v[69:70], -v[0:1], v[69:70], v[22:23]
	v_mul_f64 v[16:17], v[42:43], v[60:61]
	ds_load_b128 v[28:31], v62 offset:1424
	ds_load_2addr_b64 v[32:35], v62 offset0:201 offset1:202
	ds_load_b128 v[42:45], v62 offset:1440
	ds_load_b128 v[95:98], v62 offset:1488
	v_fma_f64 v[60:61], -v[2:3], v[81:82], v[105:106]
	v_fma_f64 v[105:106], -v[10:11], v[73:74], v[75:76]
	;; [unrolled: 1-line block ×5, first 2 shown]
	s_waitcnt lgkmcnt(3)
	v_fma_f64 v[99:100], -v[14:15], v[28:29], v[101:102]
	ds_load_b128 v[26:29], v62 offset:512
	ds_load_2addr_b64 v[36:39], v62 offset0:87 offset1:88
	ds_load_2addr_b64 v[71:74], v62 offset0:211 offset1:225
	;; [unrolled: 1-line block ×3, first 2 shown]
	ds_load_b128 v[79:82], v62 offset:528
	v_fma_f64 v[63:64], -v[2:3], v[63:64], v[18:19]
	s_waitcnt lgkmcnt(7)
	v_fma_f64 v[32:33], -v[16:17], v[32:33], v[50:51]
	v_fma_f64 v[50:51], -v[0:1], v[67:68], v[24:25]
	s_waitcnt lgkmcnt(3)
	v_fma_f64 v[67:68], -v[10:11], v[36:37], v[103:104]
	v_fma_f64 v[60:61], -v[8:9], v[26:27], v[60:61]
	;; [unrolled: 1-line block ×7, first 2 shown]
	s_waitcnt lgkmcnt(2)
	v_mul_f64 v[18:19], v[73:74], v[32:33]
	ds_load_b128 v[24:27], v62 offset:1072
	ds_load_2addr_b64 v[30:33], v62 offset0:157 offset1:158
	ds_load_2addr_b64 v[34:37], v62 offset0:203 offset1:204
	ds_load_b128 v[83:86], v62 offset:1808
	ds_load_b128 v[87:90], v62 offset:1824
	ds_load_2addr_b64 v[99:102], v62 offset0:205 offset1:206
	ds_load_2addr_b64 v[103:106], v62 offset0:159 offset1:160
	ds_load_b128 v[107:110], v62 offset:1088
	v_fma_f64 v[50:51], -v[2:3], v[65:66], v[50:51]
	v_fma_f64 v[73:74], -v[8:9], v[28:29], v[63:64]
	v_add_nc_u32_e64 v28, 0x400, s3
	v_fma_f64 v[38:39], -v[10:11], v[38:39], v[60:61]
	v_fma_f64 v[60:61], -v[4:5], v[48:49], v[67:68]
	s_waitcnt lgkmcnt(7)
	v_fma_f64 v[67:68], -v[6:7], v[24:25], v[46:47]
	s_waitcnt lgkmcnt(6)
	v_fma_f64 v[111:112], -v[12:13], v[30:31], v[111:112]
	v_fma_f64 v[42:43], -v[14:15], v[42:43], v[113:114]
	s_waitcnt lgkmcnt(5)
	v_fma_f64 v[34:35], -v[16:17], v[34:35], v[115:116]
	ds_load_b128 v[22:25], v62 offset:896
	ds_load_2addr_b64 v[28:31], v28 offset0:122 offset1:131
	ds_load_2addr_b64 v[46:49], v62 offset0:43 offset1:91
	ds_load_b128 v[63:66], v62 offset:912
	s_waitcnt lgkmcnt(8)
	v_fma_f64 v[83:84], -v[18:19], v[83:84], v[117:118]
	v_fma_f64 v[50:51], -v[8:9], v[79:80], v[50:51]
	;; [unrolled: 1-line block ×3, first 2 shown]
	s_waitcnt lgkmcnt(1)
	v_fma_f64 v[46:47], -v[2:3], v[46:47], v[69:70]
	v_fma_f64 v[75:76], -v[4:5], v[22:23], v[38:39]
	;; [unrolled: 1-line block ×7, first 2 shown]
	v_mul_f64 v[22:23], v[28:29], v[83:84]
	ds_load_b128 v[26:29], v62 offset:1456
	ds_load_2addr_b64 v[32:35], v62 offset0:251 offset1:252
	ds_load_b128 v[36:39], v62 offset:1472
	ds_load_b128 v[42:45], v62 offset:1872
	v_fma_f64 v[50:51], -v[10:11], v[77:78], v[50:51]
	v_fma_f64 v[69:70], -v[4:5], v[24:25], v[73:74]
	;; [unrolled: 1-line block ×5, first 2 shown]
	s_waitcnt lgkmcnt(3)
	v_fma_f64 v[67:68], -v[14:15], v[26:27], v[67:68]
	v_fma_f64 v[75:76], -v[16:17], v[99:100], v[79:80]
	;; [unrolled: 1-line block ×3, first 2 shown]
	v_add_nc_u32_e64 v103, 0x800, s3
	ds_load_2addr_b64 v[24:27], v103 offset0:19 offset1:44
	s_waitcnt lgkmcnt(3)
	v_fma_f64 v[32:33], -v[22:23], v[32:33], v[85:86]
	v_fma_f64 v[50:51], -v[4:5], v[63:64], v[50:51]
	;; [unrolled: 1-line block ×9, first 2 shown]
	s_waitcnt lgkmcnt(0)
	v_mul_f64 v[24:25], v[24:25], v[32:33]
	ds_load_2addr_b64 v[32:35], v62 offset0:207 offset1:208
	ds_load_b128 v[46:49], v62 offset:1840
	ds_load_2addr_b64 v[67:70], v62 offset0:253 offset1:254
	ds_load_b128 v[73:76], v62 offset:2208
	ds_load_b128 v[77:80], v62 offset:1856
	ds_load_2addr_b64 v[81:84], v62 offset0:209 offset1:210
	v_fma_f64 v[50:51], -v[6:7], v[56:57], v[50:51]
	v_fma_f64 v[56:57], -v[12:13], v[91:92], v[63:64]
	;; [unrolled: 1-line block ×4, first 2 shown]
	s_waitcnt lgkmcnt(5)
	v_fma_f64 v[28:29], -v[16:17], v[32:33], v[28:29]
	s_waitcnt lgkmcnt(4)
	v_fma_f64 v[32:33], -v[18:19], v[46:47], v[60:61]
	;; [unrolled: 2-line block ×4, first 2 shown]
	v_fma_f64 v[50:51], -v[12:13], v[93:94], v[50:51]
	v_fma_f64 v[65:66], -v[14:15], v[38:39], v[56:57]
	;; [unrolled: 1-line block ×6, first 2 shown]
	v_mov_b32_e32 v32, s8
	v_mov_b32_e32 v46, s9
	s_add_i32 s8, s3, 0x808
	s_add_i32 s9, s3, 0x978
	v_mul_f64 v[26:27], v[26:27], v[60:61]
	v_fma_f64 v[60:61], -v[6:7], v[58:59], v[63:64]
	ds_load_2addr_b64 v[32:35], v32 offset1:1
	ds_load_b128 v[36:39], v62 offset:2224
	ds_load_2addr_b64 v[46:49], v46 offset1:1
	ds_load_b128 v[56:59], v62 offset:2240
	v_fma_f64 v[50:51], -v[14:15], v[95:96], v[50:51]
	s_waitcnt lgkmcnt(4)
	v_fma_f64 v[75:76], -v[16:17], v[81:82], v[65:66]
	ds_load_2addr_b64 v[63:66], v103 offset0:51 offset1:69
	v_fma_f64 v[67:68], -v[18:19], v[77:78], v[67:68]
	s_waitcnt lgkmcnt(4)
	v_fma_f64 v[28:29], -v[22:23], v[32:33], v[28:29]
	s_waitcnt lgkmcnt(3)
	;; [unrolled: 2-line block ×3, first 2 shown]
	v_fma_f64 v[36:37], -v[26:27], v[46:47], v[73:74]
	v_fma_f64 v[40:41], -v[12:13], v[40:41], v[60:61]
	;; [unrolled: 1-line block ×7, first 2 shown]
	v_mov_b32_e32 v32, s8
	s_add_i32 s8, s3, 0x988
	s_waitcnt lgkmcnt(0)
	v_mul_f64 v[28:29], v[65:66], v[36:37]
	v_fma_f64 v[40:41], -v[14:15], v[97:98], v[40:41]
	v_mov_b32_e32 v36, s9
	v_fma_f64 v[50:51], -v[18:19], v[42:43], v[50:51]
	ds_load_2addr_b64 v[32:35], v32 offset1:1
	ds_load_2addr_b64 v[36:39], v36 offset1:1
	ds_load_b128 v[46:49], v62 offset:2608
	ds_load_b128 v[65:68], v62 offset:2256
	s_add_i32 s9, s3, 0xaf8
	v_fma_f64 v[56:57], -v[24:25], v[56:57], v[69:70]
	s_waitcnt lgkmcnt(3)
	v_fma_f64 v[32:33], -v[22:23], v[32:33], v[60:61]
	s_waitcnt lgkmcnt(2)
	;; [unrolled: 2-line block ×3, first 2 shown]
	v_fma_f64 v[46:47], -v[28:29], v[46:47], v[75:76]
	v_fma_f64 v[60:61], -v[16:17], v[71:72], v[40:41]
	ds_load_2addr_b64 v[40:43], v103 offset0:94 offset1:99
	v_fma_f64 v[69:70], -v[22:23], v[34:35], v[50:51]
	v_mov_b32_e32 v34, s8
	s_add_i32 s8, s3, 0xb08
	s_addk_i32 s3, 0xc88
	v_fma_f64 v[56:57], -v[26:27], v[38:39], v[56:57]
	v_fma_f64 v[58:59], -v[24:25], v[58:59], v[32:33]
	;; [unrolled: 1-line block ×3, first 2 shown]
	s_waitcnt lgkmcnt(0)
	v_mul_f64 v[32:33], v[40:41], v[46:47]
	v_fma_f64 v[60:61], -v[18:19], v[44:45], v[60:61]
	v_mov_b32_e32 v44, s9
	ds_load_2addr_b64 v[34:37], v34 offset1:1
	ds_load_b128 v[38:41], v62 offset:2624
	ds_load_2addr_b64 v[44:47], v44 offset1:1
	ds_load_b128 v[48:51], v62 offset:2640
	v_fma_f64 v[65:66], -v[24:25], v[65:66], v[69:70]
	s_waitcnt lgkmcnt(3)
	v_fma_f64 v[34:35], -v[26:27], v[34:35], v[58:59]
	s_waitcnt lgkmcnt(2)
	v_fma_f64 v[38:39], -v[28:29], v[38:39], v[56:57]
	ds_load_2addr_b64 v[56:59], v103 offset0:119 offset1:144
	s_waitcnt lgkmcnt(2)
	v_fma_f64 v[44:45], -v[32:33], v[44:45], v[71:72]
	v_fma_f64 v[30:31], -v[22:23], v[30:31], v[60:61]
	;; [unrolled: 1-line block ×3, first 2 shown]
	v_mov_b32_e32 v36, s8
	v_fma_f64 v[40:41], -v[28:29], v[40:41], v[34:35]
	v_fma_f64 v[69:70], -v[32:33], v[46:47], v[38:39]
	s_waitcnt lgkmcnt(0)
	v_mul_f64 v[34:35], v[56:57], v[44:45]
	v_fma_f64 v[30:31], -v[24:25], v[67:68], v[30:31]
	ds_load_2addr_b64 v[36:39], v36 offset1:1
	ds_load_b128 v[44:47], v62 offset:3008
	ds_load_b128 v[65:68], v62 offset:3024
	v_fma_f64 v[48:49], -v[28:29], v[48:49], v[60:61]
	s_waitcnt lgkmcnt(2)
	v_fma_f64 v[36:37], -v[32:33], v[36:37], v[40:41]
	s_waitcnt lgkmcnt(1)
	v_fma_f64 v[40:41], -v[34:35], v[44:45], v[69:70]
	v_fma_f64 v[30:31], -v[26:27], v[63:64], v[30:31]
	s_delay_alu instid0(VALU_DEP_4)
	v_fma_f64 v[44:45], -v[32:33], v[38:39], v[48:49]
	v_mov_b32_e32 v38, s3
	s_mul_i32 s3, s7, 0xc8
	v_fma_f64 v[46:47], -v[34:35], v[46:47], v[36:37]
	v_mul_f64 v[36:37], v[58:59], v[40:41]
	v_fma_f64 v[30:31], -v[28:29], v[50:51], v[30:31]
	ds_load_2addr_b64 v[38:41], v38 offset1:1
	s_waitcnt lgkmcnt(1)
	v_fma_f64 v[48:49], -v[34:35], v[65:66], v[44:45]
	s_waitcnt lgkmcnt(0)
	v_fma_f64 v[38:39], -v[36:37], v[38:39], v[46:47]
	v_fma_f64 v[30:31], -v[32:33], v[42:43], v[30:31]
	ds_load_2addr_b64 v[42:45], v103 offset0:147 offset1:169
	v_fma_f64 v[40:41], -v[36:37], v[40:41], v[48:49]
	s_waitcnt lgkmcnt(0)
	v_mul_f64 v[38:39], v[44:45], v[38:39]
	v_fma_f64 v[30:31], -v[34:35], v[67:68], v[30:31]
	ds_load_b128 v[44:47], v62 offset:3408
	s_waitcnt lgkmcnt(0)
	v_fma_f64 v[44:45], -v[38:39], v[44:45], v[40:41]
	v_fma_f64 v[30:31], -v[36:37], v[42:43], v[30:31]
	ds_load_2addr_b64 v[40:43], v103 offset0:194 offset1:195
	s_waitcnt lgkmcnt(0)
	v_mul_f64 v[40:41], v[40:41], v[44:45]
	v_fma_f64 v[30:31], -v[38:39], v[46:47], v[30:31]
	s_delay_alu instid0(VALU_DEP_1)
	v_fma_f64 v[30:31], -v[40:41], v[42:43], v[30:31]
	v_mov_b32_e32 v42, s3
	ds_load_b64 v[42:43], v42
	s_waitcnt lgkmcnt(0)
	v_mul_f64 v[42:43], v[42:43], v[30:31]
	s_clause 0x9
	global_store_b128 v[20:21], v[0:3], off
	global_store_b128 v[20:21], v[8:11], off offset:16
	global_store_b128 v[20:21], v[4:7], off offset:32
	;; [unrolled: 1-line block ×9, first 2 shown]
.LBB95_43:
	s_cmp_ge_i32 s6, s2
	s_cbranch_scc1 .LBB95_54
; %bb.44:
	s_add_i32 s3, s6, -1
	s_lshl_b32 s8, s6, 3
	s_add_u32 s0, s12, s0
	s_addc_u32 s1, s13, s1
	v_add_co_u32 v8, vcc_lo, s0, v54
	v_add_co_ci_u32_e32 v9, vcc_lo, s1, v55, vcc_lo
	s_mov_b32 s1, 0
	s_delay_alu instid0(VALU_DEP_2) | instskip(NEXT) | instid1(VALU_DEP_2)
	v_add_co_u32 v0, vcc_lo, v8, 56
	v_add_co_ci_u32_e32 v1, vcc_lo, 0, v9, vcc_lo
	s_mov_b32 s10, s6
	s_mov_b32 s9, 0
	s_branch .LBB95_46
.LBB95_45:                              ;   in Loop: Header=BB95_46 Depth=1
	s_mul_i32 s0, s6, 0xc8
	s_add_i32 s6, s6, 1
	v_mov_b32_e32 v6, s0
	s_add_i32 s9, s9, 1
	s_add_i32 s8, s8, 8
	s_cmp_ge_i32 s6, s2
	ds_load_b64 v[6:7], v6
	s_waitcnt lgkmcnt(0)
	v_mul_f64 v[4:5], v[6:7], v[4:5]
	v_add_nc_u16 v6, s10, 1
	s_delay_alu instid0(VALU_DEP_1)
	v_readfirstlane_b32 s10, v6
	global_store_b64 v[2:3], v[4:5], off
	s_cbranch_scc1 .LBB95_54
.LBB95_46:                              ; =>This Loop Header: Depth=1
                                        ;     Child Loop BB95_49 Depth 2
                                        ;     Child Loop BB95_53 Depth 2
	s_ashr_i32 s7, s6, 31
	s_delay_alu instid0(SALU_CYCLE_1)
	s_lshl_b64 s[12:13], s[6:7], 3
	s_cmp_eq_u32 s6, 0
	v_add_co_u32 v2, vcc_lo, v52, s12
	v_add_co_ci_u32_e32 v3, vcc_lo, s13, v53, vcc_lo
	global_load_b64 v[4:5], v[2:3], off
	s_waitcnt vmcnt(0)
	v_mul_f64 v[4:5], v[4:5], s[4:5]
	s_cbranch_scc1 .LBB95_45
; %bb.47:                               ;   in Loop: Header=BB95_46 Depth=1
	s_add_i32 s0, s3, s9
	s_delay_alu instid0(SALU_CYCLE_1)
	s_cmp_lt_u32 s0, 7
	s_cbranch_scc1 .LBB95_51
; %bb.48:                               ;   in Loop: Header=BB95_46 Depth=1
	v_dual_mov_b32 v7, v1 :: v_dual_mov_b32 v6, v0
	s_and_b32 s0, s6, -8
	s_mov_b32 s7, 0
	s_mov_b32 s11, s8
	s_set_inst_prefetch_distance 0x1
	.p2align	6
.LBB95_49:                              ;   Parent Loop BB95_46 Depth=1
                                        ; =>  This Inner Loop Header: Depth=2
	s_clause 0x3
	global_load_b128 v[10:13], v[6:7], off offset:-56
	global_load_b128 v[14:17], v[6:7], off offset:-40
	global_load_b128 v[18:21], v[6:7], off offset:-24
	global_load_b128 v[22:25], v[6:7], off offset:-8
	v_mov_b32_e32 v30, s11
	v_add_co_u32 v6, vcc_lo, v6, 64
	v_add_co_ci_u32_e32 v7, vcc_lo, 0, v7, vcc_lo
	ds_load_2addr_b64 v[26:29], v30 offset1:24
	s_add_i32 s7, s7, 8
	s_addk_i32 s11, 0x600
	s_cmp_lg_u32 s0, s7
	s_waitcnt vmcnt(3) lgkmcnt(0)
	v_fma_f64 v[4:5], -v[10:11], v[26:27], v[4:5]
	s_delay_alu instid0(VALU_DEP_1) | instskip(SKIP_3) | instid1(VALU_DEP_1)
	v_fma_f64 v[4:5], -v[12:13], v[28:29], v[4:5]
	ds_load_2addr_b64 v[10:13], v30 offset0:48 offset1:72
	s_waitcnt vmcnt(2) lgkmcnt(0)
	v_fma_f64 v[4:5], -v[14:15], v[10:11], v[4:5]
	v_fma_f64 v[4:5], -v[16:17], v[12:13], v[4:5]
	ds_load_2addr_b64 v[10:13], v30 offset0:96 offset1:120
	s_waitcnt vmcnt(1) lgkmcnt(0)
	v_fma_f64 v[4:5], -v[18:19], v[10:11], v[4:5]
	s_delay_alu instid0(VALU_DEP_1) | instskip(SKIP_3) | instid1(VALU_DEP_1)
	v_fma_f64 v[4:5], -v[20:21], v[12:13], v[4:5]
	ds_load_2addr_b64 v[10:13], v30 offset0:144 offset1:168
	s_waitcnt vmcnt(0) lgkmcnt(0)
	v_fma_f64 v[4:5], -v[22:23], v[10:11], v[4:5]
	v_fma_f64 v[4:5], -v[24:25], v[12:13], v[4:5]
	s_cbranch_scc1 .LBB95_49
; %bb.50:                               ;   in Loop: Header=BB95_46 Depth=1
	s_set_inst_prefetch_distance 0x2
	s_and_b32 s7, s6, 7
	s_delay_alu instid0(SALU_CYCLE_1)
	s_cmp_eq_u32 s7, 0
	s_cbranch_scc0 .LBB95_52
	s_branch .LBB95_45
.LBB95_51:                              ;   in Loop: Header=BB95_46 Depth=1
	s_mov_b32 s0, 0
	s_and_b32 s7, s6, 7
	s_delay_alu instid0(SALU_CYCLE_1)
	s_cmp_eq_u32 s7, 0
	s_cbranch_scc1 .LBB95_45
.LBB95_52:                              ;   in Loop: Header=BB95_46 Depth=1
	s_lshl_b64 s[12:13], s[0:1], 3
	s_and_b32 s7, s10, 7
	v_add_co_u32 v6, vcc_lo, v8, s12
	v_add_co_ci_u32_e32 v7, vcc_lo, s13, v9, vcc_lo
	s_mulk_i32 s0, 0xc0
.LBB95_53:                              ;   Parent Loop BB95_46 Depth=1
                                        ; =>  This Inner Loop Header: Depth=2
	global_load_b64 v[10:11], v[6:7], off
	s_add_i32 s11, s8, s0
	v_add_co_u32 v6, vcc_lo, v6, 8
	v_mov_b32_e32 v12, s11
	v_add_co_ci_u32_e32 v7, vcc_lo, 0, v7, vcc_lo
	s_add_i32 s7, s7, -1
	s_addk_i32 s0, 0xc0
	ds_load_b64 v[12:13], v12
	s_cmp_lg_u32 s7, 0
	s_waitcnt vmcnt(0) lgkmcnt(0)
	v_fma_f64 v[4:5], -v[10:11], v[12:13], v[4:5]
	s_cbranch_scc1 .LBB95_53
	s_branch .LBB95_45
.LBB95_54:
	s_nop 0
	s_sendmsg sendmsg(MSG_DEALLOC_VGPRS)
	s_endpgm
	.section	.rodata,"a",@progbits
	.p2align	6, 0x0
	.amdhsa_kernel _ZL30rocblas_trsm_small_left_deviceILi24ELi24ELb1EddPKPKdPKPdEv13rocblas_fill_18rocblas_operation_17rocblas_diagonal_iiT3_T4_lilT5_lili
		.amdhsa_group_segment_fixed_size 4608
		.amdhsa_private_segment_fixed_size 0
		.amdhsa_kernarg_size 360
		.amdhsa_user_sgpr_count 14
		.amdhsa_user_sgpr_dispatch_ptr 0
		.amdhsa_user_sgpr_queue_ptr 0
		.amdhsa_user_sgpr_kernarg_segment_ptr 1
		.amdhsa_user_sgpr_dispatch_id 0
		.amdhsa_user_sgpr_private_segment_size 0
		.amdhsa_wavefront_size32 1
		.amdhsa_uses_dynamic_stack 0
		.amdhsa_enable_private_segment 0
		.amdhsa_system_sgpr_workgroup_id_x 1
		.amdhsa_system_sgpr_workgroup_id_y 0
		.amdhsa_system_sgpr_workgroup_id_z 1
		.amdhsa_system_sgpr_workgroup_info 0
		.amdhsa_system_vgpr_workitem_id 0
		.amdhsa_next_free_vgpr 142
		.amdhsa_next_free_sgpr 32
		.amdhsa_reserve_vcc 1
		.amdhsa_float_round_mode_32 0
		.amdhsa_float_round_mode_16_64 0
		.amdhsa_float_denorm_mode_32 3
		.amdhsa_float_denorm_mode_16_64 3
		.amdhsa_dx10_clamp 1
		.amdhsa_ieee_mode 1
		.amdhsa_fp16_overflow 0
		.amdhsa_workgroup_processor_mode 1
		.amdhsa_memory_ordered 1
		.amdhsa_forward_progress 0
		.amdhsa_shared_vgpr_count 0
		.amdhsa_exception_fp_ieee_invalid_op 0
		.amdhsa_exception_fp_denorm_src 0
		.amdhsa_exception_fp_ieee_div_zero 0
		.amdhsa_exception_fp_ieee_overflow 0
		.amdhsa_exception_fp_ieee_underflow 0
		.amdhsa_exception_fp_ieee_inexact 0
		.amdhsa_exception_int_div_zero 0
	.end_amdhsa_kernel
	.section	.text._ZL30rocblas_trsm_small_left_deviceILi24ELi24ELb1EddPKPKdPKPdEv13rocblas_fill_18rocblas_operation_17rocblas_diagonal_iiT3_T4_lilT5_lili,"axG",@progbits,_ZL30rocblas_trsm_small_left_deviceILi24ELi24ELb1EddPKPKdPKPdEv13rocblas_fill_18rocblas_operation_17rocblas_diagonal_iiT3_T4_lilT5_lili,comdat
.Lfunc_end95:
	.size	_ZL30rocblas_trsm_small_left_deviceILi24ELi24ELb1EddPKPKdPKPdEv13rocblas_fill_18rocblas_operation_17rocblas_diagonal_iiT3_T4_lilT5_lili, .Lfunc_end95-_ZL30rocblas_trsm_small_left_deviceILi24ELi24ELb1EddPKPKdPKPdEv13rocblas_fill_18rocblas_operation_17rocblas_diagonal_iiT3_T4_lilT5_lili
                                        ; -- End function
	.section	.AMDGPU.csdata,"",@progbits
; Kernel info:
; codeLenInByte = 22344
; NumSgprs: 34
; NumVgprs: 142
; ScratchSize: 0
; MemoryBound: 1
; FloatMode: 240
; IeeeMode: 1
; LDSByteSize: 4608 bytes/workgroup (compile time only)
; SGPRBlocks: 4
; VGPRBlocks: 17
; NumSGPRsForWavesPerEU: 34
; NumVGPRsForWavesPerEU: 142
; Occupancy: 7
; WaveLimiterHint : 1
; COMPUTE_PGM_RSRC2:SCRATCH_EN: 0
; COMPUTE_PGM_RSRC2:USER_SGPR: 14
; COMPUTE_PGM_RSRC2:TRAP_HANDLER: 0
; COMPUTE_PGM_RSRC2:TGID_X_EN: 1
; COMPUTE_PGM_RSRC2:TGID_Y_EN: 0
; COMPUTE_PGM_RSRC2:TGID_Z_EN: 1
; COMPUTE_PGM_RSRC2:TIDIG_COMP_CNT: 0
	.section	.text._ZL31rocblas_trsm_small_right_deviceIddPKPKdPKPdLi24EEv13rocblas_fill_18rocblas_operation_17rocblas_diagonal_iiT0_T1_lilT2_lili,"axG",@progbits,_ZL31rocblas_trsm_small_right_deviceIddPKPKdPKPdLi24EEv13rocblas_fill_18rocblas_operation_17rocblas_diagonal_iiT0_T1_lilT2_lili,comdat
	.globl	_ZL31rocblas_trsm_small_right_deviceIddPKPKdPKPdLi24EEv13rocblas_fill_18rocblas_operation_17rocblas_diagonal_iiT0_T1_lilT2_lili ; -- Begin function _ZL31rocblas_trsm_small_right_deviceIddPKPKdPKPdLi24EEv13rocblas_fill_18rocblas_operation_17rocblas_diagonal_iiT0_T1_lilT2_lili
	.p2align	8
	.type	_ZL31rocblas_trsm_small_right_deviceIddPKPKdPKPdLi24EEv13rocblas_fill_18rocblas_operation_17rocblas_diagonal_iiT0_T1_lilT2_lili,@function
_ZL31rocblas_trsm_small_right_deviceIddPKPKdPKPdLi24EEv13rocblas_fill_18rocblas_operation_17rocblas_diagonal_iiT0_T1_lilT2_lili: ; @_ZL31rocblas_trsm_small_right_deviceIddPKPKdPKPdLi24EEv13rocblas_fill_18rocblas_operation_17rocblas_diagonal_iiT0_T1_lilT2_lili
; %bb.0:
	s_load_b128 s[16:19], s[0:1], 0x40
	s_mov_b32 s12, s15
	s_mov_b32 s13, 0
	s_clause 0x1
	s_load_b32 s28, s[0:1], 0x10
	s_load_b128 s[4:7], s[0:1], 0x0
	s_lshl_b64 s[22:23], s[12:13], 3
	s_mov_b32 s12, exec_lo
	s_waitcnt lgkmcnt(0)
	s_add_u32 s2, s16, s22
	s_addc_u32 s3, s17, s23
	s_clause 0x1
	s_load_b128 s[8:11], s[0:1], 0x18
	s_load_b64 s[16:17], s[0:1], 0x28
	s_load_b64 s[2:3], s[2:3], 0x0
	s_min_i32 s29, s28, 24
	s_delay_alu instid0(SALU_CYCLE_1)
	s_add_i32 s30, s29, -1
	v_cmpx_gt_i32_e64 s29, v0
	s_cbranch_execz .LBB96_9
; %bb.1:
	s_load_b32 s20, s[0:1], 0x30
	s_waitcnt lgkmcnt(0)
	s_ashr_i32 s21, s20, 31
	s_add_u32 s10, s10, s22
	s_addc_u32 s11, s11, s23
	s_cmp_lt_u32 s30, 3
	s_load_b64 s[10:11], s[10:11], 0x0
	s_cbranch_scc1 .LBB96_4
; %bb.2:
	v_lshlrev_b32_e32 v3, 3, v0
	s_lshl_b64 s[22:23], s[16:17], 3
	s_mul_i32 s31, s20, 24
	s_waitcnt lgkmcnt(0)
	s_add_u32 s13, s10, s22
	s_addc_u32 s15, s11, s23
	v_add_co_u32 v1, s13, s13, v3
	s_delay_alu instid0(VALU_DEP_1)
	v_add_co_ci_u32_e64 v2, null, s15, 0, s13
	s_and_b32 s13, s29, -4
	s_mul_hi_i32 s15, s20, 24
	s_lshl_b64 s[22:23], s[20:21], 5
	s_lshl_b64 s[24:25], s[20:21], 4
	;; [unrolled: 1-line block ×3, first 2 shown]
	s_mov_b32 s33, 0
	.p2align	6
.LBB96_3:                               ; =>This Inner Loop Header: Depth=1
	v_add_co_u32 v4, vcc_lo, v1, s26
	v_add_co_ci_u32_e32 v5, vcc_lo, s27, v2, vcc_lo
	v_add_co_u32 v6, vcc_lo, v1, s24
	v_add_co_ci_u32_e32 v7, vcc_lo, s25, v2, vcc_lo
	;; [unrolled: 2-line block ×3, first 2 shown]
	s_clause 0x3
	global_load_b64 v[10:11], v[1:2], off
	global_load_b64 v[4:5], v[4:5], off
	;; [unrolled: 1-line block ×4, first 2 shown]
	v_add_co_u32 v1, vcc_lo, v1, s22
	v_add_co_ci_u32_e32 v2, vcc_lo, s23, v2, vcc_lo
	s_add_i32 s33, s33, 4
	s_waitcnt vmcnt(2)
	ds_store_2addr_b64 v3, v[10:11], v[4:5] offset1:24
	s_waitcnt vmcnt(0)
	ds_store_2addr_b64 v3, v[6:7], v[8:9] offset0:48 offset1:72
	v_add_nc_u32_e32 v3, 0x300, v3
	s_cmp_eq_u32 s13, s33
	s_cbranch_scc0 .LBB96_3
.LBB96_4:
	s_and_b32 s15, s29, 3
	s_delay_alu instid0(SALU_CYCLE_1)
	s_cmp_eq_u32 s15, 0
	s_cbranch_scc1 .LBB96_7
; %bb.5:
	s_mul_i32 s22, s21, s13
	s_mul_hi_u32 s23, s20, s13
	s_lshl_b64 s[16:17], s[16:17], 3
	s_add_i32 s23, s23, s22
	s_mul_i32 s22, s20, s13
	s_mulk_i32 s13, 0xc0
	s_lshl_b64 s[22:23], s[22:23], 3
	v_lshlrev_b32_e32 v1, 3, v0
	v_lshl_add_u32 v3, v0, 3, s13
	s_add_u32 s13, s22, s16
	s_addc_u32 s16, s23, s17
	s_waitcnt lgkmcnt(0)
	s_add_u32 s10, s10, s13
	s_addc_u32 s11, s11, s16
	v_add_co_u32 v1, s10, s10, v1
	s_delay_alu instid0(VALU_DEP_1)
	v_add_co_ci_u32_e64 v2, null, s11, 0, s10
	s_lshl_b64 s[10:11], s[20:21], 3
.LBB96_6:                               ; =>This Inner Loop Header: Depth=1
	global_load_b64 v[4:5], v[1:2], off
	v_add_co_u32 v1, vcc_lo, v1, s10
	v_add_co_ci_u32_e32 v2, vcc_lo, s11, v2, vcc_lo
	s_add_i32 s15, s15, -1
	s_delay_alu instid0(SALU_CYCLE_1)
	s_cmp_lg_u32 s15, 0
	s_waitcnt vmcnt(0)
	ds_store_b64 v3, v[4:5]
	v_add_nc_u32_e32 v3, 0xc0, v3
	s_cbranch_scc1 .LBB96_6
.LBB96_7:
	s_cmpk_eq_i32 s6, 0x84
	s_cbranch_scc0 .LBB96_9
; %bb.8:
	v_mul_u32_u24_e32 v2, 25, v0
	v_mov_b32_e32 v1, 0
	s_delay_alu instid0(VALU_DEP_2)
	v_dual_mov_b32 v2, 0x3ff00000 :: v_dual_lshlrev_b32 v3, 3, v2
	ds_store_b64 v3, v[1:2]
.LBB96_9:
	s_or_b32 exec_lo, exec_lo, s12
	s_clause 0x1
	s_load_b32 s6, s[0:1], 0x68
	s_load_b32 s0, s[0:1], 0x50
	s_waitcnt lgkmcnt(0)
	s_lshl_b64 s[10:11], s[18:19], 3
	s_mul_i32 s13, s14, 0xffffffe8
	s_add_u32 s1, s2, s10
	s_addc_u32 s12, s3, s11
	s_add_i32 s13, s13, s7
	s_mul_i32 s16, s14, 0xc0
	s_mul_hi_i32 s17, s14, 0xc0
	s_mov_b32 s22, 0
	s_add_i32 s6, s6, -1
	s_delay_alu instid0(SALU_CYCLE_1)
	s_cmp_ge_u32 s14, s6
	s_cselect_b32 s6, s13, 24
	s_add_u32 s18, s1, s16
	s_addc_u32 s19, s12, s17
	v_cmp_gt_i32_e32 vcc_lo, s6, v0
	s_cmp_gt_i32 s28, 0
	s_cselect_b32 s1, -1, 0
	s_delay_alu instid0(SALU_CYCLE_1) | instskip(NEXT) | instid1(SALU_CYCLE_1)
	s_and_b32 s20, vcc_lo, s1
	s_and_saveexec_b32 s21, s20
	s_cbranch_execz .LBB96_16
; %bb.10:
	s_ashr_i32 s1, s0, 31
	s_cmp_lt_u32 s28, 4
	s_cbranch_scc1 .LBB96_13
; %bb.11:
	v_lshlrev_b32_e32 v1, 3, v0
	v_lshl_or_b32 v3, v0, 3, 0x1200
	s_and_b32 s22, s28, 0x7ffffffc
	s_mul_hi_i32 s23, s0, 24
	s_mul_i32 s24, s0, 24
	v_add_co_u32 v1, s6, s18, v1
	s_delay_alu instid0(VALU_DEP_1)
	v_add_co_ci_u32_e64 v2, null, s19, 0, s6
	s_lshl_b64 s[6:7], s[0:1], 5
	s_lshl_b64 s[12:13], s[0:1], 4
	;; [unrolled: 1-line block ×3, first 2 shown]
	s_mov_b32 s25, 0
	s_set_inst_prefetch_distance 0x1
	.p2align	6
.LBB96_12:                              ; =>This Inner Loop Header: Depth=1
	v_add_co_u32 v4, vcc_lo, v1, s14
	v_add_co_ci_u32_e32 v5, vcc_lo, s15, v2, vcc_lo
	v_add_co_u32 v6, vcc_lo, v1, s12
	v_add_co_ci_u32_e32 v7, vcc_lo, s13, v2, vcc_lo
	;; [unrolled: 2-line block ×3, first 2 shown]
	s_clause 0x3
	global_load_b64 v[10:11], v[1:2], off
	global_load_b64 v[4:5], v[4:5], off
	;; [unrolled: 1-line block ×4, first 2 shown]
	v_add_co_u32 v1, vcc_lo, v1, s6
	v_add_co_ci_u32_e32 v2, vcc_lo, s7, v2, vcc_lo
	s_add_i32 s25, s25, 4
	s_delay_alu instid0(SALU_CYCLE_1)
	s_cmp_lg_u32 s22, s25
	s_waitcnt vmcnt(3)
	v_mul_f64 v[10:11], v[10:11], s[8:9]
	s_waitcnt vmcnt(2)
	v_mul_f64 v[4:5], v[4:5], s[8:9]
	;; [unrolled: 2-line block ×4, first 2 shown]
	ds_store_2addr_b64 v3, v[10:11], v[4:5] offset1:24
	ds_store_2addr_b64 v3, v[6:7], v[8:9] offset0:48 offset1:72
	v_add_nc_u32_e32 v3, 0x300, v3
	s_cbranch_scc1 .LBB96_12
.LBB96_13:
	s_set_inst_prefetch_distance 0x2
	s_and_b32 s12, s28, 3
	s_delay_alu instid0(SALU_CYCLE_1)
	s_cmp_eq_u32 s12, 0
	s_cbranch_scc1 .LBB96_16
; %bb.14:
	s_mul_hi_i32 s7, s0, s22
	s_mul_i32 s6, s0, s22
	v_lshlrev_b32_e32 v1, 3, v0
	s_lshl_b64 s[6:7], s[6:7], 3
	s_mul_i32 s13, s22, 0xc0
	s_add_u32 s6, s6, s16
	s_addc_u32 s7, s7, s17
	s_add_u32 s6, s6, s10
	s_addc_u32 s7, s7, s11
	s_add_u32 s6, s2, s6
	v_add3_u32 v3, s13, v1, 0x1200
	s_addc_u32 s7, s3, s7
	v_add_co_u32 v1, s6, s6, v1
	s_delay_alu instid0(VALU_DEP_1)
	v_add_co_ci_u32_e64 v2, null, s7, 0, s6
	s_lshl_b64 s[6:7], s[0:1], 3
.LBB96_15:                              ; =>This Inner Loop Header: Depth=1
	global_load_b64 v[4:5], v[1:2], off
	v_add_co_u32 v1, vcc_lo, v1, s6
	v_add_co_ci_u32_e32 v2, vcc_lo, s7, v2, vcc_lo
	s_add_i32 s12, s12, -1
	s_delay_alu instid0(SALU_CYCLE_1)
	s_cmp_lg_u32 s12, 0
	s_waitcnt vmcnt(0)
	v_mul_f64 v[4:5], v[4:5], s[8:9]
	ds_store_b64 v3, v[4:5]
	v_add_nc_u32_e32 v3, 0xc0, v3
	s_cbranch_scc1 .LBB96_15
.LBB96_16:
	s_or_b32 exec_lo, exec_lo, s21
	s_cmpk_eq_i32 s5, 0x6f
	s_waitcnt lgkmcnt(0)
	s_cselect_b32 s1, -1, 0
	s_cmpk_eq_i32 s4, 0x79
	; wave barrier
	buffer_gl0_inv
	s_cselect_b32 s6, -1, 0
	s_cmpk_lg_i32 s4, 0x79
	s_cselect_b32 s5, -1, 0
	s_and_b32 s6, s6, s1
	s_delay_alu instid0(SALU_CYCLE_1)
	s_and_not1_b32 vcc_lo, exec_lo, s6
	s_mov_b32 s6, -1
	s_cbranch_vccz .LBB96_80
; %bb.17:
	s_cmpk_lg_i32 s4, 0x7a
	s_cselect_b32 s4, -1, 0
	s_xor_b32 s1, s1, -1
	s_delay_alu instid0(SALU_CYCLE_1)
	s_or_b32 s4, s4, s1
	s_cmp_gt_i32 s28, 3
	s_cselect_b32 s1, -1, 0
	s_and_b32 vcc_lo, exec_lo, s4
	s_mov_b32 s4, -1
	s_cbranch_vccz .LBB96_59
; %bb.18:
	s_and_not1_b32 vcc_lo, exec_lo, s5
	s_cbranch_vccnz .LBB96_38
; %bb.19:
	s_and_not1_b32 vcc_lo, exec_lo, s1
	s_mov_b32 s6, 0
	s_cbranch_vccnz .LBB96_26
; %bb.20:
	v_lshl_or_b32 v9, v0, 3, 0x1200
	s_mov_b32 s4, 0
	s_mov_b32 s5, 0
.LBB96_21:                              ; =>This Loop Header: Depth=1
                                        ;     Child Loop BB96_23 Depth 2
	s_delay_alu instid0(SALU_CYCLE_1) | instskip(NEXT) | instid1(SALU_CYCLE_1)
	s_mul_i32 s7, s5, 24
	s_add_i32 s6, s7, 48
	v_add_lshl_u32 v11, s7, v0, 3
	v_add_lshl_u32 v10, s6, v0, 3
	s_add_i32 s6, s7, 24
	s_cmp_eq_u32 s5, 0
	v_add_lshl_u32 v12, s6, v0, 3
	s_delay_alu instid0(VALU_DEP_2)
	v_add_nc_u32_e32 v1, 0x1000, v10
	ds_load_b64 v[7:8], v11 offset:4608
	ds_load_b64 v[5:6], v12 offset:4608
	ds_load_2addr_b64 v[1:4], v1 offset0:64 offset1:88
	s_cbranch_scc1 .LBB96_24
; %bb.22:                               ;   in Loop: Header=BB96_21 Depth=1
	v_mov_b32_e32 v13, v9
	s_mov_b32 s7, 0
	s_mov_b32 s8, s4
.LBB96_23:                              ;   Parent Loop BB96_21 Depth=1
                                        ; =>  This Inner Loop Header: Depth=2
	s_delay_alu instid0(SALU_CYCLE_1)
	v_mov_b32_e32 v28, s8
	s_add_i32 s7, s7, 4
	s_addk_i32 s8, 0x300
	s_cmp_ge_u32 s7, s5
	ds_load_2addr_b64 v[14:17], v13 offset1:24
	ds_load_b128 v[18:21], v28
	ds_load_b128 v[22:25], v28 offset:16
	s_waitcnt lgkmcnt(1)
	v_fma_f64 v[18:19], -v[14:15], v[18:19], v[7:8]
	v_fma_f64 v[20:21], -v[14:15], v[20:21], v[5:6]
	s_waitcnt lgkmcnt(0)
	v_fma_f64 v[22:23], -v[14:15], v[22:23], v[1:2]
	v_fma_f64 v[14:15], -v[14:15], v[24:25], v[3:4]
	ds_load_b128 v[1:4], v28 offset:192
	ds_load_b128 v[5:8], v28 offset:208
	s_waitcnt lgkmcnt(1)
	v_fma_f64 v[18:19], -v[16:17], v[1:2], v[18:19]
	v_fma_f64 v[20:21], -v[16:17], v[3:4], v[20:21]
	s_waitcnt lgkmcnt(0)
	v_fma_f64 v[22:23], -v[16:17], v[5:6], v[22:23]
	v_fma_f64 v[24:25], -v[16:17], v[7:8], v[14:15]
	ds_load_2addr_b64 v[1:4], v13 offset0:48 offset1:72
	ds_load_b128 v[5:8], v28 offset:384
	ds_load_b128 v[14:17], v28 offset:400
	v_add_nc_u32_e32 v13, 0x300, v13
	s_waitcnt lgkmcnt(1)
	v_fma_f64 v[5:6], -v[1:2], v[5:6], v[18:19]
	v_fma_f64 v[26:27], -v[1:2], v[7:8], v[20:21]
	s_waitcnt lgkmcnt(0)
	v_fma_f64 v[22:23], -v[1:2], v[14:15], v[22:23]
	v_fma_f64 v[24:25], -v[1:2], v[16:17], v[24:25]
	ds_load_b128 v[14:17], v28 offset:576
	ds_load_b128 v[18:21], v28 offset:592
	s_waitcnt lgkmcnt(1)
	v_fma_f64 v[7:8], -v[3:4], v[14:15], v[5:6]
	v_fma_f64 v[5:6], -v[3:4], v[16:17], v[26:27]
	s_waitcnt lgkmcnt(0)
	v_fma_f64 v[1:2], -v[3:4], v[18:19], v[22:23]
	v_fma_f64 v[3:4], -v[3:4], v[20:21], v[24:25]
	s_cbranch_scc0 .LBB96_23
.LBB96_24:                              ;   in Loop: Header=BB96_21 Depth=1
	s_mul_i32 s7, s5, 0xc8
	s_delay_alu instid0(SALU_CYCLE_1)
	v_dual_mov_b32 v33, s7 :: v_dual_add_nc_u32 v12, 0x1200, v12
	s_add_i32 s6, s6, s5
	v_add_nc_u32_e32 v11, 0x1200, v11
	s_lshl_b32 s6, s6, 3
	v_add_nc_u32_e32 v10, 0x1200, v10
	ds_load_b128 v[13:16], v33
	ds_load_b128 v[17:20], v33 offset:16
	s_add_i32 s4, s4, 32
	s_waitcnt lgkmcnt(1)
	v_div_scale_f64 v[21:22], null, v[13:14], v[13:14], v[7:8]
	v_div_scale_f64 v[27:28], vcc_lo, v[7:8], v[13:14], v[7:8]
	s_delay_alu instid0(VALU_DEP_2) | instskip(SKIP_2) | instid1(VALU_DEP_1)
	v_rcp_f64_e32 v[23:24], v[21:22]
	s_waitcnt_depctr 0xfff
	v_fma_f64 v[25:26], -v[21:22], v[23:24], 1.0
	v_fma_f64 v[23:24], v[23:24], v[25:26], v[23:24]
	s_delay_alu instid0(VALU_DEP_1) | instskip(NEXT) | instid1(VALU_DEP_1)
	v_fma_f64 v[25:26], -v[21:22], v[23:24], 1.0
	v_fma_f64 v[23:24], v[23:24], v[25:26], v[23:24]
	s_delay_alu instid0(VALU_DEP_1) | instskip(NEXT) | instid1(VALU_DEP_1)
	v_mul_f64 v[25:26], v[27:28], v[23:24]
	v_fma_f64 v[21:22], -v[21:22], v[25:26], v[27:28]
	s_delay_alu instid0(VALU_DEP_1) | instskip(NEXT) | instid1(VALU_DEP_1)
	v_div_fmas_f64 v[21:22], v[21:22], v[23:24], v[25:26]
	v_div_fixup_f64 v[21:22], v[21:22], v[13:14], v[7:8]
	s_delay_alu instid0(VALU_DEP_1)
	v_fma_f64 v[23:24], -v[21:22], v[15:16], v[5:6]
	ds_load_2addr_b64 v[5:8], v33 offset0:25 offset1:26
	ds_load_b128 v[13:16], v33 offset:400
	s_waitcnt lgkmcnt(2)
	v_fma_f64 v[1:2], -v[21:22], v[17:18], v[1:2]
	v_fma_f64 v[3:4], -v[21:22], v[19:20], v[3:4]
	s_waitcnt lgkmcnt(1)
	v_div_scale_f64 v[25:26], null, v[5:6], v[5:6], v[23:24]
	v_div_scale_f64 v[31:32], vcc_lo, v[23:24], v[5:6], v[23:24]
	s_delay_alu instid0(VALU_DEP_2) | instskip(SKIP_2) | instid1(VALU_DEP_1)
	v_rcp_f64_e32 v[27:28], v[25:26]
	s_waitcnt_depctr 0xfff
	v_fma_f64 v[29:30], -v[25:26], v[27:28], 1.0
	v_fma_f64 v[27:28], v[27:28], v[29:30], v[27:28]
	s_delay_alu instid0(VALU_DEP_1) | instskip(NEXT) | instid1(VALU_DEP_1)
	v_fma_f64 v[29:30], -v[25:26], v[27:28], 1.0
	v_fma_f64 v[27:28], v[27:28], v[29:30], v[27:28]
	s_delay_alu instid0(VALU_DEP_1) | instskip(NEXT) | instid1(VALU_DEP_1)
	v_mul_f64 v[29:30], v[31:32], v[27:28]
	v_fma_f64 v[25:26], -v[25:26], v[29:30], v[31:32]
	s_delay_alu instid0(VALU_DEP_1) | instskip(NEXT) | instid1(VALU_DEP_1)
	v_div_fmas_f64 v[25:26], v[25:26], v[27:28], v[29:30]
	v_div_fixup_f64 v[5:6], v[25:26], v[5:6], v[23:24]
	s_delay_alu instid0(VALU_DEP_1) | instskip(SKIP_1) | instid1(VALU_DEP_1)
	v_fma_f64 v[1:2], -v[5:6], v[7:8], v[1:2]
	s_waitcnt lgkmcnt(0)
	v_div_scale_f64 v[7:8], null, v[13:14], v[13:14], v[1:2]
	v_div_scale_f64 v[25:26], vcc_lo, v[1:2], v[13:14], v[1:2]
	s_delay_alu instid0(VALU_DEP_2) | instskip(SKIP_2) | instid1(VALU_DEP_1)
	v_rcp_f64_e32 v[17:18], v[7:8]
	s_waitcnt_depctr 0xfff
	v_fma_f64 v[23:24], -v[7:8], v[17:18], 1.0
	v_fma_f64 v[17:18], v[17:18], v[23:24], v[17:18]
	s_delay_alu instid0(VALU_DEP_1) | instskip(NEXT) | instid1(VALU_DEP_1)
	v_fma_f64 v[23:24], -v[7:8], v[17:18], 1.0
	v_fma_f64 v[17:18], v[17:18], v[23:24], v[17:18]
	s_delay_alu instid0(VALU_DEP_1) | instskip(NEXT) | instid1(VALU_DEP_1)
	v_mul_f64 v[23:24], v[25:26], v[17:18]
	v_fma_f64 v[7:8], -v[7:8], v[23:24], v[25:26]
	s_delay_alu instid0(VALU_DEP_1)
	v_div_fmas_f64 v[7:8], v[7:8], v[17:18], v[23:24]
	v_mov_b32_e32 v17, s6
	s_add_i32 s6, s5, 4
	s_add_i32 s5, s5, 7
	ds_load_b64 v[17:18], v17 offset:24
	ds_load_b64 v[19:20], v33 offset:600
	s_cmp_ge_i32 s5, s29
	s_waitcnt lgkmcnt(1)
	v_fma_f64 v[3:4], -v[5:6], v[17:18], v[3:4]
	v_div_fixup_f64 v[1:2], v[7:8], v[13:14], v[1:2]
	s_delay_alu instid0(VALU_DEP_1) | instskip(SKIP_1) | instid1(VALU_DEP_1)
	v_fma_f64 v[3:4], -v[1:2], v[15:16], v[3:4]
	s_waitcnt lgkmcnt(0)
	v_div_scale_f64 v[7:8], null, v[19:20], v[19:20], v[3:4]
	s_delay_alu instid0(VALU_DEP_1) | instskip(SKIP_2) | instid1(VALU_DEP_1)
	v_rcp_f64_e32 v[13:14], v[7:8]
	s_waitcnt_depctr 0xfff
	v_fma_f64 v[15:16], -v[7:8], v[13:14], 1.0
	v_fma_f64 v[13:14], v[13:14], v[15:16], v[13:14]
	s_delay_alu instid0(VALU_DEP_1) | instskip(NEXT) | instid1(VALU_DEP_1)
	v_fma_f64 v[15:16], -v[7:8], v[13:14], 1.0
	v_fma_f64 v[13:14], v[13:14], v[15:16], v[13:14]
	v_div_scale_f64 v[15:16], vcc_lo, v[3:4], v[19:20], v[3:4]
	s_delay_alu instid0(VALU_DEP_1) | instskip(NEXT) | instid1(VALU_DEP_1)
	v_mul_f64 v[17:18], v[15:16], v[13:14]
	v_fma_f64 v[7:8], -v[7:8], v[17:18], v[15:16]
	s_delay_alu instid0(VALU_DEP_1) | instskip(NEXT) | instid1(VALU_DEP_1)
	v_div_fmas_f64 v[7:8], v[7:8], v[13:14], v[17:18]
	v_div_fixup_f64 v[3:4], v[7:8], v[19:20], v[3:4]
	ds_store_b64 v11, v[21:22]
	ds_store_b64 v12, v[5:6]
	ds_store_2addr_b64 v10, v[1:2], v[3:4] offset1:24
	s_cbranch_scc1 .LBB96_26
; %bb.25:                               ;   in Loop: Header=BB96_21 Depth=1
	s_mov_b32 s5, s6
	s_branch .LBB96_21
.LBB96_26:
	s_cmp_ge_i32 s6, s29
	s_cbranch_scc1 .LBB96_37
; %bb.27:
	v_lshl_or_b32 v3, v0, 3, 0x1200
	s_add_i32 s4, s6, -1
	s_lshl_b32 s5, s6, 3
	s_mov_b32 s7, 0
	s_mov_b32 s8, s6
	s_branch .LBB96_29
.LBB96_28:                              ;   in Loop: Header=BB96_29 Depth=1
	s_mul_i32 s9, s6, 0xc8
	s_delay_alu instid0(SALU_CYCLE_1)
	v_dual_mov_b32 v5, s9 :: v_dual_add_nc_u32 v4, 0x1200, v4
	s_add_i32 s6, s6, 1
	s_add_i32 s7, s7, 1
	;; [unrolled: 1-line block ×3, first 2 shown]
	s_cmp_ge_i32 s6, s29
	ds_load_b64 v[5:6], v5
	s_waitcnt lgkmcnt(0)
	v_div_scale_f64 v[7:8], null, v[5:6], v[5:6], v[1:2]
	s_delay_alu instid0(VALU_DEP_1) | instskip(SKIP_2) | instid1(VALU_DEP_1)
	v_rcp_f64_e32 v[9:10], v[7:8]
	s_waitcnt_depctr 0xfff
	v_fma_f64 v[11:12], -v[7:8], v[9:10], 1.0
	v_fma_f64 v[9:10], v[9:10], v[11:12], v[9:10]
	s_delay_alu instid0(VALU_DEP_1) | instskip(NEXT) | instid1(VALU_DEP_1)
	v_fma_f64 v[11:12], -v[7:8], v[9:10], 1.0
	v_fma_f64 v[9:10], v[9:10], v[11:12], v[9:10]
	v_div_scale_f64 v[11:12], vcc_lo, v[1:2], v[5:6], v[1:2]
	s_delay_alu instid0(VALU_DEP_1) | instskip(NEXT) | instid1(VALU_DEP_1)
	v_mul_f64 v[13:14], v[11:12], v[9:10]
	v_fma_f64 v[7:8], -v[7:8], v[13:14], v[11:12]
	s_delay_alu instid0(VALU_DEP_1) | instskip(NEXT) | instid1(VALU_DEP_1)
	v_div_fmas_f64 v[7:8], v[7:8], v[9:10], v[13:14]
	v_div_fixup_f64 v[1:2], v[7:8], v[5:6], v[1:2]
	v_add_nc_u16 v5, s8, 1
	s_delay_alu instid0(VALU_DEP_1)
	v_readfirstlane_b32 s8, v5
	ds_store_b64 v4, v[1:2]
	s_cbranch_scc1 .LBB96_37
.LBB96_29:                              ; =>This Loop Header: Depth=1
                                        ;     Child Loop BB96_32 Depth 2
                                        ;     Child Loop BB96_36 Depth 2
	s_mul_i32 s9, s6, 24
	s_cmp_eq_u32 s6, 0
	v_add_lshl_u32 v4, s9, v0, 3
	ds_load_b64 v[1:2], v4 offset:4608
	s_cbranch_scc1 .LBB96_28
; %bb.30:                               ;   in Loop: Header=BB96_29 Depth=1
	s_add_i32 s9, s4, s7
	s_delay_alu instid0(SALU_CYCLE_1)
	s_cmp_lt_u32 s9, 7
	s_cbranch_scc1 .LBB96_34
; %bb.31:                               ;   in Loop: Header=BB96_29 Depth=1
	v_mov_b32_e32 v5, v3
	s_and_b32 s9, s6, -8
	s_mov_b32 s12, 0
	s_mov_b32 s13, s5
	s_set_inst_prefetch_distance 0x1
	.p2align	6
.LBB96_32:                              ;   Parent Loop BB96_29 Depth=1
                                        ; =>  This Inner Loop Header: Depth=2
	v_mov_b32_e32 v14, s13
	s_add_i32 s12, s12, 8
	s_addk_i32 s13, 0x600
	s_cmp_eq_u32 s9, s12
	ds_load_2addr_b64 v[6:9], v5 offset1:24
	ds_load_2addr_b64 v[10:13], v14 offset1:24
	s_waitcnt lgkmcnt(0)
	v_fma_f64 v[1:2], -v[6:7], v[10:11], v[1:2]
	s_delay_alu instid0(VALU_DEP_1) | instskip(SKIP_4) | instid1(VALU_DEP_1)
	v_fma_f64 v[1:2], -v[8:9], v[12:13], v[1:2]
	ds_load_2addr_b64 v[6:9], v5 offset0:48 offset1:72
	ds_load_2addr_b64 v[10:13], v14 offset0:48 offset1:72
	s_waitcnt lgkmcnt(0)
	v_fma_f64 v[1:2], -v[6:7], v[10:11], v[1:2]
	v_fma_f64 v[1:2], -v[8:9], v[12:13], v[1:2]
	ds_load_2addr_b64 v[6:9], v5 offset0:96 offset1:120
	ds_load_2addr_b64 v[10:13], v14 offset0:96 offset1:120
	s_waitcnt lgkmcnt(0)
	v_fma_f64 v[1:2], -v[6:7], v[10:11], v[1:2]
	s_delay_alu instid0(VALU_DEP_1)
	v_fma_f64 v[1:2], -v[8:9], v[12:13], v[1:2]
	ds_load_2addr_b64 v[6:9], v5 offset0:144 offset1:168
	ds_load_2addr_b64 v[10:13], v14 offset0:144 offset1:168
	v_add_nc_u32_e32 v5, 0x600, v5
	s_waitcnt lgkmcnt(0)
	v_fma_f64 v[1:2], -v[6:7], v[10:11], v[1:2]
	s_delay_alu instid0(VALU_DEP_1)
	v_fma_f64 v[1:2], -v[8:9], v[12:13], v[1:2]
	s_cbranch_scc0 .LBB96_32
; %bb.33:                               ;   in Loop: Header=BB96_29 Depth=1
	s_set_inst_prefetch_distance 0x2
	s_and_b32 s12, s6, 7
	s_delay_alu instid0(SALU_CYCLE_1)
	s_cmp_eq_u32 s12, 0
	s_cbranch_scc0 .LBB96_35
	s_branch .LBB96_28
.LBB96_34:                              ;   in Loop: Header=BB96_29 Depth=1
	s_mov_b32 s9, 0
	s_and_b32 s12, s6, 7
	s_delay_alu instid0(SALU_CYCLE_1)
	s_cmp_eq_u32 s12, 0
	s_cbranch_scc1 .LBB96_28
.LBB96_35:                              ;   in Loop: Header=BB96_29 Depth=1
	s_and_b32 s12, s8, 7
	s_mulk_i32 s9, 0xc0
.LBB96_36:                              ;   Parent Loop BB96_29 Depth=1
                                        ; =>  This Inner Loop Header: Depth=2
	s_delay_alu instid0(SALU_CYCLE_1)
	s_add_i32 s13, s5, s9
	v_add_nc_u32_e32 v5, s9, v3
	v_mov_b32_e32 v7, s13
	s_add_i32 s12, s12, -1
	s_addk_i32 s9, 0xc0
	s_cmp_lg_u32 s12, 0
	ds_load_b64 v[5:6], v5
	ds_load_b64 v[7:8], v7
	s_waitcnt lgkmcnt(0)
	v_fma_f64 v[1:2], -v[5:6], v[7:8], v[1:2]
	s_cbranch_scc1 .LBB96_36
	s_branch .LBB96_28
.LBB96_37:
	s_mov_b32 s4, 0
.LBB96_38:
	s_delay_alu instid0(SALU_CYCLE_1)
	s_and_b32 vcc_lo, exec_lo, s4
	s_cbranch_vccz .LBB96_58
; %bb.39:
	s_and_not1_b32 vcc_lo, exec_lo, s1
	s_mov_b32 s6, s30
	s_cbranch_vccnz .LBB96_45
; %bb.40:
	v_lshlrev_b32_e32 v1, 3, v0
	s_mul_i32 s4, s29, 0xc0
	s_mov_b32 s5, s30
	s_delay_alu instid0(VALU_DEP_1) | instskip(SKIP_1) | instid1(SALU_CYCLE_1)
	v_add3_u32 v9, s4, v1, 0xf00
	s_mul_i32 s4, s29, 0xc8
	s_addk_i32 s4, 0xfce0
.LBB96_41:                              ; =>This Loop Header: Depth=1
                                        ;     Child Loop BB96_42 Depth 2
	s_mul_i32 s8, s5, 24
	s_delay_alu instid0(VALU_DEP_1)
	v_mov_b32_e32 v13, v9
	s_sub_i32 s6, s8, 48
	s_sub_i32 s7, s8, 24
	v_add_lshl_u32 v10, s6, v0, 3
	v_add_lshl_u32 v11, s8, v0, 3
	v_add_lshl_u32 v12, s7, v0, 3
	s_cmp_le_i32 s30, s5
	s_mov_b32 s9, s4
	v_add_nc_u32_e32 v1, 0x1000, v10
	s_mov_b32 s12, s30
	ds_load_b64 v[7:8], v11 offset:4608
	ds_load_b64 v[5:6], v12 offset:4608
	ds_load_2addr_b64 v[1:4], v1 offset0:40 offset1:64
	s_cbranch_scc1 .LBB96_43
.LBB96_42:                              ;   Parent Loop BB96_41 Depth=1
                                        ; =>  This Inner Loop Header: Depth=2
	v_mov_b32_e32 v26, s9
	s_add_i32 s12, s12, -4
	s_addk_i32 s9, 0xfd00
	s_cmp_le_i32 s12, s5
	ds_load_2addr_b64 v[14:17], v13 offset0:48 offset1:72
	ds_load_2addr_b64 v[18:21], v26 offset0:74 offset1:75
	;; [unrolled: 1-line block ×3, first 2 shown]
	s_waitcnt lgkmcnt(1)
	v_fma_f64 v[20:21], -v[16:17], v[20:21], v[7:8]
	v_fma_f64 v[18:19], -v[16:17], v[18:19], v[5:6]
	s_waitcnt lgkmcnt(0)
	v_fma_f64 v[24:25], -v[16:17], v[24:25], v[3:4]
	v_fma_f64 v[16:17], -v[16:17], v[22:23], v[1:2]
	ds_load_2addr_b64 v[1:4], v26 offset0:50 offset1:51
	ds_load_2addr_b64 v[5:8], v26 offset0:48 offset1:49
	s_waitcnt lgkmcnt(1)
	v_fma_f64 v[20:21], -v[14:15], v[3:4], v[20:21]
	v_fma_f64 v[18:19], -v[14:15], v[1:2], v[18:19]
	s_waitcnt lgkmcnt(0)
	v_fma_f64 v[22:23], -v[14:15], v[7:8], v[24:25]
	v_fma_f64 v[24:25], -v[14:15], v[5:6], v[16:17]
	ds_load_2addr_b64 v[1:4], v13 offset1:24
	ds_load_2addr_b64 v[5:8], v26 offset0:26 offset1:27
	ds_load_2addr_b64 v[14:17], v26 offset0:24 offset1:25
	v_add_nc_u32_e32 v13, 0xfffffd00, v13
	s_waitcnt lgkmcnt(1)
	v_fma_f64 v[7:8], -v[3:4], v[7:8], v[20:21]
	v_fma_f64 v[18:19], -v[3:4], v[5:6], v[18:19]
	s_waitcnt lgkmcnt(0)
	v_fma_f64 v[20:21], -v[3:4], v[16:17], v[22:23]
	v_fma_f64 v[22:23], -v[3:4], v[14:15], v[24:25]
	ds_load_2addr_b64 v[3:6], v26 offset0:2 offset1:3
	ds_load_2addr_b64 v[14:17], v26 offset1:1
	s_waitcnt lgkmcnt(1)
	v_fma_f64 v[7:8], -v[1:2], v[5:6], v[7:8]
	v_fma_f64 v[5:6], -v[1:2], v[3:4], v[18:19]
	s_waitcnt lgkmcnt(0)
	v_fma_f64 v[3:4], -v[1:2], v[16:17], v[20:21]
	v_fma_f64 v[1:2], -v[1:2], v[14:15], v[22:23]
	s_cbranch_scc0 .LBB96_42
.LBB96_43:                              ;   in Loop: Header=BB96_41 Depth=1
	s_add_i32 s9, s5, s8
	s_sub_i32 s4, s4, 32
	s_lshl_b32 s9, s9, 3
	s_delay_alu instid0(SALU_CYCLE_1) | instskip(NEXT) | instid1(SALU_CYCLE_1)
	s_add_i32 s9, s9, -8
	v_dual_mov_b32 v14, s9 :: v_dual_add_nc_u32 v11, 0x1200, v11
	s_mul_i32 s9, s5, 0xc8
	s_delay_alu instid0(SALU_CYCLE_1) | instskip(NEXT) | instid1(SALU_CYCLE_1)
	s_add_i32 s12, s9, 0xffffff38
	v_dual_mov_b32 v18, s12 :: v_dual_add_nc_u32 v13, 0x1200, v10
	ds_load_2addr_b64 v[14:17], v14 offset1:1
	s_add_i32 s12, s5, -3
	v_add_nc_u32_e32 v10, 0x1140, v10
	s_add_i32 s8, s8, s12
	ds_load_b64 v[18:19], v18
	s_lshl_b32 s8, s8, 3
	v_add_nc_u32_e32 v12, 0x1200, v12
	s_add_i32 s7, s7, s12
	s_add_i32 s6, s6, s12
	s_lshl_b32 s7, s7, 3
	s_lshl_b32 s6, s6, 3
	s_waitcnt lgkmcnt(1)
	v_div_scale_f64 v[20:21], null, v[16:17], v[16:17], v[7:8]
	v_div_scale_f64 v[26:27], vcc_lo, v[7:8], v[16:17], v[7:8]
	s_delay_alu instid0(VALU_DEP_2) | instskip(SKIP_2) | instid1(VALU_DEP_1)
	v_rcp_f64_e32 v[22:23], v[20:21]
	s_waitcnt_depctr 0xfff
	v_fma_f64 v[24:25], -v[20:21], v[22:23], 1.0
	v_fma_f64 v[22:23], v[22:23], v[24:25], v[22:23]
	s_delay_alu instid0(VALU_DEP_1) | instskip(NEXT) | instid1(VALU_DEP_1)
	v_fma_f64 v[24:25], -v[20:21], v[22:23], 1.0
	v_fma_f64 v[22:23], v[22:23], v[24:25], v[22:23]
	s_delay_alu instid0(VALU_DEP_1) | instskip(NEXT) | instid1(VALU_DEP_1)
	v_mul_f64 v[24:25], v[26:27], v[22:23]
	v_fma_f64 v[20:21], -v[20:21], v[24:25], v[26:27]
	s_delay_alu instid0(VALU_DEP_1) | instskip(NEXT) | instid1(VALU_DEP_1)
	v_div_fmas_f64 v[20:21], v[20:21], v[22:23], v[24:25]
	v_div_fixup_f64 v[20:21], v[20:21], v[16:17], v[7:8]
	s_delay_alu instid0(VALU_DEP_1) | instskip(SKIP_1) | instid1(VALU_DEP_1)
	v_fma_f64 v[22:23], -v[20:21], v[14:15], v[5:6]
	s_waitcnt lgkmcnt(0)
	v_div_scale_f64 v[5:6], null, v[18:19], v[18:19], v[22:23]
	v_div_scale_f64 v[16:17], vcc_lo, v[22:23], v[18:19], v[22:23]
	s_delay_alu instid0(VALU_DEP_2) | instskip(SKIP_2) | instid1(VALU_DEP_1)
	v_rcp_f64_e32 v[7:8], v[5:6]
	s_waitcnt_depctr 0xfff
	v_fma_f64 v[14:15], -v[5:6], v[7:8], 1.0
	v_fma_f64 v[7:8], v[7:8], v[14:15], v[7:8]
	s_delay_alu instid0(VALU_DEP_1) | instskip(NEXT) | instid1(VALU_DEP_1)
	v_fma_f64 v[14:15], -v[5:6], v[7:8], 1.0
	v_fma_f64 v[7:8], v[7:8], v[14:15], v[7:8]
	s_delay_alu instid0(VALU_DEP_1) | instskip(NEXT) | instid1(VALU_DEP_1)
	v_mul_f64 v[14:15], v[16:17], v[7:8]
	v_fma_f64 v[5:6], -v[5:6], v[14:15], v[16:17]
	s_delay_alu instid0(VALU_DEP_1)
	v_div_fmas_f64 v[24:25], v[5:6], v[7:8], v[14:15]
	v_dual_mov_b32 v5, s8 :: v_dual_mov_b32 v14, s7
	ds_load_2addr_b64 v[5:8], v5 offset1:1
	ds_load_2addr_b64 v[14:17], v14 offset1:1
	s_waitcnt lgkmcnt(1)
	v_fma_f64 v[3:4], -v[20:21], v[7:8], v[3:4]
	v_fma_f64 v[1:2], -v[20:21], v[5:6], v[1:2]
	v_div_fixup_f64 v[7:8], v[24:25], v[18:19], v[22:23]
	s_waitcnt lgkmcnt(0)
	s_delay_alu instid0(VALU_DEP_1) | instskip(SKIP_2) | instid1(VALU_DEP_4)
	v_fma_f64 v[3:4], -v[7:8], v[16:17], v[3:4]
	v_mov_b32_e32 v16, s6
	s_add_i32 s6, s9, 0xfffffda8
	v_fma_f64 v[1:2], -v[7:8], v[14:15], v[1:2]
	v_mov_b32_e32 v22, s6
	s_add_i32 s6, s5, -4
	ds_load_2addr_b64 v[16:19], v16 offset1:1
	s_cmp_lt_i32 s5, 7
	ds_load_b64 v[22:23], v22
	s_waitcnt lgkmcnt(1)
	v_div_scale_f64 v[24:25], null, v[18:19], v[18:19], v[3:4]
	v_div_scale_f64 v[30:31], vcc_lo, v[3:4], v[18:19], v[3:4]
	s_delay_alu instid0(VALU_DEP_2) | instskip(SKIP_2) | instid1(VALU_DEP_1)
	v_rcp_f64_e32 v[26:27], v[24:25]
	s_waitcnt_depctr 0xfff
	v_fma_f64 v[28:29], -v[24:25], v[26:27], 1.0
	v_fma_f64 v[26:27], v[26:27], v[28:29], v[26:27]
	s_delay_alu instid0(VALU_DEP_1) | instskip(NEXT) | instid1(VALU_DEP_1)
	v_fma_f64 v[28:29], -v[24:25], v[26:27], 1.0
	v_fma_f64 v[26:27], v[26:27], v[28:29], v[26:27]
	s_delay_alu instid0(VALU_DEP_1) | instskip(NEXT) | instid1(VALU_DEP_1)
	v_mul_f64 v[28:29], v[30:31], v[26:27]
	v_fma_f64 v[24:25], -v[24:25], v[28:29], v[30:31]
	s_delay_alu instid0(VALU_DEP_1) | instskip(NEXT) | instid1(VALU_DEP_1)
	v_div_fmas_f64 v[5:6], v[24:25], v[26:27], v[28:29]
	v_div_fixup_f64 v[3:4], v[5:6], v[18:19], v[3:4]
	s_delay_alu instid0(VALU_DEP_1) | instskip(SKIP_1) | instid1(VALU_DEP_1)
	v_fma_f64 v[1:2], -v[3:4], v[16:17], v[1:2]
	s_waitcnt lgkmcnt(0)
	v_div_scale_f64 v[5:6], null, v[22:23], v[22:23], v[1:2]
	s_delay_alu instid0(VALU_DEP_1) | instskip(SKIP_2) | instid1(VALU_DEP_1)
	v_rcp_f64_e32 v[14:15], v[5:6]
	s_waitcnt_depctr 0xfff
	v_fma_f64 v[16:17], -v[5:6], v[14:15], 1.0
	v_fma_f64 v[14:15], v[14:15], v[16:17], v[14:15]
	s_delay_alu instid0(VALU_DEP_1) | instskip(NEXT) | instid1(VALU_DEP_1)
	v_fma_f64 v[16:17], -v[5:6], v[14:15], 1.0
	v_fma_f64 v[14:15], v[14:15], v[16:17], v[14:15]
	v_div_scale_f64 v[16:17], vcc_lo, v[1:2], v[22:23], v[1:2]
	s_delay_alu instid0(VALU_DEP_1) | instskip(NEXT) | instid1(VALU_DEP_1)
	v_mul_f64 v[18:19], v[16:17], v[14:15]
	v_fma_f64 v[5:6], -v[5:6], v[18:19], v[16:17]
	s_delay_alu instid0(VALU_DEP_1) | instskip(NEXT) | instid1(VALU_DEP_1)
	v_div_fmas_f64 v[5:6], v[5:6], v[14:15], v[18:19]
	v_div_fixup_f64 v[1:2], v[5:6], v[22:23], v[1:2]
	ds_store_b64 v11, v[20:21]
	ds_store_b64 v12, v[7:8]
	;; [unrolled: 1-line block ×4, first 2 shown]
	s_cbranch_scc1 .LBB96_45
; %bb.44:                               ;   in Loop: Header=BB96_41 Depth=1
	s_mov_b32 s5, s6
	s_branch .LBB96_41
.LBB96_45:
	s_cmp_lt_i32 s6, 0
	s_cbranch_scc1 .LBB96_58
; %bb.46:
	s_bitcmp1_b32 s6, 0
	s_cselect_b32 s4, -1, 0
	s_delay_alu instid0(SALU_CYCLE_1)
	s_and_b32 vcc_lo, exec_lo, s4
	s_mov_b32 s4, s6
	s_cbranch_vccnz .LBB96_51
; %bb.47:
	s_mul_i32 s4, s6, 24
	s_cmp_le_i32 s30, s6
	v_add_lshl_u32 v3, s4, v0, 3
	ds_load_b64 v[1:2], v3 offset:4608
	s_cbranch_scc1 .LBB96_50
; %bb.48:
	v_lshlrev_b32_e32 v4, 3, v0
	s_mul_i32 s4, s29, 0xc0
	s_lshl_b32 s5, s6, 3
	s_delay_alu instid0(SALU_CYCLE_1) | instskip(NEXT) | instid1(VALU_DEP_1)
	s_add_i32 s5, s4, s5
	v_add3_u32 v4, s4, v4, 0x1140
	s_add_i32 s4, s5, 0xffffff40
	s_mov_b32 s5, s30
.LBB96_49:                              ; =>This Inner Loop Header: Depth=1
	v_mov_b32_e32 v7, s4
	s_add_i32 s5, s5, -1
	s_addk_i32 s4, 0xff40
	s_cmp_gt_i32 s5, s6
	ds_load_b64 v[5:6], v4
	ds_load_b64 v[7:8], v7
	v_add_nc_u32_e32 v4, 0xffffff40, v4
	s_waitcnt lgkmcnt(0)
	v_fma_f64 v[1:2], -v[5:6], v[7:8], v[1:2]
	s_cbranch_scc1 .LBB96_49
.LBB96_50:
	s_mul_i32 s4, s6, 0xc8
	s_delay_alu instid0(SALU_CYCLE_1) | instskip(SKIP_4) | instid1(VALU_DEP_1)
	v_dual_mov_b32 v4, s4 :: v_dual_add_nc_u32 v3, 0x1200, v3
	s_add_i32 s4, s6, -1
	ds_load_b64 v[4:5], v4
	s_waitcnt lgkmcnt(0)
	v_div_scale_f64 v[6:7], null, v[4:5], v[4:5], v[1:2]
	v_rcp_f64_e32 v[8:9], v[6:7]
	s_waitcnt_depctr 0xfff
	v_fma_f64 v[10:11], -v[6:7], v[8:9], 1.0
	s_delay_alu instid0(VALU_DEP_1) | instskip(NEXT) | instid1(VALU_DEP_1)
	v_fma_f64 v[8:9], v[8:9], v[10:11], v[8:9]
	v_fma_f64 v[10:11], -v[6:7], v[8:9], 1.0
	s_delay_alu instid0(VALU_DEP_1) | instskip(SKIP_1) | instid1(VALU_DEP_1)
	v_fma_f64 v[8:9], v[8:9], v[10:11], v[8:9]
	v_div_scale_f64 v[10:11], vcc_lo, v[1:2], v[4:5], v[1:2]
	v_mul_f64 v[12:13], v[10:11], v[8:9]
	s_delay_alu instid0(VALU_DEP_1) | instskip(NEXT) | instid1(VALU_DEP_1)
	v_fma_f64 v[6:7], -v[6:7], v[12:13], v[10:11]
	v_div_fmas_f64 v[6:7], v[6:7], v[8:9], v[12:13]
	s_delay_alu instid0(VALU_DEP_1)
	v_div_fixup_f64 v[1:2], v[6:7], v[4:5], v[1:2]
	ds_store_b64 v3, v[1:2]
.LBB96_51:
	s_cmp_eq_u32 s6, 0
	s_cbranch_scc1 .LBB96_58
; %bb.52:
	v_lshlrev_b32_e32 v1, 3, v0
	s_mul_i32 s5, s29, 0xc0
	s_lshl_b32 s6, s4, 3
	s_delay_alu instid0(SALU_CYCLE_1) | instskip(NEXT) | instid1(VALU_DEP_1)
	s_add_i32 s6, s5, s6
	v_add3_u32 v5, s5, v1, 0x1140
	s_add_i32 s5, s6, 0xffffff40
	s_addk_i32 s6, 0xff38
	s_branch .LBB96_54
.LBB96_53:                              ;   in Loop: Header=BB96_54 Depth=1
	s_addk_i32 s7, 0xff38
	s_add_i32 s5, s5, -16
	v_mov_b32_e32 v1, s7
	s_add_i32 s7, s4, -2
	s_add_i32 s6, s6, -16
	s_cmp_lt_i32 s4, 2
	s_mov_b32 s4, s7
	ds_load_b64 v[1:2], v1
	s_waitcnt lgkmcnt(0)
	v_div_scale_f64 v[7:8], null, v[1:2], v[1:2], v[3:4]
	s_delay_alu instid0(VALU_DEP_1) | instskip(SKIP_2) | instid1(VALU_DEP_1)
	v_rcp_f64_e32 v[9:10], v[7:8]
	s_waitcnt_depctr 0xfff
	v_fma_f64 v[11:12], -v[7:8], v[9:10], 1.0
	v_fma_f64 v[9:10], v[9:10], v[11:12], v[9:10]
	s_delay_alu instid0(VALU_DEP_1) | instskip(NEXT) | instid1(VALU_DEP_1)
	v_fma_f64 v[11:12], -v[7:8], v[9:10], 1.0
	v_fma_f64 v[9:10], v[9:10], v[11:12], v[9:10]
	v_div_scale_f64 v[11:12], vcc_lo, v[3:4], v[1:2], v[3:4]
	s_delay_alu instid0(VALU_DEP_1) | instskip(NEXT) | instid1(VALU_DEP_1)
	v_mul_f64 v[13:14], v[11:12], v[9:10]
	v_fma_f64 v[7:8], -v[7:8], v[13:14], v[11:12]
	s_delay_alu instid0(VALU_DEP_1) | instskip(NEXT) | instid1(VALU_DEP_1)
	v_div_fmas_f64 v[7:8], v[7:8], v[9:10], v[13:14]
	v_div_fixup_f64 v[1:2], v[7:8], v[1:2], v[3:4]
	ds_store_b64 v6, v[1:2]
	s_cbranch_scc1 .LBB96_58
.LBB96_54:                              ; =>This Loop Header: Depth=1
                                        ;     Child Loop BB96_55 Depth 2
                                        ;     Child Loop BB96_57 Depth 2
	s_mul_i32 s7, s4, 24
	v_mov_b32_e32 v4, v5
	v_add_lshl_u32 v3, s7, v0, 3
	s_cmp_le_i32 s30, s4
	s_mov_b32 s7, s5
	s_mov_b32 s8, s30
	ds_load_b64 v[1:2], v3 offset:4608
	s_cbranch_scc1 .LBB96_56
.LBB96_55:                              ;   Parent Loop BB96_54 Depth=1
                                        ; =>  This Inner Loop Header: Depth=2
	v_mov_b32_e32 v8, s7
	s_add_i32 s8, s8, -1
	s_addk_i32 s7, 0xff40
	s_cmp_le_i32 s8, s4
	ds_load_b64 v[6:7], v4
	ds_load_b64 v[8:9], v8
	v_add_nc_u32_e32 v4, 0xffffff40, v4
	s_waitcnt lgkmcnt(0)
	v_fma_f64 v[1:2], -v[6:7], v[8:9], v[1:2]
	s_cbranch_scc0 .LBB96_55
.LBB96_56:                              ;   in Loop: Header=BB96_54 Depth=1
	s_mul_i32 s7, s4, 0xc8
	v_add_nc_u32_e32 v7, 0x1200, v3
	v_mov_b32_e32 v3, s7
	s_cmp_lt_i32 s30, s4
	s_mov_b32 s8, s6
	s_mov_b32 s9, s29
	v_add_nc_u32_e32 v6, 0xffffff40, v7
	ds_load_b64 v[8:9], v3
	ds_load_b64 v[3:4], v6
	s_waitcnt lgkmcnt(1)
	v_div_scale_f64 v[10:11], null, v[8:9], v[8:9], v[1:2]
	s_delay_alu instid0(VALU_DEP_1) | instskip(SKIP_2) | instid1(VALU_DEP_1)
	v_rcp_f64_e32 v[12:13], v[10:11]
	s_waitcnt_depctr 0xfff
	v_fma_f64 v[14:15], -v[10:11], v[12:13], 1.0
	v_fma_f64 v[12:13], v[12:13], v[14:15], v[12:13]
	s_delay_alu instid0(VALU_DEP_1) | instskip(NEXT) | instid1(VALU_DEP_1)
	v_fma_f64 v[14:15], -v[10:11], v[12:13], 1.0
	v_fma_f64 v[12:13], v[12:13], v[14:15], v[12:13]
	v_div_scale_f64 v[14:15], vcc_lo, v[1:2], v[8:9], v[1:2]
	s_delay_alu instid0(VALU_DEP_1) | instskip(NEXT) | instid1(VALU_DEP_1)
	v_mul_f64 v[16:17], v[14:15], v[12:13]
	v_fma_f64 v[10:11], -v[10:11], v[16:17], v[14:15]
	s_delay_alu instid0(VALU_DEP_1) | instskip(NEXT) | instid1(VALU_DEP_1)
	v_div_fmas_f64 v[10:11], v[10:11], v[12:13], v[16:17]
	v_div_fixup_f64 v[8:9], v[10:11], v[8:9], v[1:2]
	v_mov_b32_e32 v1, v5
	ds_store_b64 v7, v[8:9]
	s_cbranch_scc1 .LBB96_53
.LBB96_57:                              ;   Parent Loop BB96_54 Depth=1
                                        ; =>  This Inner Loop Header: Depth=2
	v_mov_b32_e32 v2, s8
	s_add_i32 s9, s9, -1
	s_addk_i32 s8, 0xff40
	s_cmp_gt_i32 s9, s4
	ds_load_b64 v[7:8], v1
	ds_load_b64 v[9:10], v2
	v_add_nc_u32_e32 v1, 0xffffff40, v1
	s_waitcnt lgkmcnt(0)
	v_fma_f64 v[3:4], -v[7:8], v[9:10], v[3:4]
	s_cbranch_scc1 .LBB96_57
	s_branch .LBB96_53
.LBB96_58:
	s_mov_b32 s4, 0
.LBB96_59:
	s_delay_alu instid0(SALU_CYCLE_1)
	s_and_not1_b32 vcc_lo, exec_lo, s4
	s_cbranch_vccnz .LBB96_79
; %bb.60:
	s_and_not1_b32 vcc_lo, exec_lo, s1
	s_mov_b32 s5, s30
	s_cbranch_vccnz .LBB96_66
; %bb.61:
	v_lshlrev_b32_e32 v1, 3, v0
	s_mul_i32 s1, s29, 0xc0
	s_mul_i32 s4, s29, 0xc8
	s_delay_alu instid0(VALU_DEP_1)
	v_add3_u32 v9, s1, v1, 0xf00
	s_add_i32 s1, s4, 0xfffffce0
	s_mov_b32 s4, s30
.LBB96_62:                              ; =>This Loop Header: Depth=1
                                        ;     Child Loop BB96_63 Depth 2
	s_delay_alu instid0(SALU_CYCLE_1) | instskip(NEXT) | instid1(VALU_DEP_1)
	s_mul_i32 s5, s4, 24
	v_mov_b32_e32 v14, v9
	s_sub_i32 s7, s5, 24
	v_add_lshl_u32 v10, s5, v0, 3
	s_sub_i32 s6, s5, 48
	v_add_lshl_u32 v11, s7, v0, 3
	s_addk_i32 s5, 0xffb8
	v_add_lshl_u32 v12, s6, v0, 3
	v_add_lshl_u32 v13, s5, v0, 3
	ds_load_b64 v[7:8], v10 offset:4608
	ds_load_b64 v[5:6], v11 offset:4608
	;; [unrolled: 1-line block ×4, first 2 shown]
	s_cmp_le_i32 s30, s4
	s_mov_b32 s7, s1
	s_mov_b32 s8, s30
	s_cbranch_scc1 .LBB96_64
.LBB96_63:                              ;   Parent Loop BB96_62 Depth=1
                                        ; =>  This Inner Loop Header: Depth=2
	v_mov_b32_e32 v47, s7
	s_add_i32 s8, s8, -4
	s_sub_i32 s7, s7, 32
	s_cmp_le_i32 s8, s4
	ds_load_2addr_b64 v[15:18], v14 offset0:48 offset1:72
	ds_load_2addr_b64 v[19:22], v47 offset0:74 offset1:75
	;; [unrolled: 1-line block ×8, first 2 shown]
	ds_load_2addr_b64 v[47:50], v47 offset1:1
	s_waitcnt lgkmcnt(7)
	v_fma_f64 v[7:8], -v[17:18], v[21:22], v[7:8]
	s_waitcnt lgkmcnt(6)
	v_fma_f64 v[5:6], -v[17:18], v[25:26], v[5:6]
	;; [unrolled: 2-line block ×4, first 2 shown]
	s_delay_alu instid0(VALU_DEP_4) | instskip(NEXT) | instid1(VALU_DEP_4)
	v_fma_f64 v[7:8], -v[15:16], v[19:20], v[7:8]
	v_fma_f64 v[5:6], -v[15:16], v[23:24], v[5:6]
	s_delay_alu instid0(VALU_DEP_4) | instskip(NEXT) | instid1(VALU_DEP_4)
	v_fma_f64 v[17:18], -v[15:16], v[27:28], v[3:4]
	v_fma_f64 v[15:16], -v[15:16], v[31:32], v[1:2]
	ds_load_2addr_b64 v[1:4], v14 offset1:24
	v_add_nc_u32_e32 v14, 0xfffffd00, v14
	s_waitcnt lgkmcnt(0)
	v_fma_f64 v[7:8], -v[3:4], v[37:38], v[7:8]
	v_fma_f64 v[5:6], -v[3:4], v[41:42], v[5:6]
	;; [unrolled: 1-line block ×4, first 2 shown]
	s_delay_alu instid0(VALU_DEP_4) | instskip(NEXT) | instid1(VALU_DEP_4)
	v_fma_f64 v[7:8], -v[1:2], v[35:36], v[7:8]
	v_fma_f64 v[5:6], -v[1:2], v[39:40], v[5:6]
	s_delay_alu instid0(VALU_DEP_4) | instskip(NEXT) | instid1(VALU_DEP_4)
	v_fma_f64 v[3:4], -v[1:2], v[43:44], v[17:18]
	v_fma_f64 v[1:2], -v[1:2], v[47:48], v[15:16]
	s_cbranch_scc0 .LBB96_63
.LBB96_64:                              ;   in Loop: Header=BB96_62 Depth=1
	s_mul_i32 s7, s4, 0xc8
	s_delay_alu instid0(SALU_CYCLE_1)
	v_dual_mov_b32 v14, s7 :: v_dual_add_nc_u32 v11, 0x1200, v11
	s_add_i32 s8, s7, 0xffffff38
	v_add_nc_u32_e32 v13, 0x1200, v13
	s_add_i32 s6, s6, s4
	s_add_i32 s5, s4, s5
	ds_load_b64 v[18:19], v14
	v_mov_b32_e32 v14, s8
	s_lshl_b32 s6, s6, 3
	v_add_nc_u32_e32 v10, 0x1200, v10
	s_lshl_b32 s5, s5, 3
	s_addk_i32 s1, 0xfd00
	ds_load_2addr_b64 v[14:17], v14 offset1:1
	s_add_i32 s5, s5, -8
	s_waitcnt lgkmcnt(1)
	v_div_scale_f64 v[20:21], null, v[18:19], v[18:19], v[7:8]
	v_div_scale_f64 v[26:27], vcc_lo, v[7:8], v[18:19], v[7:8]
	s_delay_alu instid0(VALU_DEP_2) | instskip(SKIP_2) | instid1(VALU_DEP_1)
	v_rcp_f64_e32 v[22:23], v[20:21]
	s_waitcnt_depctr 0xfff
	v_fma_f64 v[24:25], -v[20:21], v[22:23], 1.0
	v_fma_f64 v[22:23], v[22:23], v[24:25], v[22:23]
	s_delay_alu instid0(VALU_DEP_1) | instskip(NEXT) | instid1(VALU_DEP_1)
	v_fma_f64 v[24:25], -v[20:21], v[22:23], 1.0
	v_fma_f64 v[22:23], v[22:23], v[24:25], v[22:23]
	s_delay_alu instid0(VALU_DEP_1) | instskip(NEXT) | instid1(VALU_DEP_1)
	v_mul_f64 v[24:25], v[26:27], v[22:23]
	v_fma_f64 v[20:21], -v[20:21], v[24:25], v[26:27]
	s_delay_alu instid0(VALU_DEP_1) | instskip(NEXT) | instid1(VALU_DEP_1)
	v_div_fmas_f64 v[20:21], v[20:21], v[22:23], v[24:25]
	v_div_fixup_f64 v[22:23], v[20:21], v[18:19], v[7:8]
	s_waitcnt lgkmcnt(0)
	s_delay_alu instid0(VALU_DEP_1) | instskip(NEXT) | instid1(VALU_DEP_1)
	v_fma_f64 v[16:17], -v[22:23], v[16:17], v[5:6]
	v_div_scale_f64 v[5:6], null, v[14:15], v[14:15], v[16:17]
	v_div_scale_f64 v[20:21], vcc_lo, v[16:17], v[14:15], v[16:17]
	s_delay_alu instid0(VALU_DEP_2) | instskip(SKIP_2) | instid1(VALU_DEP_1)
	v_rcp_f64_e32 v[7:8], v[5:6]
	s_waitcnt_depctr 0xfff
	v_fma_f64 v[18:19], -v[5:6], v[7:8], 1.0
	v_fma_f64 v[7:8], v[7:8], v[18:19], v[7:8]
	s_delay_alu instid0(VALU_DEP_1) | instskip(NEXT) | instid1(VALU_DEP_1)
	v_fma_f64 v[18:19], -v[5:6], v[7:8], 1.0
	v_fma_f64 v[7:8], v[7:8], v[18:19], v[7:8]
	s_delay_alu instid0(VALU_DEP_1) | instskip(NEXT) | instid1(VALU_DEP_1)
	v_mul_f64 v[18:19], v[20:21], v[7:8]
	v_fma_f64 v[5:6], -v[5:6], v[18:19], v[20:21]
	s_delay_alu instid0(VALU_DEP_1)
	v_div_fmas_f64 v[18:19], v[5:6], v[7:8], v[18:19]
	v_mov_b32_e32 v5, s6
	s_add_i32 s6, s7, 0xfffffe70
	v_add_nc_u32_e32 v12, 0x1200, v12
	ds_load_b64 v[20:21], v5
	v_mov_b32_e32 v5, s6
	ds_load_2addr_b64 v[5:8], v5 offset1:1
	s_waitcnt lgkmcnt(1)
	v_fma_f64 v[3:4], -v[22:23], v[20:21], v[3:4]
	v_div_fixup_f64 v[24:25], v[18:19], v[14:15], v[16:17]
	s_waitcnt lgkmcnt(0)
	s_delay_alu instid0(VALU_DEP_1) | instskip(NEXT) | instid1(VALU_DEP_1)
	v_fma_f64 v[3:4], -v[24:25], v[7:8], v[3:4]
	v_div_scale_f64 v[7:8], null, v[5:6], v[5:6], v[3:4]
	v_div_scale_f64 v[18:19], vcc_lo, v[3:4], v[5:6], v[3:4]
	s_delay_alu instid0(VALU_DEP_2) | instskip(SKIP_2) | instid1(VALU_DEP_1)
	v_rcp_f64_e32 v[14:15], v[7:8]
	s_waitcnt_depctr 0xfff
	v_fma_f64 v[16:17], -v[7:8], v[14:15], 1.0
	v_fma_f64 v[14:15], v[14:15], v[16:17], v[14:15]
	s_delay_alu instid0(VALU_DEP_1) | instskip(NEXT) | instid1(VALU_DEP_1)
	v_fma_f64 v[16:17], -v[7:8], v[14:15], 1.0
	v_fma_f64 v[26:27], v[14:15], v[16:17], v[14:15]
	v_mov_b32_e32 v14, s5
	s_add_i32 s5, s7, 0xfffffda8
	ds_load_2addr_b64 v[14:17], v14 offset1:1
	v_mul_f64 v[28:29], v[18:19], v[26:27]
	s_delay_alu instid0(VALU_DEP_1)
	v_fma_f64 v[7:8], -v[7:8], v[28:29], v[18:19]
	v_mov_b32_e32 v18, s5
	s_add_i32 s5, s4, -4
	s_cmp_lt_i32 s4, 7
	ds_load_2addr_b64 v[18:21], v18 offset1:1
	s_waitcnt lgkmcnt(1)
	v_fma_f64 v[1:2], -v[22:23], v[16:17], v[1:2]
	v_div_fmas_f64 v[7:8], v[7:8], v[26:27], v[28:29]
	s_delay_alu instid0(VALU_DEP_2) | instskip(NEXT) | instid1(VALU_DEP_2)
	v_fma_f64 v[1:2], -v[24:25], v[14:15], v[1:2]
	v_div_fixup_f64 v[3:4], v[7:8], v[5:6], v[3:4]
	s_waitcnt lgkmcnt(0)
	s_delay_alu instid0(VALU_DEP_1) | instskip(NEXT) | instid1(VALU_DEP_1)
	v_fma_f64 v[1:2], -v[3:4], v[20:21], v[1:2]
	v_div_scale_f64 v[5:6], null, v[18:19], v[18:19], v[1:2]
	s_delay_alu instid0(VALU_DEP_1) | instskip(SKIP_2) | instid1(VALU_DEP_1)
	v_rcp_f64_e32 v[7:8], v[5:6]
	s_waitcnt_depctr 0xfff
	v_fma_f64 v[14:15], -v[5:6], v[7:8], 1.0
	v_fma_f64 v[7:8], v[7:8], v[14:15], v[7:8]
	s_delay_alu instid0(VALU_DEP_1) | instskip(NEXT) | instid1(VALU_DEP_1)
	v_fma_f64 v[14:15], -v[5:6], v[7:8], 1.0
	v_fma_f64 v[7:8], v[7:8], v[14:15], v[7:8]
	v_div_scale_f64 v[14:15], vcc_lo, v[1:2], v[18:19], v[1:2]
	s_delay_alu instid0(VALU_DEP_1) | instskip(NEXT) | instid1(VALU_DEP_1)
	v_mul_f64 v[16:17], v[14:15], v[7:8]
	v_fma_f64 v[5:6], -v[5:6], v[16:17], v[14:15]
	s_delay_alu instid0(VALU_DEP_1) | instskip(NEXT) | instid1(VALU_DEP_1)
	v_div_fmas_f64 v[5:6], v[5:6], v[7:8], v[16:17]
	v_div_fixup_f64 v[1:2], v[5:6], v[18:19], v[1:2]
	ds_store_b64 v10, v[22:23]
	ds_store_b64 v11, v[24:25]
	;; [unrolled: 1-line block ×4, first 2 shown]
	s_cbranch_scc1 .LBB96_66
; %bb.65:                               ;   in Loop: Header=BB96_62 Depth=1
	s_mov_b32 s4, s5
	s_branch .LBB96_62
.LBB96_66:
	s_cmp_lt_i32 s5, 0
	s_cbranch_scc1 .LBB96_79
; %bb.67:
	s_bitcmp1_b32 s5, 0
	s_cselect_b32 s1, -1, 0
	s_delay_alu instid0(SALU_CYCLE_1)
	s_and_b32 vcc_lo, exec_lo, s1
	s_mov_b32 s1, s5
	s_cbranch_vccnz .LBB96_72
; %bb.68:
	s_mul_i32 s1, s5, 24
	s_cmp_le_i32 s30, s5
	v_add_lshl_u32 v3, s1, v0, 3
	ds_load_b64 v[1:2], v3 offset:4608
	s_cbranch_scc1 .LBB96_71
; %bb.69:
	v_lshlrev_b32_e32 v4, 3, v0
	s_mul_i32 s6, s29, 0xc0
	s_mul_i32 s1, s5, 0xc0
	s_lshl_b32 s4, s29, 3
	s_delay_alu instid0(SALU_CYCLE_1)
	s_add_i32 s1, s1, s4
	v_add3_u32 v4, s6, v4, 0x1140
	s_add_i32 s1, s1, -8
	s_mov_b32 s4, s30
.LBB96_70:                              ; =>This Inner Loop Header: Depth=1
	v_mov_b32_e32 v7, s1
	s_add_i32 s4, s4, -1
	s_add_i32 s1, s1, -8
	s_cmp_gt_i32 s4, s5
	ds_load_b64 v[5:6], v4
	ds_load_b64 v[7:8], v7
	v_add_nc_u32_e32 v4, 0xffffff40, v4
	s_waitcnt lgkmcnt(0)
	v_fma_f64 v[1:2], -v[5:6], v[7:8], v[1:2]
	s_cbranch_scc1 .LBB96_70
.LBB96_71:
	s_mul_i32 s1, s5, 0xc8
	s_delay_alu instid0(SALU_CYCLE_1) | instskip(SKIP_4) | instid1(VALU_DEP_1)
	v_dual_mov_b32 v4, s1 :: v_dual_add_nc_u32 v3, 0x1200, v3
	s_add_i32 s1, s5, -1
	ds_load_b64 v[4:5], v4
	s_waitcnt lgkmcnt(0)
	v_div_scale_f64 v[6:7], null, v[4:5], v[4:5], v[1:2]
	v_rcp_f64_e32 v[8:9], v[6:7]
	s_waitcnt_depctr 0xfff
	v_fma_f64 v[10:11], -v[6:7], v[8:9], 1.0
	s_delay_alu instid0(VALU_DEP_1) | instskip(NEXT) | instid1(VALU_DEP_1)
	v_fma_f64 v[8:9], v[8:9], v[10:11], v[8:9]
	v_fma_f64 v[10:11], -v[6:7], v[8:9], 1.0
	s_delay_alu instid0(VALU_DEP_1) | instskip(SKIP_1) | instid1(VALU_DEP_1)
	v_fma_f64 v[8:9], v[8:9], v[10:11], v[8:9]
	v_div_scale_f64 v[10:11], vcc_lo, v[1:2], v[4:5], v[1:2]
	v_mul_f64 v[12:13], v[10:11], v[8:9]
	s_delay_alu instid0(VALU_DEP_1) | instskip(NEXT) | instid1(VALU_DEP_1)
	v_fma_f64 v[6:7], -v[6:7], v[12:13], v[10:11]
	v_div_fmas_f64 v[6:7], v[6:7], v[8:9], v[12:13]
	s_delay_alu instid0(VALU_DEP_1)
	v_div_fixup_f64 v[1:2], v[6:7], v[4:5], v[1:2]
	ds_store_b64 v3, v[1:2]
.LBB96_72:
	s_cmp_eq_u32 s5, 0
	s_cbranch_scc1 .LBB96_79
; %bb.73:
	v_lshlrev_b32_e32 v1, 3, v0
	s_mul_i32 s6, s29, 0xc0
	s_mul_i32 s4, s1, 0xc0
	s_lshl_b32 s5, s29, 3
	s_delay_alu instid0(SALU_CYCLE_1)
	s_add_i32 s5, s4, s5
	v_add3_u32 v5, s6, v1, 0x1140
	s_add_i32 s4, s5, -8
	s_addk_i32 s5, 0xff38
	s_branch .LBB96_75
.LBB96_74:                              ;   in Loop: Header=BB96_75 Depth=1
	s_addk_i32 s6, 0xff38
	s_delay_alu instid0(SALU_CYCLE_1)
	v_dual_mov_b32 v2, s6 :: v_dual_add_nc_u32 v1, 0x1200, v6
	s_add_i32 s6, s1, -2
	s_addk_i32 s4, 0xfe80
	s_addk_i32 s5, 0xfe80
	s_cmp_lt_i32 s1, 2
	ds_load_b64 v[6:7], v2
	s_mov_b32 s1, s6
	s_waitcnt lgkmcnt(0)
	v_div_scale_f64 v[8:9], null, v[6:7], v[6:7], v[3:4]
	s_delay_alu instid0(VALU_DEP_1) | instskip(SKIP_2) | instid1(VALU_DEP_1)
	v_rcp_f64_e32 v[10:11], v[8:9]
	s_waitcnt_depctr 0xfff
	v_fma_f64 v[12:13], -v[8:9], v[10:11], 1.0
	v_fma_f64 v[10:11], v[10:11], v[12:13], v[10:11]
	s_delay_alu instid0(VALU_DEP_1) | instskip(NEXT) | instid1(VALU_DEP_1)
	v_fma_f64 v[12:13], -v[8:9], v[10:11], 1.0
	v_fma_f64 v[10:11], v[10:11], v[12:13], v[10:11]
	v_div_scale_f64 v[12:13], vcc_lo, v[3:4], v[6:7], v[3:4]
	s_delay_alu instid0(VALU_DEP_1) | instskip(NEXT) | instid1(VALU_DEP_1)
	v_mul_f64 v[14:15], v[12:13], v[10:11]
	v_fma_f64 v[8:9], -v[8:9], v[14:15], v[12:13]
	s_delay_alu instid0(VALU_DEP_1) | instskip(NEXT) | instid1(VALU_DEP_1)
	v_div_fmas_f64 v[8:9], v[8:9], v[10:11], v[14:15]
	v_div_fixup_f64 v[2:3], v[8:9], v[6:7], v[3:4]
	ds_store_b64 v1, v[2:3]
	s_cbranch_scc1 .LBB96_79
.LBB96_75:                              ; =>This Loop Header: Depth=1
                                        ;     Child Loop BB96_76 Depth 2
                                        ;     Child Loop BB96_78 Depth 2
	s_mul_i32 s7, s1, 24
	v_mov_b32_e32 v4, v5
	v_add_lshl_u32 v3, s7, v0, 3
	s_cmp_le_i32 s30, s1
	s_mov_b32 s6, s4
	s_mov_b32 s8, s30
	ds_load_b64 v[1:2], v3 offset:4608
	s_cbranch_scc1 .LBB96_77
.LBB96_76:                              ;   Parent Loop BB96_75 Depth=1
                                        ; =>  This Inner Loop Header: Depth=2
	v_mov_b32_e32 v8, s6
	s_add_i32 s8, s8, -1
	s_add_i32 s6, s6, -8
	s_cmp_le_i32 s8, s1
	ds_load_b64 v[6:7], v4
	ds_load_b64 v[8:9], v8
	v_add_nc_u32_e32 v4, 0xffffff40, v4
	s_waitcnt lgkmcnt(0)
	v_fma_f64 v[1:2], -v[6:7], v[8:9], v[1:2]
	s_cbranch_scc0 .LBB96_76
.LBB96_77:                              ;   in Loop: Header=BB96_75 Depth=1
	s_mul_i32 s6, s1, 0xc8
	v_add_nc_u32_e32 v7, 0x1200, v3
	v_mov_b32_e32 v3, s6
	s_sub_i32 s7, s7, 24
	s_cmp_lt_i32 s30, s1
	v_add_lshl_u32 v6, s7, v0, 3
	s_mov_b32 s7, s5
	ds_load_b64 v[8:9], v3
	s_mov_b32 s8, s29
	ds_load_b64 v[3:4], v6 offset:4608
	s_waitcnt lgkmcnt(1)
	v_div_scale_f64 v[10:11], null, v[8:9], v[8:9], v[1:2]
	s_delay_alu instid0(VALU_DEP_1) | instskip(SKIP_2) | instid1(VALU_DEP_1)
	v_rcp_f64_e32 v[12:13], v[10:11]
	s_waitcnt_depctr 0xfff
	v_fma_f64 v[14:15], -v[10:11], v[12:13], 1.0
	v_fma_f64 v[12:13], v[12:13], v[14:15], v[12:13]
	s_delay_alu instid0(VALU_DEP_1) | instskip(NEXT) | instid1(VALU_DEP_1)
	v_fma_f64 v[14:15], -v[10:11], v[12:13], 1.0
	v_fma_f64 v[12:13], v[12:13], v[14:15], v[12:13]
	v_div_scale_f64 v[14:15], vcc_lo, v[1:2], v[8:9], v[1:2]
	s_delay_alu instid0(VALU_DEP_1) | instskip(NEXT) | instid1(VALU_DEP_1)
	v_mul_f64 v[16:17], v[14:15], v[12:13]
	v_fma_f64 v[10:11], -v[10:11], v[16:17], v[14:15]
	s_delay_alu instid0(VALU_DEP_1) | instskip(NEXT) | instid1(VALU_DEP_1)
	v_div_fmas_f64 v[10:11], v[10:11], v[12:13], v[16:17]
	v_div_fixup_f64 v[8:9], v[10:11], v[8:9], v[1:2]
	v_mov_b32_e32 v1, v5
	ds_store_b64 v7, v[8:9]
	s_cbranch_scc1 .LBB96_74
.LBB96_78:                              ;   Parent Loop BB96_75 Depth=1
                                        ; =>  This Inner Loop Header: Depth=2
	v_mov_b32_e32 v2, s7
	s_add_i32 s8, s8, -1
	s_add_i32 s7, s7, -8
	s_cmp_gt_i32 s8, s1
	ds_load_b64 v[7:8], v1
	ds_load_b64 v[9:10], v2
	v_add_nc_u32_e32 v1, 0xffffff40, v1
	s_waitcnt lgkmcnt(0)
	v_fma_f64 v[3:4], -v[7:8], v[9:10], v[3:4]
	s_cbranch_scc1 .LBB96_78
	s_branch .LBB96_74
.LBB96_79:
	s_mov_b32 s6, 0
.LBB96_80:
	s_delay_alu instid0(SALU_CYCLE_1)
	s_and_not1_b32 vcc_lo, exec_lo, s6
	s_cbranch_vccnz .LBB96_99
; %bb.81:
	s_cmp_lt_i32 s28, 4
	s_mov_b32 s5, 0
	s_cbranch_scc1 .LBB96_88
; %bb.82:
	v_lshl_or_b32 v9, v0, 3, 0x1200
	s_mov_b32 s1, 0
	s_mov_b32 s4, 0
.LBB96_83:                              ; =>This Loop Header: Depth=1
                                        ;     Child Loop BB96_85 Depth 2
	s_delay_alu instid0(SALU_CYCLE_1) | instskip(NEXT) | instid1(SALU_CYCLE_1)
	s_mul_i32 s5, s4, 24
	s_add_i32 s7, s5, 24
	v_add_lshl_u32 v10, s5, v0, 3
	s_add_i32 s6, s5, 48
	v_add_lshl_u32 v11, s7, v0, 3
	s_addk_i32 s5, 0x48
	v_add_lshl_u32 v12, s6, v0, 3
	v_add_lshl_u32 v13, s5, v0, 3
	ds_load_b64 v[7:8], v10 offset:4608
	ds_load_b64 v[5:6], v11 offset:4608
	;; [unrolled: 1-line block ×4, first 2 shown]
	s_cmp_eq_u32 s4, 0
	s_cbranch_scc1 .LBB96_86
; %bb.84:                               ;   in Loop: Header=BB96_83 Depth=1
	v_mov_b32_e32 v14, v9
	s_mov_b32 s8, 0
	s_mov_b32 s9, s1
.LBB96_85:                              ;   Parent Loop BB96_83 Depth=1
                                        ; =>  This Inner Loop Header: Depth=2
	s_delay_alu instid0(SALU_CYCLE_1)
	v_mov_b32_e32 v47, s9
	s_add_i32 s8, s8, 4
	s_add_i32 s9, s9, 32
	s_cmp_ge_u32 s8, s4
	ds_load_2addr_b64 v[15:18], v14 offset1:24
	ds_load_b128 v[19:22], v47
	ds_load_b128 v[23:26], v47 offset:192
	ds_load_b128 v[27:30], v47 offset:384
	;; [unrolled: 1-line block ×7, first 2 shown]
	s_waitcnt lgkmcnt(7)
	v_fma_f64 v[7:8], -v[15:16], v[19:20], v[7:8]
	s_waitcnt lgkmcnt(6)
	v_fma_f64 v[5:6], -v[15:16], v[23:24], v[5:6]
	;; [unrolled: 2-line block ×4, first 2 shown]
	s_delay_alu instid0(VALU_DEP_4) | instskip(NEXT) | instid1(VALU_DEP_4)
	v_fma_f64 v[7:8], -v[17:18], v[21:22], v[7:8]
	v_fma_f64 v[5:6], -v[17:18], v[25:26], v[5:6]
	s_delay_alu instid0(VALU_DEP_4) | instskip(NEXT) | instid1(VALU_DEP_4)
	v_fma_f64 v[3:4], -v[17:18], v[29:30], v[3:4]
	v_fma_f64 v[1:2], -v[17:18], v[33:34], v[1:2]
	ds_load_2addr_b64 v[15:18], v14 offset0:48 offset1:72
	v_add_nc_u32_e32 v14, 0x300, v14
	s_waitcnt lgkmcnt(0)
	v_fma_f64 v[7:8], -v[15:16], v[35:36], v[7:8]
	v_fma_f64 v[5:6], -v[15:16], v[39:40], v[5:6]
	;; [unrolled: 1-line block ×4, first 2 shown]
	s_delay_alu instid0(VALU_DEP_4) | instskip(NEXT) | instid1(VALU_DEP_4)
	v_fma_f64 v[7:8], -v[17:18], v[37:38], v[7:8]
	v_fma_f64 v[5:6], -v[17:18], v[41:42], v[5:6]
	s_delay_alu instid0(VALU_DEP_4) | instskip(NEXT) | instid1(VALU_DEP_4)
	v_fma_f64 v[3:4], -v[17:18], v[45:46], v[3:4]
	v_fma_f64 v[1:2], -v[17:18], v[49:50], v[1:2]
	s_cbranch_scc0 .LBB96_85
.LBB96_86:                              ;   in Loop: Header=BB96_83 Depth=1
	s_mul_i32 s8, s4, 0xc8
	s_delay_alu instid0(SALU_CYCLE_1)
	v_dual_mov_b32 v14, s8 :: v_dual_add_nc_u32 v11, 0x1200, v11
	s_add_i32 s7, s7, s4
	s_add_i32 s6, s6, s4
	s_lshl_b32 s7, s7, 3
	v_add_nc_u32_e32 v13, 0x1200, v13
	ds_load_2addr_b64 v[14:17], v14 offset1:50
	s_lshl_b32 s6, s6, 3
	s_add_i32 s5, s5, s4
	v_add_nc_u32_e32 v10, 0x1200, v10
	s_lshl_b32 s5, s5, 3
	v_add_nc_u32_e32 v12, 0x1200, v12
	s_addk_i32 s1, 0x300
	s_waitcnt lgkmcnt(0)
	v_div_scale_f64 v[18:19], null, v[14:15], v[14:15], v[7:8]
	v_div_scale_f64 v[24:25], vcc_lo, v[7:8], v[14:15], v[7:8]
	s_delay_alu instid0(VALU_DEP_2) | instskip(SKIP_2) | instid1(VALU_DEP_1)
	v_rcp_f64_e32 v[20:21], v[18:19]
	s_waitcnt_depctr 0xfff
	v_fma_f64 v[22:23], -v[18:19], v[20:21], 1.0
	v_fma_f64 v[20:21], v[20:21], v[22:23], v[20:21]
	s_delay_alu instid0(VALU_DEP_1) | instskip(NEXT) | instid1(VALU_DEP_1)
	v_fma_f64 v[22:23], -v[18:19], v[20:21], 1.0
	v_fma_f64 v[20:21], v[20:21], v[22:23], v[20:21]
	s_delay_alu instid0(VALU_DEP_1) | instskip(NEXT) | instid1(VALU_DEP_1)
	v_mul_f64 v[22:23], v[24:25], v[20:21]
	v_fma_f64 v[18:19], -v[18:19], v[22:23], v[24:25]
	s_delay_alu instid0(VALU_DEP_1) | instskip(NEXT) | instid1(VALU_DEP_1)
	v_div_fmas_f64 v[18:19], v[18:19], v[20:21], v[22:23]
	v_div_fixup_f64 v[7:8], v[18:19], v[14:15], v[7:8]
	v_mov_b32_e32 v14, s7
	ds_load_b128 v[18:21], v14
	v_mov_b32_e32 v14, s6
	ds_load_b128 v[22:25], v14
	s_waitcnt lgkmcnt(1)
	v_fma_f64 v[5:6], -v[7:8], v[18:19], v[5:6]
	s_waitcnt lgkmcnt(0)
	v_fma_f64 v[3:4], -v[7:8], v[22:23], v[3:4]
	s_delay_alu instid0(VALU_DEP_2) | instskip(SKIP_1) | instid1(VALU_DEP_2)
	v_div_scale_f64 v[14:15], null, v[20:21], v[20:21], v[5:6]
	v_div_scale_f64 v[28:29], vcc_lo, v[5:6], v[20:21], v[5:6]
	v_rcp_f64_e32 v[18:19], v[14:15]
	s_waitcnt_depctr 0xfff
	v_fma_f64 v[26:27], -v[14:15], v[18:19], 1.0
	s_delay_alu instid0(VALU_DEP_1) | instskip(NEXT) | instid1(VALU_DEP_1)
	v_fma_f64 v[18:19], v[18:19], v[26:27], v[18:19]
	v_fma_f64 v[26:27], -v[14:15], v[18:19], 1.0
	s_delay_alu instid0(VALU_DEP_1) | instskip(NEXT) | instid1(VALU_DEP_1)
	v_fma_f64 v[18:19], v[18:19], v[26:27], v[18:19]
	v_mul_f64 v[26:27], v[28:29], v[18:19]
	s_delay_alu instid0(VALU_DEP_1) | instskip(NEXT) | instid1(VALU_DEP_1)
	v_fma_f64 v[14:15], -v[14:15], v[26:27], v[28:29]
	v_div_fmas_f64 v[14:15], v[14:15], v[18:19], v[26:27]
	s_delay_alu instid0(VALU_DEP_1) | instskip(NEXT) | instid1(VALU_DEP_1)
	v_div_fixup_f64 v[14:15], v[14:15], v[20:21], v[5:6]
	v_fma_f64 v[22:23], -v[14:15], v[24:25], v[3:4]
	s_delay_alu instid0(VALU_DEP_1) | instskip(SKIP_1) | instid1(VALU_DEP_2)
	v_div_scale_f64 v[3:4], null, v[16:17], v[16:17], v[22:23]
	v_div_scale_f64 v[20:21], vcc_lo, v[22:23], v[16:17], v[22:23]
	v_rcp_f64_e32 v[5:6], v[3:4]
	s_waitcnt_depctr 0xfff
	v_fma_f64 v[18:19], -v[3:4], v[5:6], 1.0
	s_delay_alu instid0(VALU_DEP_1) | instskip(NEXT) | instid1(VALU_DEP_1)
	v_fma_f64 v[5:6], v[5:6], v[18:19], v[5:6]
	v_fma_f64 v[18:19], -v[3:4], v[5:6], 1.0
	s_delay_alu instid0(VALU_DEP_1) | instskip(SKIP_3) | instid1(SALU_CYCLE_1)
	v_fma_f64 v[24:25], v[5:6], v[18:19], v[5:6]
	v_mov_b32_e32 v18, s5
	s_add_i32 s5, s4, 4
	s_add_i32 s4, s4, 7
	s_cmp_ge_i32 s4, s29
	s_delay_alu instid0(VALU_DEP_2) | instskip(NEXT) | instid1(VALU_DEP_1)
	v_mul_f64 v[26:27], v[20:21], v[24:25]
	v_fma_f64 v[28:29], -v[3:4], v[26:27], v[20:21]
	ds_load_b128 v[3:6], v18
	ds_load_b128 v[18:21], v18 offset:16
	s_waitcnt lgkmcnt(1)
	v_fma_f64 v[1:2], -v[7:8], v[3:4], v[1:2]
	v_div_fmas_f64 v[3:4], v[28:29], v[24:25], v[26:27]
	s_delay_alu instid0(VALU_DEP_2) | instskip(NEXT) | instid1(VALU_DEP_2)
	v_fma_f64 v[1:2], -v[14:15], v[5:6], v[1:2]
	v_div_fixup_f64 v[3:4], v[3:4], v[16:17], v[22:23]
	s_waitcnt lgkmcnt(0)
	s_delay_alu instid0(VALU_DEP_1) | instskip(NEXT) | instid1(VALU_DEP_1)
	v_fma_f64 v[1:2], -v[3:4], v[18:19], v[1:2]
	v_div_scale_f64 v[5:6], null, v[20:21], v[20:21], v[1:2]
	s_delay_alu instid0(VALU_DEP_1) | instskip(SKIP_2) | instid1(VALU_DEP_1)
	v_rcp_f64_e32 v[16:17], v[5:6]
	s_waitcnt_depctr 0xfff
	v_fma_f64 v[18:19], -v[5:6], v[16:17], 1.0
	v_fma_f64 v[16:17], v[16:17], v[18:19], v[16:17]
	s_delay_alu instid0(VALU_DEP_1) | instskip(NEXT) | instid1(VALU_DEP_1)
	v_fma_f64 v[18:19], -v[5:6], v[16:17], 1.0
	v_fma_f64 v[16:17], v[16:17], v[18:19], v[16:17]
	v_div_scale_f64 v[18:19], vcc_lo, v[1:2], v[20:21], v[1:2]
	s_delay_alu instid0(VALU_DEP_1) | instskip(NEXT) | instid1(VALU_DEP_1)
	v_mul_f64 v[22:23], v[18:19], v[16:17]
	v_fma_f64 v[5:6], -v[5:6], v[22:23], v[18:19]
	s_delay_alu instid0(VALU_DEP_1) | instskip(NEXT) | instid1(VALU_DEP_1)
	v_div_fmas_f64 v[5:6], v[5:6], v[16:17], v[22:23]
	v_div_fixup_f64 v[1:2], v[5:6], v[20:21], v[1:2]
	ds_store_b64 v10, v[7:8]
	ds_store_b64 v11, v[14:15]
	;; [unrolled: 1-line block ×4, first 2 shown]
	s_cbranch_scc1 .LBB96_88
; %bb.87:                               ;   in Loop: Header=BB96_83 Depth=1
	s_mov_b32 s4, s5
	s_branch .LBB96_83
.LBB96_88:
	s_cmp_ge_i32 s5, s29
	s_cbranch_scc1 .LBB96_99
; %bb.89:
	v_lshl_or_b32 v1, v0, 3, 0x1200
	s_add_i32 s1, s5, -1
	s_mul_i32 s4, s5, 0xc0
	s_mov_b32 s6, 0
	s_mov_b32 s7, s5
	s_branch .LBB96_91
.LBB96_90:                              ;   in Loop: Header=BB96_91 Depth=1
	s_mul_i32 s8, s5, 0xc8
	s_delay_alu instid0(SALU_CYCLE_1)
	v_dual_mov_b32 v5, s8 :: v_dual_add_nc_u32 v4, 0x1200, v6
	s_add_i32 s5, s5, 1
	s_add_i32 s6, s6, 1
	s_addk_i32 s4, 0xc0
	s_cmp_ge_i32 s5, s29
	ds_load_b64 v[5:6], v5
	s_waitcnt lgkmcnt(0)
	v_div_scale_f64 v[7:8], null, v[5:6], v[5:6], v[2:3]
	s_delay_alu instid0(VALU_DEP_1) | instskip(SKIP_2) | instid1(VALU_DEP_1)
	v_rcp_f64_e32 v[9:10], v[7:8]
	s_waitcnt_depctr 0xfff
	v_fma_f64 v[11:12], -v[7:8], v[9:10], 1.0
	v_fma_f64 v[9:10], v[9:10], v[11:12], v[9:10]
	s_delay_alu instid0(VALU_DEP_1) | instskip(NEXT) | instid1(VALU_DEP_1)
	v_fma_f64 v[11:12], -v[7:8], v[9:10], 1.0
	v_fma_f64 v[9:10], v[9:10], v[11:12], v[9:10]
	v_div_scale_f64 v[11:12], vcc_lo, v[2:3], v[5:6], v[2:3]
	s_delay_alu instid0(VALU_DEP_1) | instskip(NEXT) | instid1(VALU_DEP_1)
	v_mul_f64 v[13:14], v[11:12], v[9:10]
	v_fma_f64 v[7:8], -v[7:8], v[13:14], v[11:12]
	s_delay_alu instid0(VALU_DEP_1) | instskip(NEXT) | instid1(VALU_DEP_1)
	v_div_fmas_f64 v[7:8], v[7:8], v[9:10], v[13:14]
	v_div_fixup_f64 v[2:3], v[7:8], v[5:6], v[2:3]
	v_add_nc_u16 v5, s7, 1
	s_delay_alu instid0(VALU_DEP_1)
	v_readfirstlane_b32 s7, v5
	ds_store_b64 v4, v[2:3]
	s_cbranch_scc1 .LBB96_99
.LBB96_91:                              ; =>This Loop Header: Depth=1
                                        ;     Child Loop BB96_94 Depth 2
                                        ;     Child Loop BB96_98 Depth 2
	s_mul_i32 s8, s5, 24
	s_cmp_eq_u32 s5, 0
	v_add_lshl_u32 v6, s8, v0, 3
	ds_load_b64 v[2:3], v6 offset:4608
	s_cbranch_scc1 .LBB96_90
; %bb.92:                               ;   in Loop: Header=BB96_91 Depth=1
	s_add_i32 s8, s1, s6
	s_delay_alu instid0(SALU_CYCLE_1)
	s_cmp_lt_u32 s8, 7
	s_cbranch_scc1 .LBB96_96
; %bb.93:                               ;   in Loop: Header=BB96_91 Depth=1
	v_mov_b32_e32 v4, v1
	s_and_b32 s8, s5, -8
	s_mov_b32 s9, 0
	s_mov_b32 s12, s4
	s_set_inst_prefetch_distance 0x1
	.p2align	6
.LBB96_94:                              ;   Parent Loop BB96_91 Depth=1
                                        ; =>  This Inner Loop Header: Depth=2
	v_mov_b32_e32 v5, s12
	s_add_i32 s9, s9, 8
	s_add_i32 s12, s12, 64
	s_cmp_eq_u32 s8, s9
	ds_load_2addr_b64 v[7:10], v4 offset1:24
	ds_load_b128 v[11:14], v5
	ds_load_b128 v[15:18], v5 offset:16
	s_waitcnt lgkmcnt(1)
	v_fma_f64 v[2:3], -v[7:8], v[11:12], v[2:3]
	s_delay_alu instid0(VALU_DEP_1) | instskip(SKIP_3) | instid1(VALU_DEP_1)
	v_fma_f64 v[2:3], -v[9:10], v[13:14], v[2:3]
	ds_load_2addr_b64 v[7:10], v4 offset0:48 offset1:72
	s_waitcnt lgkmcnt(0)
	v_fma_f64 v[2:3], -v[7:8], v[15:16], v[2:3]
	v_fma_f64 v[2:3], -v[9:10], v[17:18], v[2:3]
	ds_load_2addr_b64 v[7:10], v4 offset0:96 offset1:120
	ds_load_b128 v[11:14], v5 offset:32
	ds_load_b128 v[15:18], v5 offset:48
	s_waitcnt lgkmcnt(1)
	v_fma_f64 v[2:3], -v[7:8], v[11:12], v[2:3]
	s_delay_alu instid0(VALU_DEP_1) | instskip(SKIP_4) | instid1(VALU_DEP_1)
	v_fma_f64 v[2:3], -v[9:10], v[13:14], v[2:3]
	ds_load_2addr_b64 v[7:10], v4 offset0:144 offset1:168
	v_add_nc_u32_e32 v4, 0x600, v4
	s_waitcnt lgkmcnt(0)
	v_fma_f64 v[2:3], -v[7:8], v[15:16], v[2:3]
	v_fma_f64 v[2:3], -v[9:10], v[17:18], v[2:3]
	s_cbranch_scc0 .LBB96_94
; %bb.95:                               ;   in Loop: Header=BB96_91 Depth=1
	s_set_inst_prefetch_distance 0x2
	s_and_b32 s9, s5, 7
	s_delay_alu instid0(SALU_CYCLE_1)
	s_cmp_eq_u32 s9, 0
	s_cbranch_scc0 .LBB96_97
	s_branch .LBB96_90
.LBB96_96:                              ;   in Loop: Header=BB96_91 Depth=1
	s_mov_b32 s8, 0
	s_and_b32 s9, s5, 7
	s_delay_alu instid0(SALU_CYCLE_1)
	s_cmp_eq_u32 s9, 0
	s_cbranch_scc1 .LBB96_90
.LBB96_97:                              ;   in Loop: Header=BB96_91 Depth=1
	s_waitcnt lgkmcnt(0)
	s_delay_alu instid0(VALU_DEP_1)
	v_mad_u64_u32 v[4:5], null, 0xc0, s8, v[1:2]
	s_and_b32 s9, s7, 7
	s_lshl_b32 s8, s8, 3
.LBB96_98:                              ;   Parent Loop BB96_91 Depth=1
                                        ; =>  This Inner Loop Header: Depth=2
	s_delay_alu instid0(SALU_CYCLE_1)
	s_add_i32 s12, s4, s8
	s_add_i32 s9, s9, -1
	v_mov_b32_e32 v5, s12
	s_add_i32 s8, s8, 8
	s_cmp_lg_u32 s9, 0
	ds_load_b64 v[7:8], v4
	ds_load_b64 v[9:10], v5
	v_add_nc_u32_e32 v4, 0xc0, v4
	s_waitcnt lgkmcnt(0)
	v_fma_f64 v[2:3], -v[7:8], v[9:10], v[2:3]
	s_cbranch_scc1 .LBB96_98
	s_branch .LBB96_90
.LBB96_99:
	s_and_saveexec_b32 s1, s20
	s_cbranch_execz .LBB96_106
; %bb.100:
	v_lshlrev_b32_e32 v3, 3, v0
	s_ashr_i32 s1, s0, 31
	s_cmp_lt_u32 s28, 4
	s_mov_b32 s12, 0
	s_cbranch_scc1 .LBB96_103
; %bb.101:
	v_add_co_u32 v1, s4, s18, v3
	s_delay_alu instid0(VALU_DEP_1)
	v_add_co_ci_u32_e64 v2, null, s19, 0, s4
	v_lshl_or_b32 v0, v0, 3, 0x1200
	s_and_b32 s12, s28, 0x7ffffffc
	s_mul_hi_i32 s13, s0, 24
	s_mul_i32 s14, s0, 24
	s_lshl_b64 s[4:5], s[0:1], 5
	s_lshl_b64 s[6:7], s[0:1], 4
	;; [unrolled: 1-line block ×3, first 2 shown]
	s_mov_b32 s15, 0
	.p2align	6
.LBB96_102:                             ; =>This Inner Loop Header: Depth=1
	ds_load_2addr_b64 v[4:7], v0 offset1:24
	ds_load_2addr_b64 v[8:11], v0 offset0:48 offset1:72
	v_add_co_u32 v12, vcc_lo, v1, s8
	v_add_co_ci_u32_e32 v13, vcc_lo, s9, v2, vcc_lo
	v_add_co_u32 v14, vcc_lo, v1, s6
	v_add_co_ci_u32_e32 v15, vcc_lo, s7, v2, vcc_lo
	;; [unrolled: 2-line block ×3, first 2 shown]
	v_add_nc_u32_e32 v0, 0x300, v0
	s_add_i32 s15, s15, 4
	s_delay_alu instid0(SALU_CYCLE_1)
	s_cmp_lg_u32 s12, s15
	s_waitcnt lgkmcnt(1)
	global_store_b64 v[1:2], v[4:5], off
	v_add_co_u32 v1, vcc_lo, v1, s4
	v_add_co_ci_u32_e32 v2, vcc_lo, s5, v2, vcc_lo
	global_store_b64 v[12:13], v[6:7], off
	s_waitcnt lgkmcnt(0)
	s_clause 0x1
	global_store_b64 v[14:15], v[8:9], off
	global_store_b64 v[16:17], v[10:11], off
	s_cbranch_scc1 .LBB96_102
.LBB96_103:
	s_and_b32 s4, s28, 3
	s_delay_alu instid0(SALU_CYCLE_1)
	s_cmp_eq_u32 s4, 0
	s_cbranch_scc1 .LBB96_106
; %bb.104:
	s_mul_hi_i32 s7, s0, s12
	s_mul_i32 s6, s0, s12
	s_mul_i32 s5, s12, 0xc0
	s_lshl_b64 s[6:7], s[6:7], 3
	v_add3_u32 v2, s5, v3, 0x1200
	s_add_u32 s6, s6, s16
	s_addc_u32 s7, s7, s17
	s_add_u32 s6, s6, s10
	s_addc_u32 s7, s7, s11
	;; [unrolled: 2-line block ×3, first 2 shown]
	v_add_co_u32 v0, s2, s2, v3
	s_delay_alu instid0(VALU_DEP_1)
	v_add_co_ci_u32_e64 v1, null, s3, 0, s2
	s_lshl_b64 s[0:1], s[0:1], 3
.LBB96_105:                             ; =>This Inner Loop Header: Depth=1
	ds_load_b64 v[3:4], v2
	v_add_nc_u32_e32 v2, 0xc0, v2
	s_add_i32 s4, s4, -1
	s_delay_alu instid0(SALU_CYCLE_1)
	s_cmp_lg_u32 s4, 0
	s_waitcnt lgkmcnt(0)
	global_store_b64 v[0:1], v[3:4], off
	v_add_co_u32 v0, vcc_lo, v0, s0
	v_add_co_ci_u32_e32 v1, vcc_lo, s1, v1, vcc_lo
	s_cbranch_scc1 .LBB96_105
.LBB96_106:
	s_nop 0
	s_sendmsg sendmsg(MSG_DEALLOC_VGPRS)
	s_endpgm
	.section	.rodata,"a",@progbits
	.p2align	6, 0x0
	.amdhsa_kernel _ZL31rocblas_trsm_small_right_deviceIddPKPKdPKPdLi24EEv13rocblas_fill_18rocblas_operation_17rocblas_diagonal_iiT0_T1_lilT2_lili
		.amdhsa_group_segment_fixed_size 9216
		.amdhsa_private_segment_fixed_size 0
		.amdhsa_kernarg_size 360
		.amdhsa_user_sgpr_count 14
		.amdhsa_user_sgpr_dispatch_ptr 0
		.amdhsa_user_sgpr_queue_ptr 0
		.amdhsa_user_sgpr_kernarg_segment_ptr 1
		.amdhsa_user_sgpr_dispatch_id 0
		.amdhsa_user_sgpr_private_segment_size 0
		.amdhsa_wavefront_size32 1
		.amdhsa_uses_dynamic_stack 0
		.amdhsa_enable_private_segment 0
		.amdhsa_system_sgpr_workgroup_id_x 1
		.amdhsa_system_sgpr_workgroup_id_y 0
		.amdhsa_system_sgpr_workgroup_id_z 1
		.amdhsa_system_sgpr_workgroup_info 0
		.amdhsa_system_vgpr_workitem_id 0
		.amdhsa_next_free_vgpr 51
		.amdhsa_next_free_sgpr 34
		.amdhsa_reserve_vcc 1
		.amdhsa_float_round_mode_32 0
		.amdhsa_float_round_mode_16_64 0
		.amdhsa_float_denorm_mode_32 3
		.amdhsa_float_denorm_mode_16_64 3
		.amdhsa_dx10_clamp 1
		.amdhsa_ieee_mode 1
		.amdhsa_fp16_overflow 0
		.amdhsa_workgroup_processor_mode 1
		.amdhsa_memory_ordered 1
		.amdhsa_forward_progress 0
		.amdhsa_shared_vgpr_count 0
		.amdhsa_exception_fp_ieee_invalid_op 0
		.amdhsa_exception_fp_denorm_src 0
		.amdhsa_exception_fp_ieee_div_zero 0
		.amdhsa_exception_fp_ieee_overflow 0
		.amdhsa_exception_fp_ieee_underflow 0
		.amdhsa_exception_fp_ieee_inexact 0
		.amdhsa_exception_int_div_zero 0
	.end_amdhsa_kernel
	.section	.text._ZL31rocblas_trsm_small_right_deviceIddPKPKdPKPdLi24EEv13rocblas_fill_18rocblas_operation_17rocblas_diagonal_iiT0_T1_lilT2_lili,"axG",@progbits,_ZL31rocblas_trsm_small_right_deviceIddPKPKdPKPdLi24EEv13rocblas_fill_18rocblas_operation_17rocblas_diagonal_iiT0_T1_lilT2_lili,comdat
.Lfunc_end96:
	.size	_ZL31rocblas_trsm_small_right_deviceIddPKPKdPKPdLi24EEv13rocblas_fill_18rocblas_operation_17rocblas_diagonal_iiT0_T1_lilT2_lili, .Lfunc_end96-_ZL31rocblas_trsm_small_right_deviceIddPKPKdPKPdLi24EEv13rocblas_fill_18rocblas_operation_17rocblas_diagonal_iiT0_T1_lilT2_lili
                                        ; -- End function
	.section	.AMDGPU.csdata,"",@progbits
; Kernel info:
; codeLenInByte = 9036
; NumSgprs: 36
; NumVgprs: 51
; ScratchSize: 0
; MemoryBound: 0
; FloatMode: 240
; IeeeMode: 1
; LDSByteSize: 9216 bytes/workgroup (compile time only)
; SGPRBlocks: 4
; VGPRBlocks: 6
; NumSGPRsForWavesPerEU: 36
; NumVGPRsForWavesPerEU: 51
; Occupancy: 4
; WaveLimiterHint : 0
; COMPUTE_PGM_RSRC2:SCRATCH_EN: 0
; COMPUTE_PGM_RSRC2:USER_SGPR: 14
; COMPUTE_PGM_RSRC2:TRAP_HANDLER: 0
; COMPUTE_PGM_RSRC2:TGID_X_EN: 1
; COMPUTE_PGM_RSRC2:TGID_Y_EN: 0
; COMPUTE_PGM_RSRC2:TGID_Z_EN: 1
; COMPUTE_PGM_RSRC2:TIDIG_COMP_CNT: 0
	.section	.text._ZL38rocblas_trsm_small_left_device_sharedBILi28ELi28ELb0EddPKPKdPKPdEv13rocblas_fill_18rocblas_operation_17rocblas_diagonal_iiT3_T4_lilT5_lili,"axG",@progbits,_ZL38rocblas_trsm_small_left_device_sharedBILi28ELi28ELb0EddPKPKdPKPdEv13rocblas_fill_18rocblas_operation_17rocblas_diagonal_iiT3_T4_lilT5_lili,comdat
	.globl	_ZL38rocblas_trsm_small_left_device_sharedBILi28ELi28ELb0EddPKPKdPKPdEv13rocblas_fill_18rocblas_operation_17rocblas_diagonal_iiT3_T4_lilT5_lili ; -- Begin function _ZL38rocblas_trsm_small_left_device_sharedBILi28ELi28ELb0EddPKPKdPKPdEv13rocblas_fill_18rocblas_operation_17rocblas_diagonal_iiT3_T4_lilT5_lili
	.p2align	8
	.type	_ZL38rocblas_trsm_small_left_device_sharedBILi28ELi28ELb0EddPKPKdPKPdEv13rocblas_fill_18rocblas_operation_17rocblas_diagonal_iiT3_T4_lilT5_lili,@function
_ZL38rocblas_trsm_small_left_device_sharedBILi28ELi28ELb0EddPKPKdPKPdEv13rocblas_fill_18rocblas_operation_17rocblas_diagonal_iiT3_T4_lilT5_lili: ; @_ZL38rocblas_trsm_small_left_device_sharedBILi28ELi28ELb0EddPKPKdPKPdEv13rocblas_fill_18rocblas_operation_17rocblas_diagonal_iiT3_T4_lilT5_lili
; %bb.0:
	s_load_b128 s[16:19], s[0:1], 0x40
	s_mov_b32 s20, s15
	s_mov_b32 s21, 0
	s_clause 0x1
	s_load_b128 s[4:7], s[0:1], 0x4
	s_load_b64 s[12:13], s[0:1], 0x28
	s_lshl_b64 s[22:23], s[20:21], 3
	s_mov_b32 s15, exec_lo
	s_waitcnt lgkmcnt(0)
	s_add_u32 s2, s16, s22
	s_addc_u32 s3, s17, s23
	s_load_b128 s[8:11], s[0:1], 0x18
	s_load_b64 s[2:3], s[2:3], 0x0
	s_min_i32 s20, s6, 28
	s_delay_alu instid0(SALU_CYCLE_1)
	s_add_i32 s28, s20, -1
	v_cmpx_gt_i32_e64 s20, v0
	s_cbranch_execz .LBB97_10
; %bb.1:
	s_load_b32 s16, s[0:1], 0x30
	s_waitcnt lgkmcnt(0)
	s_ashr_i32 s17, s16, 31
	s_add_u32 s10, s10, s22
	s_addc_u32 s11, s11, s23
	s_cmp_lt_u32 s28, 3
	s_load_b64 s[10:11], s[10:11], 0x0
	s_cbranch_scc1 .LBB97_4
; %bb.2:
	v_lshlrev_b32_e32 v3, 3, v0
	s_lshl_b64 s[22:23], s[12:13], 3
	s_mul_hi_i32 s29, s16, 24
	s_waitcnt lgkmcnt(0)
	s_add_u32 s21, s10, s22
	s_addc_u32 s22, s11, s23
	v_add_co_u32 v1, s21, s21, v3
	s_delay_alu instid0(VALU_DEP_1)
	v_add_co_ci_u32_e64 v2, null, s22, 0, s21
	s_and_b32 s21, s20, -4
	s_mul_i32 s30, s16, 24
	s_lshl_b64 s[22:23], s[16:17], 5
	s_lshl_b64 s[24:25], s[16:17], 4
	;; [unrolled: 1-line block ×3, first 2 shown]
	s_mov_b32 s31, 0
	.p2align	6
.LBB97_3:                               ; =>This Inner Loop Header: Depth=1
	v_add_co_u32 v4, vcc_lo, v1, s26
	v_add_co_ci_u32_e32 v5, vcc_lo, s27, v2, vcc_lo
	v_add_co_u32 v6, vcc_lo, v1, s24
	v_add_co_ci_u32_e32 v7, vcc_lo, s25, v2, vcc_lo
	;; [unrolled: 2-line block ×3, first 2 shown]
	s_clause 0x3
	global_load_b64 v[10:11], v[1:2], off
	global_load_b64 v[4:5], v[4:5], off
	;; [unrolled: 1-line block ×4, first 2 shown]
	v_add_co_u32 v1, vcc_lo, v1, s22
	v_add_co_ci_u32_e32 v2, vcc_lo, s23, v2, vcc_lo
	s_add_i32 s31, s31, 4
	s_waitcnt vmcnt(2)
	ds_store_2addr_b64 v3, v[10:11], v[4:5] offset1:28
	s_waitcnt vmcnt(0)
	ds_store_2addr_b64 v3, v[6:7], v[8:9] offset0:56 offset1:84
	v_add_nc_u32_e32 v3, 0x380, v3
	s_cmp_eq_u32 s21, s31
	s_cbranch_scc0 .LBB97_3
.LBB97_4:
	s_and_b32 s22, s20, 3
	s_delay_alu instid0(SALU_CYCLE_1)
	s_cmp_eq_u32 s22, 0
	s_cbranch_scc1 .LBB97_7
; %bb.5:
	s_mul_i32 s23, s17, s21
	s_mul_hi_u32 s24, s16, s21
	s_lshl_b64 s[12:13], s[12:13], 3
	s_add_i32 s25, s24, s23
	s_mul_i32 s24, s16, s21
	v_lshlrev_b32_e32 v1, 3, v0
	s_lshl_b64 s[24:25], s[24:25], 3
	s_mulk_i32 s21, 0xe0
	s_add_u32 s12, s24, s12
	s_addc_u32 s13, s25, s13
	s_waitcnt lgkmcnt(0)
	s_add_u32 s10, s10, s12
	s_addc_u32 s11, s11, s13
	v_add_co_u32 v1, s10, s10, v1
	v_lshl_add_u32 v3, v0, 3, s21
	v_add_co_ci_u32_e64 v2, null, s11, 0, s10
	s_lshl_b64 s[10:11], s[16:17], 3
.LBB97_6:                               ; =>This Inner Loop Header: Depth=1
	global_load_b64 v[4:5], v[1:2], off
	v_add_co_u32 v1, vcc_lo, v1, s10
	v_add_co_ci_u32_e32 v2, vcc_lo, s11, v2, vcc_lo
	s_add_i32 s22, s22, -1
	s_delay_alu instid0(SALU_CYCLE_1)
	s_cmp_lg_u32 s22, 0
	s_waitcnt vmcnt(0)
	ds_store_b64 v3, v[4:5]
	v_add_nc_u32_e32 v3, 0xe0, v3
	s_cbranch_scc1 .LBB97_6
.LBB97_7:
	v_mul_u32_u24_e32 v3, 29, v0
	v_mov_b32_e32 v1, 0
	v_mov_b32_e32 v2, 0x3ff00000
	s_cmpk_lg_i32 s5, 0x84
	s_delay_alu instid0(VALU_DEP_3)
	v_lshlrev_b32_e32 v3, 3, v3
	s_cbranch_scc0 .LBB97_9
; %bb.8:
	ds_load_b64 v[1:2], v3
	s_waitcnt lgkmcnt(0)
	v_div_scale_f64 v[4:5], null, v[1:2], v[1:2], 1.0
	s_delay_alu instid0(VALU_DEP_1) | instskip(SKIP_2) | instid1(VALU_DEP_1)
	v_rcp_f64_e32 v[6:7], v[4:5]
	s_waitcnt_depctr 0xfff
	v_fma_f64 v[8:9], -v[4:5], v[6:7], 1.0
	v_fma_f64 v[6:7], v[6:7], v[8:9], v[6:7]
	s_delay_alu instid0(VALU_DEP_1) | instskip(NEXT) | instid1(VALU_DEP_1)
	v_fma_f64 v[8:9], -v[4:5], v[6:7], 1.0
	v_fma_f64 v[6:7], v[6:7], v[8:9], v[6:7]
	v_div_scale_f64 v[8:9], vcc_lo, 1.0, v[1:2], 1.0
	s_delay_alu instid0(VALU_DEP_1) | instskip(NEXT) | instid1(VALU_DEP_1)
	v_mul_f64 v[10:11], v[8:9], v[6:7]
	v_fma_f64 v[4:5], -v[4:5], v[10:11], v[8:9]
	s_delay_alu instid0(VALU_DEP_1) | instskip(NEXT) | instid1(VALU_DEP_1)
	v_div_fmas_f64 v[4:5], v[4:5], v[6:7], v[10:11]
	v_div_fixup_f64 v[1:2], v[4:5], v[1:2], 1.0
.LBB97_9:
	ds_store_b64 v3, v[1:2]
.LBB97_10:
	s_or_b32 exec_lo, exec_lo, s15
	s_clause 0x1
	s_load_b32 s5, s[0:1], 0x68
	s_load_b32 s16, s[0:1], 0x50
	s_lshl_b64 s[0:1], s[18:19], 3
	s_waitcnt lgkmcnt(0)
	s_mul_i32 s11, s14, 0xffffffe4
	s_mul_i32 s10, s14, 28
	s_ashr_i32 s17, s16, 31
	s_add_u32 s15, s2, s0
	s_addc_u32 s18, s3, s1
	s_add_i32 s5, s5, -1
	s_add_i32 s11, s11, s7
	s_mul_hi_i32 s13, s16, s10
	s_cmp_ge_u32 s14, s5
	s_mul_i32 s12, s16, s10
	s_cselect_b32 s14, s11, 28
	s_lshl_b64 s[12:13], s[12:13], 3
	s_ashr_i32 s11, s10, 31
	s_add_u32 s5, s15, s12
	s_addc_u32 s7, s18, s13
	v_cmp_gt_i32_e32 vcc_lo, s14, v0
	s_cmp_gt_i32 s6, 0
	s_mov_b32 s12, 0
	s_cselect_b32 s13, -1, 0
	s_delay_alu instid0(SALU_CYCLE_1) | instskip(NEXT) | instid1(SALU_CYCLE_1)
	s_and_b32 s18, vcc_lo, s13
	s_and_saveexec_b32 s19, s18
	s_cbranch_execz .LBB97_17
; %bb.11:
	s_cmp_lt_i32 s6, 8
	s_cbranch_scc1 .LBB97_14
; %bb.12:
	v_mad_i64_i32 v[1:2], null, s16, v0, 0
	v_lshl_add_u32 v3, v0, 3, 0x1880
	s_lshl_b32 s12, s20, 3
	s_mov_b64 s[14:15], 0
	s_and_b32 s13, s12, 0xc0
	s_mov_b32 s12, 0
	s_delay_alu instid0(VALU_DEP_2) | instskip(NEXT) | instid1(VALU_DEP_1)
	v_lshlrev_b64 v[1:2], 3, v[1:2]
	v_add_co_u32 v1, vcc_lo, s5, v1
	s_delay_alu instid0(VALU_DEP_2)
	v_add_co_ci_u32_e32 v2, vcc_lo, s7, v2, vcc_lo
	s_set_inst_prefetch_distance 0x1
	.p2align	6
.LBB97_13:                              ; =>This Inner Loop Header: Depth=1
	s_delay_alu instid0(VALU_DEP_2) | instskip(NEXT) | instid1(VALU_DEP_2)
	v_add_co_u32 v16, vcc_lo, v1, s14
	v_add_co_ci_u32_e32 v17, vcc_lo, s15, v2, vcc_lo
	s_add_i32 s12, s12, 8
	s_add_u32 s14, s14, 64
	s_addc_u32 s15, s15, 0
	s_clause 0x3
	global_load_b128 v[4:7], v[16:17], off
	global_load_b128 v[8:11], v[16:17], off offset:16
	global_load_b128 v[12:15], v[16:17], off offset:32
	;; [unrolled: 1-line block ×3, first 2 shown]
	s_cmp_lg_u32 s13, s14
	s_waitcnt vmcnt(3)
	v_mul_f64 v[4:5], v[4:5], s[8:9]
	v_mul_f64 v[6:7], v[6:7], s[8:9]
	s_waitcnt vmcnt(2)
	v_mul_f64 v[8:9], v[8:9], s[8:9]
	v_mul_f64 v[10:11], v[10:11], s[8:9]
	;; [unrolled: 3-line block ×4, first 2 shown]
	ds_store_2addr_b64 v3, v[4:5], v[6:7] offset1:28
	ds_store_2addr_b64 v3, v[8:9], v[10:11] offset0:56 offset1:84
	ds_store_2addr_b64 v3, v[12:13], v[14:15] offset0:112 offset1:140
	ds_store_2addr_b64 v3, v[16:17], v[18:19] offset0:168 offset1:196
	v_add_nc_u32_e32 v3, 0x700, v3
	s_cbranch_scc1 .LBB97_13
.LBB97_14:
	s_set_inst_prefetch_distance 0x2
	s_and_b32 s14, s20, 7
	s_mov_b32 s13, 0
	s_cmp_eq_u32 s14, 0
	s_cbranch_scc1 .LBB97_17
; %bb.15:
	v_lshlrev_b32_e32 v3, 3, v0
	s_lshl_b64 s[22:23], s[10:11], 3
	s_lshl_b64 s[24:25], s[12:13], 3
	s_mulk_i32 s12, 0xe0
	s_delay_alu instid0(VALU_DEP_1) | instskip(NEXT) | instid1(VALU_DEP_1)
	v_add_co_u32 v4, s13, s22, v3
	v_add_co_ci_u32_e64 v5, null, s23, 0, s13
	s_add_u32 s13, s2, s24
	s_addc_u32 s15, s3, s25
	s_add_u32 s22, s13, s0
	s_addc_u32 s23, s15, s1
	v_mul_lo_u32 v5, v5, s16
	v_mad_u64_u32 v[1:2], null, v4, s16, s[22:23]
	v_mul_lo_u32 v4, v4, s17
	v_add3_u32 v3, s12, v3, 0x1880
	s_delay_alu instid0(VALU_DEP_2)
	v_add3_u32 v2, v5, v2, v4
.LBB97_16:                              ; =>This Inner Loop Header: Depth=1
	global_load_b64 v[4:5], v[1:2], off
	v_add_co_u32 v1, vcc_lo, v1, 8
	v_add_co_ci_u32_e32 v2, vcc_lo, 0, v2, vcc_lo
	s_add_i32 s14, s14, -1
	s_delay_alu instid0(SALU_CYCLE_1)
	s_cmp_lg_u32 s14, 0
	s_waitcnt vmcnt(0)
	v_mul_f64 v[4:5], v[4:5], s[8:9]
	ds_store_b64 v3, v[4:5]
	v_add_nc_u32_e32 v3, 0xe0, v3
	s_cbranch_scc1 .LBB97_16
.LBB97_17:
	s_or_b32 exec_lo, exec_lo, s19
	s_cmpk_eq_i32 s4, 0x6f
	s_mov_b32 s4, -1
	s_waitcnt vmcnt(0) lgkmcnt(0)
	s_waitcnt_vscnt null, 0x0
	; wave barrier
	s_waitcnt lgkmcnt(0)
	buffer_gl0_inv
	s_cbranch_scc1 .LBB97_38
; %bb.18:
	s_cmp_gt_i32 s6, 27
	s_mov_b32 s8, 0
	s_cselect_b32 s4, -1, 0
	s_delay_alu instid0(SALU_CYCLE_1)
	s_and_b32 vcc_lo, exec_lo, s4
	s_cbranch_vccz .LBB97_20
; %bb.19:
	v_dual_mov_b32 v32, 0 :: v_dual_lshlrev_b32 v29, 3, v0
	v_add_nc_u32_e64 v30, 0x400, 0
	s_mov_b32 s8, 28
	s_delay_alu instid0(VALU_DEP_2)
	v_add_nc_u32_e32 v31, 0x1800, v29
	ds_load_2addr_b64 v[1:4], v32 offset1:58
	ds_load_2addr_b64 v[5:8], v31 offset0:16 offset1:44
	ds_load_b128 v[9:12], v32 offset:224
	ds_load_b128 v[13:16], v32 offset:448
	s_waitcnt lgkmcnt(2)
	v_mul_f64 v[5:6], v[1:2], v[5:6]
	s_waitcnt lgkmcnt(1)
	s_delay_alu instid0(VALU_DEP_1)
	v_fma_f64 v[1:2], -v[5:6], v[9:10], v[7:8]
	ds_load_2addr_b64 v[7:10], v31 offset0:72 offset1:100
	s_waitcnt lgkmcnt(0)
	v_fma_f64 v[21:22], -v[5:6], v[13:14], v[7:8]
	v_mul_f64 v[7:8], v[11:12], v[1:2]
	ds_load_b128 v[11:14], v32 offset:672
	ds_load_b128 v[17:20], v32 offset:688
	s_waitcnt lgkmcnt(1)
	v_fma_f64 v[1:2], -v[5:6], v[11:12], v[9:10]
	v_fma_f64 v[15:16], -v[7:8], v[15:16], v[21:22]
	ds_load_2addr_b64 v[9:12], v31 offset0:128 offset1:156
	ds_load_b128 v[21:24], v32 offset:896
	ds_load_b128 v[25:28], v32 offset:912
	s_waitcnt lgkmcnt(1)
	v_fma_f64 v[21:22], -v[5:6], v[21:22], v[9:10]
	v_fma_f64 v[33:34], -v[7:8], v[13:14], v[1:2]
	v_mul_f64 v[9:10], v[3:4], v[15:16]
	ds_load_b128 v[1:4], v32 offset:1120
	ds_load_b128 v[13:16], v32 offset:1136
	s_waitcnt lgkmcnt(1)
	v_fma_f64 v[1:2], -v[5:6], v[1:2], v[11:12]
	v_fma_f64 v[11:12], -v[7:8], v[23:24], v[21:22]
	;; [unrolled: 1-line block ×3, first 2 shown]
	ds_load_b128 v[21:24], v32 offset:1344
	ds_load_2addr_b64 v[33:36], v31 offset0:184 offset1:212
	v_fma_f64 v[25:26], -v[9:10], v[25:26], v[11:12]
	s_waitcnt lgkmcnt(0)
	v_fma_f64 v[21:22], -v[5:6], v[21:22], v[33:34]
	v_fma_f64 v[33:34], -v[7:8], v[3:4], v[1:2]
	v_mul_f64 v[11:12], v[19:20], v[17:18]
	ds_load_b128 v[1:4], v32 offset:1568
	ds_load_b128 v[17:20], v32 offset:1584
	s_waitcnt lgkmcnt(1)
	v_fma_f64 v[1:2], -v[5:6], v[1:2], v[35:36]
	v_fma_f64 v[50:51], -v[7:8], v[23:24], v[21:22]
	;; [unrolled: 1-line block ×3, first 2 shown]
	v_add_nc_u32_e32 v33, 0x1c00, v29
	v_fma_f64 v[52:53], -v[11:12], v[27:28], v[25:26]
	ds_load_b128 v[21:24], v32 offset:1792
	ds_load_2addr_b64 v[25:28], v33 offset0:112 offset1:140
	ds_load_b128 v[34:37], v32 offset:1360
	ds_load_2addr_b64 v[38:41], v32 offset0:116 offset1:174
	ds_load_b128 v[42:45], v32 offset:1376
	ds_load_b128 v[46:49], v32 offset:1808
	s_waitcnt lgkmcnt(4)
	v_fma_f64 v[21:22], -v[5:6], v[21:22], v[25:26]
	v_fma_f64 v[25:26], -v[7:8], v[3:4], v[1:2]
	s_waitcnt lgkmcnt(3)
	v_fma_f64 v[34:35], -v[9:10], v[34:35], v[50:51]
	v_fma_f64 v[15:16], -v[11:12], v[15:16], v[13:14]
	s_waitcnt lgkmcnt(2)
	v_mul_f64 v[13:14], v[38:39], v[52:53]
	ds_load_b128 v[1:4], v32 offset:2016
	ds_load_b128 v[50:53], v32 offset:1152
	ds_load_b128 v[54:57], v32 offset:2032
	s_waitcnt lgkmcnt(2)
	v_fma_f64 v[1:2], -v[5:6], v[1:2], v[27:28]
	v_fma_f64 v[27:28], -v[7:8], v[23:24], v[21:22]
	;; [unrolled: 1-line block ×4, first 2 shown]
	v_add_nc_u32_e32 v34, 0x2000, v29
	s_waitcnt lgkmcnt(1)
	v_fma_f64 v[37:38], -v[13:14], v[50:51], v[15:16]
	ds_load_b128 v[15:18], v32 offset:2240
	ds_load_2addr_b64 v[21:24], v34 offset0:40 offset1:68
	v_fma_f64 v[58:59], -v[7:8], v[3:4], v[1:2]
	v_fma_f64 v[46:47], -v[9:10], v[46:47], v[27:28]
	s_waitcnt lgkmcnt(0)
	v_fma_f64 v[50:51], -v[5:6], v[15:16], v[21:22]
	v_fma_f64 v[60:61], -v[11:12], v[19:20], v[25:26]
	;; [unrolled: 1-line block ×3, first 2 shown]
	v_mul_f64 v[15:16], v[52:53], v[37:38]
	ds_load_b128 v[1:4], v32 offset:2464
	ds_load_b128 v[19:22], v32 offset:1600
	;; [unrolled: 1-line block ×4, first 2 shown]
	s_waitcnt lgkmcnt(3)
	v_fma_f64 v[1:2], -v[5:6], v[1:2], v[23:24]
	v_fma_f64 v[54:55], -v[9:10], v[54:55], v[58:59]
	;; [unrolled: 1-line block ×4, first 2 shown]
	s_waitcnt lgkmcnt(2)
	v_fma_f64 v[72:73], -v[13:14], v[19:20], v[60:61]
	v_fma_f64 v[74:75], -v[15:16], v[44:45], v[42:43]
	ds_load_b128 v[17:20], v32 offset:2688
	ds_load_2addr_b64 v[42:45], v34 offset0:96 offset1:124
	ds_load_b128 v[46:49], v32 offset:2256
	ds_load_b128 v[50:53], v32 offset:1824
	;; [unrolled: 1-line block ×5, first 2 shown]
	s_waitcnt lgkmcnt(5)
	v_fma_f64 v[76:77], -v[5:6], v[17:18], v[42:43]
	v_fma_f64 v[78:79], -v[7:8], v[3:4], v[1:2]
	;; [unrolled: 1-line block ×3, first 2 shown]
	s_waitcnt lgkmcnt(3)
	v_fma_f64 v[50:51], -v[13:14], v[50:51], v[70:71]
	v_fma_f64 v[46:47], -v[9:10], v[46:47], v[23:24]
	;; [unrolled: 1-line block ×3, first 2 shown]
	v_mul_f64 v[17:18], v[40:41], v[74:75]
	ds_load_b128 v[1:4], v32 offset:2912
	ds_load_b128 v[21:24], v32 offset:2048
	;; [unrolled: 1-line block ×4, first 2 shown]
	v_fma_f64 v[72:73], -v[7:8], v[19:20], v[76:77]
	s_waitcnt lgkmcnt(3)
	v_fma_f64 v[1:2], -v[5:6], v[1:2], v[44:45]
	v_fma_f64 v[35:36], -v[9:10], v[35:36], v[78:79]
	s_waitcnt lgkmcnt(2)
	v_fma_f64 v[74:75], -v[13:14], v[21:22], v[80:81]
	v_fma_f64 v[47:48], -v[11:12], v[48:49], v[46:47]
	v_fma_f64 v[49:50], -v[15:16], v[52:53], v[50:51]
	ds_load_b128 v[19:22], v32 offset:3136
	ds_load_2addr_b64 v[43:46], v34 offset0:152 offset1:180
	v_fma_f64 v[25:26], -v[17:18], v[25:26], v[70:71]
	s_waitcnt lgkmcnt(0)
	v_fma_f64 v[43:44], -v[5:6], v[19:20], v[43:44]
	v_fma_f64 v[66:67], -v[9:10], v[66:67], v[72:73]
	;; [unrolled: 1-line block ×7, first 2 shown]
	v_mul_f64 v[19:20], v[27:28], v[25:26]
	ds_load_b128 v[1:4], v32 offset:3360
	ds_load_b128 v[23:26], v32 offset:2496
	;; [unrolled: 1-line block ×4, first 2 shown]
	v_fma_f64 v[27:28], -v[7:8], v[21:22], v[43:44]
	v_fma_f64 v[88:89], -v[11:12], v[68:69], v[66:67]
	s_waitcnt lgkmcnt(3)
	v_fma_f64 v[1:2], -v[5:6], v[1:2], v[45:46]
	v_fma_f64 v[86:87], -v[9:10], v[54:55], v[51:52]
	s_waitcnt lgkmcnt(2)
	v_fma_f64 v[90:91], -v[13:14], v[23:24], v[70:71]
	v_fma_f64 v[92:93], -v[15:16], v[64:65], v[62:63]
	;; [unrolled: 1-line block ×3, first 2 shown]
	ds_load_b128 v[21:24], v32 offset:3584
	ds_load_2addr_b64 v[43:46], v34 offset0:208 offset1:236
	ds_load_b128 v[51:54], v32 offset:3152
	v_fma_f64 v[94:95], -v[19:20], v[60:61], v[58:59]
	ds_load_b128 v[58:61], v32 offset:2720
	ds_load_b128 v[62:65], v32 offset:2288
	ds_load_2addr_b64 v[66:69], v30 offset0:104 offset1:162
	ds_load_b128 v[70:73], v32 offset:2304
	ds_load_b128 v[74:77], v32 offset:2736
	;; [unrolled: 1-line block ×4, first 2 shown]
	s_waitcnt lgkmcnt(8)
	v_fma_f64 v[43:44], -v[5:6], v[21:22], v[43:44]
	s_waitcnt lgkmcnt(7)
	v_fma_f64 v[51:52], -v[9:10], v[51:52], v[27:28]
	;; [unrolled: 2-line block ×3, first 2 shown]
	v_fma_f64 v[96:97], -v[7:8], v[3:4], v[1:2]
	v_fma_f64 v[98:99], -v[11:12], v[56:57], v[86:87]
	;; [unrolled: 1-line block ×3, first 2 shown]
	s_waitcnt lgkmcnt(5)
	v_fma_f64 v[62:63], -v[17:18], v[62:63], v[92:93]
	v_fma_f64 v[92:93], -v[19:20], v[41:42], v[39:40]
	ds_load_b128 v[1:4], v32 offset:3808
	ds_load_b128 v[25:28], v32 offset:2944
	;; [unrolled: 1-line block ×5, first 2 shown]
	s_waitcnt lgkmcnt(9)
	v_mul_f64 v[21:22], v[66:67], v[94:95]
	s_waitcnt lgkmcnt(4)
	v_fma_f64 v[1:2], -v[5:6], v[1:2], v[45:46]
	v_fma_f64 v[66:67], -v[7:8], v[23:24], v[43:44]
	;; [unrolled: 1-line block ×5, first 2 shown]
	s_waitcnt lgkmcnt(3)
	v_fma_f64 v[53:54], -v[13:14], v[25:26], v[98:99]
	v_fma_f64 v[90:91], -v[17:18], v[35:36], v[90:91]
	;; [unrolled: 1-line block ×3, first 2 shown]
	v_add_nc_u32_e32 v35, 0x2800, v29
	ds_load_b128 v[23:26], v32 offset:4032
	ds_load_2addr_b64 v[43:46], v35 offset0:8 offset1:36
	s_waitcnt lgkmcnt(4)
	v_fma_f64 v[39:40], -v[21:22], v[39:40], v[92:93]
	v_fma_f64 v[92:93], -v[7:8], v[3:4], v[1:2]
	;; [unrolled: 1-line block ×4, first 2 shown]
	s_waitcnt lgkmcnt(0)
	v_fma_f64 v[63:64], -v[5:6], v[23:24], v[43:44]
	v_fma_f64 v[74:75], -v[17:18], v[74:75], v[59:60]
	;; [unrolled: 1-line block ×6, first 2 shown]
	v_mul_f64 v[23:24], v[41:42], v[39:40]
	ds_load_b128 v[1:4], v32 offset:4256
	ds_load_b128 v[36:39], v32 offset:3392
	ds_load_b128 v[40:43], v32 offset:2528
	ds_load_b128 v[47:50], v32 offset:2544
	ds_load_b128 v[51:54], v32 offset:3408
	ds_load_b128 v[59:62], v32 offset:4272
	v_fma_f64 v[86:87], -v[9:10], v[86:87], v[92:93]
	v_fma_f64 v[110:111], -v[11:12], v[84:85], v[65:66]
	;; [unrolled: 1-line block ×3, first 2 shown]
	s_waitcnt lgkmcnt(5)
	v_fma_f64 v[1:2], -v[5:6], v[1:2], v[45:46]
	v_fma_f64 v[44:45], -v[7:8], v[25:26], v[63:64]
	s_waitcnt lgkmcnt(4)
	v_fma_f64 v[36:37], -v[13:14], v[36:37], v[82:83]
	v_fma_f64 v[55:56], -v[17:18], v[55:56], v[27:28]
	;; [unrolled: 1-line block ×3, first 2 shown]
	s_waitcnt lgkmcnt(3)
	v_fma_f64 v[40:41], -v[21:22], v[40:41], v[90:91]
	v_fma_f64 v[116:117], -v[23:24], v[72:73], v[70:71]
	ds_load_b128 v[25:28], v32 offset:4480
	ds_load_2addr_b64 v[63:66], v35 offset0:64 offset1:92
	ds_load_b128 v[70:73], v32 offset:4048
	ds_load_b128 v[74:77], v32 offset:3616
	;; [unrolled: 1-line block ×9, first 2 shown]
	v_fma_f64 v[120:121], -v[11:12], v[88:89], v[86:87]
	s_waitcnt lgkmcnt(9)
	v_fma_f64 v[63:64], -v[5:6], v[25:26], v[63:64]
	s_waitcnt lgkmcnt(7)
	;; [unrolled: 2-line block ×3, first 2 shown]
	v_fma_f64 v[78:79], -v[17:18], v[78:79], v[112:113]
	v_fma_f64 v[118:119], -v[7:8], v[3:4], v[1:2]
	;; [unrolled: 1-line block ×5, first 2 shown]
	s_waitcnt lgkmcnt(5)
	v_fma_f64 v[82:83], -v[21:22], v[82:83], v[114:115]
	v_fma_f64 v[114:115], -v[23:24], v[42:43], v[40:41]
	v_mul_f64 v[25:26], v[68:69], v[116:117]
	ds_load_b128 v[1:4], v32 offset:4704
	ds_load_b128 v[36:39], v32 offset:3840
	;; [unrolled: 1-line block ×6, first 2 shown]
	v_fma_f64 v[27:28], -v[7:8], v[27:28], v[63:64]
	s_waitcnt lgkmcnt(5)
	v_fma_f64 v[1:2], -v[5:6], v[1:2], v[65:66]
	v_fma_f64 v[59:60], -v[9:10], v[59:60], v[118:119]
	;; [unrolled: 1-line block ×3, first 2 shown]
	s_waitcnt lgkmcnt(4)
	v_fma_f64 v[36:37], -v[13:14], v[36:37], v[120:121]
	v_fma_f64 v[73:74], -v[15:16], v[76:77], v[74:75]
	;; [unrolled: 1-line block ×4, first 2 shown]
	s_waitcnt lgkmcnt(3)
	v_fma_f64 v[40:41], -v[21:22], v[40:41], v[112:113]
	v_fma_f64 v[77:78], -v[23:24], v[84:85], v[82:83]
	v_fma_f64 v[79:80], -v[25:26], v[47:48], v[114:115]
	ds_load_b128 v[44:47], v32 offset:4928
	ds_load_2addr_b64 v[63:66], v35 offset0:120 offset1:148
	v_fma_f64 v[1:2], -v[7:8], v[3:4], v[1:2]
	v_fma_f64 v[3:4], -v[9:10], v[106:107], v[27:28]
	;; [unrolled: 1-line block ×5, first 2 shown]
	s_waitcnt lgkmcnt(0)
	v_fma_f64 v[44:45], -v[5:6], v[44:45], v[63:64]
	v_fma_f64 v[63:64], -v[11:12], v[61:62], v[59:60]
	v_fma_f64 v[52:53], -v[19:20], v[53:54], v[51:52]
	v_fma_f64 v[94:95], -v[21:22], v[94:95], v[75:76]
	v_fma_f64 v[102:103], -v[23:24], v[42:43], v[40:41]
	v_fma_f64 v[90:91], -v[25:26], v[90:91], v[77:78]
	v_mul_f64 v[27:28], v[49:50], v[79:80]
	ds_load_b128 v[36:39], v32 offset:5152
	ds_load_b128 v[40:43], v32 offset:4288
	;; [unrolled: 1-line block ×6, first 2 shown]
	s_waitcnt lgkmcnt(5)
	v_fma_f64 v[36:37], -v[5:6], v[36:37], v[65:66]
	v_fma_f64 v[124:125], -v[9:10], v[86:87], v[1:2]
	;; [unrolled: 1-line block ×6, first 2 shown]
	s_waitcnt lgkmcnt(4)
	v_fma_f64 v[40:41], -v[13:14], v[40:41], v[63:64]
	v_fma_f64 v[130:131], -v[19:20], v[100:101], v[98:99]
	s_waitcnt lgkmcnt(3)
	v_fma_f64 v[48:49], -v[21:22], v[48:49], v[52:53]
	v_fma_f64 v[132:133], -v[23:24], v[96:97], v[94:95]
	;; [unrolled: 1-line block ×3, first 2 shown]
	ds_load_b128 v[44:47], v32 offset:5376
	ds_load_2addr_b64 v[52:55], v35 offset0:176 offset1:204
	ds_load_b128 v[63:66], v32 offset:4944
	ds_load_b128 v[79:82], v32 offset:4512
	;; [unrolled: 1-line block ×3, first 2 shown]
	v_add_nc_u32_e64 v1, 0x800, 0
	v_fma_f64 v[136:137], -v[27:28], v[92:93], v[90:91]
	ds_load_b128 v[90:93], v32 offset:3648
	ds_load_b128 v[94:97], v32 offset:3216
	ds_load_2addr_b64 v[1:4], v1 offset0:92 offset1:150
	ds_load_b128 v[98:101], v32 offset:3232
	ds_load_b128 v[102:105], v32 offset:3664
	;; [unrolled: 1-line block ×6, first 2 shown]
	s_waitcnt lgkmcnt(12)
	v_fma_f64 v[52:53], -v[5:6], v[44:45], v[52:53]
	v_fma_f64 v[138:139], -v[7:8], v[38:39], v[36:37]
	;; [unrolled: 1-line block ×3, first 2 shown]
	s_waitcnt lgkmcnt(10)
	v_fma_f64 v[79:80], -v[13:14], v[79:80], v[126:127]
	s_waitcnt lgkmcnt(9)
	v_fma_f64 v[83:84], -v[17:18], v[83:84], v[128:129]
	v_fma_f64 v[144:145], -v[19:20], v[69:70], v[67:68]
	;; [unrolled: 1-line block ×4, first 2 shown]
	s_waitcnt lgkmcnt(8)
	v_fma_f64 v[130:131], -v[21:22], v[90:91], v[130:131]
	v_fma_f64 v[146:147], -v[23:24], v[50:51], v[48:49]
	s_waitcnt lgkmcnt(7)
	v_fma_f64 v[94:95], -v[25:26], v[94:95], v[132:133]
	v_fma_f64 v[56:57], -v[27:28], v[57:58], v[134:135]
	ds_load_b128 v[37:40], v32 offset:5600
	ds_load_b128 v[41:44], v32 offset:4736
	;; [unrolled: 1-line block ×4, first 2 shown]
	v_add_nc_u32_e32 v36, 0x2c00, v29
	ds_load_b128 v[87:90], v32 offset:3888
	ds_load_b128 v[122:125], v32 offset:4752
	ds_load_b128 v[126:129], v32 offset:5616
	s_waitcnt lgkmcnt(13)
	v_mul_f64 v[1:2], v[1:2], v[136:137]
	s_waitcnt lgkmcnt(6)
	v_fma_f64 v[29:30], -v[5:6], v[37:38], v[54:55]
	v_fma_f64 v[37:38], -v[7:8], v[46:47], v[52:53]
	;; [unrolled: 1-line block ×3, first 2 shown]
	s_waitcnt lgkmcnt(5)
	v_fma_f64 v[41:42], -v[13:14], v[41:42], v[140:141]
	v_fma_f64 v[63:64], -v[11:12], v[65:66], v[63:64]
	;; [unrolled: 1-line block ×5, first 2 shown]
	s_waitcnt lgkmcnt(4)
	v_fma_f64 v[81:82], -v[21:22], v[48:49], v[144:145]
	v_fma_f64 v[83:84], -v[23:24], v[92:93], v[130:131]
	;; [unrolled: 1-line block ×4, first 2 shown]
	ds_load_b128 v[45:48], v32 offset:5824
	ds_load_2addr_b64 v[52:55], v36 offset0:104 offset1:132
	s_waitcnt lgkmcnt(5)
	v_fma_f64 v[56:57], -v[1:2], v[67:68], v[56:57]
	v_fma_f64 v[91:92], -v[7:8], v[39:40], v[29:30]
	;; [unrolled: 1-line block ×3, first 2 shown]
	s_waitcnt lgkmcnt(0)
	v_fma_f64 v[45:46], -v[5:6], v[45:46], v[52:53]
	v_fma_f64 v[76:77], -v[11:12], v[77:78], v[75:76]
	;; [unrolled: 1-line block ×11, first 2 shown]
	v_mul_f64 v[29:30], v[69:70], v[56:57]
	ds_load_b128 v[37:40], v32 offset:5184
	ds_load_b128 v[41:44], v32 offset:4320
	;; [unrolled: 1-line block ×8, first 2 shown]
	v_fma_f64 v[126:127], -v[9:10], v[126:127], v[91:92]
	v_fma_f64 v[120:121], -v[11:12], v[120:121], v[93:94]
	;; [unrolled: 1-line block ×3, first 2 shown]
	s_waitcnt lgkmcnt(7)
	v_fma_f64 v[37:38], -v[13:14], v[37:38], v[76:77]
	s_waitcnt lgkmcnt(4)
	v_fma_f64 v[144:145], -v[5:6], v[56:57], v[54:55]
	v_fma_f64 v[132:133], -v[15:16], v[116:117], v[95:96]
	v_fma_f64 v[122:123], -v[17:18], v[122:123], v[114:115]
	v_fma_f64 v[134:135], -v[19:20], v[112:113], v[110:111]
	v_fma_f64 v[41:42], -v[21:22], v[41:42], v[118:119]
	v_fma_f64 v[136:137], -v[23:24], v[108:109], v[78:79]
	v_fma_f64 v[138:139], -v[25:26], v[87:88], v[80:81]
	v_fma_f64 v[140:141], -v[27:28], v[104:105], v[82:83]
	v_fma_f64 v[49:50], -v[1:2], v[49:50], v[102:103]
	v_fma_f64 v[142:143], -v[29:30], v[100:101], v[84:85]
	ds_load_b128 v[45:48], v32 offset:5840
	ds_load_b128 v[53:56], v32 offset:5408
	;; [unrolled: 1-line block ×12, first 2 shown]
	v_fma_f64 v[127:128], -v[11:12], v[128:129], v[126:127]
	s_waitcnt lgkmcnt(11)
	v_fma_f64 v[45:46], -v[9:10], v[45:46], v[130:131]
	s_waitcnt lgkmcnt(10)
	v_fma_f64 v[53:54], -v[13:14], v[53:54], v[120:121]
	v_fma_f64 v[129:130], -v[15:16], v[39:40], v[37:38]
	;; [unrolled: 1-line block ×3, first 2 shown]
	s_waitcnt lgkmcnt(9)
	v_fma_f64 v[76:77], -v[17:18], v[76:77], v[132:133]
	v_fma_f64 v[131:132], -v[19:20], v[124:125], v[122:123]
	s_waitcnt lgkmcnt(8)
	v_fma_f64 v[80:81], -v[21:22], v[80:81], v[134:135]
	v_fma_f64 v[133:134], -v[23:24], v[43:44], v[41:42]
	;; [unrolled: 3-line block ×4, first 2 shown]
	ds_load_b128 v[37:40], v32 offset:5632
	ds_load_b128 v[41:44], v32 offset:4768
	;; [unrolled: 1-line block ×6, first 2 shown]
	v_mul_f64 v[3:4], v[3:4], v[142:143]
	s_waitcnt lgkmcnt(5)
	v_fma_f64 v[37:38], -v[13:14], v[37:38], v[127:128]
	v_fma_f64 v[45:46], -v[11:12], v[47:48], v[45:46]
	;; [unrolled: 1-line block ×6, first 2 shown]
	s_waitcnt lgkmcnt(4)
	v_fma_f64 v[41:42], -v[21:22], v[41:42], v[131:132]
	v_fma_f64 v[68:69], -v[23:24], v[82:83], v[80:81]
	;; [unrolled: 1-line block ×4, first 2 shown]
	s_waitcnt lgkmcnt(3)
	v_fma_f64 v[49:50], -v[1:2], v[49:50], v[135:136]
	v_fma_f64 v[78:79], -v[29:30], v[93:94], v[137:138]
	v_fma_f64 v[59:60], -v[3:4], v[60:61], v[139:140]
	v_fma_f64 v[80:81], -v[15:16], v[39:40], v[37:38]
	v_fma_f64 v[72:73], -v[13:14], v[115:116], v[45:46]
	v_fma_f64 v[82:83], -v[17:18], v[111:112], v[47:48]
	v_fma_f64 v[70:71], -v[19:20], v[70:71], v[53:54]
	v_fma_f64 v[84:85], -v[21:22], v[107:108], v[55:56]
	v_fma_f64 v[86:87], -v[23:24], v[43:44], v[41:42]
	v_fma_f64 v[68:69], -v[25:26], v[103:104], v[68:69]
	v_fma_f64 v[64:65], -v[27:28], v[66:67], v[64:65]
	v_fma_f64 v[66:67], -v[1:2], v[99:100], v[76:77]
	v_fma_f64 v[76:77], -v[29:30], v[51:52], v[49:50]
	v_fma_f64 v[78:79], -v[3:4], v[95:96], v[78:79]
	v_mul_f64 v[127:128], v[62:63], v[59:60]
	v_fma_f64 v[61:62], -v[11:12], v[74:75], v[57:58]
	ds_load_b128 v[37:40], v32 offset:5216
	ds_load_b128 v[41:44], v32 offset:4352
	;; [unrolled: 1-line block ×6, first 2 shown]
	s_waitcnt lgkmcnt(6)
	v_fma_f64 v[115:116], -v[17:18], v[123:124], v[80:81]
	v_add_nc_u32_e64 v81, 0xc00, 0
	v_fma_f64 v[111:112], -v[15:16], v[117:118], v[72:73]
	v_fma_f64 v[113:114], -v[19:20], v[113:114], v[82:83]
	s_waitcnt lgkmcnt(5)
	v_fma_f64 v[37:38], -v[21:22], v[37:38], v[70:71]
	v_fma_f64 v[108:109], -v[23:24], v[109:110], v[84:85]
	;; [unrolled: 1-line block ×4, first 2 shown]
	s_waitcnt lgkmcnt(4)
	v_fma_f64 v[41:42], -v[1:2], v[41:42], v[64:65]
	v_fma_f64 v[123:124], -v[29:30], v[101:102], v[66:67]
	;; [unrolled: 1-line block ×4, first 2 shown]
	s_waitcnt lgkmcnt(3)
	v_fma_f64 v[45:46], -v[13:14], v[45:46], v[61:62]
	ds_load_b128 v[61:64], v32 offset:5872
	ds_load_b128 v[65:68], v32 offset:5440
	;; [unrolled: 1-line block ×5, first 2 shown]
	ds_load_2addr_b64 v[81:84], v81 offset0:80 offset1:138
	ds_load_b128 v[85:88], v32 offset:4160
	ds_load_b128 v[92:95], v32 offset:4592
	;; [unrolled: 1-line block ×5, first 2 shown]
	v_fma_f64 v[125:126], -v[19:20], v[125:126], v[115:116]
	v_fma_f64 v[133:134], -v[23:24], v[39:40], v[37:38]
	s_waitcnt lgkmcnt(10)
	v_fma_f64 v[61:62], -v[17:18], v[61:62], v[111:112]
	s_waitcnt lgkmcnt(9)
	;; [unrolled: 2-line block ×3, first 2 shown]
	v_fma_f64 v[69:70], -v[25:26], v[69:70], v[108:109]
	v_fma_f64 v[116:117], -v[27:28], v[121:122], v[117:118]
	s_waitcnt lgkmcnt(7)
	v_fma_f64 v[73:74], -v[1:2], v[73:74], v[119:120]
	v_fma_f64 v[118:119], -v[29:30], v[43:44], v[41:42]
	s_waitcnt lgkmcnt(6)
	v_fma_f64 v[77:78], -v[3:4], v[77:78], v[123:124]
	v_fma_f64 v[89:90], -v[127:128], v[90:91], v[129:130]
	s_waitcnt lgkmcnt(5)
	v_mul_f64 v[120:121], v[81:82], v[131:132]
	v_fma_f64 v[81:82], -v[15:16], v[47:48], v[45:46]
	ds_load_b128 v[37:40], v32 offset:5664
	ds_load_b128 v[41:44], v32 offset:4800
	;; [unrolled: 1-line block ×5, first 2 shown]
	v_fma_f64 v[53:54], -v[25:26], v[53:54], v[133:134]
	s_waitcnt lgkmcnt(4)
	v_fma_f64 v[37:38], -v[21:22], v[37:38], v[125:126]
	v_fma_f64 v[61:62], -v[19:20], v[63:64], v[61:62]
	v_fma_f64 v[63:64], -v[23:24], v[67:68], v[65:66]
	v_fma_f64 v[65:66], -v[27:28], v[71:72], v[69:70]
	s_waitcnt lgkmcnt(3)
	v_fma_f64 v[41:42], -v[1:2], v[41:42], v[116:117]
	v_fma_f64 v[67:68], -v[29:30], v[75:76], v[73:74]
	v_fma_f64 v[49:50], -v[3:4], v[49:50], v[118:119]
	v_fma_f64 v[69:70], -v[127:128], v[79:80], v[77:78]
	s_waitcnt lgkmcnt(2)
	v_fma_f64 v[45:46], -v[120:121], v[45:46], v[89:90]
	v_fma_f64 v[57:58], -v[17:18], v[57:58], v[81:82]
	v_fma_f64 v[73:74], -v[27:28], v[55:56], v[53:54]
	v_fma_f64 v[71:72], -v[23:24], v[39:40], v[37:38]
	v_fma_f64 v[61:62], -v[21:22], v[104:105], v[61:62]
	;; [unrolled: 1-line block ×8, first 2 shown]
	v_mul_f64 v[100:101], v[47:48], v[45:46]
	v_fma_f64 v[79:80], -v[19:20], v[59:60], v[57:58]
	ds_load_b128 v[37:40], v32 offset:5248
	ds_load_b128 v[41:44], v32 offset:4384
	;; [unrolled: 1-line block ×6, first 2 shown]
	s_waitcnt lgkmcnt(5)
	v_fma_f64 v[37:38], -v[1:2], v[37:38], v[73:74]
	v_fma_f64 v[104:105], -v[25:26], v[112:113], v[71:72]
	;; [unrolled: 1-line block ×7, first 2 shown]
	s_waitcnt lgkmcnt(4)
	v_fma_f64 v[41:42], -v[120:121], v[41:42], v[77:78]
	v_add_nc_u32_e64 v99, 0x1000, 0
	v_fma_f64 v[112:113], -v[100:101], v[87:88], v[69:70]
	s_waitcnt lgkmcnt(3)
	v_fma_f64 v[45:46], -v[21:22], v[45:46], v[79:80]
	ds_load_b128 v[61:64], v32 offset:5904
	ds_load_b128 v[65:68], v32 offset:5472
	;; [unrolled: 1-line block ×8, first 2 shown]
	v_fma_f64 v[104:105], -v[27:28], v[114:115], v[104:105]
	s_waitcnt lgkmcnt(7)
	v_fma_f64 v[61:62], -v[25:26], v[61:62], v[81:82]
	s_waitcnt lgkmcnt(6)
	v_fma_f64 v[65:66], -v[1:2], v[65:66], v[102:103]
	v_fma_f64 v[102:103], -v[29:30], v[39:40], v[37:38]
	s_waitcnt lgkmcnt(5)
	v_fma_f64 v[69:70], -v[3:4], v[69:70], v[97:98]
	;; [unrolled: 3-line block ×3, first 2 shown]
	v_fma_f64 v[106:107], -v[100:101], v[43:44], v[41:42]
	v_mul_f64 v[108:109], v[83:84], v[112:113]
	v_fma_f64 v[110:111], -v[23:24], v[47:48], v[45:46]
	ds_load_b128 v[37:40], v32 offset:5696
	ds_load_b128 v[41:44], v32 offset:4832
	ds_load_b128 v[45:48], v32 offset:4848
	ds_load_b128 v[81:84], v32 offset:5712
	s_waitcnt lgkmcnt(3)
	v_fma_f64 v[37:38], -v[1:2], v[37:38], v[104:105]
	v_fma_f64 v[61:62], -v[27:28], v[63:64], v[61:62]
	;; [unrolled: 1-line block ×5, first 2 shown]
	s_waitcnt lgkmcnt(2)
	v_fma_f64 v[41:42], -v[120:121], v[41:42], v[97:98]
	v_fma_f64 v[67:68], -v[100:101], v[75:76], v[73:74]
	;; [unrolled: 1-line block ×11, first 2 shown]
	v_mul_f64 v[89:90], v[51:52], v[49:50]
	v_fma_f64 v[57:58], -v[27:28], v[59:60], v[57:58]
	ds_load_b128 v[37:40], v32 offset:5280
	ds_load_b128 v[41:44], v32 offset:6144
	;; [unrolled: 1-line block ×4, first 2 shown]
	s_waitcnt lgkmcnt(4)
	v_fma_f64 v[81:82], -v[3:4], v[81:82], v[69:70]
	v_fma_f64 v[93:94], -v[29:30], v[95:96], v[61:62]
	;; [unrolled: 1-line block ×3, first 2 shown]
	s_waitcnt lgkmcnt(3)
	v_fma_f64 v[37:38], -v[120:121], v[37:38], v[71:72]
	v_fma_f64 v[95:96], -v[100:101], v[87:88], v[65:66]
	;; [unrolled: 1-line block ×4, first 2 shown]
	s_waitcnt lgkmcnt(2)
	v_fma_f64 v[41:42], -v[1:2], v[41:42], v[57:58]
	ds_load_b128 v[57:60], v32 offset:5936
	ds_load_b128 v[61:64], v32 offset:5504
	;; [unrolled: 1-line block ×3, first 2 shown]
	ds_load_2addr_b64 v[69:72], v99 offset0:68 offset1:126
	ds_load_b128 v[73:76], v32 offset:5088
	ds_load_b128 v[77:80], v32 offset:5520
	;; [unrolled: 1-line block ×3, first 2 shown]
	v_fma_f64 v[81:82], -v[127:128], v[83:84], v[81:82]
	s_waitcnt lgkmcnt(5)
	v_fma_f64 v[61:62], -v[120:121], v[61:62], v[91:92]
	v_fma_f64 v[57:58], -v[3:4], v[57:58], v[93:94]
	;; [unrolled: 1-line block ×3, first 2 shown]
	s_waitcnt lgkmcnt(4)
	v_fma_f64 v[65:66], -v[108:109], v[65:66], v[95:96]
	v_fma_f64 v[91:92], -v[89:90], v[47:48], v[45:46]
	s_waitcnt lgkmcnt(3)
	v_mul_f64 v[69:70], v[69:70], v[97:98]
	v_fma_f64 v[93:94], -v[29:30], v[43:44], v[41:42]
	ds_load_b128 v[37:40], v32 offset:5728
	ds_load_b128 v[41:44], v32 offset:4864
	;; [unrolled: 1-line block ×3, first 2 shown]
	s_waitcnt lgkmcnt(2)
	v_fma_f64 v[37:38], -v[120:121], v[37:38], v[81:82]
	v_fma_f64 v[57:58], -v[127:128], v[59:60], v[57:58]
	;; [unrolled: 1-line block ×5, first 2 shown]
	s_waitcnt lgkmcnt(1)
	v_fma_f64 v[41:42], -v[69:70], v[41:42], v[91:92]
	v_fma_f64 v[53:54], -v[3:4], v[53:54], v[93:94]
	;; [unrolled: 1-line block ×7, first 2 shown]
	v_mul_f64 v[77:78], v[43:44], v[41:42]
	v_fma_f64 v[67:68], -v[127:128], v[55:56], v[53:54]
	ds_load_b128 v[37:40], v32 offset:5312
	ds_load_b128 v[41:44], v32 offset:6176
	ds_load_b128 v[49:52], v32 offset:5328
	ds_load_b128 v[53:56], v32 offset:6192
	s_waitcnt lgkmcnt(4)
	v_fma_f64 v[45:46], -v[108:109], v[45:46], v[63:64]
	v_fma_f64 v[81:82], -v[100:101], v[87:88], v[57:58]
	;; [unrolled: 1-line block ×3, first 2 shown]
	s_waitcnt lgkmcnt(3)
	v_fma_f64 v[37:38], -v[69:70], v[37:38], v[65:66]
	v_fma_f64 v[83:84], -v[77:78], v[75:76], v[61:62]
	s_waitcnt lgkmcnt(2)
	v_fma_f64 v[41:42], -v[120:121], v[41:42], v[67:68]
	ds_load_b128 v[57:60], v32 offset:5968
	ds_load_b128 v[61:64], v32 offset:5536
	;; [unrolled: 1-line block ×4, first 2 shown]
	v_fma_f64 v[45:46], -v[89:90], v[47:48], v[45:46]
	s_waitcnt lgkmcnt(3)
	v_fma_f64 v[57:58], -v[108:109], v[57:58], v[81:82]
	s_waitcnt lgkmcnt(2)
	v_fma_f64 v[47:48], -v[69:70], v[61:62], v[79:80]
	v_fma_f64 v[61:62], -v[77:78], v[39:40], v[37:38]
	v_mul_f64 v[71:72], v[71:72], v[83:84]
	v_fma_f64 v[79:80], -v[100:101], v[43:44], v[41:42]
	ds_load_b128 v[37:40], v32 offset:5760
	ds_load_b128 v[41:44], v32 offset:5776
	s_waitcnt lgkmcnt(1)
	v_fma_f64 v[37:38], -v[69:70], v[37:38], v[45:46]
	v_fma_f64 v[57:58], -v[89:90], v[59:60], v[57:58]
	v_fma_f64 v[45:46], -v[77:78], v[63:64], v[47:48]
	v_fma_f64 v[47:48], -v[71:72], v[49:50], v[61:62]
	v_fma_f64 v[49:50], -v[108:109], v[53:54], v[79:80]
	s_delay_alu instid0(VALU_DEP_4)
	v_fma_f64 v[53:54], -v[69:70], v[73:74], v[57:58]
	v_fma_f64 v[57:58], -v[77:78], v[39:40], v[37:38]
	v_fma_f64 v[59:60], -v[71:72], v[65:66], v[45:46]
	v_mul_f64 v[61:62], v[51:52], v[47:48]
	v_fma_f64 v[49:50], -v[89:90], v[55:56], v[49:50]
	ds_load_b128 v[37:40], v32 offset:6208
	ds_load_b128 v[45:48], v32 offset:6224
	v_fma_f64 v[63:64], -v[77:78], v[75:76], v[53:54]
	s_waitcnt lgkmcnt(2)
	v_fma_f64 v[41:42], -v[71:72], v[41:42], v[57:58]
	v_fma_f64 v[65:66], -v[61:62], v[67:68], v[59:60]
	s_waitcnt lgkmcnt(1)
	v_fma_f64 v[37:38], -v[69:70], v[37:38], v[49:50]
	ds_load_b128 v[49:52], v32 offset:6000
	ds_load_2addr_b64 v[53:56], v99 offset0:184 offset1:242
	ds_load_b128 v[57:60], v32 offset:6016
	s_waitcnt lgkmcnt(2)
	v_fma_f64 v[49:50], -v[71:72], v[49:50], v[63:64]
	v_fma_f64 v[41:42], -v[61:62], v[43:44], v[41:42]
	s_waitcnt lgkmcnt(1)
	v_mul_f64 v[53:54], v[53:54], v[65:66]
	v_fma_f64 v[43:44], -v[77:78], v[39:40], v[37:38]
	ds_load_b128 v[37:40], v32 offset:5792
	v_fma_f64 v[49:50], -v[61:62], v[51:52], v[49:50]
	s_waitcnt lgkmcnt(0)
	v_fma_f64 v[37:38], -v[53:54], v[37:38], v[41:42]
	v_fma_f64 v[41:42], -v[71:72], v[45:46], v[43:44]
	s_delay_alu instid0(VALU_DEP_3) | instskip(NEXT) | instid1(VALU_DEP_3)
	v_fma_f64 v[45:46], -v[53:54], v[57:58], v[49:50]
	v_mul_f64 v[49:50], v[39:40], v[37:38]
	s_delay_alu instid0(VALU_DEP_3)
	v_fma_f64 v[47:48], -v[61:62], v[47:48], v[41:42]
	ds_load_b128 v[37:40], v32 offset:6240
	ds_load_b128 v[41:44], v32 offset:6256
	ds_store_2addr_b64 v31, v[5:6], v[7:8] offset0:16 offset1:44
	ds_store_2addr_b64 v31, v[9:10], v[11:12] offset0:72 offset1:100
	;; [unrolled: 1-line block ×13, first 2 shown]
	v_fma_f64 v[45:46], -v[49:50], v[59:60], v[45:46]
	s_waitcnt lgkmcnt(14)
	v_fma_f64 v[37:38], -v[53:54], v[37:38], v[47:48]
	s_delay_alu instid0(VALU_DEP_2) | instskip(NEXT) | instid1(VALU_DEP_2)
	v_mul_f64 v[45:46], v[55:56], v[45:46]
	v_fma_f64 v[37:38], -v[49:50], v[39:40], v[37:38]
	s_waitcnt lgkmcnt(13)
	s_delay_alu instid0(VALU_DEP_1) | instskip(NEXT) | instid1(VALU_DEP_1)
	v_fma_f64 v[37:38], -v[45:46], v[41:42], v[37:38]
	v_mul_f64 v[37:38], v[43:44], v[37:38]
	ds_store_2addr_b64 v36, v[45:46], v[37:38] offset0:104 offset1:132
.LBB97_20:
	s_cmp_lt_i32 s8, s20
	s_cbranch_scc0 .LBB97_37
; %bb.21:
	s_add_i32 s9, s8, 23
	s_delay_alu instid0(SALU_CYCLE_1)
	s_cmp_ge_u32 s9, s20
	s_cbranch_scc1 .LBB97_26
; %bb.22:
	s_mul_i32 s12, s8, 28
	s_and_not1_b32 vcc_lo, exec_lo, s4
	v_add_lshl_u32 v45, s12, v0, 3
	s_add_i32 s13, s12, 0x284
	s_delay_alu instid0(SALU_CYCLE_1) | instskip(NEXT) | instid1(VALU_DEP_2)
	v_add_lshl_u32 v46, s13, v0, 3
	v_add_nc_u32_e32 v1, 0x1800, v45
	v_add_nc_u32_e32 v3, 0x2000, v45
	;; [unrolled: 1-line block ×4, first 2 shown]
	ds_load_2addr_b64 v[41:44], v1 offset0:16 offset1:44
	ds_load_2addr_b64 v[37:40], v1 offset0:72 offset1:100
	;; [unrolled: 1-line block ×11, first 2 shown]
	ds_load_b64 v[55:56], v45 offset:11200
	ds_load_b64 v[53:54], v46 offset:6272
	s_cbranch_vccnz .LBB97_25
; %bb.23:
	v_lshl_add_u32 v46, v0, 3, 0x1880
	s_mul_i32 s4, s8, 0xe0
	s_mov_b32 s13, 0
.LBB97_24:                              ; =>This Inner Loop Header: Depth=1
	v_mov_b32_e32 v69, s4
	v_add_nc_u32_e64 v85, 0x800, s4
	v_add_nc_u32_e64 v89, 0xc00, s4
	;; [unrolled: 1-line block ×3, first 2 shown]
	ds_load_b64 v[51:52], v46
	v_add_nc_u32_e32 v46, 0xe0, v46
	ds_load_2addr_b64 v[47:50], v69 offset1:28
	ds_load_2addr_b64 v[57:60], v69 offset0:56 offset1:84
	ds_load_2addr_b64 v[61:64], v69 offset0:112 offset1:140
	;; [unrolled: 1-line block ×11, first 2 shown]
	s_add_i32 s13, s13, 1
	s_add_i32 s4, s4, 8
	s_cmp_lt_u32 s13, s8
	s_waitcnt lgkmcnt(11)
	v_fma_f64 v[41:42], -v[51:52], v[47:48], v[41:42]
	v_fma_f64 v[43:44], -v[51:52], v[49:50], v[43:44]
	s_waitcnt lgkmcnt(10)
	v_fma_f64 v[37:38], -v[51:52], v[57:58], v[37:38]
	v_fma_f64 v[39:40], -v[51:52], v[59:60], v[39:40]
	;; [unrolled: 3-line block ×12, first 2 shown]
	s_cbranch_scc1 .LBB97_24
.LBB97_25:
	s_mul_i32 s13, s8, 0xe8
	s_delay_alu instid0(SALU_CYCLE_1)
	v_dual_mov_b32 v58, s13 :: v_dual_add_nc_u32 v57, 0x1880, v45
	s_add_i32 s4, s12, 28
	s_mul_i32 s9, s9, 28
	s_add_i32 s14, s4, s8
	v_add_nc_u32_e64 v135, 0x800, s13
	ds_load_2addr_b64 v[45:48], v58 offset1:58
	s_lshl_b32 s14, s14, 3
	s_waitcnt lgkmcnt(0)
	v_mul_f64 v[41:42], v[45:46], v[41:42]
	v_mov_b32_e32 v45, s14
	s_add_i32 s14, s12, 56
	ds_load_b128 v[49:52], v45
	ds_load_b64 v[45:46], v58 offset:5104
	s_add_i32 s15, s14, s8
	s_delay_alu instid0(SALU_CYCLE_1) | instskip(SKIP_4) | instid1(SALU_CYCLE_1)
	s_lshl_b32 s15, s15, 3
	s_waitcnt lgkmcnt(1)
	v_fma_f64 v[43:44], -v[41:42], v[49:50], v[43:44]
	v_mov_b32_e32 v49, s15
	s_add_i32 s15, s12, 0x54
	s_add_i32 s19, s15, s8
	s_delay_alu instid0(SALU_CYCLE_1) | instskip(NEXT) | instid1(SALU_CYCLE_1)
	s_lshl_b32 s19, s19, 3
	v_mov_b32_e32 v67, s19
	s_add_i32 s19, s12, 0x70
	s_delay_alu instid0(SALU_CYCLE_1) | instskip(NEXT) | instid1(SALU_CYCLE_1)
	s_add_i32 s21, s19, s8
	s_lshl_b32 s21, s21, 3
	s_delay_alu instid0(SALU_CYCLE_1) | instskip(SKIP_1) | instid1(SALU_CYCLE_1)
	v_mov_b32_e32 v68, s21
	s_add_i32 s21, s12, 0x8c
	s_add_i32 s22, s21, s8
	s_delay_alu instid0(SALU_CYCLE_1) | instskip(NEXT) | instid1(SALU_CYCLE_1)
	s_lshl_b32 s22, s22, 3
	v_mov_b32_e32 v75, s22
	s_add_i32 s22, s12, 0xa8
	s_delay_alu instid0(SALU_CYCLE_1) | instskip(NEXT) | instid1(SALU_CYCLE_1)
	s_add_i32 s23, s22, s8
	s_lshl_b32 s23, s23, 3
	s_delay_alu instid0(SALU_CYCLE_1) | instskip(SKIP_1) | instid1(SALU_CYCLE_1)
	v_mov_b32_e32 v83, s23
	s_add_i32 s23, s12, 0xc4
	s_add_i32 s24, s23, s8
	s_delay_alu instid0(SALU_CYCLE_1) | instskip(NEXT) | instid1(SALU_CYCLE_1)
	s_lshl_b32 s24, s24, 3
	v_mov_b32_e32 v95, s24
	s_add_i32 s24, s12, 0xe0
	s_delay_alu instid0(SALU_CYCLE_1) | instskip(NEXT) | instid1(SALU_CYCLE_1)
	s_add_i32 s25, s24, s8
	s_lshl_b32 s25, s25, 3
	s_delay_alu instid0(SALU_CYCLE_1) | instskip(SKIP_3) | instid1(SALU_CYCLE_1)
	v_mov_b32_e32 v96, s25
	s_add_i32 s25, s12, 0xfc
	ds_load_b128 v[59:62], v49
	s_add_i32 s26, s25, s8
	s_lshl_b32 s26, s26, 3
	s_delay_alu instid0(SALU_CYCLE_1) | instskip(SKIP_1) | instid1(SALU_CYCLE_1)
	v_mov_b32_e32 v103, s26
	s_add_i32 s26, s12, 0x118
	s_add_i32 s27, s26, s8
	s_delay_alu instid0(SALU_CYCLE_1) | instskip(NEXT) | instid1(SALU_CYCLE_1)
	s_lshl_b32 s27, s27, 3
	v_mov_b32_e32 v107, s27
	s_add_i32 s27, s12, 0x134
	s_delay_alu instid0(SALU_CYCLE_1) | instskip(NEXT) | instid1(SALU_CYCLE_1)
	s_add_i32 s29, s27, s8
	s_lshl_b32 s29, s29, 3
	s_delay_alu instid0(SALU_CYCLE_1) | instskip(SKIP_1) | instid1(SALU_CYCLE_1)
	v_mov_b32_e32 v119, s29
	s_add_i32 s29, s12, 0x150
	s_add_i32 s30, s29, s8
	s_delay_alu instid0(SALU_CYCLE_1) | instskip(NEXT) | instid1(SALU_CYCLE_1)
	s_lshl_b32 s30, s30, 3
	v_mov_b32_e32 v123, s30
	s_add_i32 s30, s12, 0x16c
	s_delay_alu instid0(SALU_CYCLE_1) | instskip(NEXT) | instid1(SALU_CYCLE_1)
	s_add_i32 s31, s30, s8
	s_lshl_b32 s31, s31, 3
	s_delay_alu instid0(SALU_CYCLE_1)
	v_mov_b32_e32 v124, s31
	ds_load_b128 v[63:66], v67
	s_waitcnt lgkmcnt(1)
	v_fma_f64 v[49:50], -v[41:42], v[59:60], v[37:38]
	v_mul_f64 v[37:38], v[51:52], v[43:44]
	s_add_i32 s31, s12, 0x188
	s_delay_alu instid0(SALU_CYCLE_1) | instskip(NEXT) | instid1(SALU_CYCLE_1)
	s_add_i32 s33, s31, s8
	s_lshl_b32 s33, s33, 3
	s_delay_alu instid0(SALU_CYCLE_1) | instskip(SKIP_1) | instid1(SALU_CYCLE_1)
	v_mov_b32_e32 v130, s33
	s_add_i32 s33, s12, 0x1a4
	s_add_i32 s34, s33, s8
	s_delay_alu instid0(SALU_CYCLE_1) | instskip(NEXT) | instid1(SALU_CYCLE_1)
	s_lshl_b32 s34, s34, 3
	v_mov_b32_e32 v131, s34
	s_add_i32 s34, s12, 0x1c0
	s_delay_alu instid0(SALU_CYCLE_1) | instskip(SKIP_3) | instid1(SALU_CYCLE_1)
	s_add_i32 s35, s34, s8
	s_waitcnt lgkmcnt(0)
	v_fma_f64 v[39:40], -v[41:42], v[63:64], v[39:40]
	s_lshl_b32 s35, s35, 3
	v_mov_b32_e32 v132, s35
	s_add_i32 s35, s12, 0x1dc
	s_delay_alu instid0(SALU_CYCLE_1) | instskip(NEXT) | instid1(SALU_CYCLE_1)
	s_add_i32 s36, s35, s8
	s_lshl_b32 s36, s36, 3
	s_delay_alu instid0(SALU_CYCLE_1) | instskip(SKIP_1) | instid1(SALU_CYCLE_1)
	v_mov_b32_e32 v133, s36
	s_add_i32 s36, s12, 0x1f8
	s_add_i32 s37, s36, s8
	s_delay_alu instid0(SALU_CYCLE_1) | instskip(NEXT) | instid1(SALU_CYCLE_1)
	s_lshl_b32 s37, s37, 3
	v_mov_b32_e32 v134, s37
	s_add_i32 s37, s12, 0x214
	v_fma_f64 v[43:44], -v[37:38], v[61:62], v[49:50]
	ds_load_b128 v[49:52], v68
	s_add_i32 s38, s37, s8
	s_delay_alu instid0(SALU_CYCLE_1) | instskip(NEXT) | instid1(SALU_CYCLE_1)
	s_lshl_b32 s38, s38, 3
	v_mov_b32_e32 v136, s38
	s_add_i32 s38, s12, 0x230
	s_delay_alu instid0(SALU_CYCLE_1) | instskip(NEXT) | instid1(SALU_CYCLE_1)
	s_add_i32 s39, s38, s8
	s_lshl_b32 s39, s39, 3
	s_delay_alu instid0(SALU_CYCLE_1)
	v_mov_b32_e32 v137, s39
	s_add_i32 s39, s12, 0x24c
	s_addk_i32 s12, 0x268
	s_add_i32 s40, s39, s8
	v_fma_f64 v[39:40], -v[37:38], v[65:66], v[39:40]
	s_lshl_b32 s40, s40, 3
	s_waitcnt lgkmcnt(0)
	v_fma_f64 v[63:64], -v[41:42], v[49:50], v[33:34]
	v_mov_b32_e32 v138, s40
	s_add_i32 s40, s12, s8
	s_delay_alu instid0(SALU_CYCLE_1) | instskip(NEXT) | instid1(SALU_CYCLE_1)
	s_lshl_b32 s40, s40, 3
	v_mov_b32_e32 v139, s40
	s_add_i32 s40, s9, s8
	s_add_i32 s8, s8, 24
	s_lshl_b32 s40, s40, 3
	s_delay_alu instid0(SALU_CYCLE_1)
	v_mov_b32_e32 v140, s40
	v_mul_f64 v[33:34], v[47:48], v[43:44]
	ds_load_b128 v[47:50], v75
	ds_load_b128 v[59:62], v67 offset:16
	s_waitcnt lgkmcnt(1)
	v_fma_f64 v[35:36], -v[41:42], v[47:48], v[35:36]
	v_fma_f64 v[43:44], -v[37:38], v[51:52], v[63:64]
	ds_load_b128 v[63:66], v83
	ds_load_b128 v[67:70], v68 offset:16
	ds_load_b128 v[71:74], v83 offset:16
	s_waitcnt lgkmcnt(3)
	v_fma_f64 v[39:40], -v[33:34], v[59:60], v[39:40]
	s_waitcnt lgkmcnt(2)
	v_fma_f64 v[51:52], -v[41:42], v[63:64], v[29:30]
	v_fma_f64 v[35:36], -v[37:38], v[49:50], v[35:36]
	s_waitcnt lgkmcnt(1)
	v_fma_f64 v[43:44], -v[33:34], v[67:68], v[43:44]
	s_delay_alu instid0(VALU_DEP_4)
	v_mul_f64 v[29:30], v[61:62], v[39:40]
	ds_load_b128 v[47:50], v95
	ds_load_b128 v[59:62], v75 offset:16
	ds_load_b128 v[75:78], v75 offset:32
	v_fma_f64 v[39:40], -v[37:38], v[65:66], v[51:52]
	s_waitcnt lgkmcnt(2)
	v_fma_f64 v[31:32], -v[41:42], v[47:48], v[31:32]
	s_waitcnt lgkmcnt(1)
	v_fma_f64 v[35:36], -v[33:34], v[59:60], v[35:36]
	v_fma_f64 v[43:44], -v[29:30], v[69:70], v[43:44]
	ds_load_b128 v[63:66], v96
	ds_load_2addr_b64 v[67:70], v58 offset0:116 offset1:174
	v_fma_f64 v[39:40], -v[33:34], v[71:72], v[39:40]
	v_fma_f64 v[31:32], -v[37:38], v[49:50], v[31:32]
	s_waitcnt lgkmcnt(1)
	v_fma_f64 v[51:52], -v[41:42], v[63:64], v[25:26]
	v_fma_f64 v[35:36], -v[29:30], v[61:62], v[35:36]
	ds_load_b128 v[47:50], v103
	ds_load_b128 v[59:62], v95 offset:16
	ds_load_b128 v[79:82], v95 offset:32
	s_waitcnt lgkmcnt(3)
	v_mul_f64 v[25:26], v[67:68], v[43:44]
	s_waitcnt lgkmcnt(2)
	v_fma_f64 v[27:28], -v[41:42], v[47:48], v[27:28]
	v_fma_f64 v[39:40], -v[29:30], v[73:74], v[39:40]
	s_waitcnt lgkmcnt(1)
	v_fma_f64 v[31:32], -v[33:34], v[59:60], v[31:32]
	v_fma_f64 v[43:44], -v[37:38], v[65:66], v[51:52]
	ds_load_b128 v[63:66], v107
	ds_load_b128 v[71:74], v96 offset:16
	ds_load_b128 v[83:86], v83 offset:32
	;; [unrolled: 1-line block ×4, first 2 shown]
	s_waitcnt lgkmcnt(4)
	v_fma_f64 v[51:52], -v[41:42], v[63:64], v[21:22]
	v_fma_f64 v[35:36], -v[25:26], v[75:76], v[35:36]
	v_fma_f64 v[27:28], -v[37:38], v[49:50], v[27:28]
	s_waitcnt lgkmcnt(2)
	v_fma_f64 v[39:40], -v[25:26], v[83:84], v[39:40]
	v_fma_f64 v[31:32], -v[29:30], v[61:62], v[31:32]
	;; [unrolled: 1-line block ×3, first 2 shown]
	v_mul_f64 v[21:22], v[77:78], v[35:36]
	ds_load_b128 v[47:50], v119
	ds_load_b128 v[59:62], v103 offset:16
	ds_load_b128 v[75:78], v103 offset:32
	v_fma_f64 v[35:36], -v[37:38], v[65:66], v[51:52]
	ds_load_b128 v[63:66], v123
	s_waitcnt lgkmcnt(3)
	v_fma_f64 v[23:24], -v[41:42], v[47:48], v[23:24]
	s_waitcnt lgkmcnt(2)
	v_fma_f64 v[27:28], -v[33:34], v[59:60], v[27:28]
	v_fma_f64 v[43:44], -v[29:30], v[73:74], v[43:44]
	;; [unrolled: 1-line block ×3, first 2 shown]
	s_waitcnt lgkmcnt(0)
	v_fma_f64 v[51:52], -v[41:42], v[63:64], v[17:18]
	v_fma_f64 v[39:40], -v[21:22], v[85:86], v[39:40]
	;; [unrolled: 1-line block ×7, first 2 shown]
	v_mul_f64 v[17:18], v[69:70], v[39:40]
	ds_load_b128 v[47:50], v124
	ds_load_b128 v[59:62], v119 offset:16
	ds_load_b64 v[39:40], v95 offset:48
	v_fma_f64 v[35:36], -v[29:30], v[93:94], v[35:36]
	ds_load_b128 v[67:70], v119 offset:32
	s_waitcnt lgkmcnt(3)
	v_fma_f64 v[19:20], -v[41:42], v[47:48], v[19:20]
	v_fma_f64 v[47:48], -v[37:38], v[65:66], v[51:52]
	s_waitcnt lgkmcnt(2)
	v_fma_f64 v[23:24], -v[33:34], v[59:60], v[23:24]
	v_fma_f64 v[27:28], -v[25:26], v[75:76], v[27:28]
	;; [unrolled: 1-line block ×3, first 2 shown]
	ds_load_b128 v[63:66], v130
	ds_load_b128 v[71:74], v123 offset:16
	ds_load_b128 v[79:82], v107 offset:32
	;; [unrolled: 1-line block ×3, first 2 shown]
	ds_load_2addr_b64 v[87:90], v58 offset0:203 offset1:232
	ds_load_b128 v[91:94], v107 offset:48
	ds_load_b128 v[95:98], v123 offset:32
	;; [unrolled: 1-line block ×3, first 2 shown]
	s_waitcnt lgkmcnt(9)
	v_fma_f64 v[31:32], -v[17:18], v[39:40], v[31:32]
	s_waitcnt lgkmcnt(7)
	v_fma_f64 v[39:40], -v[41:42], v[63:64], v[13:14]
	;; [unrolled: 2-line block ×3, first 2 shown]
	v_fma_f64 v[19:20], -v[37:38], v[49:50], v[19:20]
	v_fma_f64 v[51:52], -v[33:34], v[71:72], v[47:48]
	;; [unrolled: 1-line block ×4, first 2 shown]
	s_waitcnt lgkmcnt(4)
	v_fma_f64 v[43:44], -v[17:18], v[83:84], v[43:44]
	ds_load_b128 v[47:50], v131
	ds_load_b128 v[58:61], v124 offset:16
	ds_load_b128 v[75:78], v103 offset:48
	s_waitcnt lgkmcnt(6)
	v_mul_f64 v[13:14], v[87:88], v[31:32]
	ds_load_b64 v[31:32], v103 offset:64
	ds_load_b128 v[103:106], v124 offset:32
	v_fma_f64 v[39:40], -v[37:38], v[65:66], v[39:40]
	ds_load_b128 v[62:65], v132
	s_waitcnt lgkmcnt(5)
	v_fma_f64 v[15:16], -v[41:42], v[47:48], v[15:16]
	v_fma_f64 v[35:36], -v[21:22], v[81:82], v[35:36]
	s_waitcnt lgkmcnt(4)
	v_fma_f64 v[19:20], -v[33:34], v[58:59], v[19:20]
	v_fma_f64 v[47:48], -v[29:30], v[73:74], v[51:52]
	;; [unrolled: 1-line block ×3, first 2 shown]
	s_waitcnt lgkmcnt(3)
	v_fma_f64 v[27:28], -v[17:18], v[75:76], v[27:28]
	s_waitcnt lgkmcnt(0)
	v_fma_f64 v[9:10], -v[41:42], v[62:63], v[9:10]
	v_fma_f64 v[43:44], -v[13:14], v[85:86], v[43:44]
	;; [unrolled: 1-line block ×9, first 2 shown]
	ds_load_b128 v[47:50], v133
	ds_load_b128 v[58:61], v131 offset:16
	ds_load_b128 v[66:69], v119 offset:48
	v_fma_f64 v[115:116], -v[37:38], v[64:65], v[9:10]
	ds_load_b128 v[70:73], v119 offset:64
	ds_load_b128 v[74:77], v131 offset:32
	v_mul_f64 v[43:44], v[89:90], v[43:44]
	v_fma_f64 v[39:40], -v[29:30], v[101:102], v[39:40]
	s_waitcnt lgkmcnt(4)
	v_fma_f64 v[47:48], -v[41:42], v[47:48], v[11:12]
	s_waitcnt lgkmcnt(3)
	v_fma_f64 v[15:16], -v[33:34], v[58:59], v[15:16]
	v_fma_f64 v[35:36], -v[13:14], v[93:94], v[35:36]
	ds_load_b128 v[9:12], v134
	ds_load_b128 v[62:65], v132 offset:16
	ds_load_b128 v[78:81], v130 offset:32
	;; [unrolled: 1-line block ×4, first 2 shown]
	ds_load_2addr_b64 v[90:93], v135 offset0:5 offset1:34
	v_fma_f64 v[19:20], -v[25:26], v[103:104], v[19:20]
	v_fma_f64 v[51:52], -v[21:22], v[97:98], v[51:52]
	s_waitcnt lgkmcnt(8)
	v_fma_f64 v[23:24], -v[17:18], v[66:67], v[23:24]
	ds_load_b128 v[94:97], v123 offset:64
	ds_load_b128 v[98:101], v130 offset:48
	;; [unrolled: 1-line block ×4, first 2 shown]
	s_waitcnt lgkmcnt(9)
	v_fma_f64 v[5:6], -v[41:42], v[9:10], v[5:6]
	v_fma_f64 v[27:28], -v[43:44], v[31:32], v[27:28]
	s_waitcnt lgkmcnt(8)
	v_fma_f64 v[31:32], -v[33:34], v[62:63], v[115:116]
	s_waitcnt lgkmcnt(7)
	v_fma_f64 v[39:40], -v[25:26], v[78:79], v[39:40]
	v_fma_f64 v[9:10], -v[37:38], v[49:50], v[47:48]
	v_fma_f64 v[15:16], -v[29:30], v[60:61], v[15:16]
	s_waitcnt lgkmcnt(5)
	v_fma_f64 v[35:36], -v[43:44], v[86:87], v[35:36]
	v_fma_f64 v[19:20], -v[21:22], v[105:106], v[19:20]
	;; [unrolled: 1-line block ×4, first 2 shown]
	ds_load_b128 v[47:50], v136
	ds_load_b128 v[58:61], v133 offset:16
	ds_load_b128 v[66:69], v124 offset:48
	;; [unrolled: 1-line block ×4, first 2 shown]
	v_fma_f64 v[11:12], -v[37:38], v[11:12], v[5:6]
	s_waitcnt lgkmcnt(9)
	v_mul_f64 v[27:28], v[90:91], v[27:28]
	v_fma_f64 v[31:32], -v[29:30], v[64:65], v[31:32]
	s_waitcnt lgkmcnt(4)
	v_fma_f64 v[47:48], -v[41:42], v[47:48], v[7:8]
	s_waitcnt lgkmcnt(3)
	v_fma_f64 v[9:10], -v[33:34], v[58:59], v[9:10]
	v_fma_f64 v[15:16], -v[25:26], v[74:75], v[15:16]
	;; [unrolled: 1-line block ×3, first 2 shown]
	ds_load_b128 v[5:8], v137
	s_waitcnt lgkmcnt(3)
	v_fma_f64 v[19:20], -v[17:18], v[66:67], v[19:20]
	v_fma_f64 v[51:52], -v[13:14], v[84:85], v[51:52]
	;; [unrolled: 1-line block ×4, first 2 shown]
	s_waitcnt lgkmcnt(0)
	v_fma_f64 v[1:2], -v[41:42], v[5:6], v[1:2]
	v_fma_f64 v[35:36], -v[27:28], v[88:89], v[35:36]
	;; [unrolled: 1-line block ×10, first 2 shown]
	ds_load_b128 v[9:12], v138
	ds_load_b128 v[47:50], v136 offset:16
	ds_load_b128 v[58:61], v131 offset:48
	ds_load_b64 v[72:73], v119 offset:80
	ds_load_b128 v[62:65], v131 offset:64
	ds_load_b128 v[66:69], v136 offset:32
	v_fma_f64 v[121:122], -v[29:30], v[113:114], v[70:71]
	v_fma_f64 v[119:120], -v[37:38], v[7:8], v[1:2]
	v_mul_f64 v[35:36], v[92:93], v[35:36]
	s_waitcnt lgkmcnt(5)
	v_fma_f64 v[9:10], -v[41:42], v[9:10], v[3:4]
	s_waitcnt lgkmcnt(4)
	v_fma_f64 v[47:48], -v[33:34], v[47:48], v[5:6]
	v_fma_f64 v[114:115], -v[25:26], v[115:116], v[74:75]
	;; [unrolled: 1-line block ×3, first 2 shown]
	s_waitcnt lgkmcnt(3)
	v_fma_f64 v[15:16], -v[17:18], v[58:59], v[15:16]
	v_fma_f64 v[39:40], -v[13:14], v[100:101], v[39:40]
	;; [unrolled: 1-line block ×4, first 2 shown]
	s_waitcnt lgkmcnt(2)
	v_fma_f64 v[23:24], -v[35:36], v[72:73], v[23:24]
	ds_load_b128 v[1:4], v139
	ds_load_b128 v[5:8], v137 offset:16
	ds_load_b128 v[70:73], v134 offset:32
	ds_load_b128 v[74:77], v132 offset:48
	ds_load_b128 v[78:81], v130 offset:64
	ds_load_b128 v[82:85], v123 offset:80
	ds_load_2addr_b64 v[86:89], v135 offset0:63 offset1:92
	v_fma_f64 v[126:127], -v[29:30], v[49:50], v[47:48]
	v_fma_f64 v[128:129], -v[21:22], v[117:118], v[114:115]
	;; [unrolled: 1-line block ×3, first 2 shown]
	ds_load_b128 v[90:93], v130 offset:80
	ds_load_b128 v[94:97], v132 offset:64
	;; [unrolled: 1-line block ×5, first 2 shown]
	s_waitcnt lgkmcnt(11)
	v_fma_f64 v[1:2], -v[41:42], v[1:2], v[55:56]
	v_fma_f64 v[55:56], -v[37:38], v[11:12], v[9:10]
	s_waitcnt lgkmcnt(10)
	v_fma_f64 v[5:6], -v[33:34], v[5:6], v[119:120]
	s_waitcnt lgkmcnt(9)
	;; [unrolled: 2-line block ×4, first 2 shown]
	v_fma_f64 v[39:40], -v[43:44], v[78:79], v[39:40]
	v_fma_f64 v[19:20], -v[27:28], v[104:105], v[19:20]
	s_waitcnt lgkmcnt(6)
	v_fma_f64 v[51:52], -v[35:36], v[82:83], v[51:52]
	ds_load_b128 v[9:12], v140
	ds_load_b128 v[47:50], v138 offset:16
	ds_load_b128 v[58:61], v133 offset:48
	ds_load_b128 v[102:105], v124 offset:80
	ds_load_b128 v[114:117], v124 offset:96
	ds_load_b128 v[118:121], v133 offset:64
	ds_load_b128 v[122:125], v138 offset:32
	s_waitcnt lgkmcnt(12)
	v_mul_f64 v[23:24], v[86:87], v[23:24]
	s_waitcnt lgkmcnt(6)
	v_fma_f64 v[9:10], -v[41:42], v[9:10], v[53:54]
	s_waitcnt lgkmcnt(4)
	v_fma_f64 v[53:54], -v[17:18], v[58:59], v[128:129]
	v_fma_f64 v[15:16], -v[43:44], v[62:63], v[15:16]
	;; [unrolled: 1-line block ×9, first 2 shown]
	s_waitcnt lgkmcnt(3)
	v_fma_f64 v[19:20], -v[35:36], v[102:103], v[19:20]
	v_fma_f64 v[51:52], -v[23:24], v[84:85], v[51:52]
	;; [unrolled: 1-line block ×13, first 2 shown]
	v_mul_f64 v[102:103], v[88:89], v[51:52]
	ds_load_b128 v[1:4], v140 offset:16
	ds_load_b128 v[5:8], v136 offset:48
	;; [unrolled: 1-line block ×6, first 2 shown]
	s_waitcnt lgkmcnt(7)
	v_fma_f64 v[106:107], -v[43:44], v[118:119], v[74:75]
	s_waitcnt lgkmcnt(5)
	v_fma_f64 v[1:2], -v[33:34], v[1:2], v[55:56]
	v_fma_f64 v[55:56], -v[29:30], v[112:113], v[62:63]
	;; [unrolled: 1-line block ×4, first 2 shown]
	s_waitcnt lgkmcnt(4)
	v_fma_f64 v[5:6], -v[17:18], v[5:6], v[68:69]
	v_fma_f64 v[100:101], -v[13:14], v[100:101], v[72:73]
	;; [unrolled: 1-line block ×3, first 2 shown]
	s_waitcnt lgkmcnt(3)
	v_fma_f64 v[9:10], -v[35:36], v[9:10], v[15:16]
	v_fma_f64 v[15:16], -v[23:24], v[92:93], v[39:40]
	ds_load_b128 v[62:65], v139 offset:32
	ds_load_b128 v[66:69], v137 offset:48
	;; [unrolled: 1-line block ×9, first 2 shown]
	v_fma_f64 v[19:20], -v[102:103], v[114:115], v[19:20]
	v_fma_f64 v[106:107], -v[27:28], v[120:121], v[106:107]
	;; [unrolled: 1-line block ×3, first 2 shown]
	s_waitcnt lgkmcnt(8)
	v_fma_f64 v[55:56], -v[25:26], v[62:63], v[55:56]
	v_fma_f64 v[62:63], -v[21:22], v[124:125], v[98:99]
	s_waitcnt lgkmcnt(7)
	v_fma_f64 v[66:67], -v[17:18], v[66:67], v[104:105]
	v_fma_f64 v[104:105], -v[13:14], v[7:8], v[5:6]
	s_waitcnt lgkmcnt(6)
	v_fma_f64 v[70:71], -v[43:44], v[70:71], v[100:101]
	s_waitcnt lgkmcnt(5)
	v_fma_f64 v[31:32], -v[35:36], v[74:75], v[31:32]
	v_fma_f64 v[74:75], -v[23:24], v[11:12], v[9:10]
	s_waitcnt lgkmcnt(4)
	v_fma_f64 v[15:16], -v[102:103], v[78:79], v[15:16]
	ds_load_b128 v[1:4], v138 offset:48
	ds_load_b128 v[5:8], v133 offset:80
	;; [unrolled: 1-line block ×4, first 2 shown]
	v_mul_f64 v[19:20], v[116:117], v[19:20]
	s_waitcnt lgkmcnt(2)
	v_fma_f64 v[5:6], -v[35:36], v[5:6], v[106:107]
	v_fma_f64 v[39:40], -v[25:26], v[58:59], v[39:40]
	;; [unrolled: 1-line block ×9, first 2 shown]
	ds_load_2addr_b64 v[62:65], v135 offset0:150 offset1:208
	v_fma_f64 v[15:16], -v[19:20], v[80:81], v[15:16]
	v_fma_f64 v[74:75], -v[23:24], v[7:8], v[5:6]
	;; [unrolled: 1-line block ×10, first 2 shown]
	ds_load_b128 v[1:4], v140 offset:48
	ds_load_b128 v[5:8], v136 offset:80
	;; [unrolled: 1-line block ×5, first 2 shown]
	s_waitcnt lgkmcnt(5)
	v_mul_f64 v[15:16], v[62:63], v[15:16]
	v_fma_f64 v[9:10], -v[102:103], v[9:10], v[74:75]
	s_waitcnt lgkmcnt(4)
	v_fma_f64 v[1:2], -v[17:18], v[1:2], v[39:40]
	v_fma_f64 v[39:40], -v[13:14], v[96:97], v[55:56]
	;; [unrolled: 1-line block ×4, first 2 shown]
	s_waitcnt lgkmcnt(3)
	v_fma_f64 v[5:6], -v[35:36], v[5:6], v[72:73]
	v_fma_f64 v[94:95], -v[23:24], v[88:89], v[66:67]
	;; [unrolled: 1-line block ×3, first 2 shown]
	s_waitcnt lgkmcnt(2)
	v_fma_f64 v[47:48], -v[15:16], v[47:48], v[76:77]
	ds_load_b128 v[66:69], v139 offset:64
	ds_load_b128 v[70:73], v137 offset:80
	;; [unrolled: 1-line block ×7, first 2 shown]
	v_fma_f64 v[96:97], -v[13:14], v[3:4], v[1:2]
	s_waitcnt lgkmcnt(6)
	v_fma_f64 v[39:40], -v[43:44], v[66:67], v[39:40]
	v_fma_f64 v[55:56], -v[27:28], v[100:101], v[55:56]
	s_waitcnt lgkmcnt(5)
	v_fma_f64 v[62:63], -v[35:36], v[70:71], v[62:63]
	v_fma_f64 v[66:67], -v[23:24], v[7:8], v[5:6]
	s_waitcnt lgkmcnt(4)
	v_fma_f64 v[70:71], -v[102:103], v[74:75], v[94:95]
	v_fma_f64 v[74:75], -v[19:20], v[11:12], v[9:10]
	s_waitcnt lgkmcnt(3)
	v_fma_f64 v[31:32], -v[15:16], v[78:79], v[31:32]
	v_mul_f64 v[94:95], v[49:50], v[47:48]
	ds_load_b128 v[1:4], v138 offset:80
	ds_load_b128 v[5:8], v133 offset:112
	;; [unrolled: 1-line block ×4, first 2 shown]
	v_fma_f64 v[58:59], -v[43:44], v[58:59], v[96:97]
	v_fma_f64 v[39:40], -v[27:28], v[68:69], v[39:40]
	s_waitcnt lgkmcnt(3)
	v_fma_f64 v[1:2], -v[35:36], v[1:2], v[55:56]
	v_fma_f64 v[55:56], -v[23:24], v[72:73], v[62:63]
	;; [unrolled: 1-line block ×4, first 2 shown]
	s_waitcnt lgkmcnt(2)
	v_fma_f64 v[5:6], -v[15:16], v[5:6], v[74:75]
	v_fma_f64 v[31:32], -v[94:95], v[80:81], v[31:32]
	;; [unrolled: 1-line block ×9, first 2 shown]
	ds_load_b128 v[1:4], v140 offset:80
	ds_load_b128 v[5:8], v136 offset:112
	;; [unrolled: 1-line block ×4, first 2 shown]
	v_mul_f64 v[31:32], v[64:65], v[31:32]
	s_waitcnt lgkmcnt(3)
	v_fma_f64 v[1:2], -v[35:36], v[1:2], v[66:67]
	v_fma_f64 v[39:40], -v[23:24], v[92:93], v[39:40]
	;; [unrolled: 1-line block ×4, first 2 shown]
	s_waitcnt lgkmcnt(2)
	v_fma_f64 v[5:6], -v[15:16], v[5:6], v[70:71]
	v_fma_f64 v[82:83], -v[94:95], v[84:85], v[62:63]
	;; [unrolled: 1-line block ×3, first 2 shown]
	ds_load_b128 v[62:65], v139 offset:96
	ds_load_b128 v[66:69], v137 offset:112
	;; [unrolled: 1-line block ×5, first 2 shown]
	v_fma_f64 v[84:85], -v[23:24], v[3:4], v[1:2]
	s_waitcnt lgkmcnt(4)
	v_fma_f64 v[39:40], -v[102:103], v[62:63], v[39:40]
	v_fma_f64 v[47:48], -v[19:20], v[49:50], v[47:48]
	s_waitcnt lgkmcnt(3)
	v_fma_f64 v[49:50], -v[15:16], v[66:67], v[55:56]
	;; [unrolled: 3-line block ×3, first 2 shown]
	ds_load_b128 v[1:4], v138 offset:112
	ds_load_b128 v[5:8], v138 offset:128
	v_mul_f64 v[70:71], v[11:12], v[9:10]
	v_add_nc_u32_e64 v9, 0x1000, s13
	ds_load_2addr_b64 v[9:12], v9 offset0:10 offset1:68
	v_fma_f64 v[58:59], -v[102:103], v[58:59], v[84:85]
	v_fma_f64 v[39:40], -v[19:20], v[64:65], v[39:40]
	s_waitcnt lgkmcnt(2)
	v_fma_f64 v[1:2], -v[15:16], v[1:2], v[47:48]
	v_fma_f64 v[47:48], -v[94:95], v[68:69], v[49:50]
	;; [unrolled: 1-line block ×9, first 2 shown]
	s_waitcnt lgkmcnt(0)
	v_mul_f64 v[72:73], v[9:10], v[51:52]
	ds_load_b128 v[1:4], v140 offset:112
	ds_load_b128 v[47:50], v136 offset:144
	;; [unrolled: 1-line block ×3, first 2 shown]
	v_fma_f64 v[9:10], -v[94:95], v[80:81], v[39:40]
	v_fma_f64 v[5:6], -v[31:32], v[5:6], v[58:59]
	s_waitcnt lgkmcnt(2)
	v_fma_f64 v[1:2], -v[15:16], v[1:2], v[55:56]
	v_fma_f64 v[39:40], -v[70:71], v[76:77], v[60:61]
	s_waitcnt lgkmcnt(1)
	v_fma_f64 v[47:48], -v[72:73], v[47:48], v[62:63]
	ds_load_b128 v[58:61], v139 offset:128
	ds_load_b128 v[62:65], v137 offset:144
	;; [unrolled: 1-line block ×3, first 2 shown]
	v_fma_f64 v[55:56], -v[94:95], v[3:4], v[1:2]
	s_waitcnt lgkmcnt(2)
	v_fma_f64 v[9:10], -v[31:32], v[58:59], v[9:10]
	v_fma_f64 v[58:59], -v[70:71], v[7:8], v[5:6]
	s_waitcnt lgkmcnt(1)
	v_fma_f64 v[39:40], -v[72:73], v[62:63], v[39:40]
	ds_load_b128 v[1:4], v138 offset:144
	ds_load_b128 v[5:8], v138 offset:160
	v_mul_f64 v[62:63], v[49:50], v[47:48]
	v_fma_f64 v[47:48], -v[31:32], v[51:52], v[55:56]
	v_fma_f64 v[9:10], -v[70:71], v[60:61], v[9:10]
	s_waitcnt lgkmcnt(1)
	v_fma_f64 v[1:2], -v[72:73], v[1:2], v[58:59]
	s_delay_alu instid0(VALU_DEP_4) | instskip(NEXT) | instid1(VALU_DEP_4)
	v_fma_f64 v[39:40], -v[62:63], v[64:65], v[39:40]
	v_fma_f64 v[47:48], -v[70:71], v[53:54], v[47:48]
	s_delay_alu instid0(VALU_DEP_4) | instskip(NEXT) | instid1(VALU_DEP_4)
	v_fma_f64 v[49:50], -v[72:73], v[66:67], v[9:10]
	v_fma_f64 v[51:52], -v[62:63], v[3:4], v[1:2]
	s_delay_alu instid0(VALU_DEP_4)
	v_mul_f64 v[39:40], v[11:12], v[39:40]
	ds_load_b128 v[1:4], v140 offset:144
	ds_load_b128 v[9:12], v140 offset:160
	v_fma_f64 v[53:54], -v[62:63], v[68:69], v[49:50]
	s_waitcnt lgkmcnt(1)
	v_fma_f64 v[1:2], -v[72:73], v[1:2], v[47:48]
	ds_load_b128 v[47:50], v139 offset:160
	v_fma_f64 v[5:6], -v[39:40], v[5:6], v[51:52]
	v_fma_f64 v[1:2], -v[62:63], v[3:4], v[1:2]
	s_waitcnt lgkmcnt(0)
	v_fma_f64 v[3:4], -v[39:40], v[47:48], v[53:54]
	v_add_lshl_u32 v47, s23, v0, 3
	s_delay_alu instid0(VALU_DEP_4) | instskip(NEXT) | instid1(VALU_DEP_4)
	v_mul_f64 v[5:6], v[7:8], v[5:6]
	v_fma_f64 v[1:2], -v[39:40], v[9:10], v[1:2]
	s_delay_alu instid0(VALU_DEP_2) | instskip(NEXT) | instid1(VALU_DEP_2)
	v_fma_f64 v[3:4], -v[5:6], v[49:50], v[3:4]
	v_fma_f64 v[7:8], -v[5:6], v[11:12], v[1:2]
	v_add_lshl_u32 v11, s15, v0, 3
	v_add_lshl_u32 v12, s19, v0, 3
	s_delay_alu instid0(VALU_DEP_4)
	v_mul_f64 v[9:10], v[45:46], v[3:4]
	ds_load_b128 v[1:4], v140 offset:176
	v_add_lshl_u32 v45, s21, v0, 3
	v_add_lshl_u32 v46, s22, v0, 3
	s_waitcnt lgkmcnt(0)
	v_fma_f64 v[1:2], -v[9:10], v[1:2], v[7:8]
	v_add_lshl_u32 v7, s4, v0, 3
	v_add_lshl_u32 v8, s14, v0, 3
	ds_store_b64 v57, v[41:42]
	ds_store_b64 v7, v[37:38] offset:6272
	ds_store_b64 v8, v[33:34] offset:6272
	;; [unrolled: 1-line block ×7, first 2 shown]
	v_add_lshl_u32 v7, s26, v0, 3
	v_add_lshl_u32 v8, s27, v0, 3
	;; [unrolled: 1-line block ×4, first 2 shown]
	v_mul_f64 v[1:2], v[3:4], v[1:2]
	v_add_lshl_u32 v3, s24, v0, 3
	v_add_lshl_u32 v4, s25, v0, 3
	ds_store_b64 v3, v[43:44] offset:6272
	ds_store_b64 v4, v[27:28] offset:6272
	;; [unrolled: 1-line block ×5, first 2 shown]
	v_add_lshl_u32 v3, s30, v0, 3
	v_add_lshl_u32 v4, s31, v0, 3
	;; [unrolled: 1-line block ×5, first 2 shown]
	ds_store_b64 v3, v[19:20] offset:6272
	ds_store_b64 v4, v[15:16] offset:6272
	;; [unrolled: 1-line block ×5, first 2 shown]
	v_add_lshl_u32 v3, s36, v0, 3
	v_add_lshl_u32 v4, s37, v0, 3
	;; [unrolled: 1-line block ×5, first 2 shown]
	ds_store_b64 v3, v[72:73] offset:6272
	ds_store_b64 v4, v[62:63] offset:6272
	;; [unrolled: 1-line block ×6, first 2 shown]
.LBB97_26:
	s_cmp_ge_i32 s8, s20
	s_cbranch_scc1 .LBB97_37
; %bb.27:
	v_lshl_add_u32 v1, v0, 3, 0x1880
	s_add_i32 s4, s8, -1
	s_mul_i32 s9, s8, 0xe0
	s_mov_b32 s12, 0
	s_mov_b32 s13, s8
	s_branch .LBB97_29
.LBB97_28:                              ;   in Loop: Header=BB97_29 Depth=1
	s_mul_i32 s14, s8, 0xe8
	s_delay_alu instid0(SALU_CYCLE_1)
	v_dual_mov_b32 v5, s14 :: v_dual_add_nc_u32 v4, 0x1880, v6
	s_add_i32 s8, s8, 1
	s_add_i32 s12, s12, 1
	s_addk_i32 s9, 0xe0
	s_cmp_ge_i32 s8, s20
	ds_load_b64 v[5:6], v5
	s_waitcnt lgkmcnt(0)
	v_mul_f64 v[2:3], v[5:6], v[2:3]
	v_add_nc_u16 v5, s13, 1
	s_delay_alu instid0(VALU_DEP_1)
	v_readfirstlane_b32 s13, v5
	ds_store_b64 v4, v[2:3]
	s_cbranch_scc1 .LBB97_37
.LBB97_29:                              ; =>This Loop Header: Depth=1
                                        ;     Child Loop BB97_32 Depth 2
                                        ;     Child Loop BB97_36 Depth 2
	s_mul_i32 s14, s8, 28
	s_cmp_eq_u32 s8, 0
	v_add_lshl_u32 v6, s14, v0, 3
	ds_load_b64 v[2:3], v6 offset:6272
	s_cbranch_scc1 .LBB97_28
; %bb.30:                               ;   in Loop: Header=BB97_29 Depth=1
	s_add_i32 s14, s4, s12
	s_delay_alu instid0(SALU_CYCLE_1)
	s_cmp_lt_u32 s14, 7
	s_cbranch_scc1 .LBB97_34
; %bb.31:                               ;   in Loop: Header=BB97_29 Depth=1
	v_mov_b32_e32 v4, v1
	s_and_b32 s14, s8, -8
	s_mov_b32 s15, 0
	s_mov_b32 s19, s9
	s_set_inst_prefetch_distance 0x1
	.p2align	6
.LBB97_32:                              ;   Parent Loop BB97_29 Depth=1
                                        ; =>  This Inner Loop Header: Depth=2
	v_mov_b32_e32 v5, s19
	s_add_i32 s15, s15, 8
	s_add_i32 s19, s19, 64
	s_cmp_lg_u32 s14, s15
	ds_load_2addr_b64 v[7:10], v4 offset1:28
	ds_load_b128 v[11:14], v5
	ds_load_b128 v[15:18], v5 offset:16
	s_waitcnt lgkmcnt(1)
	v_fma_f64 v[2:3], -v[7:8], v[11:12], v[2:3]
	s_delay_alu instid0(VALU_DEP_1) | instskip(SKIP_3) | instid1(VALU_DEP_1)
	v_fma_f64 v[2:3], -v[9:10], v[13:14], v[2:3]
	ds_load_2addr_b64 v[7:10], v4 offset0:56 offset1:84
	s_waitcnt lgkmcnt(0)
	v_fma_f64 v[2:3], -v[7:8], v[15:16], v[2:3]
	v_fma_f64 v[2:3], -v[9:10], v[17:18], v[2:3]
	ds_load_2addr_b64 v[7:10], v4 offset0:112 offset1:140
	ds_load_b128 v[11:14], v5 offset:32
	ds_load_b128 v[15:18], v5 offset:48
	s_waitcnt lgkmcnt(1)
	v_fma_f64 v[2:3], -v[7:8], v[11:12], v[2:3]
	s_delay_alu instid0(VALU_DEP_1) | instskip(SKIP_4) | instid1(VALU_DEP_1)
	v_fma_f64 v[2:3], -v[9:10], v[13:14], v[2:3]
	ds_load_2addr_b64 v[7:10], v4 offset0:168 offset1:196
	v_add_nc_u32_e32 v4, 0x700, v4
	s_waitcnt lgkmcnt(0)
	v_fma_f64 v[2:3], -v[7:8], v[15:16], v[2:3]
	v_fma_f64 v[2:3], -v[9:10], v[17:18], v[2:3]
	s_cbranch_scc1 .LBB97_32
; %bb.33:                               ;   in Loop: Header=BB97_29 Depth=1
	s_set_inst_prefetch_distance 0x2
	s_and_b32 s15, s8, 7
	s_delay_alu instid0(SALU_CYCLE_1)
	s_cmp_eq_u32 s15, 0
	s_cbranch_scc0 .LBB97_35
	s_branch .LBB97_28
.LBB97_34:                              ;   in Loop: Header=BB97_29 Depth=1
	s_mov_b32 s14, 0
	s_and_b32 s15, s8, 7
	s_delay_alu instid0(SALU_CYCLE_1)
	s_cmp_eq_u32 s15, 0
	s_cbranch_scc1 .LBB97_28
.LBB97_35:                              ;   in Loop: Header=BB97_29 Depth=1
	s_waitcnt lgkmcnt(0)
	s_delay_alu instid0(VALU_DEP_1)
	v_mad_u64_u32 v[4:5], null, 0xe0, s14, v[1:2]
	s_and_b32 s15, s13, 7
	s_lshl_b32 s14, s14, 3
.LBB97_36:                              ;   Parent Loop BB97_29 Depth=1
                                        ; =>  This Inner Loop Header: Depth=2
	s_delay_alu instid0(SALU_CYCLE_1)
	s_add_i32 s19, s9, s14
	s_add_i32 s15, s15, -1
	v_mov_b32_e32 v5, s19
	s_add_i32 s14, s14, 8
	s_cmp_lg_u32 s15, 0
	ds_load_b64 v[7:8], v4
	ds_load_b64 v[9:10], v5
	v_add_nc_u32_e32 v4, 0xe0, v4
	s_waitcnt lgkmcnt(0)
	v_fma_f64 v[2:3], -v[7:8], v[9:10], v[2:3]
	s_cbranch_scc1 .LBB97_36
	s_branch .LBB97_28
.LBB97_37:
	s_mov_b32 s4, 0
.LBB97_38:
	s_delay_alu instid0(SALU_CYCLE_1)
	s_and_b32 vcc_lo, exec_lo, s4
	s_cbranch_vccz .LBB97_60
; %bb.39:
	s_cmp_gt_i32 s6, 27
	s_mov_b32 s4, s28
	s_cbranch_scc0 .LBB97_41
; %bb.40:
	s_mul_i32 s31, s20, 28
	s_add_i32 s23, s20, -6
	s_sub_i32 s4, s31, 28
	s_sub_i32 s30, s31, 56
	s_add_i32 s8, s20, s4
	s_add_i32 s15, s23, s30
	s_lshl_b32 s8, s8, 3
	s_mul_i32 s9, s28, 28
	s_add_i32 s8, s8, -16
	s_lshl_b32 s15, s15, 3
	v_mov_b32_e32 v1, s8
	v_add_lshl_u32 v5, s9, v0, 3
	s_mul_i32 s33, s28, 0xe8
	s_add_i32 s29, s31, 0xffffffac
	s_add_i32 s27, s31, 0xffffff90
	ds_load_2addr_b64 v[1:4], v1 offset1:1
	ds_load_b64 v[5:6], v5 offset:6272
	v_add_lshl_u32 v53, s30, v0, 3
	s_add_i32 s8, s33, 0xffffff18
	v_add_lshl_u32 v54, s29, v0, 3
	v_add_lshl_u32 v55, s27, v0, 3
	v_mov_b32_e32 v13, s8
	ds_load_b64 v[7:8], v53 offset:6272
	ds_load_b64 v[9:10], v54 offset:6272
	;; [unrolled: 1-line block ×3, first 2 shown]
	ds_load_b64 v[13:14], v13
	s_add_i32 s8, s20, -4
	s_add_i32 s35, s20, -10
	s_add_i32 s9, s8, s4
	s_add_i32 s44, s33, 0xfffff9a8
	s_lshl_b32 s9, s9, 3
	s_add_i32 s12, s31, 0xffffff74
	s_add_i32 s13, s31, 0xffffff58
	v_add_lshl_u32 v56, s12, v0, 3
	v_add_lshl_u32 v57, s13, v0, 3
	s_add_i32 s14, s33, 0xfffffd48
	s_add_i32 s22, s20, -8
	s_add_i32 s37, s20, -12
	s_waitcnt lgkmcnt(4)
	v_mul_f64 v[25:26], v[3:4], v[5:6]
	s_add_i32 s24, s35, s4
	s_add_i32 s25, s22, s29
	s_lshl_b32 s24, s24, 3
	s_add_i32 s19, s31, 0xffffff04
	s_add_i32 s21, s31, 0xfffffee8
	v_add_lshl_u32 v60, s19, v0, 3
	v_add_lshl_u32 v61, s21, v0, 3
	s_add_i32 s39, s20, -14
	s_add_i32 s26, s31, 0xfffffe94
	s_add_i32 s36, s39, s4
	;; [unrolled: 1-line block ×3, first 2 shown]
	s_lshl_b32 s36, s36, 3
	s_add_i32 s40, s37, s29
	s_add_i32 s34, s33, 0xfffffa90
	s_lshl_b32 s38, s38, 3
	s_add_i32 s47, s37, s12
	s_add_i32 s41, s20, -16
	s_lshl_b32 s47, s47, 3
	s_add_i32 s50, s39, s29
	s_add_i32 s51, s41, s4
	s_lshl_b32 s50, s50, 3
	s_lshl_b32 s51, s51, 3
	s_add_i32 s49, s37, s13
	s_add_i32 s55, s39, s27
	;; [unrolled: 1-line block ×6, first 2 shown]
	s_lshl_b32 s60, s60, 3
	s_lshl_b32 s62, s62, 3
	s_add_i32 s53, s31, 0xfffffe08
	s_add_i32 s52, s31, 0xfffffdec
	;; [unrolled: 1-line block ×5, first 2 shown]
	s_sub_i32 s42, s20, 26
	s_sub_i32 s43, s20, 28
	s_waitcnt lgkmcnt(3)
	v_fma_f64 v[15:16], -v[25:26], v[1:2], v[7:8]
	v_mov_b32_e32 v1, s9
	s_add_i32 s9, s8, s30
	s_add_i32 s8, s8, s29
	s_lshl_b32 s9, s9, 3
	s_lshl_b32 s8, s8, 3
	ds_load_2addr_b64 v[1:4], v1 offset1:1
	v_mov_b32_e32 v5, s9
	s_add_i32 s9, s23, s4
	s_delay_alu instid0(SALU_CYCLE_1)
	s_lshl_b32 s9, s9, 3
	ds_load_2addr_b64 v[5:8], v5 offset1:1
	s_waitcnt lgkmcnt(1)
	v_fma_f64 v[3:4], -v[25:26], v[3:4], v[9:10]
	v_mul_f64 v[27:28], v[13:14], v[15:16]
	v_fma_f64 v[15:16], -v[25:26], v[1:2], v[11:12]
	v_mov_b32_e32 v1, s9
	s_add_i32 s9, s31, 0xffffff20
	v_mov_b32_e32 v11, s14
	s_add_i32 s46, s35, s9
	v_add_lshl_u32 v59, s9, v0, 3
	s_lshl_b32 s46, s46, 3
	v_mov_b32_e32 v12, s15
	s_add_i32 s14, s22, s4
	s_add_i32 s15, s23, s29
	s_lshl_b32 s14, s14, 3
	s_lshl_b32 s15, s15, 3
	s_add_i32 s59, s37, s9
	s_delay_alu instid0(SALU_CYCLE_1)
	s_lshl_b32 s59, s59, 3
	s_waitcnt lgkmcnt(0)
	v_fma_f64 v[17:18], -v[27:28], v[7:8], v[3:4]
	v_mov_b32_e32 v7, s8
	v_fma_f64 v[5:6], -v[27:28], v[5:6], v[15:16]
	ds_load_2addr_b64 v[1:4], v1 offset1:1
	ds_load_b64 v[19:20], v56 offset:6272
	ds_load_2addr_b64 v[7:10], v7 offset1:1
	s_add_i32 s8, s31, 0xffffff3c
	s_delay_alu instid0(SALU_CYCLE_1)
	v_add_lshl_u32 v58, s8, v0, 3
	ds_load_b64 v[21:22], v57 offset:6272
	ds_load_b64 v[23:24], v58 offset:6272
	;; [unrolled: 1-line block ×3, first 2 shown]
	ds_load_b64 v[31:32], v11
	ds_load_2addr_b64 v[11:14], v12 offset1:1
	s_waitcnt lgkmcnt(6)
	v_fma_f64 v[3:4], -v[25:26], v[3:4], v[19:20]
	s_waitcnt lgkmcnt(5)
	v_mul_f64 v[29:30], v[9:10], v[17:18]
	s_waitcnt lgkmcnt(4)
	v_fma_f64 v[9:10], -v[25:26], v[1:2], v[21:22]
	v_mov_b32_e32 v1, s14
	s_add_i32 s14, s23, s27
	s_add_i32 s23, s23, s12
	s_lshl_b32 s14, s14, 3
	s_lshl_b32 s23, s23, 3
	s_waitcnt lgkmcnt(0)
	s_delay_alu instid0(VALU_DEP_4) | instskip(SKIP_2) | instid1(SALU_CYCLE_1)
	v_fma_f64 v[21:22], -v[27:28], v[13:14], v[3:4]
	v_mov_b32_e32 v13, s14
	s_add_i32 s14, s31, 0xfffffecc
	v_add_lshl_u32 v62, s14, v0, 3
	v_fma_f64 v[35:36], -v[29:30], v[7:8], v[5:6]
	v_mov_b32_e32 v5, s15
	v_fma_f64 v[9:10], -v[27:28], v[11:12], v[9:10]
	s_add_i32 s15, s22, s30
	ds_load_2addr_b64 v[1:4], v1 offset1:1
	ds_load_2addr_b64 v[5:8], v5 offset1:1
	s_lshl_b32 s15, s15, 3
	s_delay_alu instid0(SALU_CYCLE_1) | instskip(SKIP_3) | instid1(SALU_CYCLE_1)
	v_mov_b32_e32 v17, s15
	ds_load_2addr_b64 v[13:16], v13 offset1:1
	ds_load_2addr_b64 v[17:20], v17 offset1:1
	s_add_i32 s15, s31, 0xfffffeb0
	v_add_lshl_u32 v63, s15, v0, 3
	s_waitcnt lgkmcnt(3)
	v_fma_f64 v[3:4], -v[25:26], v[3:4], v[23:24]
	s_waitcnt lgkmcnt(2)
	v_fma_f64 v[7:8], -v[29:30], v[7:8], v[21:22]
	v_fma_f64 v[23:24], -v[25:26], v[1:2], v[33:34]
	v_mov_b32_e32 v1, s24
	s_lshl_b32 s24, s25, 3
	s_add_i32 s25, s35, s29
	s_delay_alu instid0(SALU_CYCLE_1)
	s_lshl_b32 s25, s25, 3
	v_mul_f64 v[31:32], v[31:32], v[35:36]
	v_fma_f64 v[39:40], -v[29:30], v[5:6], v[9:10]
	v_mov_b32_e32 v5, s24
	v_mov_b32_e32 v9, s23
	s_add_i32 s23, s33, 0xfffffb78
	s_add_i32 s24, s35, s30
	s_delay_alu instid0(SALU_CYCLE_1) | instskip(NEXT) | instid1(SALU_CYCLE_1)
	s_lshl_b32 s24, s24, 3
	v_mov_b32_e32 v35, s24
	s_add_i32 s24, s37, s4
	s_delay_alu instid0(SALU_CYCLE_1)
	s_lshl_b32 s24, s24, 3
	s_waitcnt lgkmcnt(0)
	v_fma_f64 v[33:34], -v[27:28], v[19:20], v[3:4]
	ds_load_2addr_b64 v[1:4], v1 offset1:1
	ds_load_b64 v[41:42], v60 offset:6272
	v_fma_f64 v[17:18], -v[27:28], v[17:18], v[23:24]
	v_mov_b32_e32 v19, s23
	s_add_i32 s23, s22, s27
	ds_load_2addr_b64 v[9:12], v9 offset1:1
	s_lshl_b32 s23, s23, 3
	s_delay_alu instid0(SALU_CYCLE_1) | instskip(SKIP_1) | instid1(SALU_CYCLE_1)
	v_mov_b32_e32 v20, s23
	s_add_i32 s23, s22, s12
	s_lshl_b32 s23, s23, 3
	v_fma_f64 v[15:16], -v[31:32], v[15:16], v[7:8]
	ds_load_2addr_b64 v[5:8], v5 offset1:1
	v_fma_f64 v[13:14], -v[31:32], v[13:14], v[39:40]
	ds_load_b64 v[43:44], v61 offset:6272
	ds_load_b64 v[51:52], v62 offset:6272
	;; [unrolled: 1-line block ×3, first 2 shown]
	ds_load_b64 v[64:65], v19
	ds_load_2addr_b64 v[19:22], v20 offset1:1
	ds_load_2addr_b64 v[35:38], v35 offset1:1
	s_waitcnt lgkmcnt(8)
	v_fma_f64 v[3:4], -v[25:26], v[3:4], v[41:42]
	s_waitcnt lgkmcnt(6)
	v_fma_f64 v[7:8], -v[29:30], v[7:8], v[33:34]
	v_fma_f64 v[17:18], -v[29:30], v[5:6], v[17:18]
	v_mov_b32_e32 v5, s25
	s_add_i32 s25, s37, s30
	s_delay_alu instid0(SALU_CYCLE_1) | instskip(NEXT) | instid1(SALU_CYCLE_1)
	s_lshl_b32 s25, s25, 3
	v_mov_b32_e32 v39, s25
	s_add_i32 s25, s31, 0xfffffe78
	v_mul_f64 v[33:34], v[11:12], v[15:16]
	s_waitcnt lgkmcnt(5)
	v_fma_f64 v[15:16], -v[25:26], v[1:2], v[43:44]
	v_mov_b32_e32 v1, s24
	s_add_i32 s24, s35, s27
	s_delay_alu instid0(SALU_CYCLE_1) | instskip(SKIP_4) | instid1(SALU_CYCLE_1)
	s_lshl_b32 s24, s24, 3
	s_waitcnt lgkmcnt(0)
	v_fma_f64 v[23:24], -v[27:28], v[37:38], v[3:4]
	v_mov_b32_e32 v38, s24
	s_add_i32 s24, s31, 0xfffffe5c
	v_add_lshl_u32 v66, s24, v0, 3
	v_fma_f64 v[21:22], -v[31:32], v[21:22], v[7:8]
	v_fma_f64 v[17:18], -v[31:32], v[19:20], v[17:18]
	;; [unrolled: 1-line block ×3, first 2 shown]
	v_mov_b32_e32 v9, s23
	v_fma_f64 v[15:16], -v[27:28], v[35:36], v[15:16]
	ds_load_2addr_b64 v[1:4], v1 offset1:1
	ds_load_2addr_b64 v[5:8], v5 offset1:1
	;; [unrolled: 1-line block ×3, first 2 shown]
	s_add_i32 s23, s22, s13
	s_delay_alu instid0(SALU_CYCLE_1) | instskip(NEXT) | instid1(SALU_CYCLE_1)
	s_lshl_b32 s23, s23, 3
	v_mov_b32_e32 v37, s23
	ds_load_2addr_b64 v[68:71], v37 offset1:1
	ds_load_2addr_b64 v[43:46], v38 offset1:1
	;; [unrolled: 1-line block ×3, first 2 shown]
	s_add_i32 s23, s31, 0xfffffe40
	s_delay_alu instid0(SALU_CYCLE_1)
	v_add_lshl_u32 v67, s23, v0, 3
	s_waitcnt lgkmcnt(5)
	v_fma_f64 v[3:4], -v[25:26], v[3:4], v[51:52]
	s_waitcnt lgkmcnt(4)
	v_fma_f64 v[7:8], -v[29:30], v[7:8], v[23:24]
	;; [unrolled: 2-line block ×3, first 2 shown]
	v_fma_f64 v[51:52], -v[25:26], v[1:2], v[72:73]
	v_fma_f64 v[78:79], -v[33:34], v[9:10], v[17:18]
	v_mov_b32_e32 v1, s36
	s_lshl_b32 s36, s40, 3
	s_sub_i32 s40, s20, 24
	v_mov_b32_e32 v2, s36
	s_add_i32 s36, s37, s27
	s_add_i32 s76, s40, s4
	s_lshl_b32 s36, s36, 3
	s_lshl_b32 s76, s76, 3
	s_add_i32 s77, s40, s30
	v_mul_f64 v[35:36], v[64:65], v[13:14]
	v_add_lshl_u32 v64, s26, v0, 3
	v_fma_f64 v[74:75], -v[29:30], v[5:6], v[15:16]
	v_add_lshl_u32 v65, s25, v0, 3
	v_mov_b32_e32 v5, s36
	s_sub_i32 s36, s20, 20
	s_delay_alu instid0(SALU_CYCLE_1)
	s_add_i32 s69, s36, s27
	s_add_i32 s66, s36, s4
	s_lshl_b32 s69, s69, 3
	s_lshl_b32 s66, s66, 3
	s_add_i32 s67, s36, s30
	s_add_i32 s68, s36, s29
	;; [unrolled: 1-line block ×3, first 2 shown]
	s_lshl_b32 s68, s68, 3
	s_add_i32 s73, s36, s21
	s_waitcnt lgkmcnt(0)
	v_fma_f64 v[72:73], -v[27:28], v[49:50], v[3:4]
	v_fma_f64 v[76:77], -v[31:32], v[45:46], v[7:8]
	v_mov_b32_e32 v3, s38
	ds_load_2addr_b64 v[13:16], v1 offset1:1
	ds_load_b64 v[45:46], v64 offset:6272
	v_mov_b32_e32 v1, s34
	ds_load_2addr_b64 v[21:24], v2 offset1:1
	v_fma_f64 v[47:48], -v[27:28], v[47:48], v[51:52]
	ds_load_2addr_b64 v[17:20], v3 offset1:1
	s_add_i32 s34, s35, s13
	ds_load_b64 v[80:81], v1
	s_lshl_b32 s34, s34, 3
	s_add_i32 s38, s39, s30
	v_mov_b32_e32 v1, s34
	s_add_i32 s34, s22, s8
	s_lshl_b32 s38, s38, 3
	s_lshl_b32 s34, s34, 3
	v_fma_f64 v[70:71], -v[35:36], v[70:71], v[11:12]
	v_mov_b32_e32 v51, s34
	v_fma_f64 v[43:44], -v[31:32], v[43:44], v[74:75]
	v_mov_b32_e32 v9, s38
	ds_load_b64 v[41:42], v65 offset:6272
	ds_load_b64 v[39:40], v66 offset:6272
	;; [unrolled: 1-line block ×3, first 2 shown]
	ds_load_2addr_b64 v[1:4], v1 offset1:1
	ds_load_2addr_b64 v[5:8], v5 offset1:1
	;; [unrolled: 1-line block ×3, first 2 shown]
	s_sub_i32 s38, s20, 22
	ds_load_b64 v[51:52], v51
	s_waitcnt lgkmcnt(10)
	v_fma_f64 v[49:50], -v[25:26], v[15:16], v[45:46]
	s_add_i32 s71, s38, s30
	s_sub_i32 s34, s20, 18
	s_lshl_b32 s71, s71, 3
	s_add_i32 s64, s34, s4
	s_add_i32 s74, s38, s29
	s_lshl_b32 s64, s64, 3
	s_lshl_b32 s74, s74, 3
	s_add_i32 s65, s34, s30
	s_mul_i32 s22, s20, 0xe8
	s_add_i32 s70, s38, s4
	s_add_i32 s57, s22, 0xfffff350
	s_waitcnt lgkmcnt(6)
	v_fma_f64 v[41:42], -v[25:26], v[13:14], v[41:42]
	v_mov_b32_e32 v150, s57
	s_add_i32 s57, s41, s13
	v_fma_f64 v[45:46], -v[29:30], v[23:24], v[72:73]
	v_fma_f64 v[23:24], -v[33:34], v[19:20], v[76:77]
	;; [unrolled: 1-line block ×3, first 2 shown]
	v_mov_b32_e32 v68, s44
	s_add_i32 s44, s35, s8
	s_add_i32 s35, s35, s19
	v_fma_f64 v[21:22], -v[29:30], v[21:22], v[47:48]
	s_lshl_b32 s44, s44, 3
	s_lshl_b32 s35, s35, 3
	v_mov_b32_e32 v47, s44
	s_add_i32 s44, s41, s30
	s_lshl_b32 s57, s57, 3
	s_lshl_b32 s44, s44, 3
	s_add_i32 s56, s22, 0xfffff520
	s_lshl_b32 s70, s70, 3
	v_mov_b32_e32 v132, s56
	v_mul_f64 v[15:16], v[80:81], v[70:71]
	v_mov_b32_e32 v80, s44
	v_fma_f64 v[86:87], -v[33:34], v[17:18], v[43:44]
	v_mov_b32_e32 v43, s47
	v_mov_b32_e32 v17, s50
	s_lshl_b32 s47, s49, 3
	s_lshl_b32 s49, s55, 3
	s_waitcnt lgkmcnt(1)
	v_fma_f64 v[84:85], -v[27:28], v[11:12], v[49:50]
	v_dual_mov_b32 v11, s51 :: v_dual_mov_b32 v72, s47
	v_mov_b32_e32 v76, s49
	s_add_i32 s55, s33, 0xfffff8c0
	s_add_i32 s51, s31, 0xfffffd98
	ds_load_2addr_b64 v[11:14], v11 offset1:1
	s_add_i32 s50, s31, 0xfffffd7c
	s_add_i32 s49, s31, 0xfffffd60
	;; [unrolled: 1-line block ×4, first 2 shown]
	s_addk_i32 s33, 0xf7d8
	v_fma_f64 v[9:10], -v[27:28], v[9:10], v[41:42]
	s_add_i32 s56, s39, s9
	s_add_i32 s58, s22, 0xfffff180
	v_fma_f64 v[7:8], -v[31:32], v[7:8], v[45:46]
	v_fma_f64 v[3:4], -v[35:36], v[3:4], v[23:24]
	ds_load_2addr_b64 v[43:46], v43 offset1:1
	s_lshl_b32 s56, s56, 3
	s_add_i32 s75, s38, s27
	v_add_lshl_u32 v41, s47, v0, 3
	v_fma_f64 v[5:6], -v[31:32], v[5:6], v[21:22]
	v_add_lshl_u32 v21, s52, v0, 3
	v_add_lshl_u32 v22, s48, v0, 3
	s_lshl_b32 s75, s75, 3
	s_waitcnt lgkmcnt(2)
	v_fma_f64 v[23:24], -v[15:16], v[51:52], v[19:20]
	ds_load_2addr_b64 v[17:20], v17 offset1:1
	ds_load_2addr_b64 v[47:50], v47 offset1:1
	ds_load_b64 v[51:52], v68
	s_waitcnt lgkmcnt(4)
	v_fma_f64 v[13:14], -v[25:26], v[13:14], v[39:40]
	v_mov_b32_e32 v68, s46
	ds_load_2addr_b64 v[68:71], v68 offset1:1
	ds_load_2addr_b64 v[72:75], v72 offset1:1
	;; [unrolled: 1-line block ×4, first 2 shown]
	v_fma_f64 v[37:38], -v[25:26], v[11:12], v[37:38]
	s_add_i32 s46, s31, 0xfffffd28
	s_addk_i32 s31, 0xfcf0
	v_add_lshl_u32 v39, s50, v0, 3
	v_add_lshl_u32 v40, s49, v0, 3
	v_add_lshl_u32 v42, s46, v0, 3
	s_waitcnt lgkmcnt(6)
	v_fma_f64 v[84:85], -v[29:30], v[19:20], v[84:85]
	v_fma_f64 v[7:8], -v[33:34], v[45:46], v[7:8]
	;; [unrolled: 1-line block ×3, first 2 shown]
	s_waitcnt lgkmcnt(5)
	v_fma_f64 v[3:4], -v[15:16], v[49:50], v[3:4]
	v_add_lshl_u32 v19, s54, v0, 3
	v_fma_f64 v[17:18], -v[29:30], v[17:18], v[9:10]
	v_mov_b32_e32 v86, s55
	s_add_i32 s55, s37, s8
	v_add_lshl_u32 v20, s53, v0, 3
	s_lshl_b32 s55, s55, 3
	s_waitcnt lgkmcnt(4)
	v_mul_f64 v[1:2], v[51:52], v[23:24]
	v_add_lshl_u32 v23, s45, v0, 3
	v_add_lshl_u32 v24, s51, v0, 3
	s_waitcnt lgkmcnt(0)
	v_fma_f64 v[13:14], -v[27:28], v[82:83], v[13:14]
	v_mov_b32_e32 v82, s59
	s_add_i32 s59, s37, s14
	s_delay_alu instid0(SALU_CYCLE_1)
	s_lshl_b32 s59, s59, 3
	v_fma_f64 v[51:52], -v[31:32], v[78:79], v[84:85]
	v_fma_f64 v[78:79], -v[33:34], v[43:44], v[5:6]
	v_mov_b32_e32 v5, s64
	v_fma_f64 v[74:75], -v[35:36], v[74:75], v[7:8]
	v_fma_f64 v[98:99], -v[15:16], v[47:48], v[45:46]
	v_mov_b32_e32 v47, s55
	s_lshl_b32 s55, s61, 3
	s_lshl_b32 s61, s65, 3
	s_delay_alu instid0(SALU_CYCLE_1)
	v_dual_mov_b32 v43, s60 :: v_dual_mov_b32 v94, s61
	s_add_i32 s61, s39, s14
	s_lshl_b32 s60, s63, 3
	s_lshl_b32 s61, s61, 3
	v_dual_mov_b32 v9, s62 :: v_dual_mov_b32 v90, s60
	s_add_i32 s62, s39, s15
	s_add_i32 s64, s34, s29
	v_fma_f64 v[3:4], -v[1:2], v[70:71], v[3:4]
	ds_load_2addr_b64 v[5:8], v5 offset1:1
	ds_load_b64 v[70:71], v19 offset:6272
	ds_load_2addr_b64 v[9:12], v9 offset1:1
	ds_load_2addr_b64 v[43:46], v43 offset1:1
	;; [unrolled: 1-line block ×3, first 2 shown]
	ds_load_b64 v[100:101], v86
	v_mov_b32_e32 v86, s55
	ds_load_b64 v[102:103], v20 offset:6272
	ds_load_b64 v[108:109], v21 offset:6272
	;; [unrolled: 1-line block ×3, first 2 shown]
	ds_load_2addr_b64 v[82:85], v82 offset1:1
	ds_load_2addr_b64 v[86:89], v86 offset1:1
	;; [unrolled: 1-line block ×4, first 2 shown]
	s_lshl_b32 s62, s62, 3
	s_lshl_b32 s64, s64, 3
	s_add_i32 s60, s39, s19
	s_add_i32 s55, s39, s26
	;; [unrolled: 1-line block ×3, first 2 shown]
	s_lshl_b32 s55, s55, 3
	s_add_i32 s63, s41, s8
	s_lshl_b32 s60, s60, 3
	s_lshl_b32 s63, s63, 3
	s_waitcnt lgkmcnt(6)
	v_fma_f64 v[5:6], -v[25:26], v[5:6], v[102:103]
	v_fma_f64 v[7:8], -v[25:26], v[7:8], v[70:71]
	;; [unrolled: 1-line block ×9, first 2 shown]
	v_mov_b32_e32 v68, s35
	v_add_lshl_u32 v38, s31, v0, 3
	v_mov_b32_e32 v72, s33
	s_add_i32 s31, s37, s19
	s_add_i32 s33, s37, s21
	ds_load_b64 v[68:69], v68
	s_add_i32 s37, s39, s8
	s_add_i32 s35, s39, s21
	v_mul_f64 v[3:4], v[100:101], v[3:4]
	s_add_i32 s39, s41, s12
	s_lshl_b32 s37, s37, 3
	s_lshl_b32 s31, s31, 3
	;; [unrolled: 1-line block ×4, first 2 shown]
	v_mov_b32_e32 v76, s56
	s_lshl_b32 s35, s35, 3
	s_add_i32 s56, s41, s19
	v_add_lshl_u32 v37, s44, v0, 3
	s_lshl_b32 s56, s56, 3
	s_waitcnt lgkmcnt(1)
	v_fma_f64 v[94:95], -v[27:28], v[94:95], v[5:6]
	v_fma_f64 v[80:81], -v[27:28], v[96:97], v[7:8]
	v_mov_b32_e32 v7, s66
	v_fma_f64 v[112:113], -v[29:30], v[9:10], v[70:71]
	v_mov_b32_e32 v96, s57
	s_add_i32 s57, s41, s21
	v_fma_f64 v[92:93], -v[31:32], v[92:93], v[11:12]
	ds_load_2addr_b64 v[7:10], v7 offset1:1
	v_fma_f64 v[114:115], -v[33:34], v[43:44], v[13:14]
	v_fma_f64 v[17:18], -v[35:36], v[88:89], v[17:18]
	v_fma_f64 v[88:89], -v[15:16], v[47:48], v[45:46]
	v_fma_f64 v[84:85], -v[1:2], v[84:85], v[49:50]
	s_lshl_b32 s57, s57, 3
	v_mov_b32_e32 v11, s64
	s_add_i32 s64, s41, s14
	s_add_i32 s66, s34, s8
	s_lshl_b32 s64, s64, 3
	s_waitcnt lgkmcnt(1)
	v_fma_f64 v[51:52], -v[3:4], v[68:69], v[51:52]
	ds_load_2addr_b64 v[11:14], v11 offset1:1
	v_mov_b32_e32 v68, s31
	s_lshl_b32 s31, s65, 3
	s_add_i32 s65, s41, s15
	v_mov_b32_e32 v100, s31
	s_add_i32 s31, s41, s9
	s_lshl_b32 s65, s65, 3
	s_lshl_b32 s31, s31, 3
	;; [unrolled: 1-line block ×3, first 2 shown]
	s_waitcnt lgkmcnt(1)
	v_fma_f64 v[7:8], -v[25:26], v[7:8], v[110:111]
	v_mov_b32_e32 v110, s69
	s_add_i32 s69, s36, s13
	v_fma_f64 v[9:10], -v[25:26], v[9:10], v[108:109]
	s_lshl_b32 s69, s69, 3
	v_mov_b32_e32 v47, s37
	s_lshl_b32 s37, s67, 3
	s_add_i32 s67, s34, s9
	v_mov_b32_e32 v104, s37
	s_lshl_b32 s67, s67, 3
	v_mov_b32_e32 v43, s39
	ds_load_2addr_b64 v[47:50], v47 offset1:1
	s_waitcnt lgkmcnt(1)
	v_fma_f64 v[13:14], -v[29:30], v[13:14], v[80:81]
	v_fma_f64 v[94:95], -v[29:30], v[11:12], v[94:95]
	;; [unrolled: 1-line block ×3, first 2 shown]
	ds_load_2addr_b64 v[43:46], v43 offset1:1
	ds_load_2addr_b64 v[68:71], v68 offset1:1
	ds_load_b64 v[116:117], v72
	v_mov_b32_e32 v72, s33
	ds_load_2addr_b64 v[72:75], v72 offset1:1
	ds_load_2addr_b64 v[76:79], v76 offset1:1
	ds_load_2addr_b64 v[96:99], v96 offset1:1
	ds_load_2addr_b64 v[100:103], v100 offset1:1
	ds_load_2addr_b64 v[104:107], v104 offset1:1
	v_fma_f64 v[86:87], -v[35:36], v[86:87], v[114:115]
	v_fma_f64 v[82:83], -v[1:2], v[82:83], v[88:89]
	s_add_i32 s33, s34, s12
	v_mov_b32_e32 v90, s31
	s_lshl_b32 s33, s33, 3
	v_mov_b32_e32 v114, s71
	s_add_i32 s71, s36, s9
	s_add_i32 s37, s41, s26
	s_waitcnt lgkmcnt(8)
	v_fma_f64 v[49:50], -v[15:16], v[49:50], v[17:18]
	v_mov_b32_e32 v17, s58
	s_add_i32 s58, s34, s13
	v_mov_b32_e32 v18, s59
	s_waitcnt lgkmcnt(6)
	v_fma_f64 v[70:71], -v[3:4], v[70:71], v[84:85]
	s_waitcnt lgkmcnt(5)
	v_mul_f64 v[5:6], v[116:117], v[51:52]
	v_fma_f64 v[45:46], -v[33:34], v[45:46], v[92:93]
	s_lshl_b32 s58, s58, 3
	s_add_i32 s59, s34, s21
	s_add_i32 s39, s41, s25
	s_lshl_b32 s59, s59, 3
	s_waitcnt lgkmcnt(0)
	v_fma_f64 v[51:52], -v[27:28], v[106:107], v[9:10]
	v_mov_b32_e32 v9, s70
	ds_load_2addr_b64 v[9:12], v9 offset1:1
	ds_load_b64 v[124:125], v23 offset:6272
	v_mov_b32_e32 v106, s58
	v_fma_f64 v[13:14], -v[31:32], v[102:103], v[13:14]
	v_fma_f64 v[104:105], -v[27:28], v[104:105], v[7:8]
	;; [unrolled: 1-line block ×3, first 2 shown]
	v_mov_b32_e32 v43, s68
	s_add_i32 s68, s36, s12
	s_add_i32 s70, s36, s8
	s_lshl_b32 s68, s68, 3
	s_add_i32 s58, s34, s19
	s_lshl_b32 s37, s37, 3
	s_lshl_b32 s58, s58, 3
	;; [unrolled: 1-line block ×3, first 2 shown]
	v_fma_f64 v[118:119], -v[15:16], v[47:48], v[86:87]
	v_fma_f64 v[122:123], -v[3:4], v[68:69], v[82:83]
	v_dual_mov_b32 v47, s33 :: v_dual_mov_b32 v68, s63
	v_mov_b32_e32 v86, s35
	s_add_i32 s63, s34, s15
	s_add_i32 s35, s36, s14
	s_waitcnt lgkmcnt(0)
	v_fma_f64 v[11:12], -v[25:26], v[11:12], v[124:125]
	v_fma_f64 v[120:121], -v[1:2], v[78:79], v[49:50]
	ds_load_2addr_b64 v[47:50], v47 offset1:1
	v_mov_b32_e32 v78, s60
	s_add_i32 s60, s34, s14
	s_lshl_b32 s63, s63, 3
	v_fma_f64 v[74:75], -v[5:6], v[74:75], v[70:71]
	v_fma_f64 v[98:99], -v[35:36], v[98:99], v[45:46]
	ds_load_2addr_b64 v[43:46], v43 offset1:1
	ds_load_2addr_b64 v[68:71], v68 offset1:1
	;; [unrolled: 1-line block ×4, first 2 shown]
	ds_load_b64 v[126:127], v24 offset:6272
	ds_load_b64 v[128:129], v39 offset:6272
	;; [unrolled: 1-line block ×3, first 2 shown]
	ds_load_b64 v[132:133], v132
	ds_load_2addr_b64 v[86:89], v86 offset1:1
	ds_load_2addr_b64 v[90:93], v90 offset1:1
	ds_load_2addr_b64 v[106:109], v106 offset1:1
	ds_load_2addr_b64 v[110:113], v110 offset1:1
	ds_load_2addr_b64 v[114:117], v114 offset1:1
	v_mov_b32_e32 v18, s74
	s_lshl_b32 s60, s60, 3
	s_add_i32 s41, s41, s24
	s_add_i32 s31, s34, s26
	;; [unrolled: 1-line block ×3, first 2 shown]
	s_waitcnt lgkmcnt(13)
	v_fma_f64 v[13:14], -v[33:34], v[49:50], v[13:14]
	v_fma_f64 v[49:50], -v[35:36], v[96:97], v[102:103]
	s_waitcnt lgkmcnt(8)
	v_fma_f64 v[9:10], -v[25:26], v[9:10], v[126:127]
	v_fma_f64 v[45:46], -v[29:30], v[45:46], v[51:52]
	;; [unrolled: 1-line block ×6, first 2 shown]
	v_mov_b32_e32 v100, s69
	s_lshl_b32 s69, s70, 3
	s_lshl_b32 s70, s71, 3
	v_fma_f64 v[80:81], -v[3:4], v[80:81], v[120:121]
	v_mul_f64 v[7:8], v[84:85], v[74:75]
	v_fma_f64 v[70:71], -v[15:16], v[70:71], v[98:99]
	s_waitcnt lgkmcnt(0)
	v_fma_f64 v[84:85], -v[27:28], v[116:117], v[11:12]
	v_mov_b32_e32 v11, s76
	s_lshl_b32 s76, s77, 3
	v_mov_b32_e32 v116, s75
	v_mov_b32_e32 v120, s76
	v_fma_f64 v[108:109], -v[35:36], v[108:109], v[13:14]
	v_fma_f64 v[124:125], -v[15:16], v[68:69], v[49:50]
	ds_load_2addr_b64 v[11:14], v11 offset1:1
	v_mov_b32_e32 v68, s66
	v_fma_f64 v[114:115], -v[27:28], v[114:115], v[9:10]
	s_add_i32 s66, s40, s27
	v_fma_f64 v[112:113], -v[31:32], v[112:113], v[45:46]
	ds_load_2addr_b64 v[43:46], v18 offset1:1
	v_fma_f64 v[51:52], -v[33:34], v[47:48], v[51:52]
	v_fma_f64 v[134:135], -v[3:4], v[78:79], v[76:77]
	v_dual_mov_b32 v76, s61 :: v_dual_mov_b32 v47, s68
	v_mov_b32_e32 v18, s56
	s_add_i32 s56, s38, s12
	s_add_i32 s68, s42, s30
	ds_load_2addr_b64 v[76:79], v76 offset1:1
	s_lshl_b32 s56, s56, 3
	v_fma_f64 v[88:89], -v[5:6], v[88:89], v[80:81]
	v_mov_b32_e32 v80, s62
	s_add_i32 s62, s40, s29
	s_lshl_b32 s66, s66, 3
	s_lshl_b32 s62, s62, 3
	v_fma_f64 v[136:137], -v[7:8], v[82:83], v[72:73]
	v_fma_f64 v[126:127], -v[1:2], v[92:93], v[70:71]
	ds_load_2addr_b64 v[68:71], v68 offset1:1
	s_waitcnt lgkmcnt(3)
	v_fma_f64 v[11:12], -v[25:26], v[11:12], v[130:131]
	v_mov_b32_e32 v92, s57
	s_waitcnt lgkmcnt(2)
	v_fma_f64 v[45:46], -v[29:30], v[45:46], v[84:85]
	v_fma_f64 v[84:85], -v[31:32], v[110:111], v[104:105]
	;; [unrolled: 1-line block ×3, first 2 shown]
	s_add_i32 s57, s38, s13
	s_lshl_b32 s68, s68, 3
	ds_load_2addr_b64 v[72:75], v18 offset1:1
	v_mov_b32_e32 v18, s67
	s_add_i32 s67, s42, s4
	s_lshl_b32 s57, s57, 3
	s_lshl_b32 s67, s67, 3
	s_delay_alu instid0(SALU_CYCLE_1)
	v_dual_mov_b32 v110, s70 :: v_dual_mov_b32 v105, s67
	v_fma_f64 v[90:91], -v[1:2], v[90:91], v[124:125]
	v_mov_b32_e32 v104, s65
	s_add_i32 s61, s38, s8
	v_fma_f64 v[114:115], -v[29:30], v[43:44], v[114:115]
	s_lshl_b32 s61, s61, 3
	s_waitcnt lgkmcnt(1)
	v_fma_f64 v[70:71], -v[15:16], v[70:71], v[108:109]
	s_add_i32 s30, s43, s30
	v_fma_f64 v[51:52], -v[35:36], v[106:107], v[51:52]
	v_mov_b32_e32 v106, s59
	ds_load_2addr_b64 v[47:50], v47 offset1:1
	ds_load_2addr_b64 v[80:83], v80 offset1:1
	;; [unrolled: 1-line block ×7, first 2 shown]
	v_fma_f64 v[86:87], -v[5:6], v[86:87], v[134:135]
	v_mov_b32_e32 v18, s55
	s_add_i32 s59, s42, s27
	s_add_i32 s55, s38, s9
	s_lshl_b32 s59, s59, 3
	v_fma_f64 v[78:79], -v[7:8], v[78:79], v[88:89]
	v_dual_mov_b32 v89, s58 :: v_dual_mov_b32 v88, s64
	s_add_i32 s58, s42, s29
	s_lshl_b32 s64, s72, 3
	v_mul_f64 v[9:10], v[132:133], v[136:137]
	s_waitcnt lgkmcnt(7)
	v_fma_f64 v[74:75], -v[3:4], v[74:75], v[126:127]
	s_lshl_b32 s58, s58, 3
	v_mov_b32_e32 v126, s66
	s_lshl_b32 s55, s55, 3
	s_lshl_b32 s65, s73, 3
	;; [unrolled: 1-line block ×3, first 2 shown]
	s_waitcnt lgkmcnt(6)
	v_fma_f64 v[49:50], -v[33:34], v[49:50], v[112:113]
	s_waitcnt lgkmcnt(0)
	v_fma_f64 v[120:121], -v[27:28], v[120:121], v[11:12]
	v_fma_f64 v[134:135], -v[33:34], v[47:48], v[84:85]
	v_mov_b32_e32 v47, s62
	v_fma_f64 v[118:119], -v[31:32], v[118:119], v[45:46]
	ds_load_2addr_b64 v[43:46], v105 offset1:1
	ds_load_b64 v[142:143], v41 offset:6272
	v_fma_f64 v[13:14], -v[27:28], v[122:123], v[13:14]
	v_mov_b32_e32 v122, s57
	s_add_i32 s62, s43, s4
	v_fma_f64 v[90:91], -v[3:4], v[72:73], v[90:91]
	v_mov_b32_e32 v72, s69
	s_lshl_b32 s62, s62, 3
	s_add_i32 s57, s40, s13
	v_fma_f64 v[98:99], -v[1:2], v[98:99], v[70:71]
	s_lshl_b32 s57, s57, 3
	v_fma_f64 v[51:52], -v[15:16], v[68:69], v[51:52]
	v_mov_b32_e32 v68, s56
	s_add_i32 s56, s40, s12
	v_fma_f64 v[138:139], -v[7:8], v[76:77], v[86:87]
	s_lshl_b32 s56, s56, 3
	ds_load_2addr_b64 v[68:71], v68 offset1:1
	v_mov_b32_e32 v130, s68
	s_waitcnt lgkmcnt(1)
	v_fma_f64 v[45:46], -v[25:26], v[45:46], v[142:143]
	v_fma_f64 v[140:141], -v[9:10], v[82:83], v[78:79]
	;; [unrolled: 1-line block ×4, first 2 shown]
	ds_load_2addr_b64 v[47:50], v47 offset1:1
	v_fma_f64 v[100:101], -v[35:36], v[100:101], v[134:135]
	s_waitcnt lgkmcnt(1)
	v_fma_f64 v[70:71], -v[33:34], v[70:71], v[118:119]
	v_fma_f64 v[90:91], -v[5:6], v[92:93], v[90:91]
	v_mov_b32_e32 v93, s63
	s_lshl_b32 s63, s41, 3
	v_fma_f64 v[51:52], -v[1:2], v[96:97], v[51:52]
	v_mov_b32_e32 v96, s65
	v_fma_f64 v[80:81], -v[9:10], v[80:81], v[138:139]
	s_waitcnt lgkmcnt(0)
	v_fma_f64 v[120:121], -v[29:30], v[47:48], v[120:121]
	v_mov_b32_e32 v47, s58
	ds_load_2addr_b64 v[72:75], v72 offset1:1
	ds_load_2addr_b64 v[76:79], v88 offset1:1
	;; [unrolled: 1-line block ×3, first 2 shown]
	ds_load_b64 v[144:145], v42 offset:6272
	ds_load_b64 v[146:147], v37 offset:6272
	;; [unrolled: 1-line block ×3, first 2 shown]
	ds_load_2addr_b64 v[86:89], v18 offset1:1
	ds_load_b64 v[150:151], v150
	ds_load_2addr_b64 v[102:105], v104 offset1:1
	ds_load_2addr_b64 v[106:109], v106 offset1:1
	;; [unrolled: 1-line block ×6, first 2 shown]
	v_fma_f64 v[13:14], -v[29:30], v[49:50], v[13:14]
	v_fma_f64 v[49:50], -v[31:32], v[116:117], v[114:115]
	v_mov_b32_e32 v116, s57
	s_add_i32 s57, s40, s8
	s_add_i32 s58, s40, s9
	s_lshl_b32 s41, s57, 3
	s_waitcnt lgkmcnt(12)
	v_fma_f64 v[78:79], -v[7:8], v[78:79], v[94:95]
	s_waitcnt lgkmcnt(11)
	v_fma_f64 v[84:85], -v[3:4], v[84:85], v[98:99]
	s_waitcnt lgkmcnt(7)
	v_mul_f64 v[11:12], v[88:89], v[140:141]
	v_fma_f64 v[140:141], -v[25:26], v[43:44], v[144:145]
	v_fma_f64 v[74:75], -v[15:16], v[74:75], v[136:137]
	v_mov_b32_e32 v89, s60
	v_fma_f64 v[100:101], -v[15:16], v[72:73], v[100:101]
	v_mov_b32_e32 v72, s61
	s_waitcnt lgkmcnt(2)
	v_fma_f64 v[124:125], -v[35:36], v[124:125], v[70:71]
	s_waitcnt lgkmcnt(0)
	v_fma_f64 v[142:143], -v[27:28], v[132:133], v[45:46]
	v_mov_b32_e32 v132, s59
	s_add_i32 s59, s42, s12
	s_add_i32 s12, s43, s12
	v_fma_f64 v[152:153], -v[7:8], v[76:77], v[90:91]
	v_mov_b32_e32 v76, s64
	s_lshl_b32 s12, s12, 3
	v_mov_b32_e32 v92, s62
	s_add_i32 s61, s43, s29
	v_mov_b32_e32 v136, s30
	s_lshl_b32 s64, s31, 3
	v_fma_f64 v[51:52], -v[3:4], v[82:83], v[51:52]
	ds_load_2addr_b64 v[43:46], v92 offset1:1
	s_add_i32 s30, s36, s15
	s_add_i32 s60, s42, s13
	s_add_i32 s62, s43, s27
	v_fma_f64 v[120:121], -v[31:32], v[126:127], v[120:121]
	s_lshl_b32 s27, s30, 3
	s_lshl_b32 s30, s58, 3
	v_fma_f64 v[13:14], -v[31:32], v[128:129], v[13:14]
	v_fma_f64 v[128:129], -v[33:34], v[68:69], v[49:50]
	ds_load_2addr_b64 v[47:50], v47 offset1:1
	v_mov_b32_e32 v68, s56
	s_add_i32 s56, s38, s21
	s_lshl_b32 s31, s60, 3
	s_lshl_b32 s29, s56, 3
	v_fma_f64 v[104:105], -v[9:10], v[104:105], v[78:79]
	v_fma_f64 v[108:109], -v[5:6], v[108:109], v[84:85]
	ds_load_2addr_b64 v[68:71], v68 offset1:1
	ds_load_2addr_b64 v[76:79], v76 offset1:1
	s_lshl_b32 s56, s61, 3
	v_fma_f64 v[154:155], -v[11:12], v[86:87], v[80:81]
	v_fma_f64 v[130:131], -v[27:28], v[130:131], v[140:141]
	;; [unrolled: 1-line block ×3, first 2 shown]
	ds_load_2addr_b64 v[72:75], v72 offset1:1
	ds_load_2addr_b64 v[80:83], v89 offset1:1
	v_mov_b32_e32 v112, s55
	s_add_i32 s55, s38, s19
	v_mov_b32_e32 v18, s37
	s_lshl_b32 s37, s35, 3
	s_lshl_b32 s35, s55, 3
	;; [unrolled: 1-line block ×3, first 2 shown]
	v_mov_b32_e32 v88, s39
	s_waitcnt lgkmcnt(5)
	v_fma_f64 v[45:46], -v[25:26], v[45:46], v[146:147]
	s_waitcnt lgkmcnt(4)
	v_fma_f64 v[49:50], -v[29:30], v[49:50], v[142:143]
	v_fma_f64 v[100:101], -v[1:2], v[110:111], v[100:101]
	;; [unrolled: 1-line block ×4, first 2 shown]
	s_lshl_b32 s39, s33, 3
	v_fma_f64 v[51:52], -v[5:6], v[106:107], v[51:52]
	s_lshl_b32 s33, s62, 3
	v_mov_b32_e32 v106, s29
	v_mov_b32_e32 v126, s33
	s_add_i32 s33, s38, s14
	s_waitcnt lgkmcnt(1)
	v_fma_f64 v[74:75], -v[15:16], v[74:75], v[124:125]
	s_lshl_b32 s33, s33, 3
	s_add_i32 s29, s34, s23
	v_fma_f64 v[70:71], -v[33:34], v[70:71], v[13:14]
	v_fma_f64 v[122:123], -v[35:36], v[122:123], v[128:129]
	s_lshl_b32 s29, s29, 3
	s_add_i32 s13, s43, s13
	s_waitcnt lgkmcnt(0)
	v_fma_f64 v[82:83], -v[7:8], v[82:83], v[108:109]
	v_mul_f64 v[13:14], v[150:151], v[154:155]
	v_fma_f64 v[130:131], -v[29:30], v[47:48], v[130:131]
	v_mov_b32_e32 v47, s55
	ds_load_2addr_b64 v[84:87], v18 offset1:1
	ds_load_2addr_b64 v[88:91], v88 offset1:1
	;; [unrolled: 1-line block ×8, first 2 shown]
	v_fma_f64 v[78:79], -v[3:4], v[78:79], v[144:145]
	v_mov_b32_e32 v18, s63
	s_add_i32 s55, s42, s9
	s_add_i32 s9, s43, s9
	s_lshl_b32 s55, s55, 3
	s_lshl_b32 s9, s9, 3
	v_fma_f64 v[144:145], -v[3:4], v[76:77], v[100:101]
	v_mov_b32_e32 v76, s37
	s_waitcnt lgkmcnt(7)
	v_fma_f64 v[86:87], -v[11:12], v[86:87], v[104:105]
	v_fma_f64 v[150:151], -v[11:12], v[84:85], v[102:103]
	;; [unrolled: 1-line block ×3, first 2 shown]
	v_dual_mov_b32 v104, s64 :: v_dual_mov_b32 v105, s56
	v_mov_b32_e32 v102, s27
	s_waitcnt lgkmcnt(1)
	v_fma_f64 v[134:135], -v[31:32], v[134:135], v[49:50]
	s_waitcnt lgkmcnt(0)
	v_fma_f64 v[110:111], -v[27:28], v[138:139], v[45:46]
	v_fma_f64 v[138:139], -v[33:34], v[68:69], v[120:121]
	;; [unrolled: 1-line block ×5, first 2 shown]
	v_mov_b32_e32 v68, s41
	v_mov_b32_e32 v72, s35
	ds_load_2addr_b64 v[43:46], v105 offset1:1
	ds_load_2addr_b64 v[47:50], v47 offset1:1
	v_mov_b32_e32 v118, s30
	ds_load_2addr_b64 v[68:71], v68 offset1:1
	v_fma_f64 v[94:95], -v[9:10], v[94:95], v[82:83]
	ds_load_2addr_b64 v[72:75], v72 offset1:1
	ds_load_2addr_b64 v[80:83], v104 offset1:1
	v_mov_b32_e32 v122, s31
	s_add_i32 s27, s34, s24
	s_add_i32 s30, s36, s26
	;; [unrolled: 1-line block ×4, first 2 shown]
	v_fma_f64 v[146:147], -v[5:6], v[98:99], v[78:79]
	ds_load_2addr_b64 v[76:79], v76 offset1:1
	v_mov_b32_e32 v98, s39
	s_lshl_b32 s27, s27, 3
	s_lshl_b32 s30, s30, 3
	;; [unrolled: 1-line block ×4, first 2 shown]
	s_add_i32 s31, s36, s25
	s_add_i32 s35, s38, s15
	;; [unrolled: 1-line block ×3, first 2 shown]
	v_fma_f64 v[96:97], -v[5:6], v[96:97], v[144:145]
	s_lshl_b32 s31, s31, 3
	v_fma_f64 v[90:91], -v[13:14], v[90:91], v[86:87]
	ds_load_2addr_b64 v[84:87], v18 offset1:1
	ds_load_b64 v[152:153], v17
	ds_load_2addr_b64 v[98:101], v98 offset1:1
	ds_load_2addr_b64 v[102:105], v102 offset1:1
	;; [unrolled: 1-line block ×6, first 2 shown]
	v_fma_f64 v[51:52], -v[9:10], v[92:93], v[51:52]
	v_fma_f64 v[88:89], -v[13:14], v[88:89], v[150:151]
	s_lshl_b32 s35, s35, 3
	s_lshl_b32 s39, s39, 3
	s_waitcnt lgkmcnt(12)
	v_fma_f64 v[49:50], -v[33:34], v[49:50], v[134:135]
	v_fma_f64 v[45:46], -v[29:30], v[45:46], v[110:111]
	v_fma_f64 v[110:111], -v[31:32], v[132:133], v[130:131]
	v_fma_f64 v[116:117], -v[35:36], v[116:117], v[138:139]
	s_waitcnt lgkmcnt(11)
	v_fma_f64 v[70:71], -v[15:16], v[70:71], v[140:141]
	v_fma_f64 v[112:113], -v[1:2], v[112:113], v[142:143]
	s_waitcnt lgkmcnt(10)
	v_fma_f64 v[74:75], -v[3:4], v[74:75], v[114:115]
	v_mov_b32_e32 v92, s35
	s_add_i32 s34, s34, s54
	s_add_i32 s8, s43, s8
	s_lshl_b32 s34, s34, 3
	s_lshl_b32 s8, s8, 3
	s_waitcnt lgkmcnt(9)
	v_fma_f64 v[82:83], -v[11:12], v[82:83], v[94:95]
	s_add_i32 s35, s42, s21
	s_add_i32 s21, s43, s21
	s_waitcnt lgkmcnt(8)
	v_fma_f64 v[78:79], -v[7:8], v[78:79], v[146:147]
	v_fma_f64 v[96:97], -v[7:8], v[76:77], v[96:97]
	v_mov_b32_e32 v76, s30
	s_waitcnt lgkmcnt(7)
	v_mul_f64 v[17:18], v[86:87], v[90:91]
	v_fma_f64 v[86:87], -v[27:28], v[136:137], v[148:149]
	v_fma_f64 v[51:52], -v[11:12], v[80:81], v[51:52]
	v_mov_b32_e32 v80, s27
	s_add_i32 s27, s38, s26
	s_add_i32 s30, s40, s14
	s_waitcnt lgkmcnt(1)
	v_fma_f64 v[124:125], -v[35:36], v[124:125], v[49:50]
	s_waitcnt lgkmcnt(0)
	v_fma_f64 v[132:133], -v[31:32], v[128:129], v[45:46]
	v_fma_f64 v[134:135], -v[33:34], v[47:48], v[110:111]
	;; [unrolled: 1-line block ×6, first 2 shown]
	v_dual_mov_b32 v47, s41 :: v_dual_mov_b32 v68, s37
	v_mov_b32_e32 v72, s33
	v_mov_b32_e32 v108, s39
	;; [unrolled: 1-line block ×3, first 2 shown]
	v_fma_f64 v[100:101], -v[13:14], v[100:101], v[82:83]
	ds_load_2addr_b64 v[68:71], v68 offset1:1
	ds_load_2addr_b64 v[72:75], v72 offset1:1
	;; [unrolled: 1-line block ×3, first 2 shown]
	s_add_i32 s33, s42, s19
	s_lshl_b32 s27, s27, 3
	s_lshl_b32 s30, s30, 3
	;; [unrolled: 1-line block ×3, first 2 shown]
	v_fma_f64 v[104:105], -v[9:10], v[104:105], v[78:79]
	ds_load_2addr_b64 v[47:50], v47 offset1:1
	ds_load_2addr_b64 v[76:79], v76 offset1:1
	s_add_i32 s19, s43, s19
	s_delay_alu instid0(SALU_CYCLE_1)
	s_lshl_b32 s19, s19, 3
	v_fma_f64 v[96:97], -v[9:10], v[102:103], v[96:97]
	v_fma_f64 v[140:141], -v[17:18], v[84:85], v[88:89]
	;; [unrolled: 1-line block ×3, first 2 shown]
	v_mov_b32_e32 v43, s12
	v_fma_f64 v[51:52], -v[13:14], v[98:99], v[51:52]
	v_mov_b32_e32 v84, s29
	v_mov_b32_e32 v88, s31
	s_lshl_b32 s12, s13, 3
	ds_load_2addr_b64 v[43:46], v43 offset1:1
	v_fma_f64 v[122:123], -v[35:36], v[122:123], v[134:135]
	s_waitcnt lgkmcnt(2)
	v_fma_f64 v[49:50], -v[15:16], v[49:50], v[124:125]
	v_fma_f64 v[116:117], -v[1:2], v[118:119], v[116:117]
	;; [unrolled: 1-line block ×5, first 2 shown]
	v_mov_b32_e32 v128, s12
	ds_load_2addr_b64 v[84:87], v84 offset1:1
	ds_load_2addr_b64 v[88:91], v88 offset1:1
	;; [unrolled: 1-line block ×6, first 2 shown]
	s_add_i32 s12, s22, 0xffffefb0
	s_add_i32 s13, s36, s23
	v_fma_f64 v[82:83], -v[17:18], v[82:83], v[100:101]
	v_mov_b32_e32 v100, s12
	s_add_i32 s12, s36, s24
	s_add_i32 s29, s38, s25
	s_lshl_b32 s12, s12, 3
	s_add_i32 s31, s40, s15
	s_lshl_b32 s13, s13, 3
	s_lshl_b32 s29, s29, 3
	s_waitcnt lgkmcnt(7)
	v_fma_f64 v[78:79], -v[11:12], v[78:79], v[104:105]
	s_waitcnt lgkmcnt(6)
	v_fma_f64 v[45:46], -v[33:34], v[45:46], v[132:133]
	s_lshl_b32 s31, s31, 3
	v_mov_b32_e32 v118, s9
	v_mov_b32_e32 v102, s31
	s_add_i32 s9, s36, s53
	s_add_i32 s31, s42, s15
	s_lshl_b32 s9, s9, 3
	s_add_i32 s15, s43, s15
	v_fma_f64 v[136:137], -v[11:12], v[76:77], v[96:97]
	v_mov_b32_e32 v76, s12
	v_mul_f64 v[124:125], v[152:153], v[140:141]
	v_fma_f64 v[98:99], -v[31:32], v[126:127], v[142:143]
	s_add_i32 s12, s38, s24
	v_fma_f64 v[51:52], -v[17:18], v[80:81], v[51:52]
	v_mov_b32_e32 v80, s34
	s_lshl_b32 s12, s12, 3
	v_fma_f64 v[122:123], -v[15:16], v[47:48], v[122:123]
	v_mov_b32_e32 v47, s33
	v_fma_f64 v[132:133], -v[3:4], v[68:69], v[116:117]
	s_waitcnt lgkmcnt(2)
	v_fma_f64 v[110:111], -v[5:6], v[110:111], v[70:71]
	v_fma_f64 v[106:107], -v[7:8], v[72:73], v[106:107]
	;; [unrolled: 1-line block ×3, first 2 shown]
	v_mov_b32_e32 v68, s30
	v_mov_b32_e32 v72, s27
	;; [unrolled: 1-line block ×3, first 2 shown]
	s_add_i32 s27, s40, s26
	s_add_i32 s30, s42, s14
	ds_load_2addr_b64 v[68:71], v68 offset1:1
	ds_load_2addr_b64 v[72:75], v72 offset1:1
	s_lshl_b32 s30, s30, 3
	s_add_i32 s13, s38, s23
	s_add_i32 s14, s43, s14
	s_lshl_b32 s13, s13, 3
	s_lshl_b32 s14, s14, 3
	v_fma_f64 v[90:91], -v[13:14], v[90:91], v[78:79]
	s_waitcnt lgkmcnt(2)
	v_fma_f64 v[126:127], -v[35:36], v[130:131], v[45:46]
	v_fma_f64 v[130:131], -v[1:2], v[114:115], v[49:50]
	ds_load_2addr_b64 v[47:50], v47 offset1:1
	ds_load_2addr_b64 v[76:79], v76 offset1:1
	v_fma_f64 v[88:89], -v[13:14], v[88:89], v[136:137]
	v_fma_f64 v[86:87], -v[124:125], v[86:87], v[82:83]
	ds_load_2addr_b64 v[80:83], v80 offset1:1
	v_fma_f64 v[138:139], -v[33:34], v[43:44], v[98:99]
	v_mov_b32_e32 v43, s8
	v_fma_f64 v[51:52], -v[124:125], v[84:85], v[51:52]
	s_lshl_b32 s8, s35, 3
	v_mov_b32_e32 v98, s29
	v_mov_b32_e32 v114, s8
	ds_load_2addr_b64 v[43:46], v43 offset1:1
	v_fma_f64 v[112:113], -v[1:2], v[112:113], v[122:123]
	v_fma_f64 v[108:109], -v[5:6], v[108:109], v[132:133]
	s_waitcnt lgkmcnt(5)
	v_fma_f64 v[70:71], -v[7:8], v[70:71], v[110:111]
	v_fma_f64 v[92:93], -v[9:10], v[92:93], v[106:107]
	s_waitcnt lgkmcnt(4)
	v_fma_f64 v[74:75], -v[11:12], v[74:75], v[134:135]
	ds_load_b64 v[140:141], v100
	ds_load_2addr_b64 v[94:97], v94 offset1:1
	ds_load_2addr_b64 v[98:101], v98 offset1:1
	;; [unrolled: 1-line block ×5, first 2 shown]
	s_add_i32 s8, s36, s54
	s_add_i32 s29, s40, s25
	s_lshl_b32 s8, s8, 3
	v_mov_b32_e32 v84, s13
	s_add_i32 s36, s36, s52
	s_add_i32 s13, s40, s23
	s_waitcnt lgkmcnt(8)
	v_fma_f64 v[78:79], -v[17:18], v[78:79], v[90:91]
	s_waitcnt lgkmcnt(6)
	v_fma_f64 v[45:46], -v[15:16], v[45:46], v[126:127]
	v_fma_f64 v[49:50], -v[3:4], v[49:50], v[130:131]
	;; [unrolled: 1-line block ×3, first 2 shown]
	v_mov_b32_e32 v76, s8
	v_mul_f64 v[122:123], v[82:83], v[86:87]
	s_lshl_b32 s8, s29, 3
	v_fma_f64 v[82:83], -v[35:36], v[128:129], v[138:139]
	v_mov_b32_e32 v88, s8
	s_add_i32 s8, s22, 0xffffede0
	v_fma_f64 v[112:113], -v[3:4], v[47:48], v[112:113]
	v_fma_f64 v[126:127], -v[7:8], v[68:69], v[108:109]
	s_waitcnt lgkmcnt(2)
	v_fma_f64 v[128:129], -v[9:10], v[104:105], v[70:71]
	v_fma_f64 v[92:93], -v[11:12], v[72:73], v[92:93]
	;; [unrolled: 1-line block ×3, first 2 shown]
	v_dual_mov_b32 v47, s30 :: v_dual_mov_b32 v72, s12
	s_lshl_b32 s12, s31, 3
	s_delay_alu instid0(SALU_CYCLE_1)
	v_mov_b32_e32 v104, s12
	s_add_i32 s12, s40, s24
	ds_load_2addr_b64 v[72:75], v72 offset1:1
	s_lshl_b32 s12, s12, 3
	v_fma_f64 v[96:97], -v[124:125], v[96:97], v[78:79]
	ds_load_2addr_b64 v[76:79], v76 offset1:1
	s_waitcnt lgkmcnt(2)
	v_fma_f64 v[120:121], -v[1:2], v[120:121], v[45:46]
	v_fma_f64 v[116:117], -v[5:6], v[116:117], v[49:50]
	ds_load_2addr_b64 v[47:50], v47 offset1:1
	v_fma_f64 v[94:95], -v[124:125], v[94:95], v[130:131]
	v_fma_f64 v[51:52], -v[122:123], v[80:81], v[51:52]
	v_mov_b32_e32 v80, s9
	v_fma_f64 v[132:133], -v[15:16], v[43:44], v[82:83]
	v_mov_b32_e32 v43, s19
	s_lshl_b32 s19, s27, 3
	s_lshl_b32 s27, s36, 3
	v_mov_b32_e32 v68, s19
	s_lshl_b32 s19, s21, 3
	ds_load_2addr_b64 v[43:46], v43 offset1:1
	v_fma_f64 v[112:113], -v[5:6], v[114:115], v[112:113]
	v_fma_f64 v[102:103], -v[9:10], v[102:103], v[126:127]
	ds_load_2addr_b64 v[68:71], v68 offset1:1
	v_fma_f64 v[92:93], -v[13:14], v[98:99], v[92:93]
	s_waitcnt lgkmcnt(4)
	v_fma_f64 v[74:75], -v[17:18], v[74:75], v[100:101]
	v_mov_b32_e32 v108, s19
	ds_load_2addr_b64 v[80:83], v80 offset1:1
	ds_load_2addr_b64 v[84:87], v84 offset1:1
	;; [unrolled: 1-line block ×5, first 2 shown]
	v_mov_b32_e32 v98, s8
	s_add_i32 s8, s38, s54
	s_add_i32 s19, s42, s26
	s_lshl_b32 s8, s8, 3
	s_lshl_b32 s19, s19, 3
	s_add_i32 s9, s38, s53
	s_add_i32 s21, s42, s25
	s_waitcnt lgkmcnt(8)
	v_fma_f64 v[78:79], -v[122:123], v[78:79], v[96:97]
	s_waitcnt lgkmcnt(6)
	v_fma_f64 v[45:46], -v[3:4], v[45:46], v[120:121]
	v_fma_f64 v[49:50], -v[7:8], v[49:50], v[116:117]
	s_waitcnt lgkmcnt(5)
	v_fma_f64 v[70:71], -v[11:12], v[70:71], v[128:129]
	v_fma_f64 v[126:127], -v[122:123], v[76:77], v[94:95]
	v_mov_b32_e32 v76, s27
	v_mul_f64 v[51:52], v[140:141], v[51:52]
	v_fma_f64 v[96:97], -v[1:2], v[118:119], v[132:133]
	v_fma_f64 v[116:117], -v[7:8], v[47:48], v[112:113]
	;; [unrolled: 1-line block ×3, first 2 shown]
	v_mov_b32_e32 v47, s19
	v_fma_f64 v[120:121], -v[17:18], v[72:73], v[92:93]
	s_waitcnt lgkmcnt(3)
	v_fma_f64 v[86:87], -v[124:125], v[86:87], v[74:75]
	v_mov_b32_e32 v68, s12
	v_mov_b32_e32 v72, s8
	s_lshl_b32 s8, s9, 3
	s_lshl_b32 s9, s13, 3
	;; [unrolled: 1-line block ×4, first 2 shown]
	ds_load_2addr_b64 v[72:75], v72 offset1:1
	v_dual_mov_b32 v94, s9 :: v_dual_mov_b32 v99, s12
	s_add_i32 s12, s40, s54
	s_add_i32 s15, s42, s24
	s_lshl_b32 s12, s12, 3
	s_lshl_b32 s15, s15, 3
	s_add_i32 s9, s38, s48
	s_waitcnt lgkmcnt(1)
	v_fma_f64 v[114:115], -v[5:6], v[110:111], v[45:46]
	v_fma_f64 v[106:107], -v[9:10], v[106:107], v[49:50]
	ds_load_2addr_b64 v[47:50], v47 offset1:1
	v_fma_f64 v[118:119], -v[13:14], v[90:91], v[70:71]
	ds_load_2addr_b64 v[68:71], v68 offset1:1
	v_mov_b32_e32 v90, s8
	v_mov_b32_e32 v110, s13
	s_add_i32 s8, s38, s52
	s_add_i32 s13, s40, s53
	s_lshl_b32 s8, s8, 3
	v_fma_f64 v[82:83], -v[51:52], v[82:83], v[78:79]
	ds_load_2addr_b64 v[76:79], v76 offset1:1
	v_fma_f64 v[128:129], -v[3:4], v[43:44], v[96:97]
	v_mov_b32_e32 v43, s14
	v_fma_f64 v[80:81], -v[51:52], v[80:81], v[126:127]
	s_add_i32 s14, s43, s26
	s_lshl_b32 s9, s9, 3
	s_lshl_b32 s14, s14, 3
	ds_load_2addr_b64 v[43:46], v43 offset1:1
	v_fma_f64 v[104:105], -v[9:10], v[104:105], v[116:117]
	v_fma_f64 v[88:89], -v[13:14], v[88:89], v[102:103]
	ds_load_b64 v[130:131], v98
	ds_load_2addr_b64 v[90:93], v90 offset1:1
	ds_load_2addr_b64 v[94:97], v94 offset1:1
	;; [unrolled: 1-line block ×4, first 2 shown]
	v_fma_f64 v[84:85], -v[124:125], v[84:85], v[120:121]
	s_waitcnt lgkmcnt(9)
	v_fma_f64 v[74:75], -v[122:123], v[74:75], v[86:87]
	s_lshl_b32 s13, s13, 3
	s_add_i32 s38, s38, s45
	s_waitcnt lgkmcnt(5)
	v_fma_f64 v[45:46], -v[7:8], v[45:46], v[114:115]
	v_fma_f64 v[49:50], -v[11:12], v[49:50], v[106:107]
	;; [unrolled: 1-line block ×3, first 2 shown]
	v_mul_f64 v[106:107], v[78:79], v[82:83]
	v_fma_f64 v[78:79], -v[5:6], v[108:109], v[128:129]
	v_fma_f64 v[104:105], -v[11:12], v[47:48], v[104:105]
	;; [unrolled: 1-line block ×3, first 2 shown]
	v_mov_b32_e32 v47, s15
	v_fma_f64 v[114:115], -v[122:123], v[72:73], v[84:85]
	s_waitcnt lgkmcnt(3)
	v_fma_f64 v[92:93], -v[51:52], v[92:93], v[74:75]
	v_mov_b32_e32 v68, s12
	v_mov_b32_e32 v72, s8
	s_add_i32 s8, s42, s23
	s_add_i32 s12, s43, s25
	s_lshl_b32 s8, s8, 3
	s_lshl_b32 s12, s12, 3
	ds_load_2addr_b64 v[72:75], v72 offset1:1
	v_mov_b32_e32 v84, s8
	s_add_i32 s8, s22, 0xffffec10
	s_waitcnt lgkmcnt(1)
	v_fma_f64 v[108:109], -v[9:10], v[112:113], v[45:46]
	v_fma_f64 v[112:113], -v[13:14], v[100:101], v[49:50]
	ds_load_2addr_b64 v[47:50], v47 offset1:1
	v_fma_f64 v[96:97], -v[124:125], v[96:97], v[70:71]
	ds_load_2addr_b64 v[68:71], v68 offset1:1
	v_mov_b32_e32 v100, s12
	s_add_i32 s12, s43, s24
	s_delay_alu instid0(SALU_CYCLE_1)
	s_lshl_b32 s12, s12, 3
	v_fma_f64 v[116:117], -v[106:107], v[76:77], v[80:81]
	v_mov_b32_e32 v76, s9
	v_fma_f64 v[118:119], -v[7:8], v[43:44], v[78:79]
	v_dual_mov_b32 v43, s14 :: v_dual_mov_b32 v80, s13
	s_add_i32 s9, s40, s52
	s_add_i32 s13, s42, s54
	s_lshl_b32 s9, s9, 3
	ds_load_2addr_b64 v[43:46], v43 offset1:1
	v_fma_f64 v[98:99], -v[13:14], v[98:99], v[104:105]
	v_fma_f64 v[88:89], -v[124:125], v[94:95], v[88:89]
	ds_load_2addr_b64 v[76:79], v76 offset1:1
	ds_load_2addr_b64 v[80:83], v80 offset1:1
	ds_load_2addr_b64 v[84:87], v84 offset1:1
	ds_load_2addr_b64 v[100:103], v100 offset1:1
	v_fma_f64 v[90:91], -v[51:52], v[90:91], v[114:115]
	s_waitcnt lgkmcnt(7)
	v_fma_f64 v[74:75], -v[106:107], v[74:75], v[92:93]
	s_lshl_b32 s13, s13, 3
	s_waitcnt lgkmcnt(4)
	v_fma_f64 v[45:46], -v[11:12], v[45:46], v[108:109]
	v_fma_f64 v[49:50], -v[17:18], v[49:50], v[112:113]
	;; [unrolled: 1-line block ×3, first 2 shown]
	v_mul_f64 v[104:105], v[130:131], v[116:117]
	v_fma_f64 v[92:93], -v[9:10], v[110:111], v[118:119]
	v_fma_f64 v[98:99], -v[17:18], v[47:48], v[98:99]
	;; [unrolled: 1-line block ×3, first 2 shown]
	v_mov_b32_e32 v47, s13
	v_fma_f64 v[112:113], -v[106:107], v[72:73], v[90:91]
	v_mov_b32_e32 v68, s9
	s_add_i32 s9, s42, s53
	s_delay_alu instid0(SALU_CYCLE_1) | instskip(NEXT) | instid1(SALU_CYCLE_1)
	s_lshl_b32 s9, s9, 3
	v_mov_b32_e32 v90, s9
	s_add_i32 s9, s43, s54
	s_delay_alu instid0(SALU_CYCLE_1)
	s_lshl_b32 s9, s9, 3
	s_waitcnt lgkmcnt(0)
	v_fma_f64 v[102:103], -v[13:14], v[102:103], v[45:46]
	v_fma_f64 v[108:109], -v[124:125], v[86:87], v[49:50]
	ds_load_2addr_b64 v[47:50], v47 offset1:1
	v_fma_f64 v[82:83], -v[51:52], v[82:83], v[70:71]
	ds_load_2addr_b64 v[68:71], v68 offset1:1
	v_mov_b32_e32 v86, s8
	s_add_i32 s8, s40, s48
	s_delay_alu instid0(SALU_CYCLE_1)
	s_lshl_b32 s8, s8, 3
	v_fma_f64 v[78:79], -v[104:105], v[78:79], v[74:75]
	v_mov_b32_e32 v87, s8
	v_fma_f64 v[114:115], -v[11:12], v[43:44], v[92:93]
	v_mov_b32_e32 v43, s12
	s_lshl_b32 s12, s38, 3
	s_add_i32 s8, s40, s45
	v_mov_b32_e32 v72, s12
	s_add_i32 s12, s43, s23
	ds_load_2addr_b64 v[43:46], v43 offset1:1
	v_fma_f64 v[84:85], -v[124:125], v[84:85], v[98:99]
	v_fma_f64 v[80:81], -v[51:52], v[80:81], v[110:111]
	ds_load_2addr_b64 v[72:75], v72 offset1:1
	v_fma_f64 v[76:77], -v[104:105], v[76:77], v[112:113]
	s_lshl_b32 s12, s12, 3
	s_lshl_b32 s8, s8, 3
	v_mov_b32_e32 v94, s12
	ds_load_b64 v[116:117], v86
	ds_load_2addr_b64 v[86:89], v87 offset1:1
	ds_load_2addr_b64 v[90:93], v90 offset1:1
	;; [unrolled: 1-line block ×3, first 2 shown]
	s_add_i32 s12, s42, s52
	s_delay_alu instid0(SALU_CYCLE_1)
	s_lshl_b32 s12, s12, 3
	s_waitcnt lgkmcnt(5)
	v_fma_f64 v[45:46], -v[17:18], v[45:46], v[102:103]
	v_fma_f64 v[49:50], -v[122:123], v[49:50], v[108:109]
	;; [unrolled: 1-line block ×3, first 2 shown]
	s_waitcnt lgkmcnt(4)
	v_mul_f64 v[98:99], v[74:75], v[78:79]
	v_fma_f64 v[74:75], -v[13:14], v[100:101], v[114:115]
	v_fma_f64 v[84:85], -v[122:123], v[47:48], v[84:85]
	;; [unrolled: 1-line block ×3, first 2 shown]
	v_dual_mov_b32 v47, s12 :: v_dual_mov_b32 v68, s8
	s_add_i32 s8, s40, s51
	s_add_i32 s12, s43, s53
	s_lshl_b32 s8, s8, 3
	s_lshl_b32 s12, s12, 3
	s_add_i32 s40, s40, s50
	v_mov_b32_e32 v80, s12
	s_waitcnt lgkmcnt(0)
	v_fma_f64 v[96:97], -v[124:125], v[96:97], v[45:46]
	v_fma_f64 v[92:93], -v[51:52], v[92:93], v[49:50]
	;; [unrolled: 1-line block ×4, first 2 shown]
	v_mov_b32_e32 v72, s8
	v_fma_f64 v[108:109], -v[17:18], v[43:44], v[74:75]
	v_mov_b32_e32 v43, s9
	ds_load_2addr_b64 v[43:46], v43 offset1:1
	ds_load_2addr_b64 v[47:50], v47 offset1:1
	;; [unrolled: 1-line block ×3, first 2 shown]
	v_fma_f64 v[84:85], -v[51:52], v[90:91], v[84:85]
	v_fma_f64 v[86:87], -v[104:105], v[86:87], v[100:101]
	s_add_i32 s9, s42, s48
	s_add_i32 s8, s43, s52
	s_lshl_b32 s9, s9, 3
	s_lshl_b32 s8, s8, 3
	v_mov_b32_e32 v76, s9
	ds_load_2addr_b64 v[72:75], v72 offset1:1
	ds_load_2addr_b64 v[76:79], v76 offset1:1
	;; [unrolled: 1-line block ×3, first 2 shown]
	s_add_i32 s9, s42, s45
	s_delay_alu instid0(SALU_CYCLE_1)
	s_lshl_b32 s9, s9, 3
	s_waitcnt lgkmcnt(5)
	v_fma_f64 v[45:46], -v[122:123], v[45:46], v[96:97]
	s_waitcnt lgkmcnt(4)
	v_fma_f64 v[49:50], -v[106:107], v[49:50], v[92:93]
	;; [unrolled: 2-line block ×3, first 2 shown]
	v_mul_f64 v[90:91], v[116:117], v[102:103]
	v_fma_f64 v[88:89], -v[124:125], v[94:95], v[108:109]
	v_fma_f64 v[94:95], -v[106:107], v[47:48], v[84:85]
	;; [unrolled: 1-line block ×3, first 2 shown]
	v_mov_b32_e32 v47, s9
	s_add_i32 s9, s43, s48
	s_delay_alu instid0(SALU_CYCLE_1) | instskip(NEXT) | instid1(SALU_CYCLE_1)
	s_lshl_b32 s9, s9, 3
	v_mov_b32_e32 v86, s9
	s_add_i32 s9, s42, s50
	s_delay_alu instid0(SALU_CYCLE_1)
	s_lshl_b32 s9, s9, 3
	s_waitcnt lgkmcnt(0)
	v_fma_f64 v[92:93], -v[51:52], v[82:83], v[45:46]
	v_fma_f64 v[78:79], -v[104:105], v[78:79], v[49:50]
	;; [unrolled: 1-line block ×4, first 2 shown]
	v_mov_b32_e32 v43, s8
	s_lshl_b32 s8, s40, 3
	s_delay_alu instid0(SALU_CYCLE_1)
	v_mov_b32_e32 v68, s8
	ds_load_2addr_b64 v[43:46], v43 offset1:1
	ds_load_2addr_b64 v[47:50], v47 offset1:1
	;; [unrolled: 1-line block ×3, first 2 shown]
	v_fma_f64 v[76:77], -v[104:105], v[76:77], v[94:95]
	v_fma_f64 v[72:73], -v[90:91], v[72:73], v[96:97]
	s_add_i32 s8, s22, 0xffffea40
	s_delay_alu instid0(SALU_CYCLE_1) | instskip(SKIP_1) | instid1(SALU_CYCLE_1)
	v_mov_b32_e32 v82, s8
	s_add_i32 s8, s42, s51
	s_lshl_b32 s8, s8, 3
	s_delay_alu instid0(SALU_CYCLE_1) | instskip(SKIP_4) | instid1(SALU_CYCLE_1)
	v_mov_b32_e32 v83, s8
	ds_load_b64 v[102:103], v82
	ds_load_2addr_b64 v[82:85], v83 offset1:1
	ds_load_2addr_b64 v[86:89], v86 offset1:1
	s_add_i32 s8, s43, s45
	s_lshl_b32 s8, s8, 3
	s_waitcnt lgkmcnt(5)
	v_fma_f64 v[45:46], -v[106:107], v[45:46], v[92:93]
	s_waitcnt lgkmcnt(4)
	v_fma_f64 v[49:50], -v[98:99], v[49:50], v[78:79]
	s_waitcnt lgkmcnt(3)
	v_mul_f64 v[78:79], v[70:71], v[74:75]
	v_fma_f64 v[70:71], -v[51:52], v[80:81], v[100:101]
	v_fma_f64 v[76:77], -v[98:99], v[47:48], v[76:77]
	v_mov_b32_e32 v47, s9
	s_add_i32 s9, s43, s51
	s_delay_alu instid0(SALU_CYCLE_1)
	s_lshl_b32 s9, s9, 3
	s_waitcnt lgkmcnt(0)
	v_fma_f64 v[80:81], -v[104:105], v[88:89], v[45:46]
	v_fma_f64 v[84:85], -v[90:91], v[84:85], v[49:50]
	;; [unrolled: 1-line block ×3, first 2 shown]
	v_mov_b32_e32 v72, s9
	v_fma_f64 v[92:93], -v[106:107], v[43:44], v[70:71]
	v_mov_b32_e32 v43, s8
	ds_load_2addr_b64 v[43:46], v43 offset1:1
	ds_load_2addr_b64 v[47:50], v47 offset1:1
	s_add_i32 s8, s42, s49
	v_fma_f64 v[76:77], -v[90:91], v[82:83], v[76:77]
	s_lshl_b32 s8, s8, 3
	s_add_i32 s42, s42, s47
	v_mov_b32_e32 v68, s8
	ds_load_2addr_b64 v[68:71], v68 offset1:1
	ds_load_2addr_b64 v[72:75], v72 offset1:1
	s_add_i32 s8, s43, s50
	s_lshl_b32 s9, s42, 3
	s_lshl_b32 s8, s8, 3
	s_waitcnt lgkmcnt(3)
	v_fma_f64 v[45:46], -v[98:99], v[45:46], v[80:81]
	s_waitcnt lgkmcnt(2)
	v_fma_f64 v[49:50], -v[78:79], v[49:50], v[84:85]
	v_mul_f64 v[80:81], v[102:103], v[88:89]
	v_fma_f64 v[82:83], -v[104:105], v[86:87], v[92:93]
	v_fma_f64 v[86:87], -v[78:79], v[47:48], v[76:77]
	v_mov_b32_e32 v47, s9
	s_add_i32 s9, s22, 0xffffe870
	s_waitcnt lgkmcnt(0)
	v_fma_f64 v[84:85], -v[90:91], v[74:75], v[45:46]
	v_mov_b32_e32 v74, s9
	v_fma_f64 v[70:71], -v[80:81], v[70:71], v[49:50]
	v_fma_f64 v[82:83], -v[98:99], v[43:44], v[82:83]
	v_mov_b32_e32 v43, s8
	ds_load_2addr_b64 v[43:46], v43 offset1:1
	ds_load_2addr_b64 v[47:50], v47 offset1:1
	s_add_i32 s8, s43, s49
	v_fma_f64 v[68:69], -v[80:81], v[68:69], v[86:87]
	s_lshl_b32 s8, s8, 3
	s_delay_alu instid0(SALU_CYCLE_1) | instskip(SKIP_3) | instid1(SALU_CYCLE_1)
	v_mov_b32_e32 v75, s8
	ds_load_b64 v[88:89], v74
	ds_load_2addr_b64 v[74:77], v75 offset1:1
	s_add_i32 s8, s43, s47
	s_lshl_b32 s8, s8, 3
	s_waitcnt lgkmcnt(3)
	v_fma_f64 v[45:46], -v[78:79], v[45:46], v[84:85]
	s_waitcnt lgkmcnt(2)
	v_mul_f64 v[70:71], v[49:50], v[70:71]
	v_fma_f64 v[49:50], -v[90:91], v[72:73], v[82:83]
	s_waitcnt lgkmcnt(0)
	s_delay_alu instid0(VALU_DEP_3) | instskip(NEXT) | instid1(VALU_DEP_3)
	v_fma_f64 v[72:73], -v[80:81], v[76:77], v[45:46]
	v_fma_f64 v[68:69], -v[70:71], v[47:48], v[68:69]
	s_delay_alu instid0(VALU_DEP_3)
	v_fma_f64 v[76:77], -v[78:79], v[43:44], v[49:50]
	v_mov_b32_e32 v43, s8
	s_add_i32 s8, s43, s46
	s_add_i32 s43, s43, s44
	s_lshl_b32 s8, s8, 3
	ds_load_2addr_b64 v[43:46], v43 offset1:1
	v_mov_b32_e32 v47, s8
	s_lshl_b32 s8, s43, 3
	ds_load_2addr_b64 v[47:50], v47 offset1:1
	s_waitcnt lgkmcnt(1)
	v_fma_f64 v[45:46], -v[70:71], v[45:46], v[72:73]
	v_mul_f64 v[68:69], v[88:89], v[68:69]
	v_fma_f64 v[72:73], -v[80:81], v[74:75], v[76:77]
	s_waitcnt lgkmcnt(0)
	s_delay_alu instid0(VALU_DEP_2) | instskip(NEXT) | instid1(VALU_DEP_2)
	v_fma_f64 v[49:50], -v[68:69], v[49:50], v[45:46]
	v_fma_f64 v[72:73], -v[70:71], v[43:44], v[72:73]
	v_mov_b32_e32 v43, s8
	s_add_i32 s8, s22, 0xffffe6a0
	s_delay_alu instid0(SALU_CYCLE_1)
	v_mov_b32_e32 v74, s8
	ds_load_2addr_b64 v[43:46], v43 offset1:1
	ds_load_b64 v[74:75], v74
	s_waitcnt lgkmcnt(1)
	v_mul_f64 v[45:46], v[45:46], v[49:50]
	v_fma_f64 v[47:48], -v[68:69], v[47:48], v[72:73]
	s_delay_alu instid0(VALU_DEP_1)
	v_fma_f64 v[43:44], -v[45:46], v[43:44], v[47:48]
	v_add_lshl_u32 v47, s4, v0, 3
	s_sub_i32 s4, s20, 29
	ds_store_b64 v47, v[25:26] offset:6272
	ds_store_b64 v53, v[27:28] offset:6272
	;; [unrolled: 1-line block ×26, first 2 shown]
	s_waitcnt lgkmcnt(26)
	v_mul_f64 v[43:44], v[74:75], v[43:44]
	ds_store_b64 v37, v[45:46] offset:6272
	ds_store_b64 v38, v[43:44] offset:6272
.LBB97_41:
	s_cmp_gt_i32 s4, -1
	s_cbranch_scc0 .LBB97_60
; %bb.42:
	s_cmp_lt_u32 s4, 23
	s_cbranch_scc1 .LBB97_47
; %bb.43:
	s_mul_i32 s8, s4, 28
	s_delay_alu instid0(SALU_CYCLE_1) | instskip(SKIP_3) | instid1(VALU_DEP_2)
	v_add_lshl_u32 v49, s8, v0, 3
	s_sub_i32 s15, s8, 28
	s_cmp_le_i32 s28, s4
	v_add_lshl_u32 v50, s15, v0, 3
	v_add_nc_u32_e32 v1, 0x1000, v49
	v_add_nc_u32_e32 v2, 0x800, v49
	v_add_nc_u32_e32 v3, 0x400, v49
	ds_load_b64 v[45:46], v49 offset:6272
	ds_load_b64 v[47:48], v50 offset:6272
	ds_load_2addr_b64 v[41:44], v1 offset0:188 offset1:216
	ds_load_2addr_b64 v[37:40], v1 offset0:132 offset1:160
	;; [unrolled: 1-line block ×11, first 2 shown]
	s_cbranch_scc1 .LBB97_46
; %bb.44:
	v_lshlrev_b32_e32 v51, 3, v0
	s_mul_i32 s9, s20, 0xe0
	s_lshl_b32 s12, s4, 3
	s_delay_alu instid0(SALU_CYCLE_1) | instskip(NEXT) | instid1(VALU_DEP_1)
	s_add_i32 s12, s9, s12
	v_add3_u32 v51, s9, v51, 0x17a0
	s_add_i32 s9, s12, 0xfffffe68
	s_mov_b32 s12, s28
.LBB97_45:                              ; =>This Inner Loop Header: Depth=1
	v_mov_b32_e32 v96, s9
	s_add_i32 s12, s12, -1
	s_addk_i32 s9, 0xff20
	s_cmp_gt_i32 s12, s4
	ds_load_b64 v[100:101], v51
	ds_load_2addr_b64 v[52:55], v96 offset0:22 offset1:23
	ds_load_2addr_b64 v[56:59], v96 offset0:20 offset1:21
	;; [unrolled: 1-line block ×11, first 2 shown]
	ds_load_2addr_b64 v[96:99], v96 offset1:1
	v_add_nc_u32_e32 v51, 0xffffff20, v51
	s_waitcnt lgkmcnt(11)
	v_fma_f64 v[45:46], -v[100:101], v[54:55], v[45:46]
	v_fma_f64 v[47:48], -v[100:101], v[52:53], v[47:48]
	s_waitcnt lgkmcnt(10)
	v_fma_f64 v[43:44], -v[100:101], v[58:59], v[43:44]
	v_fma_f64 v[41:42], -v[100:101], v[56:57], v[41:42]
	;; [unrolled: 3-line block ×12, first 2 shown]
	s_cbranch_scc1 .LBB97_45
.LBB97_46:
	s_mul_i32 s9, s4, 0xe8
	s_add_i32 s22, s4, -7
	s_add_i32 s12, s9, -8
	s_delay_alu instid0(SALU_CYCLE_1)
	v_dual_mov_b32 v51, s12 :: v_dual_add_nc_u32 v50, 0x1880, v50
	s_add_i32 s12, s9, 0xffffff18
	s_add_i32 s21, s22, s15
	s_add_i32 s13, s4, -3
	s_lshl_b32 s21, s21, 3
	ds_load_2addr_b64 v[51:54], v51 offset1:1
	v_mov_b32_e32 v55, s12
	s_add_i32 s12, s13, s8
	s_add_i32 s31, s4, -11
	s_lshl_b32 s12, s12, 3
	s_add_i32 s24, s31, s15
	ds_load_b64 v[59:60], v55
	s_lshl_b32 s24, s24, 3
	s_add_i32 s19, s4, -5
	s_add_i32 s25, s4, -9
	s_add_i32 s14, s19, s8
	s_add_i32 s27, s4, -13
	s_lshl_b32 s14, s14, 3
	s_waitcnt lgkmcnt(1)
	v_mul_f64 v[45:46], v[53:54], v[45:46]
	s_delay_alu instid0(VALU_DEP_1) | instskip(SKIP_2) | instid1(SALU_CYCLE_1)
	v_fma_f64 v[47:48], -v[45:46], v[51:52], v[47:48]
	v_mov_b32_e32 v51, s12
	s_add_i32 s12, s13, s15
	s_lshl_b32 s12, s12, 3
	ds_load_2addr_b64 v[51:54], v51 offset1:1
	v_mov_b32_e32 v55, s12
	s_sub_i32 s12, s15, 28
	s_delay_alu instid0(SALU_CYCLE_1)
	s_add_i32 s13, s13, s12
	s_add_i32 s23, s22, s12
	ds_load_2addr_b64 v[55:58], v55 offset1:1
	s_lshl_b32 s13, s13, 3
	s_lshl_b32 s23, s23, 3
	s_add_i32 s34, s27, s12
	s_delay_alu instid0(SALU_CYCLE_1)
	s_lshl_b32 s34, s34, 3
	s_waitcnt lgkmcnt(1)
	v_fma_f64 v[53:54], -v[45:46], v[53:54], v[43:44]
	v_fma_f64 v[41:42], -v[45:46], v[51:52], v[41:42]
	v_mov_b32_e32 v51, s14
	s_add_i32 s14, s9, 0xfffffd48
	s_delay_alu instid0(SALU_CYCLE_1) | instskip(SKIP_1) | instid1(SALU_CYCLE_1)
	v_mov_b32_e32 v61, s14
	s_add_i32 s14, s19, s12
	s_lshl_b32 s14, s14, 3
	v_mul_f64 v[43:44], v[59:60], v[47:48]
	s_waitcnt lgkmcnt(0)
	s_delay_alu instid0(VALU_DEP_1)
	v_fma_f64 v[47:48], -v[43:44], v[57:58], v[53:54]
	v_mov_b32_e32 v57, s13
	v_fma_f64 v[41:42], -v[43:44], v[55:56], v[41:42]
	s_add_i32 s13, s19, s15
	ds_load_2addr_b64 v[51:54], v51 offset1:1
	ds_load_2addr_b64 v[57:60], v57 offset1:1
	s_lshl_b32 s13, s13, 3
	s_delay_alu instid0(SALU_CYCLE_1)
	v_dual_mov_b32 v62, s13 :: v_dual_add_nc_u32 v49, 0x1880, v49
	ds_load_b64 v[71:72], v61
	ds_load_2addr_b64 v[61:64], v62 offset1:1
	s_add_i32 s13, s22, s8
	v_mov_b32_e32 v55, s14
	s_lshl_b32 s13, s13, 3
	s_waitcnt lgkmcnt(3)
	v_fma_f64 v[53:54], -v[45:46], v[53:54], v[39:40]
	v_fma_f64 v[37:38], -v[45:46], v[51:52], v[37:38]
	v_mov_b32_e32 v51, s13
	s_sub_i32 s13, s15, 56
	s_delay_alu instid0(SALU_CYCLE_1)
	s_add_i32 s14, s19, s13
	s_add_i32 s35, s27, s13
	s_lshl_b32 s14, s14, 3
	s_waitcnt lgkmcnt(2)
	v_mul_f64 v[39:40], v[59:60], v[47:48]
	v_dual_mov_b32 v59, s14 :: v_dual_mov_b32 v60, s21
	s_add_i32 s14, s15, 0xffffffac
	s_add_i32 s21, s25, s8
	;; [unrolled: 1-line block ×3, first 2 shown]
	s_lshl_b32 s21, s21, 3
	s_lshl_b32 s19, s19, 3
	s_add_i32 s30, s31, s14
	s_waitcnt lgkmcnt(0)
	v_fma_f64 v[47:48], -v[43:44], v[63:64], v[53:54]
	v_fma_f64 v[37:38], -v[43:44], v[61:62], v[37:38]
	s_delay_alu instid0(VALU_DEP_4)
	v_fma_f64 v[41:42], -v[39:40], v[57:58], v[41:42]
	ds_load_2addr_b64 v[51:54], v51 offset1:1
	ds_load_2addr_b64 v[55:58], v55 offset1:1
	;; [unrolled: 1-line block ×4, first 2 shown]
	v_mov_b32_e32 v59, s19
	s_add_i32 s19, s9, 0xfffffb78
	s_waitcnt lgkmcnt(3)
	v_fma_f64 v[53:54], -v[45:46], v[53:54], v[35:36]
	v_fma_f64 v[33:34], -v[45:46], v[51:52], v[33:34]
	v_mov_b32_e32 v51, s21
	s_add_i32 s21, s22, s13
	s_waitcnt lgkmcnt(2)
	v_fma_f64 v[47:48], -v[39:40], v[57:58], v[47:48]
	v_fma_f64 v[37:38], -v[39:40], v[55:56], v[37:38]
	v_mov_b32_e32 v55, s23
	s_add_i32 s23, s25, s15
	v_mul_f64 v[35:36], v[71:72], v[41:42]
	s_waitcnt lgkmcnt(0)
	v_fma_f64 v[41:42], -v[43:44], v[69:70], v[53:54]
	ds_load_2addr_b64 v[51:54], v51 offset1:1
	ds_load_2addr_b64 v[55:58], v55 offset1:1
	;; [unrolled: 1-line block ×3, first 2 shown]
	v_fma_f64 v[33:34], -v[43:44], v[67:68], v[33:34]
	v_mov_b32_e32 v68, s24
	s_add_i32 s24, s31, s12
	s_delay_alu instid0(SALU_CYCLE_1)
	s_lshl_b32 s24, s24, 3
	v_fma_f64 v[47:48], -v[35:36], v[65:66], v[47:48]
	s_waitcnt lgkmcnt(2)
	v_fma_f64 v[53:54], -v[45:46], v[53:54], v[31:32]
	v_fma_f64 v[37:38], -v[35:36], v[63:64], v[37:38]
	v_mov_b32_e32 v65, s19
	s_lshl_b32 s19, s21, 3
	s_lshl_b32 s21, s23, 3
	s_delay_alu instid0(SALU_CYCLE_1)
	v_dual_mov_b32 v66, s19 :: v_dual_mov_b32 v73, s21
	ds_load_b64 v[83:84], v65
	ds_load_2addr_b64 v[69:72], v66 offset1:1
	ds_load_2addr_b64 v[73:76], v73 offset1:1
	v_fma_f64 v[29:30], -v[45:46], v[51:52], v[29:30]
	s_add_i32 s19, s22, s14
	s_add_i32 s21, s31, s8
	s_add_i32 s23, s25, s12
	s_lshl_b32 s21, s21, 3
	s_lshl_b32 s19, s19, 3
	;; [unrolled: 1-line block ×3, first 2 shown]
	v_mov_b32_e32 v51, s21
	s_waitcnt lgkmcnt(4)
	v_fma_f64 v[41:42], -v[39:40], v[57:58], v[41:42]
	v_fma_f64 v[33:34], -v[39:40], v[55:56], v[33:34]
	v_mov_b32_e32 v55, s23
	s_add_i32 s23, s25, s13
	s_delay_alu instid0(SALU_CYCLE_1) | instskip(NEXT) | instid1(SALU_CYCLE_1)
	s_lshl_b32 s23, s23, 3
	v_mov_b32_e32 v67, s23
	s_add_i32 s23, s27, s8
	s_delay_alu instid0(SALU_CYCLE_1)
	s_lshl_b32 s23, s23, 3
	s_waitcnt lgkmcnt(3)
	v_mul_f64 v[31:32], v[61:62], v[47:48]
	s_waitcnt lgkmcnt(0)
	v_fma_f64 v[47:48], -v[43:44], v[75:76], v[53:54]
	ds_load_2addr_b64 v[51:54], v51 offset1:1
	ds_load_2addr_b64 v[55:58], v55 offset1:1
	v_fma_f64 v[29:30], -v[43:44], v[73:74], v[29:30]
	v_fma_f64 v[41:42], -v[35:36], v[71:72], v[41:42]
	s_waitcnt lgkmcnt(1)
	v_fma_f64 v[53:54], -v[45:46], v[53:54], v[27:28]
	v_fma_f64 v[33:34], -v[35:36], v[69:70], v[33:34]
	v_fma_f64 v[25:26], -v[45:46], v[51:52], v[25:26]
	v_mov_b32_e32 v51, s23
	s_add_i32 s23, s9, 0xfffffa90
	v_fma_f64 v[37:38], -v[31:32], v[59:60], v[37:38]
	v_mov_b32_e32 v59, s19
	s_waitcnt lgkmcnt(0)
	v_fma_f64 v[47:48], -v[39:40], v[57:58], v[47:48]
	s_add_i32 s19, s15, 0xffffff90
	s_delay_alu instid0(SALU_CYCLE_1)
	s_add_i32 s21, s22, s19
	ds_load_2addr_b64 v[59:62], v59 offset1:1
	s_lshl_b32 s21, s21, 3
	s_add_i32 s33, s31, s19
	v_mov_b32_e32 v63, s21
	s_add_i32 s21, s25, s14
	ds_load_2addr_b64 v[63:66], v63 offset1:1
	ds_load_2addr_b64 v[75:78], v67 offset1:1
	;; [unrolled: 1-line block ×3, first 2 shown]
	v_fma_f64 v[29:30], -v[39:40], v[55:56], v[29:30]
	s_lshl_b32 s21, s21, 3
	v_mov_b32_e32 v55, s24
	s_add_i32 s24, s27, s15
	s_delay_alu instid0(SALU_CYCLE_1)
	s_lshl_b32 s24, s24, 3
	s_waitcnt lgkmcnt(3)
	v_fma_f64 v[41:42], -v[31:32], v[61:62], v[41:42]
	v_fma_f64 v[33:34], -v[31:32], v[59:60], v[33:34]
	v_mov_b32_e32 v59, s21
	s_add_i32 s21, s25, s19
	s_delay_alu instid0(SALU_CYCLE_1)
	s_lshl_b32 s21, s21, 3
	s_waitcnt lgkmcnt(0)
	v_fma_f64 v[25:26], -v[43:44], v[79:80], v[25:26]
	v_mul_f64 v[27:28], v[83:84], v[37:38]
	v_fma_f64 v[37:38], -v[43:44], v[81:82], v[53:54]
	v_fma_f64 v[47:48], -v[35:36], v[77:78], v[47:48]
	ds_load_2addr_b64 v[51:54], v51 offset1:1
	ds_load_2addr_b64 v[55:58], v55 offset1:1
	;; [unrolled: 1-line block ×3, first 2 shown]
	v_mov_b32_e32 v77, s24
	s_add_i32 s24, s9, 0xfffff9a8
	v_fma_f64 v[29:30], -v[35:36], v[75:76], v[29:30]
	s_waitcnt lgkmcnt(2)
	v_fma_f64 v[53:54], -v[45:46], v[53:54], v[23:24]
	v_fma_f64 v[21:22], -v[45:46], v[51:52], v[21:22]
	s_waitcnt lgkmcnt(1)
	v_fma_f64 v[25:26], -v[39:40], v[55:56], v[25:26]
	v_mov_b32_e32 v55, s34
	s_add_i32 s34, s27, s19
	v_fma_f64 v[41:42], -v[27:28], v[65:66], v[41:42]
	v_mov_b32_e32 v65, s23
	v_fma_f64 v[37:38], -v[39:40], v[57:58], v[37:38]
	s_waitcnt lgkmcnt(0)
	v_fma_f64 v[47:48], -v[31:32], v[61:62], v[47:48]
	v_fma_f64 v[33:34], -v[27:28], v[63:64], v[33:34]
	s_add_i32 s23, s31, s13
	ds_load_b64 v[73:74], v65
	v_mov_b32_e32 v65, s21
	s_add_i32 s21, s15, 0xffffff74
	s_lshl_b32 s23, s23, 3
	s_add_i32 s22, s22, s21
	v_mov_b32_e32 v69, s23
	s_lshl_b32 s22, s22, 3
	ds_load_2addr_b64 v[65:68], v65 offset1:1
	ds_load_2addr_b64 v[69:72], v69 offset1:1
	;; [unrolled: 1-line block ×3, first 2 shown]
	s_add_i32 s23, s4, -15
	v_fma_f64 v[29:30], -v[31:32], v[59:60], v[29:30]
	s_add_i32 s36, s23, s8
	s_add_i32 s26, s25, s21
	ds_load_2addr_b64 v[55:58], v55 offset1:1
	s_lshl_b32 s26, s26, 3
	s_waitcnt lgkmcnt(2)
	v_fma_f64 v[25:26], -v[35:36], v[69:70], v[25:26]
	s_waitcnt lgkmcnt(1)
	v_fma_f64 v[63:64], -v[43:44], v[83:84], v[53:54]
	v_fma_f64 v[21:22], -v[43:44], v[81:82], v[21:22]
	v_mul_f64 v[23:24], v[73:74], v[41:42]
	v_mov_b32_e32 v41, s22
	v_fma_f64 v[37:38], -v[35:36], v[71:72], v[37:38]
	v_fma_f64 v[47:48], -v[27:28], v[67:68], v[47:48]
	s_add_i32 s22, s15, 0xffffff58
	ds_load_b64 v[41:42], v41
	s_add_i32 s29, s25, s22
	v_fma_f64 v[29:30], -v[27:28], v[65:66], v[29:30]
	s_waitcnt lgkmcnt(1)
	v_fma_f64 v[57:58], -v[39:40], v[57:58], v[63:64]
	v_fma_f64 v[21:22], -v[39:40], v[55:56], v[21:22]
	s_waitcnt lgkmcnt(0)
	v_fma_f64 v[33:34], -v[23:24], v[41:42], v[33:34]
	v_mov_b32_e32 v41, s24
	s_lshl_b32 s24, s36, 3
	s_add_i32 s36, s23, s13
	v_mov_b32_e32 v42, s24
	s_lshl_b32 s24, s30, 3
	s_lshl_b32 s30, s35, 3
	v_mov_b32_e32 v59, s24
	s_add_i32 s24, s23, s15
	ds_load_2addr_b64 v[51:54], v42 offset1:1
	s_lshl_b32 s24, s24, 3
	v_mov_b32_e32 v79, s30
	ds_load_2addr_b64 v[59:62], v59 offset1:1
	v_mov_b32_e32 v42, s26
	ds_load_2addr_b64 v[71:74], v42 offset1:1
	ds_load_b64 v[41:42], v41
	s_lshl_b32 s26, s29, 3
	s_lshl_b32 s29, s33, 3
	s_delay_alu instid0(SALU_CYCLE_1)
	v_dual_mov_b32 v67, s26 :: v_dual_mov_b32 v68, s29
	v_mov_b32_e32 v80, s24
	ds_load_2addr_b64 v[75:78], v67 offset1:1
	ds_load_2addr_b64 v[83:86], v68 offset1:1
	ds_load_2addr_b64 v[87:90], v79 offset1:1
	ds_load_2addr_b64 v[91:94], v80 offset1:1
	s_sub_i32 s26, s4, 17
	s_add_i32 s29, s31, s21
	s_waitcnt lgkmcnt(7)
	v_fma_f64 v[53:54], -v[45:46], v[53:54], v[19:20]
	v_fma_f64 v[17:18], -v[45:46], v[51:52], v[17:18]
	s_add_i32 s33, s27, s14
	s_waitcnt lgkmcnt(6)
	v_fma_f64 v[37:38], -v[31:32], v[61:62], v[37:38]
	v_fma_f64 v[25:26], -v[31:32], v[59:60], v[25:26]
	s_add_i32 s35, s23, s12
	s_add_i32 s37, s26, s8
	;; [unrolled: 1-line block ×3, first 2 shown]
	s_waitcnt lgkmcnt(5)
	v_fma_f64 v[47:48], -v[23:24], v[73:74], v[47:48]
	s_waitcnt lgkmcnt(4)
	v_mul_f64 v[19:20], v[41:42], v[33:34]
	v_fma_f64 v[29:30], -v[23:24], v[71:72], v[29:30]
	s_lshl_b32 s37, s37, 3
	s_lshl_b32 s35, s35, 3
	;; [unrolled: 1-line block ×4, first 2 shown]
	v_mov_b32_e32 v51, s37
	s_waitcnt lgkmcnt(1)
	v_fma_f64 v[41:42], -v[35:36], v[89:90], v[57:58]
	v_mov_b32_e32 v55, s35
	v_mov_b32_e32 v59, s33
	;; [unrolled: 1-line block ×4, first 2 shown]
	v_fma_f64 v[21:22], -v[35:36], v[87:88], v[21:22]
	s_add_i32 s30, s31, s22
	ds_load_2addr_b64 v[59:62], v59 offset1:1
	ds_load_2addr_b64 v[63:66], v63 offset1:1
	ds_load_b64 v[81:82], v67
	s_lshl_b32 s24, s30, 3
	s_lshl_b32 s29, s34, 3
	v_mov_b32_e32 v67, s24
	s_add_i32 s24, s15, 0xffffff3c
	v_mov_b32_e32 v71, s29
	s_add_i32 s29, s25, s24
	s_add_i32 s38, s26, s15
	s_lshl_b32 s29, s29, 3
	s_lshl_b32 s30, s36, 3
	;; [unrolled: 1-line block ×3, first 2 shown]
	ds_load_2addr_b64 v[55:58], v55 offset1:1
	s_add_i32 s25, s15, 0xffffff20
	s_waitcnt lgkmcnt(4)
	v_fma_f64 v[33:34], -v[43:44], v[93:94], v[53:54]
	ds_load_2addr_b64 v[51:54], v51 offset1:1
	v_fma_f64 v[17:18], -v[43:44], v[91:92], v[17:18]
	v_fma_f64 v[37:38], -v[27:28], v[85:86], v[37:38]
	;; [unrolled: 1-line block ×3, first 2 shown]
	v_mov_b32_e32 v85, s33
	s_add_i32 s33, s31, s24
	s_add_i32 s34, s31, s25
	;; [unrolled: 1-line block ×3, first 2 shown]
	v_fma_f64 v[47:48], -v[19:20], v[77:78], v[47:48]
	v_fma_f64 v[29:30], -v[19:20], v[75:76], v[29:30]
	v_mov_b32_e32 v77, s30
	ds_load_2addr_b64 v[67:70], v67 offset1:1
	ds_load_2addr_b64 v[71:74], v71 offset1:1
	ds_load_2addr_b64 v[77:80], v77 offset1:1
	ds_load_2addr_b64 v[93:96], v85 offset1:1
	s_sub_i32 s30, s4, 19
	s_waitcnt lgkmcnt(8)
	v_fma_f64 v[41:42], -v[31:32], v[61:62], v[41:42]
	s_add_i32 s36, s27, s22
	s_add_i32 s39, s26, s12
	s_add_i32 s41, s30, s8
	s_lshl_b32 s39, s39, 3
	s_waitcnt lgkmcnt(4)
	v_fma_f64 v[53:54], -v[45:46], v[53:54], v[15:16]
	v_fma_f64 v[13:14], -v[45:46], v[51:52], v[13:14]
	;; [unrolled: 1-line block ×3, first 2 shown]
	s_add_i32 s37, s23, s14
	s_add_i32 s38, s23, s19
	;; [unrolled: 1-line block ×4, first 2 shown]
	v_fma_f64 v[33:34], -v[39:40], v[57:58], v[33:34]
	v_fma_f64 v[17:18], -v[39:40], v[55:56], v[17:18]
	v_fma_f64 v[37:38], -v[23:24], v[65:66], v[37:38]
	v_fma_f64 v[25:26], -v[23:24], v[63:64], v[25:26]
	v_mul_f64 v[15:16], v[81:82], v[47:48]
	v_mov_b32_e32 v47, s29
	s_add_i32 s29, s9, 0xfffff7d8
	s_delay_alu instid0(SALU_CYCLE_1)
	v_mov_b32_e32 v81, s29
	s_lshl_b32 s29, s33, 3
	ds_load_b64 v[47:48], v47
	s_waitcnt lgkmcnt(3)
	v_fma_f64 v[41:42], -v[27:28], v[73:74], v[41:42]
	s_lshl_b32 s33, s34, 3
	s_lshl_b32 s34, s35, 3
	;; [unrolled: 1-line block ×4, first 2 shown]
	s_waitcnt lgkmcnt(1)
	v_fma_f64 v[91:92], -v[43:44], v[95:96], v[53:54]
	v_fma_f64 v[13:14], -v[43:44], v[93:94], v[13:14]
	;; [unrolled: 1-line block ×3, first 2 shown]
	s_add_i32 s41, s30, s12
	s_delay_alu instid0(SALU_CYCLE_1)
	s_lshl_b32 s41, s41, 3
	v_fma_f64 v[33:34], -v[35:36], v[79:80], v[33:34]
	v_fma_f64 v[17:18], -v[35:36], v[77:78], v[17:18]
	;; [unrolled: 1-line block ×4, first 2 shown]
	v_dual_mov_b32 v69, s33 :: v_dual_mov_b32 v70, s35
	s_sub_i32 s33, s4, 21
	s_add_i32 s35, s27, s24
	s_waitcnt lgkmcnt(0)
	v_fma_f64 v[29:30], -v[15:16], v[47:48], v[29:30]
	v_dual_mov_b32 v47, s36 :: v_dual_mov_b32 v48, s39
	s_lshl_b32 s36, s37, 3
	s_lshl_b32 s37, s38, 3
	v_mov_b32_e32 v59, s36
	ds_load_2addr_b64 v[51:54], v47 offset1:1
	ds_load_2addr_b64 v[55:58], v48 offset1:1
	v_dual_mov_b32 v47, s34 :: v_dual_mov_b32 v48, s29
	ds_load_2addr_b64 v[59:62], v59 offset1:1
	s_lshl_b32 s29, s40, 3
	s_lshl_b32 s34, s42, 3
	ds_load_2addr_b64 v[63:66], v47 offset1:1
	ds_load_2addr_b64 v[73:76], v48 offset1:1
	ds_load_b64 v[47:48], v81
	v_mov_b32_e32 v87, s37
	v_mov_b32_e32 v95, s29
	;; [unrolled: 1-line block ×3, first 2 shown]
	ds_load_2addr_b64 v[79:82], v69 offset1:1
	ds_load_2addr_b64 v[83:86], v70 offset1:1
	;; [unrolled: 1-line block ×5, first 2 shown]
	s_add_i32 s29, s8, 0xfffffee8
	s_add_i32 s34, s9, 0xfffff608
	;; [unrolled: 1-line block ×7, first 2 shown]
	s_waitcnt lgkmcnt(10)
	v_fma_f64 v[53:54], -v[45:46], v[53:54], v[11:12]
	s_waitcnt lgkmcnt(9)
	v_fma_f64 v[57:58], -v[39:40], v[57:58], v[91:92]
	v_fma_f64 v[9:10], -v[45:46], v[51:52], v[9:10]
	;; [unrolled: 1-line block ×3, first 2 shown]
	s_waitcnt lgkmcnt(8)
	v_fma_f64 v[33:34], -v[31:32], v[61:62], v[33:34]
	v_fma_f64 v[17:18], -v[31:32], v[59:60], v[17:18]
	s_add_i32 s40, s26, s19
	s_waitcnt lgkmcnt(7)
	v_fma_f64 v[41:42], -v[23:24], v[65:66], v[41:42]
	s_waitcnt lgkmcnt(6)
	v_fma_f64 v[37:38], -v[15:16], v[75:76], v[37:38]
	v_fma_f64 v[21:22], -v[23:24], v[63:64], v[21:22]
	;; [unrolled: 1-line block ×3, first 2 shown]
	s_add_i32 s43, s33, s8
	s_waitcnt lgkmcnt(5)
	v_mul_f64 v[11:12], v[47:48], v[29:30]
	s_lshl_b32 s31, s31, 3
	v_mov_b32_e32 v75, s34
	s_lshl_b32 s34, s35, 3
	s_lshl_b32 s35, s36, 3
	;; [unrolled: 1-line block ×7, first 2 shown]
	v_mov_b32_e32 v55, s41
	v_mov_b32_e32 v51, s40
	;; [unrolled: 1-line block ×6, first 2 shown]
	s_add_i32 s42, s30, s13
	ds_load_2addr_b64 v[59:62], v59 offset1:1
	ds_load_2addr_b64 v[63:66], v63 offset1:1
	;; [unrolled: 1-line block ×4, first 2 shown]
	s_add_i32 s44, s33, s15
	v_mov_b32_e32 v76, s35
	s_lshl_b32 s40, s42, 3
	s_lshl_b32 s41, s44, 3
	s_sub_i32 s34, s4, 23
	s_waitcnt lgkmcnt(4)
	v_fma_f64 v[29:30], -v[43:44], v[101:102], v[53:54]
	v_fma_f64 v[47:48], -v[35:36], v[97:98], v[57:58]
	ds_load_2addr_b64 v[51:54], v51 offset1:1
	ds_load_2addr_b64 v[55:58], v55 offset1:1
	v_fma_f64 v[33:34], -v[27:28], v[89:90], v[33:34]
	v_fma_f64 v[9:10], -v[43:44], v[99:100], v[9:10]
	;; [unrolled: 1-line block ×6, first 2 shown]
	v_dual_mov_b32 v85, s40 :: v_dual_mov_b32 v86, s41
	v_fma_f64 v[37:38], -v[11:12], v[81:82], v[37:38]
	v_fma_f64 v[25:26], -v[11:12], v[79:80], v[25:26]
	v_dual_mov_b32 v81, s37 :: v_dual_mov_b32 v82, s39
	ds_load_b64 v[115:116], v75
	ds_load_2addr_b64 v[75:78], v76 offset1:1
	ds_load_2addr_b64 v[89:92], v81 offset1:1
	;; [unrolled: 1-line block ×5, first 2 shown]
	s_add_i32 s35, s27, s29
	s_add_i32 s37, s23, s24
	;; [unrolled: 1-line block ×4, first 2 shown]
	s_waitcnt lgkmcnt(7)
	v_fma_f64 v[53:54], -v[45:46], v[53:54], v[7:8]
	v_fma_f64 v[5:6], -v[45:46], v[51:52], v[5:6]
	s_add_i32 s43, s33, s12
	s_add_i32 s45, s34, s8
	s_lshl_b32 s35, s35, 3
	s_lshl_b32 s37, s37, 3
	s_lshl_b32 s39, s39, 3
	s_lshl_b32 s41, s41, 3
	s_lshl_b32 s43, s43, 3
	s_lshl_b32 s45, s45, 3
	s_add_i32 s31, s8, 0xfffffecc
	v_mov_b32_e32 v51, s45
	s_add_i32 s36, s27, s31
	s_add_i32 s38, s23, s25
	;; [unrolled: 1-line block ×3, first 2 shown]
	s_lshl_b32 s36, s36, 3
	s_waitcnt lgkmcnt(6)
	v_fma_f64 v[29:30], -v[39:40], v[57:58], v[29:30]
	v_fma_f64 v[47:48], -v[31:32], v[61:62], v[47:48]
	s_add_i32 s42, s30, s19
	s_lshl_b32 s38, s38, 3
	v_fma_f64 v[33:34], -v[23:24], v[65:66], v[33:34]
	v_fma_f64 v[9:10], -v[39:40], v[55:56], v[9:10]
	;; [unrolled: 1-line block ×6, first 2 shown]
	v_mov_b32_e32 v55, s43
	v_mov_b32_e32 v59, s41
	v_mul_f64 v[7:8], v[73:74], v[37:38]
	v_mov_b32_e32 v63, s39
	v_mov_b32_e32 v67, s37
	s_add_i32 s44, s33, s13
	ds_load_2addr_b64 v[59:62], v59 offset1:1
	s_lshl_b32 s40, s40, 3
	ds_load_2addr_b64 v[63:66], v63 offset1:1
	ds_load_2addr_b64 v[55:58], v55 offset1:1
	ds_load_2addr_b64 v[67:70], v67 offset1:1
	s_add_i32 s15, s34, s15
	s_waitcnt lgkmcnt(4)
	v_fma_f64 v[37:38], -v[43:44], v[111:112], v[53:54]
	ds_load_2addr_b64 v[51:54], v51 offset1:1
	v_fma_f64 v[5:6], -v[43:44], v[109:110], v[5:6]
	s_lshl_b32 s42, s42, 3
	v_mov_b32_e32 v81, s38
	s_lshl_b32 s44, s44, 3
	v_mov_b32_e32 v85, s40
	;; [unrolled: 2-line block ×3, first 2 shown]
	v_mov_b32_e32 v99, s15
	s_add_i32 s15, s8, 0xfffffeb0
	s_add_i32 s38, s23, s29
	;; [unrolled: 1-line block ×5, first 2 shown]
	s_lshl_b32 s40, s38, 3
	v_fma_f64 v[29:30], -v[35:36], v[107:108], v[29:30]
	v_fma_f64 v[47:48], -v[27:28], v[103:104], v[47:48]
	s_lshl_b32 s38, s43, 3
	s_lshl_b32 s43, s44, 3
	v_fma_f64 v[33:34], -v[19:20], v[91:92], v[33:34]
	s_waitcnt lgkmcnt(0)
	v_fma_f64 v[53:54], -v[45:46], v[53:54], v[3:4]
	v_fma_f64 v[9:10], -v[35:36], v[105:106], v[9:10]
	;; [unrolled: 1-line block ×6, first 2 shown]
	v_mov_b32_e32 v77, s36
	v_fma_f64 v[25:26], -v[7:8], v[71:72], v[25:26]
	v_mov_b32_e32 v71, s35
	v_mov_b32_e32 v91, s42
	v_fma_f64 v[1:2], -v[45:46], v[51:52], v[1:2]
	s_add_i32 s36, s27, s15
	s_add_i32 s42, s26, s24
	ds_load_2addr_b64 v[71:74], v71 offset1:1
	ds_load_2addr_b64 v[77:80], v77 offset1:1
	;; [unrolled: 1-line block ×7, first 2 shown]
	s_add_i32 s35, s33, s14
	s_lshl_b32 s36, s36, 3
	v_fma_f64 v[37:38], -v[39:40], v[57:58], v[37:38]
	s_lshl_b32 s42, s42, 3
	v_fma_f64 v[5:6], -v[39:40], v[55:56], v[5:6]
	s_lshl_b32 s44, s46, 3
	s_lshl_b32 s35, s35, 3
	v_mov_b32_e32 v51, s44
	v_mov_b32_e32 v55, s35
	s_add_i32 s37, s9, 0xfffff438
	s_add_i32 s39, s23, s31
	;; [unrolled: 1-line block ×3, first 2 shown]
	v_mov_b32_e32 v75, s37
	s_lshl_b32 s37, s39, 3
	s_add_i32 s27, s33, s19
	s_add_i32 s41, s34, s13
	s_lshl_b32 s39, s45, 3
	v_mov_b32_e32 v76, s37
	v_fma_f64 v[29:30], -v[31:32], v[61:62], v[29:30]
	v_fma_f64 v[47:48], -v[23:24], v[65:66], v[47:48]
	s_lshl_b32 s27, s27, 3
	s_lshl_b32 s35, s41, 3
	v_fma_f64 v[33:34], -v[15:16], v[69:70], v[33:34]
	s_add_i32 s37, s26, s29
	v_fma_f64 v[9:10], -v[31:32], v[59:60], v[9:10]
	s_waitcnt lgkmcnt(6)
	v_fma_f64 v[41:42], -v[7:8], v[73:74], v[41:42]
	v_fma_f64 v[13:14], -v[23:24], v[63:64], v[13:14]
	;; [unrolled: 1-line block ×4, first 2 shown]
	v_mov_b32_e32 v59, s43
	v_mul_f64 v[3:4], v[115:116], v[25:26]
	s_waitcnt lgkmcnt(0)
	v_fma_f64 v[25:26], -v[43:44], v[113:114], v[53:54]
	v_mov_b32_e32 v63, s42
	v_mov_b32_e32 v67, s40
	v_mov_b32_e32 v71, s36
	ds_load_2addr_b64 v[51:54], v51 offset1:1
	ds_load_2addr_b64 v[55:58], v55 offset1:1
	;; [unrolled: 1-line block ×6, first 2 shown]
	v_fma_f64 v[37:38], -v[35:36], v[97:98], v[37:38]
	v_fma_f64 v[5:6], -v[35:36], v[95:96], v[5:6]
	;; [unrolled: 1-line block ×3, first 2 shown]
	s_add_i32 s41, s33, s21
	s_add_i32 s43, s34, s14
	s_lshl_b32 s37, s37, 3
	s_lshl_b32 s43, s43, 3
	;; [unrolled: 1-line block ×3, first 2 shown]
	s_add_i32 s40, s30, s25
	s_add_i32 s42, s33, s22
	;; [unrolled: 1-line block ×3, first 2 shown]
	s_sub_i32 s4, s4, 24
	v_fma_f64 v[29:30], -v[27:28], v[93:94], v[29:30]
	v_fma_f64 v[47:48], -v[19:20], v[87:88], v[47:48]
	;; [unrolled: 1-line block ×3, first 2 shown]
	v_mov_b32_e32 v83, s27
	v_fma_f64 v[9:10], -v[27:28], v[91:92], v[9:10]
	v_mov_b32_e32 v84, s35
	v_fma_f64 v[13:14], -v[19:20], v[85:86], v[13:14]
	v_fma_f64 v[17:18], -v[11:12], v[81:82], v[17:18]
	s_add_i32 s35, s23, s15
	s_add_i32 s27, s8, 0xfffffe94
	v_fma_f64 v[41:42], -v[3:4], v[79:80], v[41:42]
	s_waitcnt lgkmcnt(5)
	v_fma_f64 v[25:26], -v[39:40], v[53:54], v[25:26]
	v_fma_f64 v[21:22], -v[3:4], v[77:78], v[21:22]
	v_dual_mov_b32 v79, s38 :: v_dual_mov_b32 v80, s39
	ds_load_b64 v[93:94], v75
	ds_load_2addr_b64 v[87:90], v76 offset1:1
	ds_load_2addr_b64 v[97:100], v79 offset1:1
	;; [unrolled: 1-line block ×5, first 2 shown]
	s_add_i32 s39, s30, s24
	s_lshl_b32 s35, s35, 3
	s_lshl_b32 s39, s39, 3
	s_add_i32 s36, s23, s27
	s_waitcnt lgkmcnt(10)
	v_fma_f64 v[37:38], -v[31:32], v[57:58], v[37:38]
	v_fma_f64 v[5:6], -v[31:32], v[55:56], v[5:6]
	;; [unrolled: 1-line block ×3, first 2 shown]
	v_mov_b32_e32 v51, s43
	v_mov_b32_e32 v55, s41
	s_add_i32 s38, s26, s31
	s_lshl_b32 s36, s36, 3
	s_lshl_b32 s38, s38, 3
	ds_load_2addr_b64 v[51:54], v51 offset1:1
	ds_load_2addr_b64 v[55:58], v55 offset1:1
	v_mov_b32_e32 v75, s38
	s_add_i32 s43, s34, s21
	s_add_i32 s41, s33, s24
	;; [unrolled: 1-line block ×3, first 2 shown]
	s_lshl_b32 s41, s41, 3
	s_waitcnt lgkmcnt(11)
	v_fma_f64 v[29:30], -v[23:24], v[61:62], v[29:30]
	s_waitcnt lgkmcnt(10)
	v_fma_f64 v[47:48], -v[15:16], v[65:66], v[47:48]
	s_waitcnt lgkmcnt(9)
	v_fma_f64 v[33:34], -v[7:8], v[69:70], v[33:34]
	v_fma_f64 v[9:10], -v[23:24], v[59:60], v[9:10]
	v_mov_b32_e32 v59, s39
	v_fma_f64 v[13:14], -v[15:16], v[63:64], v[13:14]
	v_fma_f64 v[17:18], -v[7:8], v[67:68], v[17:18]
	v_mov_b32_e32 v63, s37
	v_mov_b32_e32 v67, s35
	s_waitcnt lgkmcnt(8)
	v_mul_f64 v[41:42], v[73:74], v[41:42]
	s_waitcnt lgkmcnt(2)
	v_fma_f64 v[25:26], -v[35:36], v[115:116], v[25:26]
	ds_load_2addr_b64 v[59:62], v59 offset1:1
	ds_load_2addr_b64 v[63:66], v63 offset1:1
	;; [unrolled: 1-line block ×3, first 2 shown]
	s_lshl_b32 s35, s40, 3
	s_lshl_b32 s37, s42, 3
	;; [unrolled: 1-line block ×3, first 2 shown]
	v_mov_b32_e32 v79, s35
	v_mov_b32_e32 v83, s37
	s_add_i32 s35, s8, 0xfffffe78
	v_fma_f64 v[37:38], -v[27:28], v[107:108], v[37:38]
	v_fma_f64 v[5:6], -v[27:28], v[105:106], v[5:6]
	;; [unrolled: 1-line block ×3, first 2 shown]
	s_add_i32 s23, s23, s35
	s_add_i32 s37, s26, s15
	s_lshl_b32 s23, s23, 3
	s_lshl_b32 s37, s37, 3
	s_add_i32 s40, s30, s31
	s_add_i32 s42, s33, s25
	;; [unrolled: 1-line block ×3, first 2 shown]
	v_fma_f64 v[29:30], -v[19:20], v[103:104], v[29:30]
	v_fma_f64 v[47:48], -v[11:12], v[99:100], v[47:48]
	;; [unrolled: 1-line block ×3, first 2 shown]
	v_mov_b32_e32 v89, s39
	v_fma_f64 v[9:10], -v[19:20], v[101:102], v[9:10]
	s_add_i32 s39, s30, s29
	v_fma_f64 v[13:14], -v[11:12], v[97:98], v[13:14]
	v_fma_f64 v[17:18], -v[3:4], v[87:88], v[17:18]
	;; [unrolled: 1-line block ×3, first 2 shown]
	s_waitcnt lgkmcnt(4)
	v_fma_f64 v[25:26], -v[31:32], v[53:54], v[25:26]
	v_mov_b32_e32 v71, s36
	s_add_i32 s36, s9, 0xfffff268
	ds_load_2addr_b64 v[71:74], v71 offset1:1
	ds_load_2addr_b64 v[75:78], v75 offset1:1
	;; [unrolled: 1-line block ×5, first 2 shown]
	s_waitcnt lgkmcnt(8)
	v_fma_f64 v[37:38], -v[23:24], v[57:58], v[37:38]
	v_fma_f64 v[5:6], -v[23:24], v[55:56], v[5:6]
	;; [unrolled: 1-line block ×3, first 2 shown]
	v_mov_b32_e32 v55, s41
	s_add_i32 s41, s33, s29
	s_delay_alu instid0(SALU_CYCLE_1)
	s_lshl_b32 s41, s41, 3
	ds_load_2addr_b64 v[55:58], v55 offset1:1
	s_waitcnt lgkmcnt(8)
	v_fma_f64 v[29:30], -v[15:16], v[61:62], v[29:30]
	s_waitcnt lgkmcnt(7)
	v_fma_f64 v[47:48], -v[7:8], v[65:66], v[47:48]
	;; [unrolled: 2-line block ×3, first 2 shown]
	v_fma_f64 v[9:10], -v[15:16], v[59:60], v[9:10]
	v_fma_f64 v[13:14], -v[7:8], v[63:64], v[13:14]
	;; [unrolled: 1-line block ×3, first 2 shown]
	v_mov_b32_e32 v63, s37
	v_mov_b32_e32 v67, s23
	v_mul_f64 v[21:22], v[93:94], v[21:22]
	s_waitcnt lgkmcnt(1)
	v_fma_f64 v[25:26], -v[27:28], v[91:92], v[25:26]
	s_lshl_b32 s23, s38, 3
	s_lshl_b32 s37, s42, 3
	ds_load_2addr_b64 v[67:70], v67 offset1:1
	s_lshl_b32 s38, s44, 3
	ds_load_2addr_b64 v[63:66], v63 offset1:1
	v_fma_f64 v[37:38], -v[19:20], v[85:86], v[37:38]
	v_fma_f64 v[5:6], -v[19:20], v[83:84], v[5:6]
	v_fma_f64 v[1:2], -v[27:28], v[89:90], v[1:2]
	v_fma_f64 v[29:30], -v[11:12], v[81:82], v[29:30]
	v_fma_f64 v[47:48], -v[3:4], v[77:78], v[47:48]
	v_dual_mov_b32 v78, s37 :: v_dual_mov_b32 v81, s38
	s_add_i32 s38, s30, s15
	v_fma_f64 v[9:10], -v[11:12], v[79:80], v[9:10]
	s_lshl_b32 s38, s38, 3
	v_fma_f64 v[13:14], -v[3:4], v[75:76], v[13:14]
	v_fma_f64 v[33:34], -v[21:22], v[73:74], v[33:34]
	v_mov_b32_e32 v73, s36
	s_lshl_b32 s36, s43, 3
	v_fma_f64 v[17:18], -v[21:22], v[71:72], v[17:18]
	v_mov_b32_e32 v51, s36
	s_lshl_b32 s36, s39, 3
	s_delay_alu instid0(SALU_CYCLE_1)
	v_dual_mov_b32 v74, s23 :: v_dual_mov_b32 v59, s36
	s_lshl_b32 s36, s40, 3
	ds_load_2addr_b64 v[51:54], v51 offset1:1
	v_mov_b32_e32 v77, s36
	s_add_i32 s36, s26, s35
	ds_load_2addr_b64 v[59:62], v59 offset1:1
	ds_load_b64 v[103:104], v73
	ds_load_2addr_b64 v[85:88], v74 offset1:1
	ds_load_2addr_b64 v[91:94], v77 offset1:1
	;; [unrolled: 1-line block ×4, first 2 shown]
	s_add_i32 s40, s34, s24
	s_lshl_b32 s36, s36, 3
	s_lshl_b32 s40, s40, 3
	s_add_i32 s23, s8, 0xfffffe5c
	s_add_i32 s39, s30, s27
	;; [unrolled: 1-line block ×3, first 2 shown]
	s_lshl_b32 s39, s39, 3
	s_lshl_b32 s37, s37, 3
	v_mov_b32_e32 v71, s39
	s_add_i32 s39, s34, s29
	s_waitcnt lgkmcnt(9)
	v_fma_f64 v[37:38], -v[15:16], v[57:58], v[37:38]
	v_fma_f64 v[5:6], -v[15:16], v[55:56], v[5:6]
	v_mov_b32_e32 v55, s41
	s_lshl_b32 s39, s39, 3
	s_waitcnt lgkmcnt(7)
	v_fma_f64 v[47:48], -v[41:42], v[65:66], v[47:48]
	s_waitcnt lgkmcnt(6)
	v_fma_f64 v[25:26], -v[23:24], v[53:54], v[25:26]
	v_fma_f64 v[1:2], -v[23:24], v[51:52], v[1:2]
	v_mov_b32_e32 v51, s40
	s_waitcnt lgkmcnt(5)
	v_fma_f64 v[29:30], -v[7:8], v[61:62], v[29:30]
	v_fma_f64 v[9:10], -v[7:8], v[59:60], v[9:10]
	;; [unrolled: 1-line block ×3, first 2 shown]
	v_mov_b32_e32 v59, s38
	v_mov_b32_e32 v63, s36
	ds_load_2addr_b64 v[51:54], v51 offset1:1
	ds_load_2addr_b64 v[55:58], v55 offset1:1
	v_mul_f64 v[33:34], v[69:70], v[33:34]
	ds_load_2addr_b64 v[59:62], v59 offset1:1
	ds_load_2addr_b64 v[63:66], v63 offset1:1
	s_add_i32 s36, s33, s31
	s_add_i32 s38, s34, s25
	s_lshl_b32 s36, s36, 3
	s_lshl_b32 s38, s38, 3
	v_mov_b32_e32 v75, s36
	v_mov_b32_e32 v79, s38
	s_add_i32 s36, s8, 0xfffffe40
	s_add_i32 s38, s30, s35
	s_add_i32 s26, s26, s36
	s_add_i32 s40, s33, s15
	s_lshl_b32 s38, s38, 3
	s_lshl_b32 s40, s40, 3
	s_lshl_b32 s26, s26, 3
	s_waitcnt lgkmcnt(5)
	v_fma_f64 v[37:38], -v[11:12], v[97:98], v[37:38]
	v_fma_f64 v[5:6], -v[11:12], v[95:96], v[5:6]
	;; [unrolled: 1-line block ×3, first 2 shown]
	s_waitcnt lgkmcnt(4)
	v_fma_f64 v[25:26], -v[19:20], v[101:102], v[25:26]
	v_fma_f64 v[1:2], -v[19:20], v[99:100], v[1:2]
	;; [unrolled: 1-line block ×6, first 2 shown]
	v_mov_b32_e32 v67, s37
	s_add_i32 s37, s9, 0xfffff098
	ds_load_2addr_b64 v[67:70], v67 offset1:1
	ds_load_2addr_b64 v[71:74], v71 offset1:1
	;; [unrolled: 1-line block ×4, first 2 shown]
	s_waitcnt lgkmcnt(6)
	v_fma_f64 v[37:38], -v[7:8], v[57:58], v[37:38]
	v_fma_f64 v[5:6], -v[7:8], v[55:56], v[5:6]
	v_mov_b32_e32 v55, s40
	s_waitcnt lgkmcnt(4)
	v_fma_f64 v[47:48], -v[33:34], v[65:66], v[47:48]
	v_fma_f64 v[25:26], -v[15:16], v[53:54], v[25:26]
	;; [unrolled: 1-line block ×3, first 2 shown]
	v_mov_b32_e32 v51, s39
	v_fma_f64 v[29:30], -v[41:42], v[61:62], v[29:30]
	v_fma_f64 v[9:10], -v[41:42], v[59:60], v[9:10]
	v_fma_f64 v[13:14], -v[33:34], v[63:64], v[13:14]
	v_mov_b32_e32 v59, s38
	v_mov_b32_e32 v63, s26
	ds_load_2addr_b64 v[51:54], v51 offset1:1
	ds_load_2addr_b64 v[55:58], v55 offset1:1
	v_mul_f64 v[17:18], v[103:104], v[17:18]
	ds_load_2addr_b64 v[59:62], v59 offset1:1
	ds_load_2addr_b64 v[63:66], v63 offset1:1
	s_add_i32 s26, s30, s23
	s_add_i32 s38, s33, s27
	;; [unrolled: 1-line block ×3, first 2 shown]
	s_lshl_b32 s26, s26, 3
	s_waitcnt lgkmcnt(5)
	v_fma_f64 v[37:38], -v[3:4], v[77:78], v[37:38]
	v_fma_f64 v[5:6], -v[3:4], v[75:76], v[5:6]
	s_waitcnt lgkmcnt(4)
	v_fma_f64 v[25:26], -v[11:12], v[81:82], v[25:26]
	v_fma_f64 v[1:2], -v[11:12], v[79:80], v[1:2]
	;; [unrolled: 1-line block ×6, first 2 shown]
	v_mov_b32_e32 v69, s37
	s_lshl_b32 s37, s38, 3
	s_lshl_b32 s38, s39, 3
	v_dual_mov_b32 v70, s26 :: v_dual_mov_b32 v73, s37
	v_mov_b32_e32 v74, s38
	ds_load_b64 v[77:78], v69
	ds_load_2addr_b64 v[81:84], v70 offset1:1
	ds_load_2addr_b64 v[85:88], v73 offset1:1
	;; [unrolled: 1-line block ×3, first 2 shown]
	s_add_i32 s26, s30, s36
	s_add_i32 s37, s34, s15
	;; [unrolled: 1-line block ×3, first 2 shown]
	s_lshl_b32 s37, s37, 3
	s_lshl_b32 s26, s26, 3
	;; [unrolled: 1-line block ×3, first 2 shown]
	s_add_i32 s39, s34, s27
	s_delay_alu instid0(SALU_CYCLE_1) | instskip(NEXT) | instid1(SALU_CYCLE_1)
	s_lshl_b32 s39, s39, 3
	v_mov_b32_e32 v71, s39
	s_add_i32 s39, s33, s36
	s_delay_alu instid0(SALU_CYCLE_1)
	s_lshl_b32 s39, s39, 3
	s_waitcnt lgkmcnt(6)
	v_fma_f64 v[37:38], -v[41:42], v[57:58], v[37:38]
	v_fma_f64 v[5:6], -v[41:42], v[55:56], v[5:6]
	v_mov_b32_e32 v55, s38
	s_add_i32 s38, s33, s23
	v_fma_f64 v[25:26], -v[7:8], v[53:54], v[25:26]
	v_fma_f64 v[1:2], -v[7:8], v[51:52], v[1:2]
	v_mov_b32_e32 v51, s37
	s_waitcnt lgkmcnt(5)
	v_fma_f64 v[29:30], -v[33:34], v[61:62], v[29:30]
	v_fma_f64 v[9:10], -v[33:34], v[59:60], v[9:10]
	v_mov_b32_e32 v59, s26
	ds_load_2addr_b64 v[51:54], v51 offset1:1
	ds_load_2addr_b64 v[55:58], v55 offset1:1
	s_add_i32 s26, s8, 0xfffffe24
	s_lshl_b32 s38, s38, 3
	s_waitcnt lgkmcnt(6)
	v_mul_f64 v[47:48], v[65:66], v[47:48]
	ds_load_2addr_b64 v[59:62], v59 offset1:1
	s_add_i32 s37, s30, s26
	v_mov_b32_e32 v67, s38
	s_lshl_b32 s37, s37, 3
	s_add_i32 s38, s34, s35
	s_delay_alu instid0(SALU_CYCLE_1)
	s_lshl_b32 s38, s38, 3
	s_waitcnt lgkmcnt(4)
	v_fma_f64 v[37:38], -v[21:22], v[87:88], v[37:38]
	v_fma_f64 v[5:6], -v[21:22], v[85:86], v[5:6]
	s_waitcnt lgkmcnt(3)
	v_fma_f64 v[25:26], -v[3:4], v[91:92], v[25:26]
	v_fma_f64 v[1:2], -v[3:4], v[89:90], v[1:2]
	;; [unrolled: 1-line block ×5, first 2 shown]
	v_mov_b32_e32 v63, s37
	s_add_i32 s37, s8, 0xfffffe08
	ds_load_2addr_b64 v[63:66], v63 offset1:1
	ds_load_2addr_b64 v[67:70], v67 offset1:1
	;; [unrolled: 1-line block ×3, first 2 shown]
	s_add_i32 s30, s30, s37
	s_delay_alu instid0(SALU_CYCLE_1)
	s_lshl_b32 s30, s30, 3
	s_waitcnt lgkmcnt(4)
	v_fma_f64 v[37:38], -v[33:34], v[57:58], v[37:38]
	v_fma_f64 v[5:6], -v[33:34], v[55:56], v[5:6]
	v_mov_b32_e32 v55, s39
	s_add_i32 s39, s34, s23
	v_fma_f64 v[25:26], -v[41:42], v[53:54], v[25:26]
	v_fma_f64 v[1:2], -v[41:42], v[51:52], v[1:2]
	v_mov_b32_e32 v51, s38
	s_waitcnt lgkmcnt(3)
	v_fma_f64 v[29:30], -v[47:48], v[61:62], v[29:30]
	v_fma_f64 v[9:10], -v[47:48], v[59:60], v[9:10]
	v_mov_b32_e32 v59, s30
	ds_load_2addr_b64 v[51:54], v51 offset1:1
	ds_load_2addr_b64 v[55:58], v55 offset1:1
	;; [unrolled: 1-line block ×3, first 2 shown]
	s_add_i32 s30, s9, 0xffffeec8
	v_mul_f64 v[13:14], v[77:78], v[13:14]
	s_add_i32 s38, s33, s26
	s_waitcnt lgkmcnt(4)
	v_fma_f64 v[37:38], -v[17:18], v[69:70], v[37:38]
	v_fma_f64 v[5:6], -v[17:18], v[67:68], v[5:6]
	s_waitcnt lgkmcnt(3)
	v_fma_f64 v[25:26], -v[21:22], v[73:74], v[25:26]
	v_fma_f64 v[1:2], -v[21:22], v[71:72], v[1:2]
	;; [unrolled: 1-line block ×4, first 2 shown]
	v_mov_b32_e32 v65, s30
	s_lshl_b32 s30, s38, 3
	s_lshl_b32 s38, s39, 3
	s_delay_alu instid0(SALU_CYCLE_1)
	v_dual_mov_b32 v66, s30 :: v_dual_mov_b32 v77, s38
	ds_load_b64 v[69:70], v65
	ds_load_2addr_b64 v[73:76], v66 offset1:1
	ds_load_2addr_b64 v[77:80], v77 offset1:1
	s_add_i32 s30, s34, s36
	s_add_i32 s38, s33, s37
	s_lshl_b32 s30, s30, 3
	s_lshl_b32 s38, s38, 3
	s_add_i32 s39, s34, s26
	s_delay_alu instid0(SALU_CYCLE_1) | instskip(NEXT) | instid1(SALU_CYCLE_1)
	s_lshl_b32 s39, s39, 3
	v_mov_b32_e32 v63, s39
	s_add_i32 s39, s34, s37
	s_delay_alu instid0(SALU_CYCLE_1)
	s_lshl_b32 s39, s39, 3
	s_waitcnt lgkmcnt(4)
	v_fma_f64 v[37:38], -v[47:48], v[57:58], v[37:38]
	v_fma_f64 v[5:6], -v[47:48], v[55:56], v[5:6]
	v_mov_b32_e32 v55, s38
	v_fma_f64 v[25:26], -v[33:34], v[53:54], v[25:26]
	v_fma_f64 v[1:2], -v[33:34], v[51:52], v[1:2]
	v_mov_b32_e32 v51, s30
	ds_load_2addr_b64 v[51:54], v51 offset1:1
	ds_load_2addr_b64 v[55:58], v55 offset1:1
	s_add_i32 s30, s8, 0xfffffdec
	s_waitcnt lgkmcnt(5)
	v_mul_f64 v[29:30], v[61:62], v[29:30]
	s_add_i32 s38, s33, s30
	s_delay_alu instid0(SALU_CYCLE_1)
	s_lshl_b32 s38, s38, 3
	s_waitcnt lgkmcnt(3)
	v_fma_f64 v[37:38], -v[13:14], v[75:76], v[37:38]
	v_fma_f64 v[5:6], -v[13:14], v[73:74], v[5:6]
	s_waitcnt lgkmcnt(2)
	v_fma_f64 v[25:26], -v[17:18], v[79:80], v[25:26]
	v_fma_f64 v[1:2], -v[17:18], v[77:78], v[1:2]
	;; [unrolled: 1-line block ×3, first 2 shown]
	v_mov_b32_e32 v59, s38
	s_add_i32 s38, s8, 0xfffffdd0
	ds_load_2addr_b64 v[59:62], v59 offset1:1
	ds_load_2addr_b64 v[63:66], v63 offset1:1
	s_add_i32 s33, s33, s38
	s_delay_alu instid0(SALU_CYCLE_1)
	s_lshl_b32 s33, s33, 3
	s_waitcnt lgkmcnt(2)
	v_fma_f64 v[37:38], -v[29:30], v[57:58], v[37:38]
	v_fma_f64 v[5:6], -v[29:30], v[55:56], v[5:6]
	v_mov_b32_e32 v55, s33
	s_add_i32 s33, s34, s30
	v_fma_f64 v[25:26], -v[47:48], v[53:54], v[25:26]
	v_fma_f64 v[1:2], -v[47:48], v[51:52], v[1:2]
	v_mov_b32_e32 v51, s39
	ds_load_2addr_b64 v[51:54], v51 offset1:1
	ds_load_2addr_b64 v[55:58], v55 offset1:1
	s_add_i32 s39, s9, 0xffffecf8
	s_lshl_b32 s33, s33, 3
	v_mul_f64 v[9:10], v[69:70], v[9:10]
	s_addk_i32 s9, 0xeb28
	s_waitcnt lgkmcnt(2)
	v_fma_f64 v[25:26], -v[13:14], v[65:66], v[25:26]
	v_fma_f64 v[1:2], -v[13:14], v[63:64], v[1:2]
	v_mov_b32_e32 v65, s33
	s_add_i32 s33, s34, s38
	s_delay_alu instid0(SALU_CYCLE_1) | instskip(NEXT) | instid1(VALU_DEP_4)
	s_lshl_b32 s33, s33, 3
	v_fma_f64 v[37:38], -v[9:10], v[61:62], v[37:38]
	v_fma_f64 v[5:6], -v[9:10], v[59:60], v[5:6]
	v_mov_b32_e32 v61, s39
	ds_load_b64 v[61:62], v61
	ds_load_2addr_b64 v[65:68], v65 offset1:1
	s_waitcnt lgkmcnt(3)
	v_fma_f64 v[25:26], -v[29:30], v[53:54], v[25:26]
	v_fma_f64 v[1:2], -v[29:30], v[51:52], v[1:2]
	v_mov_b32_e32 v51, s33
	s_add_i32 s33, s8, 0xfffffdb4
	s_delay_alu instid0(SALU_CYCLE_1)
	s_add_i32 s39, s34, s33
	ds_load_2addr_b64 v[51:54], v51 offset1:1
	s_lshl_b32 s39, s39, 3
	s_waitcnt lgkmcnt(3)
	v_mul_f64 v[37:38], v[57:58], v[37:38]
	s_waitcnt lgkmcnt(1)
	v_fma_f64 v[25:26], -v[9:10], v[67:68], v[25:26]
	v_fma_f64 v[1:2], -v[9:10], v[65:66], v[1:2]
	s_delay_alu instid0(VALU_DEP_3)
	v_fma_f64 v[5:6], -v[37:38], v[55:56], v[5:6]
	v_mov_b32_e32 v55, s39
	s_add_i32 s39, s8, 0xfffffd98
	s_addk_i32 s8, 0xfd7c
	s_add_i32 s34, s34, s39
	ds_load_2addr_b64 v[55:58], v55 offset1:1
	s_lshl_b32 s34, s34, 3
	s_waitcnt lgkmcnt(1)
	v_fma_f64 v[25:26], -v[37:38], v[53:54], v[25:26]
	v_fma_f64 v[1:2], -v[37:38], v[51:52], v[1:2]
	v_mov_b32_e32 v51, s34
	ds_load_2addr_b64 v[51:54], v51 offset1:1
	v_mul_f64 v[5:6], v[61:62], v[5:6]
	s_waitcnt lgkmcnt(1)
	s_delay_alu instid0(VALU_DEP_1)
	v_fma_f64 v[25:26], -v[5:6], v[57:58], v[25:26]
	v_mov_b32_e32 v57, s9
	v_fma_f64 v[1:2], -v[5:6], v[55:56], v[1:2]
	ds_load_b64 v[57:58], v57
	s_waitcnt lgkmcnt(1)
	v_mul_f64 v[25:26], v[53:54], v[25:26]
	s_delay_alu instid0(VALU_DEP_1)
	v_fma_f64 v[1:2], -v[25:26], v[51:52], v[1:2]
	v_add_lshl_u32 v51, s12, v0, 3
	v_add_lshl_u32 v52, s13, v0, 3
	ds_store_b64 v49, v[45:46]
	ds_store_b64 v50, v[43:44]
	ds_store_b64 v51, v[39:40] offset:6272
	ds_store_b64 v52, v[35:36] offset:6272
	v_add_lshl_u32 v35, s14, v0, 3
	v_add_lshl_u32 v36, s19, v0, 3
	;; [unrolled: 1-line block ×6, first 2 shown]
	ds_store_b64 v35, v[31:32] offset:6272
	ds_store_b64 v36, v[27:28] offset:6272
	;; [unrolled: 1-line block ×6, first 2 shown]
	v_add_lshl_u32 v11, s29, v0, 3
	v_add_lshl_u32 v12, s31, v0, 3
	;; [unrolled: 1-line block ×8, first 2 shown]
	ds_store_b64 v11, v[7:8] offset:6272
	ds_store_b64 v12, v[3:4] offset:6272
	;; [unrolled: 1-line block ×8, first 2 shown]
	v_add_lshl_u32 v3, s37, v0, 3
	v_add_lshl_u32 v11, s39, v0, 3
	;; [unrolled: 1-line block ×6, first 2 shown]
	ds_store_b64 v3, v[29:30] offset:6272
	ds_store_b64 v4, v[9:10] offset:6272
	;; [unrolled: 1-line block ×4, first 2 shown]
	s_waitcnt lgkmcnt(22)
	v_mul_f64 v[1:2], v[57:58], v[1:2]
	ds_store_b64 v11, v[25:26] offset:6272
	ds_store_b64 v12, v[1:2] offset:6272
.LBB97_47:
	s_cmp_lt_i32 s4, 0
	s_cbranch_scc1 .LBB97_60
; %bb.48:
	s_bitcmp1_b32 s4, 0
	s_cselect_b32 s8, -1, 0
	s_delay_alu instid0(SALU_CYCLE_1)
	s_and_b32 vcc_lo, exec_lo, s8
	s_mov_b32 s8, s4
	s_cbranch_vccnz .LBB97_53
; %bb.49:
	s_mul_i32 s8, s4, 28
	s_cmp_le_i32 s28, s4
	v_add_lshl_u32 v3, s8, v0, 3
	ds_load_b64 v[1:2], v3 offset:6272
	s_cbranch_scc1 .LBB97_52
; %bb.50:
	v_lshlrev_b32_e32 v4, 3, v0
	s_mul_i32 s8, s20, 0xe0
	s_lshl_b32 s9, s4, 3
	s_delay_alu instid0(SALU_CYCLE_1) | instskip(NEXT) | instid1(VALU_DEP_1)
	s_add_i32 s9, s8, s9
	v_add3_u32 v4, s8, v4, 0x17a0
	s_add_i32 s8, s9, 0xffffff20
	s_mov_b32 s9, s28
.LBB97_51:                              ; =>This Inner Loop Header: Depth=1
	v_mov_b32_e32 v7, s8
	s_add_i32 s9, s9, -1
	s_addk_i32 s8, 0xff20
	s_cmp_gt_i32 s9, s4
	ds_load_b64 v[5:6], v4
	ds_load_b64 v[7:8], v7
	v_add_nc_u32_e32 v4, 0xffffff20, v4
	s_waitcnt lgkmcnt(0)
	v_fma_f64 v[1:2], -v[5:6], v[7:8], v[1:2]
	s_cbranch_scc1 .LBB97_51
.LBB97_52:
	s_mul_i32 s8, s4, 0xe8
	s_delay_alu instid0(SALU_CYCLE_1)
	v_dual_mov_b32 v4, s8 :: v_dual_add_nc_u32 v3, 0x1880, v3
	s_add_i32 s8, s4, -1
	ds_load_b64 v[4:5], v4
	s_waitcnt lgkmcnt(0)
	v_mul_f64 v[1:2], v[4:5], v[1:2]
	ds_store_b64 v3, v[1:2]
.LBB97_53:
	s_cmp_eq_u32 s4, 0
	s_cbranch_scc1 .LBB97_60
; %bb.54:
	v_lshlrev_b32_e32 v1, 3, v0
	s_mul_i32 s4, s20, 0xe0
	s_lshl_b32 s9, s8, 3
	s_delay_alu instid0(SALU_CYCLE_1) | instskip(NEXT) | instid1(VALU_DEP_1)
	s_add_i32 s9, s4, s9
	v_add3_u32 v5, s4, v1, 0x17a0
	s_add_i32 s4, s9, 0xffffff20
	s_addk_i32 s9, 0xff18
	s_branch .LBB97_56
.LBB97_55:                              ;   in Loop: Header=BB97_56 Depth=1
	s_addk_i32 s12, 0xff18
	s_add_i32 s4, s4, -16
	v_mov_b32_e32 v1, s12
	s_add_i32 s12, s8, -2
	s_add_i32 s9, s9, -16
	s_cmp_lt_i32 s8, 2
	s_mov_b32 s8, s12
	ds_load_b64 v[1:2], v1
	s_waitcnt lgkmcnt(0)
	v_mul_f64 v[1:2], v[1:2], v[3:4]
	ds_store_b64 v6, v[1:2]
	s_cbranch_scc1 .LBB97_60
.LBB97_56:                              ; =>This Loop Header: Depth=1
                                        ;     Child Loop BB97_57 Depth 2
                                        ;     Child Loop BB97_59 Depth 2
	s_mul_i32 s12, s8, 28
	v_mov_b32_e32 v4, v5
	v_add_lshl_u32 v3, s12, v0, 3
	s_cmp_le_i32 s28, s8
	s_mov_b32 s12, s4
	s_mov_b32 s13, s28
	ds_load_b64 v[1:2], v3 offset:6272
	s_cbranch_scc1 .LBB97_58
.LBB97_57:                              ;   Parent Loop BB97_56 Depth=1
                                        ; =>  This Inner Loop Header: Depth=2
	v_mov_b32_e32 v8, s12
	s_add_i32 s13, s13, -1
	s_addk_i32 s12, 0xff20
	s_cmp_gt_i32 s13, s8
	ds_load_b64 v[6:7], v4
	ds_load_b64 v[8:9], v8
	v_add_nc_u32_e32 v4, 0xffffff20, v4
	s_waitcnt lgkmcnt(0)
	v_fma_f64 v[1:2], -v[6:7], v[8:9], v[1:2]
	s_cbranch_scc1 .LBB97_57
.LBB97_58:                              ;   in Loop: Header=BB97_56 Depth=1
	s_mul_i32 s12, s8, 0xe8
	v_add_nc_u32_e32 v7, 0x1880, v3
	v_mov_b32_e32 v3, s12
	s_cmp_lt_i32 s28, s8
	s_mov_b32 s13, s9
	s_mov_b32 s14, s20
	v_add_nc_u32_e32 v6, 0xffffff20, v7
	ds_load_b64 v[8:9], v3
	ds_load_b64 v[3:4], v6
	s_waitcnt lgkmcnt(1)
	v_mul_f64 v[8:9], v[8:9], v[1:2]
	v_mov_b32_e32 v1, v5
	ds_store_b64 v7, v[8:9]
	s_cbranch_scc1 .LBB97_55
.LBB97_59:                              ;   Parent Loop BB97_56 Depth=1
                                        ; =>  This Inner Loop Header: Depth=2
	v_mov_b32_e32 v2, s13
	s_add_i32 s14, s14, -1
	s_addk_i32 s13, 0xff20
	s_cmp_gt_i32 s14, s8
	ds_load_b64 v[7:8], v1
	ds_load_b64 v[9:10], v2
	v_add_nc_u32_e32 v1, 0xffffff20, v1
	s_waitcnt lgkmcnt(0)
	v_fma_f64 v[3:4], -v[7:8], v[9:10], v[3:4]
	s_cbranch_scc1 .LBB97_59
	s_branch .LBB97_55
.LBB97_60:
	s_waitcnt vmcnt(0) lgkmcnt(0)
	s_waitcnt_vscnt null, 0x0
	; wave barrier
	s_waitcnt lgkmcnt(0)
	buffer_gl0_inv
	s_and_saveexec_b32 s4, s18
	s_cbranch_execz .LBB97_67
; %bb.61:
	s_cmp_lt_i32 s6, 8
	s_mov_b32 s4, 0
	s_cbranch_scc1 .LBB97_64
; %bb.62:
	v_mad_i64_i32 v[1:2], null, s16, v0, 0
	v_lshl_add_u32 v3, v0, 3, 0x1880
	s_lshl_b32 s4, s20, 3
	s_delay_alu instid0(VALU_DEP_2) | instskip(NEXT) | instid1(VALU_DEP_1)
	v_lshlrev_b64 v[1:2], 3, v[1:2]
	v_add_co_u32 v1, vcc_lo, s5, v1
	s_delay_alu instid0(VALU_DEP_2)
	v_add_co_ci_u32_e32 v2, vcc_lo, s7, v2, vcc_lo
	s_and_b32 s5, s4, 0xc0
	s_mov_b32 s4, 0
	s_mov_b64 s[6:7], 0
	.p2align	6
.LBB97_63:                              ; =>This Inner Loop Header: Depth=1
	ds_load_2addr_b64 v[4:7], v3 offset1:28
	ds_load_2addr_b64 v[8:11], v3 offset0:56 offset1:84
	ds_load_2addr_b64 v[12:15], v3 offset0:112 offset1:140
	;; [unrolled: 1-line block ×3, first 2 shown]
	v_add_co_u32 v20, vcc_lo, v1, s6
	v_add_co_ci_u32_e32 v21, vcc_lo, s7, v2, vcc_lo
	s_add_i32 s4, s4, 8
	v_add_nc_u32_e32 v3, 0x700, v3
	s_add_u32 s6, s6, 64
	s_addc_u32 s7, s7, 0
	s_cmp_lg_u32 s5, s6
	s_waitcnt lgkmcnt(3)
	global_store_b128 v[20:21], v[4:7], off
	s_waitcnt lgkmcnt(2)
	global_store_b128 v[20:21], v[8:11], off offset:16
	s_waitcnt lgkmcnt(1)
	global_store_b128 v[20:21], v[12:15], off offset:32
	;; [unrolled: 2-line block ×3, first 2 shown]
	s_cbranch_scc1 .LBB97_63
.LBB97_64:
	s_and_b32 s6, s20, 7
	s_mov_b32 s5, 0
	s_cmp_eq_u32 s6, 0
	s_cbranch_scc1 .LBB97_67
; %bb.65:
	v_lshlrev_b32_e32 v2, 3, v0
	s_lshl_b64 s[8:9], s[10:11], 3
	s_lshl_b64 s[10:11], s[4:5], 3
	s_delay_alu instid0(SALU_CYCLE_1) | instskip(NEXT) | instid1(VALU_DEP_1)
	s_add_u32 s2, s2, s10
	v_add_co_u32 v3, s5, s8, v2
	s_delay_alu instid0(VALU_DEP_1) | instskip(SKIP_3) | instid1(VALU_DEP_1)
	v_add_co_ci_u32_e64 v4, null, s9, 0, s5
	s_addc_u32 s3, s3, s11
	s_add_u32 s0, s2, s0
	s_addc_u32 s1, s3, s1
	v_mul_lo_u32 v4, v4, s16
	v_mad_u64_u32 v[0:1], null, v3, s16, s[0:1]
	v_mul_lo_u32 v3, v3, s17
	s_mul_i32 s0, s4, 0xe0
	s_delay_alu instid0(SALU_CYCLE_1) | instskip(NEXT) | instid1(VALU_DEP_2)
	v_add3_u32 v2, s0, v2, 0x1880
	v_add3_u32 v1, v4, v1, v3
.LBB97_66:                              ; =>This Inner Loop Header: Depth=1
	ds_load_b64 v[3:4], v2
	v_add_nc_u32_e32 v2, 0xe0, v2
	s_add_i32 s6, s6, -1
	s_delay_alu instid0(SALU_CYCLE_1)
	s_cmp_lg_u32 s6, 0
	s_waitcnt lgkmcnt(0)
	global_store_b64 v[0:1], v[3:4], off
	v_add_co_u32 v0, vcc_lo, v0, 8
	v_add_co_ci_u32_e32 v1, vcc_lo, 0, v1, vcc_lo
	s_cbranch_scc1 .LBB97_66
.LBB97_67:
	s_nop 0
	s_sendmsg sendmsg(MSG_DEALLOC_VGPRS)
	s_endpgm
	.section	.rodata,"a",@progbits
	.p2align	6, 0x0
	.amdhsa_kernel _ZL38rocblas_trsm_small_left_device_sharedBILi28ELi28ELb0EddPKPKdPKPdEv13rocblas_fill_18rocblas_operation_17rocblas_diagonal_iiT3_T4_lilT5_lili
		.amdhsa_group_segment_fixed_size 12544
		.amdhsa_private_segment_fixed_size 0
		.amdhsa_kernarg_size 360
		.amdhsa_user_sgpr_count 14
		.amdhsa_user_sgpr_dispatch_ptr 0
		.amdhsa_user_sgpr_queue_ptr 0
		.amdhsa_user_sgpr_kernarg_segment_ptr 1
		.amdhsa_user_sgpr_dispatch_id 0
		.amdhsa_user_sgpr_private_segment_size 0
		.amdhsa_wavefront_size32 1
		.amdhsa_uses_dynamic_stack 0
		.amdhsa_enable_private_segment 0
		.amdhsa_system_sgpr_workgroup_id_x 1
		.amdhsa_system_sgpr_workgroup_id_y 0
		.amdhsa_system_sgpr_workgroup_id_z 1
		.amdhsa_system_sgpr_workgroup_info 0
		.amdhsa_system_vgpr_workitem_id 0
		.amdhsa_next_free_vgpr 156
		.amdhsa_next_free_sgpr 78
		.amdhsa_reserve_vcc 1
		.amdhsa_float_round_mode_32 0
		.amdhsa_float_round_mode_16_64 0
		.amdhsa_float_denorm_mode_32 3
		.amdhsa_float_denorm_mode_16_64 3
		.amdhsa_dx10_clamp 1
		.amdhsa_ieee_mode 1
		.amdhsa_fp16_overflow 0
		.amdhsa_workgroup_processor_mode 1
		.amdhsa_memory_ordered 1
		.amdhsa_forward_progress 0
		.amdhsa_shared_vgpr_count 0
		.amdhsa_exception_fp_ieee_invalid_op 0
		.amdhsa_exception_fp_denorm_src 0
		.amdhsa_exception_fp_ieee_div_zero 0
		.amdhsa_exception_fp_ieee_overflow 0
		.amdhsa_exception_fp_ieee_underflow 0
		.amdhsa_exception_fp_ieee_inexact 0
		.amdhsa_exception_int_div_zero 0
	.end_amdhsa_kernel
	.section	.text._ZL38rocblas_trsm_small_left_device_sharedBILi28ELi28ELb0EddPKPKdPKPdEv13rocblas_fill_18rocblas_operation_17rocblas_diagonal_iiT3_T4_lilT5_lili,"axG",@progbits,_ZL38rocblas_trsm_small_left_device_sharedBILi28ELi28ELb0EddPKPKdPKPdEv13rocblas_fill_18rocblas_operation_17rocblas_diagonal_iiT3_T4_lilT5_lili,comdat
.Lfunc_end97:
	.size	_ZL38rocblas_trsm_small_left_device_sharedBILi28ELi28ELb0EddPKPKdPKPdEv13rocblas_fill_18rocblas_operation_17rocblas_diagonal_iiT3_T4_lilT5_lili, .Lfunc_end97-_ZL38rocblas_trsm_small_left_device_sharedBILi28ELi28ELb0EddPKPKdPKPdEv13rocblas_fill_18rocblas_operation_17rocblas_diagonal_iiT3_T4_lilT5_lili
                                        ; -- End function
	.section	.AMDGPU.csdata,"",@progbits
; Kernel info:
; codeLenInByte = 30464
; NumSgprs: 80
; NumVgprs: 156
; ScratchSize: 0
; MemoryBound: 0
; FloatMode: 240
; IeeeMode: 1
; LDSByteSize: 12544 bytes/workgroup (compile time only)
; SGPRBlocks: 9
; VGPRBlocks: 19
; NumSGPRsForWavesPerEU: 80
; NumVGPRsForWavesPerEU: 156
; Occupancy: 3
; WaveLimiterHint : 1
; COMPUTE_PGM_RSRC2:SCRATCH_EN: 0
; COMPUTE_PGM_RSRC2:USER_SGPR: 14
; COMPUTE_PGM_RSRC2:TRAP_HANDLER: 0
; COMPUTE_PGM_RSRC2:TGID_X_EN: 1
; COMPUTE_PGM_RSRC2:TGID_Y_EN: 0
; COMPUTE_PGM_RSRC2:TGID_Z_EN: 1
; COMPUTE_PGM_RSRC2:TIDIG_COMP_CNT: 0
	.section	.text._ZL30rocblas_trsm_small_left_deviceILi28ELi28ELb0EddPKPKdPKPdEv13rocblas_fill_18rocblas_operation_17rocblas_diagonal_iiT3_T4_lilT5_lili,"axG",@progbits,_ZL30rocblas_trsm_small_left_deviceILi28ELi28ELb0EddPKPKdPKPdEv13rocblas_fill_18rocblas_operation_17rocblas_diagonal_iiT3_T4_lilT5_lili,comdat
	.globl	_ZL30rocblas_trsm_small_left_deviceILi28ELi28ELb0EddPKPKdPKPdEv13rocblas_fill_18rocblas_operation_17rocblas_diagonal_iiT3_T4_lilT5_lili ; -- Begin function _ZL30rocblas_trsm_small_left_deviceILi28ELi28ELb0EddPKPKdPKPdEv13rocblas_fill_18rocblas_operation_17rocblas_diagonal_iiT3_T4_lilT5_lili
	.p2align	8
	.type	_ZL30rocblas_trsm_small_left_deviceILi28ELi28ELb0EddPKPKdPKPdEv13rocblas_fill_18rocblas_operation_17rocblas_diagonal_iiT3_T4_lilT5_lili,@function
_ZL30rocblas_trsm_small_left_deviceILi28ELi28ELb0EddPKPKdPKPdEv13rocblas_fill_18rocblas_operation_17rocblas_diagonal_iiT3_T4_lilT5_lili: ; @_ZL30rocblas_trsm_small_left_deviceILi28ELi28ELb0EddPKPKdPKPdEv13rocblas_fill_18rocblas_operation_17rocblas_diagonal_iiT3_T4_lilT5_lili
; %bb.0:
	s_load_b128 s[16:19], s[0:1], 0x40
	s_mov_b32 s2, s15
	s_mov_b32 s3, 0
	s_clause 0x1
	s_load_b128 s[8:11], s[0:1], 0x4
	s_load_b64 s[20:21], s[0:1], 0x28
	s_lshl_b64 s[24:25], s[2:3], 3
	s_waitcnt lgkmcnt(0)
	s_add_u32 s12, s16, s24
	s_addc_u32 s13, s17, s25
	s_load_b128 s[4:7], s[0:1], 0x18
	s_load_b64 s[16:17], s[12:13], 0x0
	s_min_i32 s2, s10, 28
	s_mov_b32 s13, exec_lo
	s_add_i32 s12, s2, -1
	v_cmpx_gt_i32_e64 s2, v0
	s_cbranch_execz .LBB98_10
; %bb.1:
	s_load_b32 s22, s[0:1], 0x30
	v_lshlrev_b32_e32 v3, 3, v0
	s_waitcnt lgkmcnt(0)
	s_ashr_i32 s23, s22, 31
	s_add_u32 s6, s6, s24
	s_addc_u32 s7, s7, s25
	s_cmp_lt_u32 s12, 3
	s_load_b64 s[6:7], s[6:7], 0x0
	s_cbranch_scc1 .LBB98_4
; %bb.2:
	s_lshl_b64 s[24:25], s[20:21], 3
	v_mov_b32_e32 v4, v3
	s_waitcnt lgkmcnt(0)
	s_add_u32 s3, s6, s24
	s_addc_u32 s15, s7, s25
	v_add_co_u32 v1, s3, s3, v3
	s_delay_alu instid0(VALU_DEP_1)
	v_add_co_ci_u32_e64 v2, null, s15, 0, s3
	s_and_b32 s3, s2, -4
	s_mul_hi_i32 s15, s22, 24
	s_mul_i32 s30, s22, 24
	s_lshl_b64 s[24:25], s[22:23], 5
	s_lshl_b64 s[26:27], s[22:23], 4
	;; [unrolled: 1-line block ×3, first 2 shown]
	s_mov_b32 s31, 0
	.p2align	6
.LBB98_3:                               ; =>This Inner Loop Header: Depth=1
	v_add_co_u32 v5, vcc_lo, v1, s28
	v_add_co_ci_u32_e32 v6, vcc_lo, s29, v2, vcc_lo
	v_add_co_u32 v7, vcc_lo, v1, s26
	v_add_co_ci_u32_e32 v8, vcc_lo, s27, v2, vcc_lo
	;; [unrolled: 2-line block ×3, first 2 shown]
	s_clause 0x3
	global_load_b64 v[11:12], v[1:2], off
	global_load_b64 v[5:6], v[5:6], off
	;; [unrolled: 1-line block ×4, first 2 shown]
	v_add_co_u32 v1, vcc_lo, v1, s24
	v_add_co_ci_u32_e32 v2, vcc_lo, s25, v2, vcc_lo
	s_add_i32 s31, s31, 4
	s_waitcnt vmcnt(2)
	ds_store_2addr_b64 v4, v[11:12], v[5:6] offset1:28
	s_waitcnt vmcnt(0)
	ds_store_2addr_b64 v4, v[7:8], v[9:10] offset0:56 offset1:84
	v_add_nc_u32_e32 v4, 0x380, v4
	s_cmp_eq_u32 s3, s31
	s_cbranch_scc0 .LBB98_3
.LBB98_4:
	s_and_b32 s15, s2, 3
	s_delay_alu instid0(SALU_CYCLE_1)
	s_cmp_eq_u32 s15, 0
	s_cbranch_scc1 .LBB98_7
; %bb.5:
	s_mul_i32 s24, s23, s3
	s_mul_hi_u32 s25, s22, s3
	s_lshl_b64 s[20:21], s[20:21], 3
	s_add_i32 s25, s25, s24
	s_mul_i32 s24, s22, s3
	s_mulk_i32 s3, 0xe0
	s_lshl_b64 s[24:25], s[24:25], 3
	v_lshl_add_u32 v4, v0, 3, s3
	s_add_u32 s3, s24, s20
	s_addc_u32 s20, s25, s21
	s_waitcnt lgkmcnt(0)
	s_add_u32 s3, s6, s3
	s_addc_u32 s6, s7, s20
	v_add_co_u32 v1, s3, s3, v3
	s_delay_alu instid0(VALU_DEP_1)
	v_add_co_ci_u32_e64 v2, null, s6, 0, s3
	s_lshl_b64 s[6:7], s[22:23], 3
.LBB98_6:                               ; =>This Inner Loop Header: Depth=1
	global_load_b64 v[5:6], v[1:2], off
	v_add_co_u32 v1, vcc_lo, v1, s6
	v_add_co_ci_u32_e32 v2, vcc_lo, s7, v2, vcc_lo
	s_add_i32 s15, s15, -1
	s_delay_alu instid0(SALU_CYCLE_1)
	s_cmp_lg_u32 s15, 0
	s_waitcnt vmcnt(0)
	ds_store_b64 v4, v[5:6]
	v_add_nc_u32_e32 v4, 0xe0, v4
	s_cbranch_scc1 .LBB98_6
.LBB98_7:
	v_mul_u32_u24_e32 v3, 29, v0
	v_mov_b32_e32 v1, 0
	v_mov_b32_e32 v2, 0x3ff00000
	s_cmpk_lg_i32 s9, 0x84
	s_delay_alu instid0(VALU_DEP_3)
	v_lshlrev_b32_e32 v3, 3, v3
	s_cbranch_scc0 .LBB98_9
; %bb.8:
	ds_load_b64 v[1:2], v3
	s_waitcnt lgkmcnt(0)
	v_div_scale_f64 v[4:5], null, v[1:2], v[1:2], 1.0
	s_delay_alu instid0(VALU_DEP_1) | instskip(SKIP_2) | instid1(VALU_DEP_1)
	v_rcp_f64_e32 v[6:7], v[4:5]
	s_waitcnt_depctr 0xfff
	v_fma_f64 v[8:9], -v[4:5], v[6:7], 1.0
	v_fma_f64 v[6:7], v[6:7], v[8:9], v[6:7]
	s_delay_alu instid0(VALU_DEP_1) | instskip(NEXT) | instid1(VALU_DEP_1)
	v_fma_f64 v[8:9], -v[4:5], v[6:7], 1.0
	v_fma_f64 v[6:7], v[6:7], v[8:9], v[6:7]
	v_div_scale_f64 v[8:9], vcc_lo, 1.0, v[1:2], 1.0
	s_delay_alu instid0(VALU_DEP_1) | instskip(NEXT) | instid1(VALU_DEP_1)
	v_mul_f64 v[10:11], v[8:9], v[6:7]
	v_fma_f64 v[4:5], -v[4:5], v[10:11], v[8:9]
	s_delay_alu instid0(VALU_DEP_1) | instskip(NEXT) | instid1(VALU_DEP_1)
	v_div_fmas_f64 v[4:5], v[4:5], v[6:7], v[10:11]
	v_div_fixup_f64 v[1:2], v[4:5], v[1:2], 1.0
.LBB98_9:
	ds_store_b64 v3, v[1:2]
.LBB98_10:
	s_or_b32 exec_lo, exec_lo, s13
	s_load_b32 s3, s[0:1], 0x68
	s_waitcnt lgkmcnt(0)
	s_mul_i32 s6, s14, 0xffffffe4
	s_delay_alu instid0(SALU_CYCLE_1) | instskip(SKIP_2) | instid1(SALU_CYCLE_1)
	s_add_i32 s6, s6, s11
	; wave barrier
	buffer_gl0_inv
	s_add_i32 s3, s3, -1
	s_cmp_ge_u32 s14, s3
	s_cselect_b32 s3, s6, 28
	s_delay_alu instid0(SALU_CYCLE_1)
	v_cmp_gt_i32_e32 vcc_lo, s3, v0
	s_mov_b32 s3, -1
	s_and_saveexec_b32 s6, vcc_lo
	s_cbranch_execz .LBB98_54
; %bb.11:
	s_load_b32 s0, s[0:1], 0x50
	v_mad_u64_u32 v[1:2], null, s14, 28, v[0:1]
	s_waitcnt lgkmcnt(0)
	s_delay_alu instid0(VALU_DEP_1) | instskip(SKIP_1) | instid1(SALU_CYCLE_1)
	v_mad_i64_i32 v[2:3], null, s0, v1, 0
	s_lshl_b64 s[0:1], s[18:19], 3
	s_add_u32 s6, s16, s0
	s_addc_u32 s7, s17, s1
	s_cmpk_eq_i32 s8, 0x6f
	s_delay_alu instid0(VALU_DEP_1) | instskip(NEXT) | instid1(VALU_DEP_1)
	v_lshlrev_b64 v[76:77], 3, v[2:3]
	v_add_co_u32 v74, vcc_lo, s6, v76
	s_delay_alu instid0(VALU_DEP_2)
	v_add_co_ci_u32_e32 v75, vcc_lo, s7, v77, vcc_lo
	s_cbranch_scc1 .LBB98_32
; %bb.12:
	s_cmp_gt_i32 s10, 27
	s_mov_b32 s6, 0
	s_cselect_b32 s3, -1, 0
	s_delay_alu instid0(SALU_CYCLE_1)
	s_and_b32 vcc_lo, exec_lo, s3
	s_cbranch_vccz .LBB98_14
; %bb.13:
	s_clause 0x3
	global_load_b128 v[0:3], v[74:75], off
	global_load_b128 v[4:7], v[74:75], off offset:16
	global_load_b128 v[8:11], v[74:75], off offset:32
	;; [unrolled: 1-line block ×3, first 2 shown]
	v_mov_b32_e32 v60, 0
	global_load_b128 v[28:31], v[74:75], off offset:64
	v_add_nc_u32_e64 v73, 0x800, 0
	s_mov_b32 s6, 28
	ds_load_2addr_b64 v[20:23], v60 offset1:58
	ds_load_b128 v[12:15], v60 offset:224
	ds_load_b128 v[24:27], v60 offset:448
	;; [unrolled: 1-line block ×4, first 2 shown]
	global_load_b128 v[40:43], v[74:75], off offset:80
	ds_load_b128 v[44:47], v60 offset:896
	ds_load_b128 v[48:51], v60 offset:912
	ds_load_b128 v[52:55], v60 offset:1136
	s_waitcnt vmcnt(5)
	v_mul_f64 v[0:1], v[0:1], s[4:5]
	s_waitcnt lgkmcnt(7)
	s_delay_alu instid0(VALU_DEP_1) | instskip(SKIP_1) | instid1(VALU_DEP_1)
	v_mul_f64 v[0:1], v[20:21], v[0:1]
	s_waitcnt lgkmcnt(6)
	v_mul_f64 v[12:13], v[0:1], v[12:13]
	s_waitcnt lgkmcnt(5)
	v_mul_f64 v[20:21], v[0:1], v[24:25]
	s_delay_alu instid0(VALU_DEP_2) | instskip(SKIP_3) | instid1(VALU_DEP_3)
	v_fma_f64 v[2:3], v[2:3], s[4:5], -v[12:13]
	s_waitcnt lgkmcnt(4)
	v_mul_f64 v[12:13], v[0:1], v[32:33]
	s_waitcnt vmcnt(4)
	v_fma_f64 v[4:5], v[4:5], s[4:5], -v[20:21]
	s_waitcnt lgkmcnt(2)
	v_mul_f64 v[20:21], v[0:1], v[44:45]
	s_delay_alu instid0(VALU_DEP_4) | instskip(NEXT) | instid1(VALU_DEP_4)
	v_mul_f64 v[2:3], v[14:15], v[2:3]
	v_fma_f64 v[24:25], v[6:7], s[4:5], -v[12:13]
	global_load_b128 v[12:15], v[74:75], off offset:96
	s_waitcnt vmcnt(4)
	v_fma_f64 v[8:9], v[8:9], s[4:5], -v[20:21]
	v_fma_f64 v[26:27], -v[2:3], v[26:27], v[4:5]
	ds_load_b128 v[4:7], v60 offset:1120
	v_fma_f64 v[24:25], -v[2:3], v[34:35], v[24:25]
	v_fma_f64 v[46:47], -v[2:3], v[46:47], v[8:9]
	s_waitcnt lgkmcnt(0)
	v_mul_f64 v[32:33], v[0:1], v[4:5]
	v_mul_f64 v[4:5], v[22:23], v[26:27]
	ds_load_b128 v[20:23], v60 offset:1344
	v_fma_f64 v[44:45], v[10:11], s[4:5], -v[32:33]
	ds_load_b128 v[8:11], v60 offset:1568
	s_waitcnt lgkmcnt(1)
	v_mul_f64 v[20:21], v[0:1], v[20:21]
	ds_load_b128 v[32:35], v60 offset:1584
	v_fma_f64 v[36:37], -v[4:5], v[36:37], v[24:25]
	global_load_b128 v[24:27], v[74:75], off offset:112
	v_fma_f64 v[48:49], -v[4:5], v[48:49], v[46:47]
	s_waitcnt lgkmcnt(1)
	v_mul_f64 v[8:9], v[0:1], v[8:9]
	s_waitcnt vmcnt(4)
	v_fma_f64 v[16:17], v[16:17], s[4:5], -v[20:21]
	v_fma_f64 v[20:21], -v[2:3], v[6:7], v[44:45]
	v_mul_f64 v[6:7], v[38:39], v[36:37]
	ds_load_b128 v[36:39], v60 offset:1792
	ds_load_b128 v[44:47], v60 offset:1808
	v_fma_f64 v[8:9], v[18:19], s[4:5], -v[8:9]
	s_waitcnt lgkmcnt(1)
	v_mul_f64 v[36:37], v[0:1], v[36:37]
	v_fma_f64 v[69:70], -v[2:3], v[22:23], v[16:17]
	v_fma_f64 v[52:53], -v[4:5], v[52:53], v[20:21]
	ds_load_b128 v[20:23], v60 offset:2016
	global_load_b128 v[16:19], v[74:75], off offset:128
	v_fma_f64 v[71:72], -v[6:7], v[50:51], v[48:49]
	ds_load_b128 v[48:51], v60 offset:1360
	ds_load_2addr_b64 v[56:59], v60 offset0:116 offset1:174
	ds_load_b128 v[61:64], v60 offset:1376
	ds_load_b128 v[65:68], v60 offset:2032
	v_fma_f64 v[10:11], -v[2:3], v[10:11], v[8:9]
	s_waitcnt lgkmcnt(4)
	v_mul_f64 v[20:21], v[0:1], v[20:21]
	s_waitcnt vmcnt(4)
	v_fma_f64 v[28:29], v[28:29], s[4:5], -v[36:37]
	s_waitcnt lgkmcnt(3)
	v_fma_f64 v[36:37], -v[4:5], v[48:49], v[69:70]
	v_fma_f64 v[48:49], -v[6:7], v[54:55], v[52:53]
	s_waitcnt lgkmcnt(2)
	v_mul_f64 v[8:9], v[56:57], v[71:72]
	ds_load_b128 v[52:55], v60 offset:2240
	ds_load_b128 v[69:72], v60 offset:1152
	v_fma_f64 v[10:11], -v[4:5], v[32:33], v[10:11]
	v_fma_f64 v[20:21], v[30:31], s[4:5], -v[20:21]
	s_waitcnt lgkmcnt(1)
	v_mul_f64 v[52:53], v[0:1], v[52:53]
	v_fma_f64 v[56:57], -v[2:3], v[38:39], v[28:29]
	ds_load_b128 v[28:31], v60 offset:2464
	v_fma_f64 v[32:33], -v[6:7], v[50:51], v[36:37]
	global_load_b128 v[36:39], v[74:75], off offset:144
	s_waitcnt lgkmcnt(1)
	v_fma_f64 v[69:70], -v[8:9], v[69:70], v[48:49]
	ds_load_b128 v[48:51], v60 offset:2480
	s_waitcnt lgkmcnt(1)
	v_mul_f64 v[28:29], v[0:1], v[28:29]
	v_fma_f64 v[20:21], -v[2:3], v[22:23], v[20:21]
	s_waitcnt vmcnt(4)
	v_fma_f64 v[40:41], v[40:41], s[4:5], -v[52:53]
	v_fma_f64 v[22:23], -v[4:5], v[44:45], v[56:57]
	v_fma_f64 v[44:45], -v[6:7], v[34:35], v[10:11]
	;; [unrolled: 1-line block ×3, first 2 shown]
	v_mul_f64 v[10:11], v[71:72], v[69:70]
	ds_load_b128 v[32:35], v60 offset:2688
	ds_load_b128 v[69:72], v60 offset:1600
	;; [unrolled: 1-line block ×4, first 2 shown]
	v_fma_f64 v[28:29], v[42:43], s[4:5], -v[28:29]
	v_fma_f64 v[65:66], -v[4:5], v[65:66], v[20:21]
	s_waitcnt lgkmcnt(3)
	v_mul_f64 v[32:33], v[0:1], v[32:33]
	v_fma_f64 v[56:57], -v[2:3], v[54:55], v[40:41]
	v_fma_f64 v[94:95], -v[6:7], v[46:47], v[22:23]
	s_waitcnt lgkmcnt(2)
	v_fma_f64 v[69:70], -v[8:9], v[69:70], v[44:45]
	ds_load_b128 v[40:43], v60 offset:2912
	global_load_b128 v[20:23], v[74:75], off offset:160
	v_fma_f64 v[96:97], -v[10:11], v[63:64], v[52:53]
	ds_load_b128 v[44:47], v60 offset:2256
	ds_load_b128 v[52:55], v60 offset:1824
	;; [unrolled: 1-line block ×5, first 2 shown]
	v_fma_f64 v[98:99], -v[2:3], v[30:31], v[28:29]
	s_waitcnt lgkmcnt(5)
	v_mul_f64 v[40:41], v[0:1], v[40:41]
	v_fma_f64 v[100:101], -v[6:7], v[67:68], v[65:66]
	s_waitcnt vmcnt(4)
	v_fma_f64 v[32:33], v[12:13], s[4:5], -v[32:33]
	s_waitcnt lgkmcnt(4)
	v_fma_f64 v[44:45], -v[4:5], v[44:45], v[56:57]
	s_waitcnt lgkmcnt(3)
	v_fma_f64 v[52:53], -v[8:9], v[52:53], v[94:95]
	v_fma_f64 v[69:70], -v[10:11], v[71:72], v[69:70]
	v_mul_f64 v[12:13], v[58:59], v[96:97]
	ds_load_b128 v[28:31], v60 offset:3136
	ds_load_b128 v[56:59], v60 offset:2048
	;; [unrolled: 1-line block ×3, first 2 shown]
	v_fma_f64 v[48:49], -v[4:5], v[48:49], v[98:99]
	v_fma_f64 v[14:15], v[14:15], s[4:5], -v[40:41]
	v_fma_f64 v[40:41], -v[2:3], v[34:35], v[32:33]
	s_waitcnt lgkmcnt(2)
	v_mul_f64 v[28:29], v[0:1], v[28:29]
	v_fma_f64 v[71:72], -v[6:7], v[46:47], v[44:45]
	s_waitcnt lgkmcnt(1)
	v_fma_f64 v[94:95], -v[8:9], v[56:57], v[100:101]
	v_fma_f64 v[52:53], -v[10:11], v[54:55], v[52:53]
	ds_load_b128 v[44:47], v60 offset:3360
	ds_load_b128 v[54:57], v60 offset:3376
	global_load_b128 v[32:35], v[74:75], off offset:176
	v_fma_f64 v[69:70], -v[12:13], v[78:79], v[69:70]
	v_fma_f64 v[48:49], -v[6:7], v[50:51], v[48:49]
	s_waitcnt lgkmcnt(1)
	v_mul_f64 v[44:45], v[0:1], v[44:45]
	v_fma_f64 v[82:83], -v[4:5], v[82:83], v[40:41]
	s_waitcnt vmcnt(4)
	v_fma_f64 v[24:25], v[24:25], s[4:5], -v[28:29]
	v_fma_f64 v[28:29], -v[2:3], v[42:43], v[14:15]
	v_fma_f64 v[50:51], -v[8:9], v[86:87], v[71:72]
	;; [unrolled: 1-line block ×4, first 2 shown]
	v_mul_f64 v[14:15], v[80:81], v[69:70]
	ds_load_b128 v[40:43], v60 offset:3584
	ds_load_b128 v[69:72], v60 offset:2496
	;; [unrolled: 1-line block ×4, first 2 shown]
	v_fma_f64 v[44:45], v[26:27], s[4:5], -v[44:45]
	s_waitcnt lgkmcnt(3)
	v_mul_f64 v[40:41], v[0:1], v[40:41]
	v_fma_f64 v[114:115], -v[2:3], v[30:31], v[24:25]
	v_fma_f64 v[90:91], -v[4:5], v[90:91], v[28:29]
	;; [unrolled: 1-line block ×3, first 2 shown]
	s_waitcnt lgkmcnt(2)
	v_fma_f64 v[48:49], -v[8:9], v[69:70], v[48:49]
	v_fma_f64 v[69:70], -v[10:11], v[88:89], v[50:51]
	;; [unrolled: 1-line block ×3, first 2 shown]
	v_add_nc_u32_e64 v50, 0x400, 0
	global_load_b128 v[24:27], v[74:75], off offset:192
	ds_load_b128 v[28:31], v60 offset:3152
	v_fma_f64 v[65:66], -v[14:15], v[63:64], v[52:53]
	ds_load_b128 v[61:64], v60 offset:3808
	ds_load_b128 v[82:85], v60 offset:2720
	;; [unrolled: 1-line block ×3, first 2 shown]
	ds_load_2addr_b64 v[50:53], v50 offset0:104 offset1:162
	ds_load_b128 v[98:101], v60 offset:2304
	ds_load_b128 v[102:105], v60 offset:2736
	;; [unrolled: 1-line block ×4, first 2 shown]
	v_fma_f64 v[118:119], -v[2:3], v[46:47], v[44:45]
	s_waitcnt vmcnt(4)
	v_fma_f64 v[40:41], v[16:17], s[4:5], -v[40:41]
	s_waitcnt lgkmcnt(8)
	v_fma_f64 v[28:29], -v[4:5], v[28:29], v[114:115]
	v_fma_f64 v[114:115], -v[6:7], v[92:93], v[90:91]
	s_waitcnt lgkmcnt(7)
	v_mul_f64 v[61:62], v[0:1], v[61:62]
	s_waitcnt lgkmcnt(6)
	v_fma_f64 v[82:83], -v[8:9], v[82:83], v[116:117]
	v_fma_f64 v[48:49], -v[10:11], v[71:72], v[48:49]
	s_waitcnt lgkmcnt(5)
	v_fma_f64 v[86:87], -v[12:13], v[86:87], v[69:70]
	v_fma_f64 v[58:59], -v[14:15], v[67:68], v[58:59]
	s_waitcnt lgkmcnt(4)
	v_mul_f64 v[16:17], v[50:51], v[65:66]
	ds_load_b128 v[65:68], v60 offset:4032
	ds_load_b128 v[44:47], v60 offset:2944
	;; [unrolled: 1-line block ×4, first 2 shown]
	s_waitcnt lgkmcnt(3)
	v_mul_f64 v[65:66], v[0:1], v[65:66]
	v_fma_f64 v[40:41], -v[2:3], v[42:43], v[40:41]
	v_fma_f64 v[42:43], -v[4:5], v[54:55], v[118:119]
	v_fma_f64 v[18:19], v[18:19], s[4:5], -v[61:62]
	v_fma_f64 v[54:55], -v[6:7], v[30:31], v[28:29]
	s_waitcnt lgkmcnt(2)
	v_fma_f64 v[44:45], -v[8:9], v[44:45], v[114:115]
	v_fma_f64 v[61:62], -v[10:11], v[84:85], v[82:83]
	;; [unrolled: 1-line block ×4, first 2 shown]
	ds_load_b128 v[82:85], v60 offset:4256
	ds_load_b128 v[48:51], v60 offset:4272
	global_load_b128 v[28:31], v[74:75], off offset:208
	s_waitcnt lgkmcnt(3)
	v_fma_f64 v[58:59], -v[16:17], v[69:70], v[58:59]
	s_waitcnt lgkmcnt(1)
	v_mul_f64 v[82:83], v[0:1], v[82:83]
	s_waitcnt vmcnt(4)
	v_fma_f64 v[36:37], v[36:37], s[4:5], -v[65:66]
	v_fma_f64 v[40:41], -v[4:5], v[94:95], v[40:41]
	v_fma_f64 v[42:43], -v[6:7], v[56:57], v[42:43]
	v_fma_f64 v[65:66], -v[2:3], v[63:64], v[18:19]
	v_fma_f64 v[94:95], -v[8:9], v[106:107], v[54:55]
	v_fma_f64 v[106:107], -v[10:11], v[46:47], v[44:45]
	v_fma_f64 v[102:103], -v[12:13], v[102:103], v[61:62]
	v_fma_f64 v[114:115], -v[14:15], v[80:81], v[78:79]
	v_fma_f64 v[98:99], -v[16:17], v[98:99], v[86:87]
	v_mul_f64 v[18:19], v[71:72], v[58:59]
	ds_load_b128 v[54:57], v60 offset:4480
	ds_load_b128 v[61:64], v60 offset:3392
	;; [unrolled: 1-line block ×6, first 2 shown]
	v_fma_f64 v[58:59], v[38:39], s[4:5], -v[82:83]
	s_waitcnt lgkmcnt(5)
	v_mul_f64 v[54:55], v[0:1], v[54:55]
	v_fma_f64 v[82:83], -v[2:3], v[67:68], v[36:37]
	v_fma_f64 v[126:127], -v[6:7], v[96:97], v[40:41]
	s_waitcnt lgkmcnt(4)
	v_fma_f64 v[61:62], -v[8:9], v[61:62], v[42:43]
	v_fma_f64 v[110:111], -v[4:5], v[110:111], v[65:66]
	;; [unrolled: 1-line block ×5, first 2 shown]
	s_waitcnt lgkmcnt(3)
	v_fma_f64 v[69:70], -v[16:17], v[69:70], v[114:115]
	v_fma_f64 v[132:133], -v[18:19], v[100:101], v[98:99]
	ds_load_b128 v[65:68], v60 offset:4704
	ds_load_b128 v[36:39], v60 offset:4048
	;; [unrolled: 1-line block ×10, first 2 shown]
	v_fma_f64 v[58:59], -v[2:3], v[84:85], v[58:59]
	s_waitcnt lgkmcnt(9)
	v_mul_f64 v[65:66], v[0:1], v[65:66]
	s_waitcnt vmcnt(3)
	v_fma_f64 v[134:135], v[20:21], s[4:5], -v[54:55]
	s_waitcnt lgkmcnt(8)
	v_fma_f64 v[36:37], -v[4:5], v[36:37], v[82:83]
	s_waitcnt lgkmcnt(7)
	v_fma_f64 v[94:95], -v[8:9], v[94:95], v[126:127]
	v_fma_f64 v[110:111], -v[6:7], v[112:113], v[110:111]
	;; [unrolled: 1-line block ×3, first 2 shown]
	s_waitcnt lgkmcnt(6)
	v_fma_f64 v[98:99], -v[12:13], v[98:99], v[128:129]
	v_fma_f64 v[126:127], -v[14:15], v[92:93], v[90:91]
	s_waitcnt lgkmcnt(5)
	v_fma_f64 v[102:103], -v[16:17], v[102:103], v[130:131]
	v_fma_f64 v[128:129], -v[18:19], v[71:72], v[69:70]
	v_mul_f64 v[20:21], v[52:53], v[132:133]
	ds_load_b128 v[61:64], v60 offset:4928
	ds_load_b128 v[52:55], v60 offset:3840
	;; [unrolled: 1-line block ×5, first 2 shown]
	v_fma_f64 v[48:49], -v[4:5], v[48:49], v[58:59]
	v_fma_f64 v[22:23], v[22:23], s[4:5], -v[65:66]
	v_fma_f64 v[56:57], -v[2:3], v[56:57], v[134:135]
	s_waitcnt lgkmcnt(4)
	v_mul_f64 v[61:62], v[0:1], v[61:62]
	v_fma_f64 v[58:59], -v[6:7], v[38:39], v[36:37]
	v_fma_f64 v[65:66], -v[10:11], v[96:97], v[94:95]
	ds_load_b128 v[94:97], v60 offset:5152
	ds_load_b128 v[36:39], v60 offset:5168
	s_waitcnt lgkmcnt(5)
	v_fma_f64 v[52:53], -v[8:9], v[52:53], v[110:111]
	v_fma_f64 v[86:87], -v[12:13], v[86:87], v[112:113]
	;; [unrolled: 1-line block ×3, first 2 shown]
	s_waitcnt lgkmcnt(4)
	v_fma_f64 v[69:70], -v[16:17], v[69:70], v[126:127]
	v_fma_f64 v[100:101], -v[18:19], v[104:105], v[102:103]
	;; [unrolled: 1-line block ×3, first 2 shown]
	s_waitcnt lgkmcnt(1)
	v_mul_f64 v[94:95], v[0:1], v[94:95]
	v_fma_f64 v[102:103], -v[6:7], v[50:51], v[48:49]
	v_fma_f64 v[44:45], -v[4:5], v[44:45], v[56:57]
	s_waitcnt vmcnt(2)
	v_fma_f64 v[32:33], v[32:33], s[4:5], -v[61:62]
	v_fma_f64 v[61:62], -v[2:3], v[67:68], v[22:23]
	v_fma_f64 v[104:105], -v[8:9], v[122:123], v[58:59]
	;; [unrolled: 1-line block ×8, first 2 shown]
	v_mul_f64 v[22:23], v[80:81], v[78:79]
	ds_load_b128 v[65:68], v60 offset:5376
	ds_load_b128 v[69:72], v60 offset:4288
	;; [unrolled: 1-line block ×6, first 2 shown]
	v_fma_f64 v[94:95], v[34:35], s[4:5], -v[94:95]
	s_waitcnt lgkmcnt(5)
	v_mul_f64 v[65:66], v[0:1], v[65:66]
	v_fma_f64 v[134:135], -v[2:3], v[63:64], v[32:33]
	v_fma_f64 v[40:41], -v[4:5], v[40:41], v[61:62]
	;; [unrolled: 1-line block ×3, first 2 shown]
	s_waitcnt lgkmcnt(4)
	v_fma_f64 v[69:70], -v[8:9], v[69:70], v[102:103]
	v_fma_f64 v[138:139], -v[10:11], v[124:125], v[104:105]
	;; [unrolled: 1-line block ×4, first 2 shown]
	s_waitcnt lgkmcnt(3)
	v_fma_f64 v[78:79], -v[16:17], v[78:79], v[86:87]
	v_fma_f64 v[142:143], -v[18:19], v[116:117], v[88:89]
	;; [unrolled: 1-line block ×3, first 2 shown]
	ds_load_b128 v[32:35], v60 offset:5600
	ds_load_b128 v[44:47], v60 offset:4944
	;; [unrolled: 1-line block ×4, first 2 shown]
	v_fma_f64 v[144:145], -v[22:23], v[108:109], v[100:101]
	ds_load_b128 v[98:101], v60 offset:3648
	ds_load_b128 v[102:105], v60 offset:3216
	ds_load_2addr_b64 v[106:109], v73 offset0:92 offset1:150
	ds_load_b128 v[110:113], v60 offset:3232
	ds_load_b128 v[114:117], v60 offset:3664
	;; [unrolled: 1-line block ×6, first 2 shown]
	v_fma_f64 v[146:147], -v[2:3], v[96:97], v[94:95]
	v_add_nc_u32_e64 v73, 0xc00, 0
	s_waitcnt lgkmcnt(12)
	v_mul_f64 v[32:33], v[0:1], v[32:33]
	s_waitcnt vmcnt(1)
	v_fma_f64 v[65:66], v[24:25], s[4:5], -v[65:66]
	s_waitcnt lgkmcnt(11)
	v_fma_f64 v[44:45], -v[4:5], v[44:45], v[134:135]
	v_fma_f64 v[134:135], -v[6:7], v[42:43], v[40:41]
	s_waitcnt lgkmcnt(10)
	v_fma_f64 v[61:62], -v[8:9], v[61:62], v[136:137]
	v_fma_f64 v[136:137], -v[10:11], v[71:72], v[69:70]
	;; [unrolled: 3-line block ×5, first 2 shown]
	ds_load_b128 v[40:43], v60 offset:5824
	ds_load_b128 v[69:72], v60 offset:4736
	;; [unrolled: 1-line block ×6, first 2 shown]
	s_waitcnt lgkmcnt(12)
	v_mul_f64 v[24:25], v[106:107], v[144:145]
	v_fma_f64 v[36:37], -v[4:5], v[36:37], v[146:147]
	s_waitcnt lgkmcnt(5)
	v_mul_f64 v[40:41], v[0:1], v[40:41]
	v_fma_f64 v[26:27], v[26:27], s[4:5], -v[32:33]
	v_fma_f64 v[32:33], -v[2:3], v[67:68], v[65:66]
	v_fma_f64 v[65:66], -v[6:7], v[46:47], v[44:45]
	s_waitcnt lgkmcnt(4)
	v_fma_f64 v[67:68], -v[8:9], v[69:70], v[134:135]
	v_fma_f64 v[69:70], -v[10:11], v[63:64], v[61:62]
	;; [unrolled: 1-line block ×4, first 2 shown]
	s_waitcnt lgkmcnt(3)
	v_fma_f64 v[78:79], -v[16:17], v[78:79], v[138:139]
	v_fma_f64 v[88:89], -v[18:19], v[100:101], v[98:99]
	;; [unrolled: 1-line block ×4, first 2 shown]
	ds_load_b128 v[44:47], v60 offset:6048
	ds_load_b128 v[61:64], v60 offset:6064
	s_waitcnt lgkmcnt(4)
	v_fma_f64 v[82:83], -v[24:25], v[82:83], v[142:143]
	v_fma_f64 v[100:101], -v[6:7], v[38:39], v[36:37]
	s_waitcnt vmcnt(0)
	v_fma_f64 v[28:29], v[28:29], s[4:5], -v[40:41]
	v_fma_f64 v[40:41], -v[2:3], v[34:35], v[26:27]
	s_waitcnt lgkmcnt(1)
	v_mul_f64 v[44:45], v[0:1], v[44:45]
	v_fma_f64 v[48:49], -v[4:5], v[48:49], v[32:33]
	v_fma_f64 v[102:103], -v[8:9], v[126:127], v[65:66]
	;; [unrolled: 1-line block ×10, first 2 shown]
	ds_load_b128 v[32:35], v60 offset:5184
	ds_load_b128 v[36:39], v60 offset:4320
	;; [unrolled: 1-line block ×6, first 2 shown]
	v_mul_f64 v[26:27], v[84:85], v[82:83]
	s_waitcnt lgkmcnt(5)
	v_fma_f64 v[32:33], -v[8:9], v[32:33], v[100:101]
	v_fma_f64 v[126:127], -v[2:3], v[42:43], v[28:29]
	;; [unrolled: 1-line block ×3, first 2 shown]
	v_fma_f64 v[44:45], v[30:31], s[4:5], -v[44:45]
	v_fma_f64 v[134:135], -v[6:7], v[50:51], v[48:49]
	v_fma_f64 v[128:129], -v[10:11], v[128:129], v[102:103]
	;; [unrolled: 1-line block ×4, first 2 shown]
	s_waitcnt lgkmcnt(4)
	v_fma_f64 v[36:37], -v[16:17], v[36:37], v[122:123]
	v_fma_f64 v[136:137], -v[18:19], v[120:121], v[86:87]
	;; [unrolled: 1-line block ×4, first 2 shown]
	s_waitcnt lgkmcnt(3)
	v_fma_f64 v[52:53], -v[24:25], v[52:53], v[88:89]
	v_fma_f64 v[140:141], -v[26:27], v[112:113], v[98:99]
	ds_load_b128 v[28:31], v60 offset:5840
	ds_load_b128 v[40:43], v60 offset:5408
	;; [unrolled: 1-line block ×12, first 2 shown]
	v_fma_f64 v[130:131], -v[6:7], v[132:133], v[130:131]
	v_fma_f64 v[132:133], -v[10:11], v[34:35], v[32:33]
	s_waitcnt lgkmcnt(11)
	v_fma_f64 v[126:127], -v[4:5], v[28:29], v[126:127]
	s_waitcnt lgkmcnt(10)
	;; [unrolled: 2-line block ×3, first 2 shown]
	v_fma_f64 v[48:49], -v[12:13], v[48:49], v[128:129]
	v_fma_f64 v[128:129], -v[14:15], v[96:97], v[94:95]
	s_waitcnt lgkmcnt(8)
	v_fma_f64 v[78:79], -v[16:17], v[78:79], v[106:107]
	v_fma_f64 v[106:107], -v[18:19], v[38:39], v[36:37]
	s_waitcnt lgkmcnt(7)
	;; [unrolled: 3-line block ×3, first 2 shown]
	v_fma_f64 v[86:87], -v[24:25], v[86:87], v[138:139]
	v_fma_f64 v[136:137], -v[26:27], v[54:55], v[52:53]
	v_mul_f64 v[28:29], v[108:109], v[140:141]
	v_fma_f64 v[108:109], -v[2:3], v[46:47], v[44:45]
	ds_load_b128 v[32:35], v60 offset:5632
	ds_load_b128 v[36:39], v60 offset:4768
	;; [unrolled: 1-line block ×6, first 2 shown]
	v_fma_f64 v[30:31], -v[6:7], v[30:31], v[126:127]
	v_fma_f64 v[40:41], -v[10:11], v[42:43], v[40:41]
	s_waitcnt lgkmcnt(5)
	v_fma_f64 v[32:33], -v[8:9], v[32:33], v[130:131]
	v_fma_f64 v[42:43], -v[12:13], v[69:70], v[132:133]
	;; [unrolled: 1-line block ×3, first 2 shown]
	s_waitcnt lgkmcnt(4)
	v_fma_f64 v[36:37], -v[16:17], v[36:37], v[128:129]
	v_fma_f64 v[50:51], -v[18:19], v[80:81], v[78:79]
	;; [unrolled: 1-line block ×4, first 2 shown]
	s_waitcnt lgkmcnt(3)
	v_fma_f64 v[44:45], -v[24:25], v[44:45], v[134:135]
	v_fma_f64 v[78:79], -v[26:27], v[88:89], v[86:87]
	;; [unrolled: 1-line block ×15, first 2 shown]
	v_mul_f64 v[30:31], v[58:59], v[56:57]
	v_fma_f64 v[61:62], -v[6:7], v[63:64], v[61:62]
	ds_load_b128 v[32:35], v60 offset:5216
	ds_load_b128 v[36:39], v60 offset:4352
	;; [unrolled: 1-line block ×6, first 2 shown]
	v_fma_f64 v[118:119], -v[10:11], v[124:125], v[80:81]
	v_fma_f64 v[120:121], -v[14:15], v[120:121], v[84:85]
	s_waitcnt lgkmcnt(6)
	v_fma_f64 v[94:95], -v[12:13], v[94:95], v[82:83]
	s_waitcnt lgkmcnt(5)
	v_fma_f64 v[32:33], -v[16:17], v[32:33], v[71:72]
	v_fma_f64 v[122:123], -v[18:19], v[116:117], v[86:87]
	;; [unrolled: 1-line block ×4, first 2 shown]
	s_waitcnt lgkmcnt(4)
	v_fma_f64 v[36:37], -v[24:25], v[36:37], v[65:66]
	v_fma_f64 v[126:127], -v[26:27], v[104:105], v[67:68]
	;; [unrolled: 1-line block ×4, first 2 shown]
	s_waitcnt lgkmcnt(3)
	v_fma_f64 v[40:41], -v[8:9], v[40:41], v[61:62]
	ds_load_b128 v[61:64], v60 offset:5872
	ds_load_b128 v[65:68], v60 offset:5440
	;; [unrolled: 1-line block ×5, first 2 shown]
	ds_load_2addr_b64 v[86:89], v73 offset0:80 offset1:138
	ds_load_b128 v[98:101], v60 offset:4160
	ds_load_b128 v[102:105], v60 offset:4592
	;; [unrolled: 1-line block ×5, first 2 shown]
	v_add_nc_u32_e64 v73, 0x1000, 0
	s_waitcnt lgkmcnt(10)
	v_fma_f64 v[61:62], -v[12:13], v[61:62], v[118:119]
	v_fma_f64 v[118:119], -v[14:15], v[96:97], v[94:95]
	s_waitcnt lgkmcnt(9)
	v_fma_f64 v[65:66], -v[16:17], v[65:66], v[120:121]
	v_fma_f64 v[120:121], -v[18:19], v[34:35], v[32:33]
	;; [unrolled: 3-line block ×5, first 2 shown]
	s_waitcnt lgkmcnt(5)
	v_mul_f64 v[32:33], v[86:87], v[128:129]
	v_fma_f64 v[42:43], -v[10:11], v[42:43], v[40:41]
	ds_load_b128 v[34:37], v60 offset:5664
	ds_load_b128 v[38:41], v60 offset:4800
	;; [unrolled: 1-line block ×5, first 2 shown]
	v_fma_f64 v[61:62], -v[14:15], v[63:64], v[61:62]
	s_waitcnt lgkmcnt(4)
	v_fma_f64 v[34:35], -v[16:17], v[34:35], v[118:119]
	v_fma_f64 v[63:64], -v[18:19], v[67:68], v[65:66]
	v_fma_f64 v[48:49], -v[20:21], v[48:49], v[120:121]
	v_fma_f64 v[65:66], -v[22:23], v[71:72], v[69:70]
	s_waitcnt lgkmcnt(3)
	v_fma_f64 v[38:39], -v[24:25], v[38:39], v[122:123]
	v_fma_f64 v[67:68], -v[26:27], v[80:81], v[78:79]
	v_fma_f64 v[44:45], -v[28:29], v[44:45], v[124:125]
	;; [unrolled: 5-line block ×3, first 2 shown]
	v_fma_f64 v[71:72], -v[18:19], v[36:37], v[34:35]
	v_fma_f64 v[63:64], -v[20:21], v[110:111], v[63:64]
	;; [unrolled: 1-line block ×8, first 2 shown]
	v_mul_f64 v[34:35], v[54:55], v[52:53]
	v_fma_f64 v[84:85], -v[14:15], v[58:59], v[42:43]
	ds_load_b128 v[36:39], v60 offset:5248
	ds_load_b128 v[40:43], v60 offset:4384
	;; [unrolled: 1-line block ×6, first 2 shown]
	v_fma_f64 v[86:87], -v[18:19], v[116:117], v[61:62]
	s_waitcnt lgkmcnt(6)
	v_fma_f64 v[94:95], -v[20:21], v[94:95], v[71:72]
	v_fma_f64 v[110:111], -v[22:23], v[112:113], v[63:64]
	s_waitcnt lgkmcnt(5)
	v_fma_f64 v[36:37], -v[24:25], v[36:37], v[78:79]
	v_fma_f64 v[112:113], -v[26:27], v[108:109], v[65:66]
	;; [unrolled: 1-line block ×4, first 2 shown]
	s_waitcnt lgkmcnt(4)
	v_fma_f64 v[40:41], -v[32:33], v[40:41], v[82:83]
	v_fma_f64 v[116:117], -v[34:35], v[100:101], v[69:70]
	s_waitcnt lgkmcnt(3)
	v_fma_f64 v[44:45], -v[16:17], v[44:45], v[84:85]
	ds_load_b128 v[61:64], v60 offset:5904
	ds_load_b128 v[65:68], v60 offset:5472
	;; [unrolled: 1-line block ×8, first 2 shown]
	s_waitcnt lgkmcnt(7)
	v_fma_f64 v[61:62], -v[20:21], v[61:62], v[86:87]
	v_fma_f64 v[94:95], -v[22:23], v[96:97], v[94:95]
	s_waitcnt lgkmcnt(6)
	v_fma_f64 v[65:66], -v[24:25], v[65:66], v[110:111]
	v_fma_f64 v[96:97], -v[26:27], v[38:39], v[36:37]
	;; [unrolled: 3-line block ×4, first 2 shown]
	v_mul_f64 v[36:37], v[88:89], v[116:117]
	v_fma_f64 v[46:47], -v[18:19], v[46:47], v[44:45]
	ds_load_b128 v[38:41], v60 offset:5696
	ds_load_b128 v[42:45], v60 offset:4832
	;; [unrolled: 1-line block ×4, first 2 shown]
	v_fma_f64 v[61:62], -v[22:23], v[63:64], v[61:62]
	s_waitcnt lgkmcnt(3)
	v_fma_f64 v[38:39], -v[24:25], v[38:39], v[94:95]
	v_fma_f64 v[63:64], -v[26:27], v[67:68], v[65:66]
	;; [unrolled: 1-line block ×4, first 2 shown]
	s_waitcnt lgkmcnt(2)
	v_fma_f64 v[42:43], -v[32:33], v[42:43], v[110:111]
	v_fma_f64 v[67:68], -v[34:35], v[80:81], v[78:79]
	;; [unrolled: 1-line block ×11, first 2 shown]
	v_mul_f64 v[38:39], v[50:51], v[48:49]
	v_fma_f64 v[58:59], -v[22:23], v[58:59], v[46:47]
	ds_load_b128 v[40:43], v60 offset:5280
	ds_load_b128 v[44:47], v60 offset:6144
	;; [unrolled: 1-line block ×4, first 2 shown]
	v_fma_f64 v[98:99], -v[26:27], v[108:109], v[56:57]
	s_waitcnt lgkmcnt(4)
	v_fma_f64 v[90:91], -v[28:29], v[90:91], v[61:62]
	v_fma_f64 v[102:103], -v[30:31], v[104:105], v[63:64]
	s_waitcnt lgkmcnt(3)
	v_fma_f64 v[40:41], -v[32:33], v[40:41], v[69:70]
	v_fma_f64 v[100:101], -v[34:35], v[100:101], v[65:66]
	v_fma_f64 v[86:87], -v[36:37], v[86:87], v[71:72]
	v_fma_f64 v[104:105], -v[38:39], v[84:85], v[67:68]
	s_waitcnt lgkmcnt(2)
	v_fma_f64 v[44:45], -v[24:25], v[44:45], v[58:59]
	ds_load_b128 v[56:59], v60 offset:5936
	ds_load_b128 v[61:64], v60 offset:5504
	;; [unrolled: 1-line block ×3, first 2 shown]
	ds_load_2addr_b64 v[69:72], v73 offset0:68 offset1:126
	ds_load_b128 v[78:81], v60 offset:5088
	ds_load_b128 v[82:85], v60 offset:5520
	;; [unrolled: 1-line block ×3, first 2 shown]
	s_waitcnt lgkmcnt(5)
	v_fma_f64 v[61:62], -v[32:33], v[61:62], v[102:103]
	v_fma_f64 v[56:57], -v[28:29], v[56:57], v[98:99]
	;; [unrolled: 1-line block ×4, first 2 shown]
	s_waitcnt lgkmcnt(4)
	v_fma_f64 v[65:66], -v[36:37], v[65:66], v[100:101]
	v_fma_f64 v[100:101], -v[38:39], v[88:89], v[86:87]
	s_waitcnt lgkmcnt(3)
	v_mul_f64 v[40:41], v[69:70], v[104:105]
	v_fma_f64 v[46:47], -v[26:27], v[46:47], v[44:45]
	ds_load_b128 v[42:45], v60 offset:5728
	ds_load_b128 v[86:89], v60 offset:4864
	ds_load_b128 v[90:93], v60 offset:5744
	v_fma_f64 v[56:57], -v[30:31], v[58:59], v[56:57]
	s_waitcnt lgkmcnt(2)
	v_fma_f64 v[42:43], -v[32:33], v[42:43], v[98:99]
	v_fma_f64 v[58:59], -v[34:35], v[63:64], v[61:62]
	;; [unrolled: 1-line block ×4, first 2 shown]
	s_waitcnt lgkmcnt(1)
	v_fma_f64 v[63:64], -v[40:41], v[86:87], v[100:101]
	v_fma_f64 v[46:47], -v[28:29], v[52:53], v[46:47]
	;; [unrolled: 1-line block ×7, first 2 shown]
	v_mul_f64 v[42:43], v[88:89], v[63:64]
	v_fma_f64 v[63:64], -v[30:31], v[54:55], v[46:47]
	ds_load_b128 v[44:47], v60 offset:5312
	ds_load_b128 v[48:51], v60 offset:6176
	;; [unrolled: 1-line block ×4, first 2 shown]
	v_fma_f64 v[86:87], -v[34:35], v[96:97], v[65:66]
	s_waitcnt lgkmcnt(4)
	v_fma_f64 v[88:89], -v[36:37], v[90:91], v[67:68]
	v_fma_f64 v[69:70], -v[38:39], v[84:85], v[69:70]
	s_waitcnt lgkmcnt(3)
	v_fma_f64 v[44:45], -v[40:41], v[44:45], v[82:83]
	;; [unrolled: 3-line block ×3, first 2 shown]
	ds_load_b128 v[61:64], v60 offset:5968
	ds_load_b128 v[65:68], v60 offset:5536
	;; [unrolled: 1-line block ×4, first 2 shown]
	s_waitcnt lgkmcnt(3)
	v_fma_f64 v[61:62], -v[36:37], v[61:62], v[86:87]
	v_fma_f64 v[86:87], -v[38:39], v[92:93], v[88:89]
	s_waitcnt lgkmcnt(2)
	v_fma_f64 v[65:66], -v[40:41], v[65:66], v[69:70]
	v_fma_f64 v[88:89], -v[42:43], v[46:47], v[44:45]
	v_mul_f64 v[44:45], v[71:72], v[90:91]
	v_fma_f64 v[50:51], -v[34:35], v[50:51], v[48:49]
	ds_load_b128 v[46:49], v60 offset:5760
	ds_load_b128 v[69:72], v60 offset:5776
	v_fma_f64 v[61:62], -v[38:39], v[63:64], v[61:62]
	s_waitcnt lgkmcnt(1)
	v_fma_f64 v[46:47], -v[40:41], v[46:47], v[86:87]
	v_fma_f64 v[63:64], -v[42:43], v[67:68], v[65:66]
	;; [unrolled: 1-line block ×7, first 2 shown]
	v_mul_f64 v[46:47], v[54:55], v[52:53]
	v_fma_f64 v[58:59], -v[38:39], v[58:59], v[50:51]
	ds_load_b128 v[48:51], v60 offset:6208
	ds_load_b128 v[52:55], v60 offset:6224
	v_fma_f64 v[78:79], -v[42:43], v[84:85], v[56:57]
	s_waitcnt lgkmcnt(2)
	v_fma_f64 v[69:70], -v[44:45], v[69:70], v[61:62]
	v_fma_f64 v[80:81], -v[46:47], v[80:81], v[63:64]
	s_waitcnt lgkmcnt(1)
	v_fma_f64 v[82:83], -v[40:41], v[48:49], v[58:59]
	ds_load_b128 v[56:59], v60 offset:6000
	ds_load_2addr_b64 v[61:64], v73 offset0:184 offset1:242
	ds_load_b128 v[65:68], v60 offset:6016
	s_waitcnt lgkmcnt(2)
	v_fma_f64 v[56:57], -v[44:45], v[56:57], v[78:79]
	v_fma_f64 v[78:79], -v[46:47], v[71:72], v[69:70]
	ds_load_b128 v[69:72], v60 offset:5792
	s_waitcnt lgkmcnt(2)
	v_mul_f64 v[48:49], v[61:62], v[80:81]
	v_fma_f64 v[50:51], -v[42:43], v[50:51], v[82:83]
	v_fma_f64 v[56:57], -v[46:47], v[58:59], v[56:57]
	s_waitcnt lgkmcnt(0)
	s_delay_alu instid0(VALU_DEP_3) | instskip(NEXT) | instid1(VALU_DEP_3)
	v_fma_f64 v[58:59], -v[48:49], v[69:70], v[78:79]
	v_fma_f64 v[52:53], -v[44:45], v[52:53], v[50:51]
	s_delay_alu instid0(VALU_DEP_3) | instskip(NEXT) | instid1(VALU_DEP_3)
	v_fma_f64 v[61:62], -v[48:49], v[65:66], v[56:57]
	v_mul_f64 v[50:51], v[71:72], v[58:59]
	s_delay_alu instid0(VALU_DEP_3)
	v_fma_f64 v[65:66], -v[46:47], v[54:55], v[52:53]
	ds_load_b128 v[52:55], v60 offset:6240
	ds_load_b128 v[56:59], v60 offset:6256
	s_clause 0xb
	global_store_b128 v[74:75], v[0:3], off
	global_store_b128 v[74:75], v[4:7], off offset:16
	global_store_b128 v[74:75], v[8:11], off offset:32
	;; [unrolled: 1-line block ×11, first 2 shown]
	v_fma_f64 v[60:61], -v[50:51], v[67:68], v[61:62]
	s_waitcnt lgkmcnt(1)
	v_fma_f64 v[65:66], -v[48:49], v[52:53], v[65:66]
	s_delay_alu instid0(VALU_DEP_2) | instskip(NEXT) | instid1(VALU_DEP_2)
	v_mul_f64 v[52:53], v[63:64], v[60:61]
	v_fma_f64 v[54:55], -v[50:51], v[54:55], v[65:66]
	s_waitcnt lgkmcnt(0)
	s_delay_alu instid0(VALU_DEP_1) | instskip(NEXT) | instid1(VALU_DEP_1)
	v_fma_f64 v[54:55], -v[52:53], v[56:57], v[54:55]
	v_mul_f64 v[54:55], v[58:59], v[54:55]
	s_clause 0x1
	global_store_b128 v[74:75], v[48:51], off offset:192
	global_store_b128 v[74:75], v[52:55], off offset:208
.LBB98_14:
	s_cmp_lt_i32 s6, s2
	s_cbranch_scc0 .LBB98_31
; %bb.15:
	s_add_i32 s7, s6, 23
	s_delay_alu instid0(SALU_CYCLE_1)
	s_cmp_ge_u32 s7, s2
	s_cbranch_scc1 .LBB98_20
; %bb.16:
	s_lshl_b32 s8, s6, 3
	s_delay_alu instid0(SALU_CYCLE_1)
	v_add_co_u32 v22, vcc_lo, v74, s8
	v_add_co_ci_u32_e32 v23, vcc_lo, 0, v75, vcc_lo
	s_and_not1_b32 vcc_lo, exec_lo, s3
	s_mov_b32 s3, 0
	s_clause 0xb
	global_load_b128 v[0:3], v[22:23], off
	global_load_b128 v[4:7], v[22:23], off offset:16
	global_load_b128 v[8:11], v[22:23], off offset:32
	;; [unrolled: 1-line block ×11, first 2 shown]
	s_waitcnt vmcnt(11)
	v_mul_f64 v[0:1], v[0:1], s[4:5]
	v_mul_f64 v[60:61], v[2:3], s[4:5]
	s_waitcnt vmcnt(10)
	v_mul_f64 v[58:59], v[4:5], s[4:5]
	v_mul_f64 v[56:57], v[6:7], s[4:5]
	;; [unrolled: 3-line block ×12, first 2 shown]
	s_cbranch_vccnz .LBB98_19
; %bb.17:
	v_dual_mov_b32 v2, v74 :: v_dual_mov_b32 v3, v75
	s_mul_i32 s8, s6, 0xe0
.LBB98_18:                              ; =>This Inner Loop Header: Depth=1
	global_load_b64 v[12:13], v[2:3], off
	v_mov_b32_e32 v70, s8
	v_add_nc_u32_e64 v90, 0x800, s8
	v_add_nc_u32_e64 v94, 0xc00, s8
	;; [unrolled: 1-line block ×3, first 2 shown]
	ds_load_2addr_b64 v[4:7], v70 offset1:28
	ds_load_2addr_b64 v[8:11], v70 offset0:56 offset1:84
	ds_load_2addr_b64 v[62:65], v70 offset0:112 offset1:140
	;; [unrolled: 1-line block ×11, first 2 shown]
	v_add_co_u32 v2, vcc_lo, v2, 8
	v_add_co_ci_u32_e32 v3, vcc_lo, 0, v3, vcc_lo
	s_add_i32 s3, s3, 1
	s_add_i32 s8, s8, 8
	s_cmp_lt_u32 s3, s6
	s_waitcnt vmcnt(0) lgkmcnt(11)
	v_fma_f64 v[0:1], -v[12:13], v[4:5], v[0:1]
	v_fma_f64 v[60:61], -v[12:13], v[6:7], v[60:61]
	s_waitcnt lgkmcnt(10)
	v_fma_f64 v[58:59], -v[12:13], v[8:9], v[58:59]
	v_fma_f64 v[56:57], -v[12:13], v[10:11], v[56:57]
	s_waitcnt lgkmcnt(9)
	;; [unrolled: 3-line block ×11, first 2 shown]
	v_fma_f64 v[26:27], -v[12:13], v[102:103], v[26:27]
	v_fma_f64 v[24:25], -v[12:13], v[104:105], v[24:25]
	s_cbranch_scc1 .LBB98_18
.LBB98_19:
	s_or_b32 s8, s6, 1
	s_mul_i32 s3, s6, 0xe8
	s_mul_i32 s8, s8, 28
	;; [unrolled: 1-line block ×3, first 2 shown]
	s_add_i32 s8, s8, s6
	s_add_i32 s7, s7, s6
	s_lshl_b32 s8, s8, 3
	s_delay_alu instid0(SALU_CYCLE_1)
	v_dual_mov_b32 v62, s3 :: v_dual_mov_b32 v63, s8
	v_add_nc_u32_e64 v100, 0x800, s8
	s_add_i32 s9, s8, 0x7f8
	s_lshl_b32 s7, s7, 3
	ds_load_2addr_b64 v[2:5], v62 offset1:58
	ds_load_b128 v[6:9], v63
	ds_load_b128 v[10:13], v62 offset:5088
	ds_load_b128 v[64:67], v63 offset:224
	;; [unrolled: 1-line block ×3, first 2 shown]
	v_add_nc_u32_e64 v138, 0x800, s3
	s_add_i32 s6, s6, 24
	s_waitcnt lgkmcnt(4)
	v_mul_f64 v[0:1], v[2:3], v[0:1]
	s_waitcnt lgkmcnt(3)
	s_delay_alu instid0(VALU_DEP_1) | instskip(SKIP_4) | instid1(VALU_DEP_3)
	v_fma_f64 v[2:3], -v[0:1], v[6:7], v[60:61]
	s_waitcnt lgkmcnt(1)
	v_fma_f64 v[6:7], -v[0:1], v[64:65], v[58:59]
	s_waitcnt lgkmcnt(0)
	v_fma_f64 v[56:57], -v[0:1], v[68:69], v[56:57]
	v_mul_f64 v[2:3], v[8:9], v[2:3]
	s_delay_alu instid0(VALU_DEP_1)
	v_fma_f64 v[58:59], -v[2:3], v[66:67], v[6:7]
	ds_load_b128 v[6:9], v63 offset:672
	v_fma_f64 v[64:65], -v[2:3], v[70:71], v[56:57]
	s_waitcnt lgkmcnt(0)
	v_fma_f64 v[6:7], -v[0:1], v[6:7], v[54:55]
	v_mul_f64 v[4:5], v[4:5], v[58:59]
	ds_load_b128 v[54:57], v63 offset:896
	ds_load_b128 v[58:61], v63 offset:464
	s_waitcnt lgkmcnt(1)
	v_fma_f64 v[66:67], -v[0:1], v[54:55], v[52:53]
	v_fma_f64 v[68:69], -v[2:3], v[8:9], v[6:7]
	ds_load_2addr_b64 v[6:9], v63 offset0:140 offset1:145
	ds_load_b128 v[52:55], v63 offset:688
	s_waitcnt lgkmcnt(2)
	v_fma_f64 v[58:59], -v[4:5], v[58:59], v[64:65]
	s_waitcnt lgkmcnt(1)
	v_fma_f64 v[72:73], -v[0:1], v[6:7], v[50:51]
	v_fma_f64 v[82:83], -v[2:3], v[56:57], v[66:67]
	s_waitcnt lgkmcnt(0)
	v_fma_f64 v[84:85], -v[4:5], v[52:53], v[68:69]
	s_delay_alu instid0(VALU_DEP_4)
	v_mul_f64 v[6:7], v[60:61], v[58:59]
	ds_load_2addr_b64 v[50:53], v63 offset0:168 offset1:196
	ds_load_2addr_b64 v[56:59], v63 offset0:141 offset1:142
	ds_load_b128 v[64:67], v63 offset:912
	ds_load_b128 v[68:71], v63 offset:928
	ds_load_2addr_b64 v[78:81], v63 offset0:143 offset1:144
	s_waitcnt lgkmcnt(4)
	v_fma_f64 v[60:61], -v[0:1], v[50:51], v[48:49]
	s_waitcnt lgkmcnt(3)
	v_fma_f64 v[72:73], -v[2:3], v[56:57], v[72:73]
	v_fma_f64 v[88:89], -v[0:1], v[52:53], v[14:15]
	s_waitcnt lgkmcnt(2)
	v_fma_f64 v[64:65], -v[4:5], v[64:65], v[82:83]
	v_fma_f64 v[86:87], -v[6:7], v[54:55], v[84:85]
	ds_load_2addr_b64 v[48:51], v63 offset0:169 offset1:170
	ds_load_2addr_b64 v[54:57], v62 offset0:116 offset1:174
	ds_load_2addr_b64 v[82:85], v63 offset0:171 offset1:172
	v_fma_f64 v[72:73], -v[4:5], v[58:59], v[72:73]
	s_waitcnt lgkmcnt(2)
	v_fma_f64 v[48:49], -v[2:3], v[48:49], v[60:61]
	v_fma_f64 v[64:65], -v[6:7], v[66:67], v[64:65]
	s_waitcnt lgkmcnt(1)
	v_mul_f64 v[14:15], v[54:55], v[86:87]
	ds_load_2addr_b64 v[52:55], v63 offset0:203 offset1:224
	ds_load_2addr_b64 v[58:61], v63 offset0:197 offset1:198
	v_fma_f64 v[72:73], -v[6:7], v[78:79], v[72:73]
	v_fma_f64 v[50:51], -v[4:5], v[50:51], v[48:49]
	s_waitcnt lgkmcnt(1)
	v_fma_f64 v[54:55], -v[0:1], v[54:55], v[46:47]
	s_waitcnt lgkmcnt(0)
	v_fma_f64 v[58:59], -v[2:3], v[58:59], v[88:89]
	v_add_nc_u32_e64 v46, 0x400, s8
	v_fma_f64 v[68:69], -v[14:15], v[68:69], v[64:65]
	ds_load_2addr_b64 v[46:49], v46 offset0:124 offset1:133
	ds_load_2addr_b64 v[64:67], v63 offset0:225 offset1:226
	;; [unrolled: 1-line block ×3, first 2 shown]
	v_fma_f64 v[72:73], -v[14:15], v[80:81], v[72:73]
	s_waitcnt lgkmcnt(2)
	v_fma_f64 v[46:47], -v[0:1], v[46:47], v[16:17]
	s_waitcnt lgkmcnt(1)
	v_fma_f64 v[54:55], -v[2:3], v[64:65], v[54:55]
	v_fma_f64 v[64:65], -v[4:5], v[60:61], v[58:59]
	;; [unrolled: 1-line block ×3, first 2 shown]
	v_mov_b32_e32 v82, s9
	s_add_i32 s9, s8, 0x8c8
	v_mul_f64 v[16:17], v[70:71], v[68:69]
	ds_load_2addr_b64 v[58:61], v100 offset0:24 offset1:52
	ds_load_2addr_b64 v[68:71], v63 offset0:253 offset1:254
	ds_load_2addr_b64 v[78:81], v63 offset0:199 offset1:200
	ds_load_2addr_b64 v[90:93], v63 offset0:201 offset1:202
	ds_load_2addr_b64 v[94:97], v82 offset1:1
	s_waitcnt lgkmcnt(4)
	v_fma_f64 v[58:59], -v[0:1], v[58:59], v[44:45]
	s_waitcnt lgkmcnt(3)
	v_fma_f64 v[68:69], -v[2:3], v[68:69], v[46:47]
	v_fma_f64 v[54:55], -v[4:5], v[66:67], v[54:55]
	s_waitcnt lgkmcnt(2)
	v_fma_f64 v[78:79], -v[6:7], v[78:79], v[64:65]
	v_fma_f64 v[50:51], -v[14:15], v[84:85], v[50:51]
	v_mov_b32_e32 v44, s9
	ds_load_2addr_b64 v[44:47], v44 offset1:1
	ds_load_2addr_b64 v[64:67], v63 offset0:173 offset1:174
	s_add_i32 s9, s8, 0x8d8
	v_fma_f64 v[8:9], -v[16:17], v[8:9], v[72:73]
	v_mov_b32_e32 v72, s9
	s_add_i32 s9, s8, 0x9a8
	ds_load_2addr_b64 v[82:85], v72 offset1:1
	v_fma_f64 v[72:73], -v[0:1], v[60:61], v[18:19]
	s_waitcnt lgkmcnt(2)
	v_fma_f64 v[44:45], -v[2:3], v[44:45], v[58:59]
	v_fma_f64 v[98:99], -v[4:5], v[70:71], v[68:69]
	;; [unrolled: 1-line block ×4, first 2 shown]
	s_waitcnt lgkmcnt(1)
	v_fma_f64 v[50:51], -v[16:17], v[64:65], v[50:51]
	v_mul_f64 v[18:19], v[56:57], v[8:9]
	v_mov_b32_e32 v8, s9
	s_add_i32 s9, s8, 0x9b8
	ds_load_2addr_b64 v[54:57], v100 offset0:63 offset1:80
	ds_load_2addr_b64 v[58:61], v8 offset1:1
	v_mov_b32_e32 v8, s9
	s_add_i32 s9, s8, 0xa88
	ds_load_2addr_b64 v[68:71], v8 offset1:1
	v_fma_f64 v[46:47], -v[4:5], v[46:47], v[44:45]
	v_fma_f64 v[94:95], -v[6:7], v[94:95], v[98:99]
	;; [unrolled: 1-line block ×4, first 2 shown]
	s_waitcnt lgkmcnt(2)
	v_fma_f64 v[8:9], -v[0:1], v[56:57], v[42:43]
	s_waitcnt lgkmcnt(1)
	v_fma_f64 v[72:73], -v[2:3], v[58:59], v[72:73]
	v_mov_b32_e32 v56, s9
	s_add_i32 s9, s8, 0xa98
	s_delay_alu instid0(SALU_CYCLE_1)
	v_mov_b32_e32 v102, s9
	s_add_i32 s9, s8, 0x808
	v_fma_f64 v[50:51], -v[18:19], v[66:67], v[50:51]
	ds_load_b128 v[42:45], v62 offset:3136
	ds_load_2addr_b64 v[56:59], v56 offset1:1
	ds_load_2addr_b64 v[64:67], v63 offset0:229 offset1:230
	ds_load_2addr_b64 v[78:81], v62 offset0:203 offset1:232
	ds_load_b128 v[86:89], v62 offset:3152
	ds_load_2addr_b64 v[98:101], v63 offset0:231 offset1:232
	ds_load_2addr_b64 v[102:105], v102 offset1:1
	s_waitcnt lgkmcnt(6)
	v_fma_f64 v[42:43], -v[0:1], v[42:43], v[20:21]
	v_fma_f64 v[46:47], -v[6:7], v[82:83], v[46:47]
	s_waitcnt lgkmcnt(4)
	v_fma_f64 v[63:64], -v[16:17], v[64:65], v[106:107]
	v_fma_f64 v[8:9], -v[2:3], v[56:57], v[8:9]
	;; [unrolled: 1-line block ×5, first 2 shown]
	s_waitcnt lgkmcnt(3)
	v_mul_f64 v[20:21], v[78:79], v[50:51]
	v_mov_b32_e32 v50, s9
	s_add_i32 s9, s8, 0x818
	ds_load_b128 v[90:93], v62 offset:3360
	ds_load_2addr_b64 v[94:97], v50 offset1:1
	v_mov_b32_e32 v50, s9
	s_add_i32 s9, s8, 0x8e8
	ds_load_2addr_b64 v[106:109], v50 offset1:1
	v_mov_b32_e32 v50, s9
	s_add_i32 s9, s8, 0x8f8
	v_fma_f64 v[78:79], -v[2:3], v[44:45], v[42:43]
	v_fma_f64 v[46:47], -v[14:15], v[84:85], v[46:47]
	ds_load_b128 v[42:45], v62 offset:3584
	v_fma_f64 v[63:64], -v[18:19], v[66:67], v[63:64]
	s_waitcnt lgkmcnt(3)
	v_fma_f64 v[38:39], -v[0:1], v[90:91], v[38:39]
	v_fma_f64 v[8:9], -v[4:5], v[58:59], v[8:9]
	v_fma_f64 v[68:69], -v[6:7], v[68:69], v[56:57]
	s_waitcnt lgkmcnt(2)
	v_fma_f64 v[60:61], -v[16:17], v[94:95], v[60:61]
	v_mov_b32_e32 v56, s9
	s_add_i32 s9, s8, 0x9c8
	s_delay_alu instid0(SALU_CYCLE_1)
	v_mov_b32_e32 v67, s9
	s_add_i32 s9, s8, 0x9d8
	ds_load_2addr_b64 v[56:59], v56 offset1:1
	v_fma_f64 v[65:66], -v[20:21], v[52:53], v[72:73]
	ds_load_2addr_b64 v[50:53], v50 offset1:1
	s_waitcnt lgkmcnt(2)
	v_fma_f64 v[72:73], -v[0:1], v[42:43], v[40:41]
	ds_load_b128 v[40:43], v62 offset:3808
	v_fma_f64 v[86:87], -v[4:5], v[86:87], v[78:79]
	s_waitcnt lgkmcnt(1)
	v_fma_f64 v[46:47], -v[16:17], v[50:51], v[46:47]
	s_waitcnt lgkmcnt(0)
	v_fma_f64 v[36:37], -v[0:1], v[40:41], v[36:37]
	v_fma_f64 v[90:91], -v[2:3], v[92:93], v[38:39]
	;; [unrolled: 1-line block ×6, first 2 shown]
	v_mov_b32_e32 v71, s9
	s_add_i32 s9, s8, 0xaa8
	v_mul_f64 v[38:39], v[80:81], v[65:66]
	ds_load_b128 v[63:66], v62 offset:3376
	ds_load_2addr_b64 v[67:70], v67 offset1:1
	ds_load_b128 v[78:81], v62 offset:3392
	ds_load_2addr_b64 v[82:85], v71 offset1:1
	v_fma_f64 v[40:41], -v[2:3], v[44:45], v[72:73]
	v_mov_b32_e32 v73, s9
	s_add_i32 s9, s8, 0xab8
	v_fma_f64 v[71:72], -v[6:7], v[88:89], v[86:87]
	v_fma_f64 v[118:119], -v[18:19], v[52:53], v[46:47]
	ds_load_b128 v[44:47], v62 offset:4032
	v_fma_f64 v[122:123], -v[2:3], v[42:43], v[36:37]
	s_waitcnt lgkmcnt(4)
	v_fma_f64 v[63:64], -v[4:5], v[63:64], v[90:91]
	v_fma_f64 v[8:9], -v[14:15], v[104:105], v[8:9]
	s_waitcnt lgkmcnt(3)
	v_fma_f64 v[67:68], -v[16:17], v[67:68], v[92:93]
	v_fma_f64 v[106:107], -v[20:21], v[106:107], v[50:51]
	ds_load_b128 v[50:53], v62 offset:3600
	ds_load_b128 v[86:89], v62 offset:3168
	ds_load_2addr_b64 v[90:93], v73 offset1:1
	ds_load_2addr_b64 v[94:97], v138 offset0:5 offset1:34
	v_mov_b32_e32 v73, s9
	s_add_i32 s9, s8, 0x908
	v_fma_f64 v[60:61], -v[38:39], v[100:101], v[60:61]
	ds_load_b128 v[98:101], v62 offset:3184
	ds_load_b128 v[102:105], v62 offset:3616
	;; [unrolled: 1-line block ×3, first 2 shown]
	ds_load_2addr_b64 v[114:117], v73 offset1:1
	s_waitcnt lgkmcnt(8)
	v_fma_f64 v[120:121], -v[0:1], v[44:45], v[34:35]
	s_waitcnt lgkmcnt(7)
	v_fma_f64 v[50:51], -v[4:5], v[50:51], v[40:41]
	;; [unrolled: 2-line block ×3, first 2 shown]
	v_fma_f64 v[56:57], -v[20:21], v[56:57], v[118:119]
	v_fma_f64 v[124:125], -v[6:7], v[65:66], v[63:64]
	s_waitcnt lgkmcnt(5)
	v_fma_f64 v[8:9], -v[16:17], v[90:91], v[8:9]
	v_fma_f64 v[67:68], -v[18:19], v[69:70], v[67:68]
	;; [unrolled: 1-line block ×3, first 2 shown]
	ds_load_b128 v[34:37], v62 offset:4256
	ds_load_b128 v[42:45], v62 offset:3824
	;; [unrolled: 1-line block ×3, first 2 shown]
	s_waitcnt lgkmcnt(7)
	v_mul_f64 v[40:41], v[94:95], v[60:61]
	v_fma_f64 v[86:87], -v[2:3], v[46:47], v[120:121]
	v_mov_b32_e32 v46, s9
	s_add_i32 s9, s8, 0x9e8
	s_waitcnt lgkmcnt(2)
	v_fma_f64 v[60:61], -v[0:1], v[34:35], v[32:33]
	s_waitcnt lgkmcnt(1)
	v_fma_f64 v[42:43], -v[4:5], v[42:43], v[122:123]
	v_fma_f64 v[50:51], -v[6:7], v[52:53], v[50:51]
	ds_load_b128 v[32:35], v62 offset:4480
	v_fma_f64 v[71:72], -v[16:17], v[88:89], v[71:72]
	v_fma_f64 v[56:57], -v[38:39], v[58:59], v[56:57]
	;; [unrolled: 1-line block ×5, first 2 shown]
	s_waitcnt lgkmcnt(0)
	v_fma_f64 v[32:33], -v[0:1], v[32:33], v[30:31]
	v_fma_f64 v[58:59], -v[40:41], v[48:49], v[69:70]
	ds_load_2addr_b64 v[46:49], v46 offset1:1
	v_fma_f64 v[36:37], -v[2:3], v[36:37], v[60:61]
	v_fma_f64 v[60:61], -v[4:5], v[110:111], v[86:87]
	;; [unrolled: 1-line block ×5, first 2 shown]
	s_waitcnt lgkmcnt(0)
	v_fma_f64 v[46:47], -v[40:41], v[46:47], v[56:57]
	v_fma_f64 v[90:91], -v[16:17], v[80:81], v[52:53]
	;; [unrolled: 1-line block ×4, first 2 shown]
	v_mov_b32_e32 v67, s9
	ds_load_b128 v[42:45], v62 offset:4704
	ds_load_b128 v[50:53], v62 offset:4272
	s_add_i32 s9, s8, 0xac8
	s_addk_i32 s8, 0xad8
	v_mov_b32_e32 v73, s9
	v_mul_f64 v[30:31], v[96:97], v[58:59]
	ds_load_b128 v[56:59], v62 offset:3408
	ds_load_2addr_b64 v[67:70], v67 offset1:1
	ds_load_b128 v[78:81], v62 offset:3424
	ds_load_b128 v[82:85], v62 offset:4288
	s_waitcnt lgkmcnt(5)
	v_fma_f64 v[28:29], -v[0:1], v[42:43], v[28:29]
	v_fma_f64 v[42:43], -v[2:3], v[34:35], v[32:33]
	s_waitcnt lgkmcnt(4)
	v_fma_f64 v[36:37], -v[4:5], v[50:51], v[36:37]
	v_fma_f64 v[50:51], -v[6:7], v[112:113], v[60:61]
	;; [unrolled: 1-line block ×5, first 2 shown]
	s_waitcnt lgkmcnt(3)
	v_fma_f64 v[56:57], -v[18:19], v[56:57], v[90:91]
	v_fma_f64 v[8:9], -v[38:39], v[116:117], v[8:9]
	s_waitcnt lgkmcnt(2)
	v_fma_f64 v[67:68], -v[40:41], v[67:68], v[92:93]
	v_fma_f64 v[130:131], -v[30:31], v[48:49], v[46:47]
	ds_load_b128 v[32:35], v62 offset:4928
	ds_load_b128 v[46:49], v62 offset:4496
	;; [unrolled: 1-line block ×5, first 2 shown]
	ds_load_2addr_b64 v[98:101], v73 offset1:1
	ds_load_2addr_b64 v[102:105], v138 offset0:63 offset1:92
	v_mov_b32_e32 v73, s8
	ds_load_b128 v[106:109], v62 offset:3216
	ds_load_b128 v[110:113], v62 offset:3648
	;; [unrolled: 1-line block ×5, first 2 shown]
	ds_load_2addr_b64 v[126:129], v73 offset1:1
	v_mov_b32_e32 v73, s7
	v_fma_f64 v[134:135], -v[2:3], v[44:45], v[28:29]
	v_fma_f64 v[36:37], -v[6:7], v[52:53], v[36:37]
	;; [unrolled: 1-line block ×3, first 2 shown]
	s_waitcnt lgkmcnt(9)
	v_fma_f64 v[90:91], -v[18:19], v[90:91], v[63:64]
	v_fma_f64 v[132:133], -v[0:1], v[32:33], v[26:27]
	;; [unrolled: 1-line block ×5, first 2 shown]
	s_waitcnt lgkmcnt(8)
	v_fma_f64 v[71:72], -v[38:39], v[94:95], v[71:72]
	s_waitcnt lgkmcnt(7)
	v_fma_f64 v[8:9], -v[40:41], v[98:99], v[8:9]
	v_fma_f64 v[94:95], -v[30:31], v[69:70], v[67:68]
	ds_load_b128 v[26:29], v62 offset:4720
	ds_load_b128 v[42:45], v62 offset:3856
	ds_load_b128 v[50:53], v73
	ds_load_b128 v[56:59], v62 offset:3872
	ds_load_b128 v[63:66], v62 offset:4736
	;; [unrolled: 1-line block ×3, first 2 shown]
	s_waitcnt lgkmcnt(12)
	v_mul_f64 v[32:33], v[102:103], v[130:131]
	s_waitcnt lgkmcnt(3)
	v_fma_f64 v[50:51], -v[0:1], v[50:51], v[24:25]
	v_fma_f64 v[26:27], -v[4:5], v[26:27], v[134:135]
	;; [unrolled: 1-line block ×23, first 2 shown]
	ds_load_b128 v[26:29], v62 offset:4304
	ds_load_b128 v[34:37], v62 offset:3440
	;; [unrolled: 1-line block ×4, first 2 shown]
	v_mul_f64 v[24:25], v[104:105], v[54:55]
	s_waitcnt lgkmcnt(4)
	v_fma_f64 v[67:68], -v[4:5], v[67:68], v[50:51]
	v_fma_f64 v[63:64], -v[14:15], v[63:64], v[86:87]
	s_waitcnt lgkmcnt(3)
	v_fma_f64 v[26:27], -v[18:19], v[26:27], v[84:85]
	v_fma_f64 v[118:119], -v[38:39], v[56:57], v[92:93]
	;; [unrolled: 1-line block ×6, first 2 shown]
	s_waitcnt lgkmcnt(2)
	v_fma_f64 v[34:35], -v[30:31], v[34:35], v[78:79]
	v_fma_f64 v[71:72], -v[32:33], v[108:109], v[71:72]
	ds_load_b128 v[50:53], v62 offset:4960
	ds_load_b128 v[54:57], v62 offset:4528
	;; [unrolled: 1-line block ×5, first 2 shown]
	ds_load_2addr_b64 v[90:93], v138 offset0:121 offset1:150
	ds_load_b128 v[94:97], v62 offset:3680
	ds_load_b128 v[98:101], v62 offset:4112
	;; [unrolled: 1-line block ×4, first 2 shown]
	v_fma_f64 v[8:9], -v[24:25], v[128:129], v[8:9]
	v_fma_f64 v[120:121], -v[16:17], v[65:66], v[63:64]
	;; [unrolled: 1-line block ×4, first 2 shown]
	s_waitcnt lgkmcnt(6)
	v_fma_f64 v[82:83], -v[30:31], v[82:83], v[60:61]
	v_fma_f64 v[50:51], -v[14:15], v[50:51], v[110:111]
	;; [unrolled: 1-line block ×5, first 2 shown]
	s_waitcnt lgkmcnt(5)
	v_fma_f64 v[71:72], -v[24:25], v[86:87], v[71:72]
	s_waitcnt lgkmcnt(4)
	v_mul_f64 v[26:27], v[90:91], v[8:9]
	v_fma_f64 v[8:9], -v[6:7], v[69:70], v[67:68]
	ds_load_b128 v[34:37], v62 offset:4752
	ds_load_b128 v[58:61], v62 offset:3888
	;; [unrolled: 1-line block ×6, first 2 shown]
	v_fma_f64 v[28:29], -v[38:39], v[46:47], v[28:29]
	s_waitcnt lgkmcnt(5)
	v_fma_f64 v[34:35], -v[18:19], v[34:35], v[120:121]
	v_fma_f64 v[50:51], -v[16:17], v[52:53], v[50:51]
	v_fma_f64 v[52:53], -v[20:21], v[56:57], v[54:55]
	v_fma_f64 v[46:47], -v[40:41], v[80:81], v[78:79]
	s_waitcnt lgkmcnt(4)
	v_fma_f64 v[54:55], -v[30:31], v[58:59], v[118:119]
	v_fma_f64 v[56:57], -v[32:33], v[84:85], v[82:83]
	v_fma_f64 v[42:43], -v[24:25], v[42:43], v[122:123]
	;; [unrolled: 5-line block ×3, first 2 shown]
	v_fma_f64 v[63:64], -v[18:19], v[106:107], v[50:51]
	v_fma_f64 v[71:72], -v[38:39], v[102:103], v[52:53]
	v_fma_f64 v[78:79], -v[30:31], v[98:99], v[46:47]
	v_fma_f64 v[54:55], -v[32:33], v[60:61], v[54:55]
	v_fma_f64 v[56:57], -v[24:25], v[94:95], v[56:57]
	v_fma_f64 v[60:61], -v[26:27], v[44:45], v[42:43]
	ds_load_b128 v[42:45], v62 offset:4336
	ds_load_b128 v[46:49], v62 offset:3472
	;; [unrolled: 1-line block ×3, first 2 shown]
	v_mul_f64 v[34:35], v[92:93], v[58:59]
	v_fma_f64 v[8:9], -v[16:17], v[65:66], v[8:9]
	s_waitcnt lgkmcnt(2)
	v_fma_f64 v[28:29], -v[30:31], v[42:43], v[28:29]
	v_fma_f64 v[36:37], -v[38:39], v[110:111], v[36:37]
	;; [unrolled: 1-line block ×7, first 2 shown]
	s_waitcnt lgkmcnt(1)
	v_fma_f64 v[46:47], -v[34:35], v[46:47], v[60:61]
	v_fma_f64 v[8:9], -v[18:19], v[114:115], v[8:9]
	ds_load_b128 v[54:57], v62 offset:4992
	ds_load_b128 v[58:61], v62 offset:4560
	;; [unrolled: 1-line block ×7, first 2 shown]
	v_fma_f64 v[28:29], -v[32:33], v[44:45], v[28:29]
	v_fma_f64 v[106:107], -v[40:41], v[112:113], v[36:37]
	s_waitcnt lgkmcnt(6)
	v_fma_f64 v[54:55], -v[38:39], v[54:55], v[94:95]
	s_waitcnt lgkmcnt(5)
	;; [unrolled: 2-line block ×3, first 2 shown]
	v_fma_f64 v[63:64], -v[24:25], v[63:64], v[42:43]
	v_fma_f64 v[71:72], -v[26:27], v[69:70], v[67:68]
	s_waitcnt lgkmcnt(3)
	v_fma_f64 v[78:79], -v[34:35], v[78:79], v[96:97]
	v_mul_f64 v[36:37], v[48:49], v[46:47]
	v_fma_f64 v[8:9], -v[20:21], v[116:117], v[8:9]
	ds_load_b128 v[42:45], v62 offset:4784
	ds_load_b128 v[46:49], v62 offset:3920
	;; [unrolled: 1-line block ×6, first 2 shown]
	v_fma_f64 v[28:29], -v[24:25], v[50:51], v[28:29]
	s_waitcnt lgkmcnt(5)
	v_fma_f64 v[42:43], -v[30:31], v[42:43], v[106:107]
	v_fma_f64 v[108:109], -v[40:41], v[56:57], v[54:55]
	;; [unrolled: 1-line block ×4, first 2 shown]
	s_waitcnt lgkmcnt(4)
	v_fma_f64 v[46:47], -v[34:35], v[46:47], v[71:72]
	v_add_nc_u32_e64 v54, 0xc00, s3
	ds_load_2addr_b64 v[54:57], v54 offset0:80 offset1:138
	v_fma_f64 v[60:61], -v[36:37], v[80:81], v[78:79]
	s_waitcnt lgkmcnt(4)
	v_fma_f64 v[8:9], -v[38:39], v[67:68], v[8:9]
	v_fma_f64 v[28:29], -v[26:27], v[52:53], v[28:29]
	;; [unrolled: 1-line block ×7, first 2 shown]
	ds_load_b128 v[44:47], v62 offset:4368
	ds_load_b128 v[48:51], v62 offset:4384
	s_waitcnt lgkmcnt(2)
	v_mul_f64 v[42:43], v[54:55], v[60:61]
	v_fma_f64 v[8:9], -v[40:41], v[69:70], v[8:9]
	s_waitcnt lgkmcnt(1)
	v_fma_f64 v[28:29], -v[34:35], v[44:45], v[28:29]
	v_fma_f64 v[82:83], -v[24:25], v[98:99], v[65:66]
	;; [unrolled: 1-line block ×7, first 2 shown]
	ds_load_b128 v[52:55], v62 offset:5024
	ds_load_b128 v[58:61], v62 offset:4592
	;; [unrolled: 1-line block ×5, first 2 shown]
	v_fma_f64 v[28:29], -v[36:37], v[46:47], v[28:29]
	s_waitcnt lgkmcnt(4)
	v_fma_f64 v[52:53], -v[24:25], v[52:53], v[71:72]
	v_fma_f64 v[71:72], -v[26:27], v[100:101], v[82:83]
	s_waitcnt lgkmcnt(3)
	v_fma_f64 v[58:59], -v[34:35], v[58:59], v[86:87]
	s_waitcnt lgkmcnt(2)
	v_fma_f64 v[46:47], -v[42:43], v[63:64], v[44:45]
	v_mul_f64 v[44:45], v[96:97], v[84:85]
	v_fma_f64 v[8:9], -v[32:33], v[104:105], v[8:9]
	ds_load_b128 v[82:85], v62 offset:4816
	ds_load_b128 v[86:89], v73 offset:96
	;; [unrolled: 1-line block ×4, first 2 shown]
	v_fma_f64 v[28:29], -v[42:43], v[48:49], v[28:29]
	v_fma_f64 v[52:53], -v[26:27], v[54:55], v[52:53]
	s_waitcnt lgkmcnt(3)
	v_fma_f64 v[54:55], -v[34:35], v[82:83], v[71:72]
	v_fma_f64 v[58:59], -v[36:37], v[60:61], v[58:59]
	;; [unrolled: 1-line block ×3, first 2 shown]
	s_waitcnt lgkmcnt(2)
	v_fma_f64 v[8:9], -v[24:25], v[86:87], v[8:9]
	v_fma_f64 v[28:29], -v[44:45], v[50:51], v[28:29]
	ds_load_b128 v[48:51], v62 offset:4400
	v_fma_f64 v[52:53], -v[34:35], v[78:79], v[52:53]
	v_fma_f64 v[54:55], -v[36:37], v[84:85], v[54:55]
	;; [unrolled: 1-line block ×3, first 2 shown]
	v_mul_f64 v[46:47], v[56:57], v[46:47]
	v_fma_f64 v[8:9], -v[26:27], v[88:89], v[8:9]
	v_fma_f64 v[60:61], -v[36:37], v[80:81], v[52:53]
	s_waitcnt lgkmcnt(2)
	v_fma_f64 v[67:68], -v[42:43], v[90:91], v[54:55]
	v_fma_f64 v[69:70], -v[44:45], v[69:70], v[58:59]
	ds_load_b128 v[52:55], v62 offset:5056
	ds_load_b128 v[56:59], v62 offset:4624
	;; [unrolled: 1-line block ×3, first 2 shown]
	s_waitcnt lgkmcnt(3)
	v_fma_f64 v[28:29], -v[46:47], v[48:49], v[28:29]
	v_fma_f64 v[8:9], -v[34:35], v[94:95], v[8:9]
	s_waitcnt lgkmcnt(2)
	v_fma_f64 v[60:61], -v[42:43], v[52:53], v[60:61]
	v_fma_f64 v[71:72], -v[44:45], v[92:93], v[67:68]
	s_waitcnt lgkmcnt(1)
	v_fma_f64 v[56:57], -v[46:47], v[56:57], v[69:70]
	v_mul_f64 v[48:49], v[50:51], v[28:29]
	v_fma_f64 v[8:9], -v[36:37], v[96:97], v[8:9]
	ds_load_b128 v[50:53], v62 offset:4848
	ds_load_b128 v[67:70], v73 offset:128
	;; [unrolled: 1-line block ×4, first 2 shown]
	v_fma_f64 v[28:29], -v[44:45], v[54:55], v[60:61]
	s_waitcnt lgkmcnt(3)
	v_fma_f64 v[50:51], -v[46:47], v[50:51], v[71:72]
	v_fma_f64 v[58:59], -v[48:49], v[58:59], v[56:57]
	s_waitcnt lgkmcnt(2)
	v_fma_f64 v[60:61], -v[42:43], v[67:68], v[8:9]
	v_add_nc_u32_e64 v8, 0x1000, s3
	ds_load_2addr_b64 v[54:57], v8 offset0:68 offset1:126
	v_fma_f64 v[28:29], -v[46:47], v[63:64], v[28:29]
	v_fma_f64 v[50:51], -v[48:49], v[52:53], v[50:51]
	s_waitcnt lgkmcnt(0)
	v_mul_f64 v[8:9], v[54:55], v[58:59]
	v_fma_f64 v[52:53], -v[44:45], v[69:70], v[60:61]
	s_delay_alu instid0(VALU_DEP_4) | instskip(NEXT) | instid1(VALU_DEP_3)
	v_fma_f64 v[28:29], -v[48:49], v[65:66], v[28:29]
	v_fma_f64 v[50:51], -v[8:9], v[78:79], v[50:51]
	s_delay_alu instid0(VALU_DEP_3) | instskip(NEXT) | instid1(VALU_DEP_3)
	v_fma_f64 v[52:53], -v[46:47], v[82:83], v[52:53]
	v_fma_f64 v[28:29], -v[8:9], v[10:11], v[28:29]
	s_delay_alu instid0(VALU_DEP_3) | instskip(NEXT) | instid1(VALU_DEP_3)
	v_mul_f64 v[10:11], v[80:81], v[50:51]
	v_fma_f64 v[54:55], -v[48:49], v[84:85], v[52:53]
	ds_load_b128 v[50:53], v73 offset:160
	ds_load_b128 v[58:61], v73 offset:176
	v_fma_f64 v[12:13], -v[10:11], v[12:13], v[28:29]
	s_waitcnt lgkmcnt(1)
	v_fma_f64 v[28:29], -v[8:9], v[50:51], v[54:55]
	s_delay_alu instid0(VALU_DEP_2) | instskip(NEXT) | instid1(VALU_DEP_2)
	v_mul_f64 v[50:51], v[56:57], v[12:13]
	v_fma_f64 v[12:13], -v[10:11], v[52:53], v[28:29]
	s_waitcnt lgkmcnt(0)
	s_delay_alu instid0(VALU_DEP_1) | instskip(NEXT) | instid1(VALU_DEP_1)
	v_fma_f64 v[12:13], -v[50:51], v[58:59], v[12:13]
	v_mul_f64 v[52:53], v[60:61], v[12:13]
	s_clause 0xb
	global_store_b128 v[22:23], v[0:3], off
	global_store_b128 v[22:23], v[4:7], off offset:16
	global_store_b128 v[22:23], v[14:17], off offset:32
	;; [unrolled: 1-line block ×11, first 2 shown]
.LBB98_20:
	s_cmp_ge_i32 s6, s2
	s_cbranch_scc1 .LBB98_31
; %bb.21:
	s_add_i32 s3, s6, -1
	s_add_u32 s7, s16, s0
	s_addc_u32 s8, s17, s1
	v_add_co_u32 v8, vcc_lo, s7, v76
	v_add_co_ci_u32_e32 v9, vcc_lo, s8, v77, vcc_lo
	s_mul_i32 s11, s6, 0xe0
	s_delay_alu instid0(VALU_DEP_2) | instskip(NEXT) | instid1(VALU_DEP_2)
	v_add_co_u32 v0, vcc_lo, v8, 56
	v_add_co_ci_u32_e32 v1, vcc_lo, 0, v9, vcc_lo
	s_mov_b32 s9, 0
	s_mov_b32 s14, s6
	;; [unrolled: 1-line block ×3, first 2 shown]
	s_branch .LBB98_23
.LBB98_22:                              ;   in Loop: Header=BB98_23 Depth=1
	s_mul_i32 s7, s6, 0xe8
	s_add_i32 s6, s6, 1
	v_mov_b32_e32 v6, s7
	s_add_i32 s13, s13, 1
	s_addk_i32 s11, 0xe0
	s_cmp_ge_i32 s6, s2
	ds_load_b64 v[6:7], v6
	s_waitcnt lgkmcnt(0)
	v_mul_f64 v[4:5], v[6:7], v[4:5]
	v_add_nc_u16 v6, s14, 1
	s_delay_alu instid0(VALU_DEP_1)
	v_readfirstlane_b32 s14, v6
	global_store_b64 v[2:3], v[4:5], off
	s_cbranch_scc1 .LBB98_31
.LBB98_23:                              ; =>This Loop Header: Depth=1
                                        ;     Child Loop BB98_26 Depth 2
                                        ;     Child Loop BB98_30 Depth 2
	s_ashr_i32 s7, s6, 31
	s_delay_alu instid0(SALU_CYCLE_1)
	s_lshl_b64 s[18:19], s[6:7], 3
	s_cmp_eq_u32 s6, 0
	v_add_co_u32 v2, vcc_lo, v74, s18
	v_add_co_ci_u32_e32 v3, vcc_lo, s19, v75, vcc_lo
	global_load_b64 v[4:5], v[2:3], off
	s_waitcnt vmcnt(0)
	v_mul_f64 v[4:5], v[4:5], s[4:5]
	s_cbranch_scc1 .LBB98_22
; %bb.24:                               ;   in Loop: Header=BB98_23 Depth=1
	s_add_i32 s7, s3, s13
	s_delay_alu instid0(SALU_CYCLE_1)
	s_cmp_lt_u32 s7, 7
	s_cbranch_scc1 .LBB98_28
; %bb.25:                               ;   in Loop: Header=BB98_23 Depth=1
	v_dual_mov_b32 v7, v1 :: v_dual_mov_b32 v6, v0
	s_and_b32 s8, s6, -8
	s_mov_b32 s7, 0
	s_mov_b32 s15, s11
	s_set_inst_prefetch_distance 0x1
	.p2align	6
.LBB98_26:                              ;   Parent Loop BB98_23 Depth=1
                                        ; =>  This Inner Loop Header: Depth=2
	s_clause 0x3
	global_load_b128 v[10:13], v[6:7], off offset:-56
	global_load_b128 v[14:17], v[6:7], off offset:-40
	;; [unrolled: 1-line block ×4, first 2 shown]
	v_mov_b32_e32 v34, s15
	v_add_co_u32 v6, vcc_lo, v6, 64
	v_add_co_ci_u32_e32 v7, vcc_lo, 0, v7, vcc_lo
	ds_load_b128 v[26:29], v34
	ds_load_b128 v[30:33], v34 offset:16
	s_add_i32 s7, s7, 8
	s_add_i32 s15, s15, 64
	s_cmp_lg_u32 s8, s7
	s_waitcnt vmcnt(3) lgkmcnt(1)
	v_fma_f64 v[4:5], -v[10:11], v[26:27], v[4:5]
	s_delay_alu instid0(VALU_DEP_1) | instskip(SKIP_1) | instid1(VALU_DEP_1)
	v_fma_f64 v[4:5], -v[12:13], v[28:29], v[4:5]
	s_waitcnt vmcnt(2) lgkmcnt(0)
	v_fma_f64 v[4:5], -v[14:15], v[30:31], v[4:5]
	s_delay_alu instid0(VALU_DEP_1) | instskip(SKIP_4) | instid1(VALU_DEP_1)
	v_fma_f64 v[4:5], -v[16:17], v[32:33], v[4:5]
	ds_load_b128 v[10:13], v34 offset:32
	ds_load_b128 v[14:17], v34 offset:48
	s_waitcnt vmcnt(1) lgkmcnt(1)
	v_fma_f64 v[4:5], -v[18:19], v[10:11], v[4:5]
	v_fma_f64 v[4:5], -v[20:21], v[12:13], v[4:5]
	s_waitcnt vmcnt(0) lgkmcnt(0)
	s_delay_alu instid0(VALU_DEP_1) | instskip(NEXT) | instid1(VALU_DEP_1)
	v_fma_f64 v[4:5], -v[22:23], v[14:15], v[4:5]
	v_fma_f64 v[4:5], -v[24:25], v[16:17], v[4:5]
	s_cbranch_scc1 .LBB98_26
; %bb.27:                               ;   in Loop: Header=BB98_23 Depth=1
	s_set_inst_prefetch_distance 0x2
	s_and_b32 s7, s6, 7
	s_delay_alu instid0(SALU_CYCLE_1)
	s_cmp_eq_u32 s7, 0
	s_cbranch_scc0 .LBB98_29
	s_branch .LBB98_22
.LBB98_28:                              ;   in Loop: Header=BB98_23 Depth=1
	s_mov_b32 s8, 0
	s_and_b32 s7, s6, 7
	s_delay_alu instid0(SALU_CYCLE_1)
	s_cmp_eq_u32 s7, 0
	s_cbranch_scc1 .LBB98_22
.LBB98_29:                              ;   in Loop: Header=BB98_23 Depth=1
	s_lshl_b64 s[18:19], s[8:9], 3
	s_and_b32 s7, s14, 7
	v_add_co_u32 v6, vcc_lo, v8, s18
	v_add_co_ci_u32_e32 v7, vcc_lo, s19, v9, vcc_lo
	s_lshl_b32 s8, s8, 3
.LBB98_30:                              ;   Parent Loop BB98_23 Depth=1
                                        ; =>  This Inner Loop Header: Depth=2
	global_load_b64 v[10:11], v[6:7], off
	s_add_i32 s15, s11, s8
	v_add_co_u32 v6, vcc_lo, v6, 8
	v_mov_b32_e32 v12, s15
	v_add_co_ci_u32_e32 v7, vcc_lo, 0, v7, vcc_lo
	s_add_i32 s7, s7, -1
	s_add_i32 s8, s8, 8
	ds_load_b64 v[12:13], v12
	s_cmp_lg_u32 s7, 0
	s_waitcnt vmcnt(0) lgkmcnt(0)
	v_fma_f64 v[4:5], -v[10:11], v[12:13], v[4:5]
	s_cbranch_scc1 .LBB98_30
	s_branch .LBB98_22
.LBB98_31:
	s_mov_b32 s3, 0
.LBB98_32:
	s_delay_alu instid0(SALU_CYCLE_1)
	s_and_b32 vcc_lo, exec_lo, s3
	s_cbranch_vccz .LBB98_54
; %bb.33:
	s_cmp_gt_i32 s10, 27
	s_mov_b32 s6, s12
	s_cbranch_scc0 .LBB98_35
; %bb.34:
	s_ashr_i32 s13, s12, 31
	s_mov_b32 s3, 0
	s_lshl_b64 s[6:7], s[12:13], 3
	s_add_i32 s15, s2, -14
	v_add_co_u32 v78, vcc_lo, v74, s6
	v_add_co_ci_u32_e32 v79, vcc_lo, s7, v75, vcc_lo
	s_lshl_b64 s[6:7], s[2:3], 3
	s_add_i32 s18, s2, -16
	v_add_co_u32 v46, vcc_lo, v74, s6
	global_load_b64 v[12:13], v[78:79], off
	v_add_co_ci_u32_e32 v47, vcc_lo, s7, v75, vcc_lo
	s_clause 0x4
	global_load_b64 v[24:25], v[46:47], off offset:-16
	global_load_b128 v[0:3], v[46:47], off offset:-32
	global_load_b128 v[4:7], v[46:47], off offset:-48
	;; [unrolled: 1-line block ×4, first 2 shown]
	s_mul_i32 s6, s12, 28
	s_mul_i32 s7, s12, 0xe8
	s_add_i32 s3, s2, s6
	global_load_b128 v[32:35], v[46:47], off offset:-80
	s_lshl_b32 s3, s3, 3
	s_add_i32 s13, s6, 0xfffffecc
	s_add_i32 s3, s3, -16
	s_add_i32 s28, s2, -13
	s_waitcnt vmcnt(6)
	v_mul_f64 v[20:21], v[12:13], s[4:5]
	v_mov_b32_e32 v12, s3
	s_add_i32 s3, s7, 0xffffff18
	s_delay_alu instid0(SALU_CYCLE_1)
	v_mov_b32_e32 v22, s3
	s_add_i32 s3, s2, -4
	ds_load_2addr_b64 v[12:15], v12 offset1:1
	s_add_i32 s8, s3, s6
	ds_load_b64 v[26:27], v22
	s_lshl_b32 s8, s8, 3
	s_waitcnt lgkmcnt(1)
	v_mul_f64 v[80:81], v[14:15], v[20:21]
	s_delay_alu instid0(VALU_DEP_1) | instskip(SKIP_2) | instid1(SALU_CYCLE_1)
	v_mul_f64 v[28:29], v[80:81], v[12:13]
	v_mov_b32_e32 v12, s8
	s_sub_i32 s8, s6, 28
	s_add_i32 s9, s3, s8
	ds_load_2addr_b64 v[12:15], v12 offset1:1
	s_lshl_b32 s9, s9, 3
	s_delay_alu instid0(SALU_CYCLE_1) | instskip(SKIP_1) | instid1(SALU_CYCLE_1)
	v_mov_b32_e32 v20, s9
	s_add_i32 s9, s2, -6
	s_add_i32 s10, s9, s6
	s_add_i32 s8, s9, s8
	ds_load_2addr_b64 v[20:23], v20 offset1:1
	s_lshl_b32 s10, s10, 3
	s_lshl_b32 s8, s8, 3
	s_waitcnt lgkmcnt(1)
	v_mul_f64 v[14:15], v[80:81], v[14:15]
	v_mul_f64 v[12:13], v[80:81], v[12:13]
	s_waitcnt vmcnt(5)
	v_fma_f64 v[24:25], v[24:25], s[4:5], -v[28:29]
	global_load_b128 v[28:31], v[46:47], off offset:-96
	s_waitcnt vmcnt(5)
	v_fma_f64 v[2:3], v[2:3], s[4:5], -v[14:15]
	v_mov_b32_e32 v14, s10
	v_fma_f64 v[40:41], v[0:1], s[4:5], -v[12:13]
	v_mul_f64 v[82:83], v[26:27], v[24:25]
	ds_load_2addr_b64 v[24:27], v14 offset1:1
	v_mov_b32_e32 v14, s8
	s_sub_i32 s8, s6, 56
	s_delay_alu instid0(SALU_CYCLE_1)
	s_add_i32 s3, s3, s8
	s_add_i32 s9, s9, s8
	s_lshl_b32 s3, s3, 3
	ds_load_2addr_b64 v[36:39], v14 offset1:1
	v_mov_b32_e32 v0, s3
	s_add_i32 s3, s7, 0xfffffd48
	s_lshl_b32 s8, s9, 3
	v_mov_b32_e32 v42, s3
	s_add_i32 s3, s6, 0xffffff74
	s_add_i32 s9, s8, 0xffffff20
	;; [unrolled: 1-line block ×4, first 2 shown]
	ds_load_b64 v[48:49], v42
	global_load_b128 v[12:15], v[46:47], off offset:-112
	s_lshl_b32 s10, s10, 3
	s_lshl_b32 s29, s23, 3
	s_waitcnt lgkmcnt(2)
	v_mul_f64 v[26:27], v[80:81], v[26:27]
	v_mul_f64 v[24:25], v[80:81], v[24:25]
	v_mov_b32_e32 v62, s10
	s_sub_i32 s10, s10, 64
	s_add_i32 s23, s29, 0xffffff20
	s_add_i32 s28, s28, s13
	s_delay_alu instid0(SALU_CYCLE_1)
	s_lshl_b32 s28, s28, 3
	v_fma_f64 v[22:23], -v[82:83], v[22:23], v[2:3]
	ds_load_2addr_b64 v[0:3], v0 offset1:1
	s_waitcnt vmcnt(5)
	v_fma_f64 v[6:7], v[6:7], s[4:5], -v[26:27]
	v_fma_f64 v[52:53], v[4:5], s[4:5], -v[24:25]
	v_mov_b32_e32 v4, s8
	v_fma_f64 v[26:27], -v[82:83], v[20:21], v[40:41]
	ds_load_2addr_b64 v[40:43], v62 offset0:132 offset1:133
	v_mov_b32_e32 v20, s10
	s_add_i32 s10, s2, -10
	s_addk_i32 s8, 0xfe40
	s_waitcnt lgkmcnt(0)
	v_mul_f64 v[50:51], v[80:81], v[42:43]
	v_mul_f64 v[40:41], v[80:81], v[40:41]
	v_mov_b32_e32 v42, s9
	s_add_i32 s9, s6, 0xffffff3c
	s_delay_alu instid0(SALU_CYCLE_1)
	s_add_i32 s11, s9, s10
	s_add_i32 s10, s10, s3
	s_lshl_b32 s11, s11, 3
	s_lshl_b32 s10, s10, 3
	v_mov_b32_e32 v90, s11
	s_add_i32 s11, s6, 0xffffff04
	ds_load_2addr_b64 v[42:45], v42 offset1:1
	v_fma_f64 v[38:39], -v[82:83], v[38:39], v[6:7]
	ds_load_2addr_b64 v[4:7], v4 offset1:1
	v_mul_f64 v[2:3], v[2:3], v[22:23]
	v_fma_f64 v[60:61], -v[82:83], v[36:37], v[52:53]
	ds_load_2addr_b64 v[20:23], v20 offset1:1
	v_mov_b32_e32 v36, s10
	s_add_i32 s10, s2, -12
	s_waitcnt vmcnt(4)
	v_fma_f64 v[18:19], v[18:19], s[4:5], -v[50:51]
	v_fma_f64 v[40:41], v[16:17], s[4:5], -v[40:41]
	v_fma_f64 v[0:1], -v[2:3], v[0:1], v[26:27]
	global_load_b128 v[24:27], v[46:47], off offset:-128
	s_waitcnt lgkmcnt(1)
	v_fma_f64 v[6:7], -v[2:3], v[6:7], v[38:39]
	v_fma_f64 v[60:61], -v[2:3], v[4:5], v[60:61]
	v_mov_b32_e32 v4, s8
	s_add_i32 s8, s7, 0xfffffb78
	s_addk_i32 s7, 0xfa90
	v_mov_b32_e32 v63, s8
	s_add_i32 s8, s11, s10
	s_delay_alu instid0(SALU_CYCLE_1) | instskip(NEXT) | instid1(SALU_CYCLE_1)
	s_lshl_b32 s8, s8, 3
	v_mov_b32_e32 v91, s8
	s_add_i32 s8, s13, s15
	s_add_i32 s15, s15, s3
	s_lshl_b32 s19, s8, 3
	s_add_i32 s13, s29, 0xfffffba0
	s_add_i32 s8, s19, 0x9a0
	v_mul_f64 v[0:1], v[48:49], v[0:1]
	ds_load_2addr_b64 v[48:51], v90 offset0:196 offset1:197
	ds_load_2addr_b64 v[52:55], v62 offset0:104 offset1:105
	;; [unrolled: 1-line block ×3, first 2 shown]
	ds_load_2addr_b64 v[36:39], v36 offset1:1
	ds_load_b64 v[70:71], v63
	s_waitcnt lgkmcnt(4)
	v_mul_f64 v[50:51], v[80:81], v[50:51]
	s_waitcnt lgkmcnt(3)
	v_fma_f64 v[54:55], -v[82:83], v[54:55], v[18:19]
	global_load_b128 v[16:19], v[46:47], off offset:-144
	v_mul_f64 v[72:73], v[80:81], v[48:49]
	v_fma_f64 v[84:85], -v[82:83], v[52:53], v[40:41]
	v_fma_f64 v[44:45], -v[0:1], v[44:45], v[6:7]
	ds_load_2addr_b64 v[4:7], v4 offset1:1
	v_fma_f64 v[88:89], -v[0:1], v[42:43], v[60:61]
	s_waitcnt vmcnt(4)
	v_fma_f64 v[34:35], v[34:35], s[4:5], -v[50:51]
	s_waitcnt lgkmcnt(3)
	v_fma_f64 v[86:87], -v[2:3], v[58:59], v[54:55]
	ds_load_2addr_b64 v[40:43], v91 offset0:252 offset1:253
	ds_load_2addr_b64 v[48:51], v90 offset0:168 offset1:169
	;; [unrolled: 1-line block ×6, first 2 shown]
	v_fma_f64 v[56:57], -v[2:3], v[56:57], v[84:85]
	s_waitcnt lgkmcnt(5)
	v_mul_f64 v[42:43], v[80:81], v[42:43]
	v_mul_f64 v[6:7], v[6:7], v[44:45]
	v_fma_f64 v[44:45], v[32:33], s[4:5], -v[72:73]
	v_mul_f64 v[84:85], v[80:81], v[40:41]
	v_mov_b32_e32 v40, s8
	s_add_i32 s8, s19, 0x8c0
	s_waitcnt lgkmcnt(4)
	v_fma_f64 v[50:51], -v[82:83], v[50:51], v[34:35]
	s_waitcnt lgkmcnt(3)
	v_fma_f64 v[54:55], -v[0:1], v[54:55], v[86:87]
	global_load_b128 v[32:35], v[46:47], off offset:-160
	v_fma_f64 v[56:57], -v[0:1], v[52:53], v[56:57]
	s_waitcnt vmcnt(4)
	v_fma_f64 v[30:31], v[30:31], s[4:5], -v[42:43]
	v_fma_f64 v[4:5], -v[6:7], v[4:5], v[88:89]
	v_fma_f64 v[44:45], -v[82:83], v[48:49], v[44:45]
	v_fma_f64 v[84:85], v[28:29], s[4:5], -v[84:85]
	s_waitcnt lgkmcnt(1)
	v_fma_f64 v[64:65], -v[2:3], v[64:65], v[50:51]
	v_fma_f64 v[60:61], -v[6:7], v[60:61], v[54:55]
	ds_load_2addr_b64 v[40:43], v40 offset1:1
	ds_load_2addr_b64 v[48:51], v90 offset0:112 offset1:113
	s_waitcnt lgkmcnt(2)
	v_fma_f64 v[68:69], -v[82:83], v[68:69], v[30:31]
	v_mul_f64 v[4:5], v[70:71], v[4:5]
	v_fma_f64 v[62:63], -v[2:3], v[62:63], v[44:45]
	v_mov_b32_e32 v70, s8
	s_waitcnt lgkmcnt(1)
	v_mul_f64 v[86:87], v[80:81], v[42:43]
	ds_load_2addr_b64 v[52:55], v90 offset0:84 offset1:85
	ds_load_2addr_b64 v[70:73], v70 offset1:1
	global_load_b128 v[28:31], v[46:47], off offset:-176
	s_add_i32 s8, s6, 0xfffffe94
	v_mul_f64 v[40:41], v[80:81], v[40:41]
	v_fma_f64 v[84:85], -v[82:83], v[66:67], v[84:85]
	v_mov_b32_e32 v90, s19
	s_waitcnt lgkmcnt(2)
	v_fma_f64 v[50:51], -v[0:1], v[50:51], v[64:65]
	v_fma_f64 v[64:65], -v[6:7], v[58:59], v[56:57]
	v_mov_b32_e32 v56, s7
	s_add_i32 s7, s8, s18
	s_add_i32 s18, s18, s3
	s_lshl_b32 s14, s7, 3
	s_add_i32 s7, s2, -9
	s_add_i32 s20, s14, 0xb60
	s_add_i32 s21, s3, s7
	s_add_i32 s7, s7, s9
	s_add_i32 s9, s6, 0xfffffe5c
	s_lshl_b32 s7, s7, 3
	s_add_i32 s22, s14, 0xa80
	s_lshl_b32 s18, s18, 3
	v_fma_f64 v[22:23], -v[4:5], v[22:23], v[60:61]
	ds_load_2addr_b64 v[42:45], v91 offset0:196 offset1:197
	ds_load_b64 v[60:61], v56
	ds_load_2addr_b64 v[56:59], v91 offset0:168 offset1:169
	s_waitcnt vmcnt(4)
	v_fma_f64 v[86:87], v[14:15], s[4:5], -v[86:87]
	v_fma_f64 v[12:13], v[12:13], s[4:5], -v[40:41]
	s_waitcnt lgkmcnt(2)
	v_fma_f64 v[44:45], -v[2:3], v[44:45], v[68:69]
	v_fma_f64 v[68:69], -v[0:1], v[48:49], v[62:63]
	;; [unrolled: 1-line block ×5, first 2 shown]
	s_waitcnt lgkmcnt(1)
	v_mul_f64 v[14:15], v[60:61], v[22:23]
	v_mov_b32_e32 v22, s20
	s_lshl_b32 s20, s21, 3
	v_fma_f64 v[72:73], -v[82:83], v[72:73], v[86:87]
	s_addk_i32 s20, 0xff20
	s_sub_i32 s21, s2, 18
	ds_load_2addr_b64 v[48:51], v22 offset1:1
	v_mov_b32_e32 v22, s20
	s_add_i32 s20, s2, -11
	v_fma_f64 v[96:97], -v[82:83], v[70:71], v[12:13]
	ds_load_2addr_b64 v[60:63], v22 offset1:1
	v_mov_b32_e32 v22, s7
	s_lshl_b32 s7, s15, 3
	s_add_i32 s15, s10, s3
	s_add_i32 s10, s9, s21
	;; [unrolled: 1-line block ×3, first 2 shown]
	ds_load_2addr_b64 v[64:67], v22 offset1:1
	s_lshl_b32 s19, s10, 3
	s_waitcnt lgkmcnt(3)
	v_fma_f64 v[44:45], -v[0:1], v[58:59], v[44:45]
	v_fma_f64 v[58:59], -v[6:7], v[52:53], v[68:69]
	;; [unrolled: 1-line block ×3, first 2 shown]
	v_mov_b32_e32 v38, s7
	v_fma_f64 v[100:101], -v[0:1], v[56:57], v[42:43]
	s_add_i32 s7, s3, s20
	s_waitcnt lgkmcnt(2)
	v_mul_f64 v[88:89], v[80:81], v[50:51]
	v_mul_f64 v[94:95], v[80:81], v[48:49]
	s_lshl_b32 s10, s7, 3
	s_add_i32 s7, s19, 0xd20
	s_delay_alu instid0(SALU_CYCLE_1)
	v_dual_mov_b32 v43, s22 :: v_dual_mov_b32 v42, s7
	s_lshl_b32 s7, s15, 3
	s_add_i32 s15, s10, 0xffffff20
	s_add_i32 s22, s19, 0xc40
	;; [unrolled: 1-line block ×3, first 2 shown]
	s_lshl_b32 s21, s21, 3
	s_lshl_b32 s11, s20, 3
	s_waitcnt lgkmcnt(1)
	v_fma_f64 v[62:63], -v[14:15], v[62:63], v[20:21]
	global_load_b128 v[20:23], v[46:47], off offset:-192
	ds_load_2addr_b64 v[50:53], v90 offset0:252 offset1:253
	ds_load_2addr_b64 v[84:87], v91 offset0:140 offset1:141
	ds_load_2addr_b64 v[38:41], v38 offset1:1
	s_waitcnt lgkmcnt(2)
	v_fma_f64 v[98:99], -v[2:3], v[52:53], v[72:73]
	s_waitcnt lgkmcnt(1)
	v_fma_f64 v[102:103], -v[6:7], v[86:87], v[44:45]
	v_fma_f64 v[36:37], -v[4:5], v[36:37], v[58:59]
	;; [unrolled: 1-line block ×3, first 2 shown]
	ds_load_2addr_b64 v[52:55], v42 offset1:1
	s_waitcnt vmcnt(4)
	v_fma_f64 v[26:27], v[26:27], s[4:5], -v[88:89]
	v_mov_b32_e32 v44, s7
	v_mov_b32_e32 v42, s15
	v_fma_f64 v[106:107], v[24:25], s[4:5], -v[94:95]
	v_fma_f64 v[50:51], -v[2:3], v[50:51], v[96:97]
	v_fma_f64 v[84:85], -v[6:7], v[84:85], v[100:101]
	s_mul_i32 s7, s2, 0xe8
	s_delay_alu instid0(SALU_CYCLE_1)
	s_add_i32 s15, s7, 0xfffff608
	v_mul_f64 v[12:13], v[66:67], v[62:63]
	ds_load_2addr_b64 v[56:59], v43 offset1:1
	ds_load_2addr_b64 v[60:63], v90 offset0:224 offset1:225
	ds_load_2addr_b64 v[66:69], v44 offset1:1
	ds_load_2addr_b64 v[70:73], v42 offset1:1
	v_mov_b32_e32 v42, s15
	s_add_i32 s15, s14, 0x9a0
	s_delay_alu instid0(SALU_CYCLE_1)
	v_dual_mov_b32 v44, s22 :: v_dual_mov_b32 v43, s15
	s_waitcnt lgkmcnt(4)
	v_mul_f64 v[54:55], v[80:81], v[54:55]
	s_add_i32 s15, s10, 0xfffffe40
	s_add_i32 s22, s7, 0xfffff7d8
	ds_load_b64 v[48:49], v42
	ds_load_2addr_b64 v[86:89], v90 offset0:196 offset1:197
	ds_load_2addr_b64 v[90:93], v43 offset1:1
	ds_load_2addr_b64 v[42:45], v44 offset1:1
	v_mul_f64 v[100:101], v[80:81], v[52:53]
	s_waitcnt lgkmcnt(6)
	v_fma_f64 v[98:99], -v[0:1], v[62:63], v[98:99]
	s_waitcnt lgkmcnt(5)
	v_fma_f64 v[68:69], -v[4:5], v[68:69], v[102:103]
	;; [unrolled: 2-line block ×3, first 2 shown]
	v_fma_f64 v[58:59], -v[82:83], v[58:59], v[26:27]
	global_load_b128 v[24:27], v[46:47], off offset:-208
	v_dual_mov_b32 v46, s15 :: v_dual_mov_b32 v47, s22
	s_sub_i32 s15, s2, 20
	v_fma_f64 v[84:85], -v[4:5], v[66:67], v[84:85]
	s_add_i32 s22, s10, 0xfffffd60
	s_add_i32 s10, s6, 0xfffffe24
	v_mov_b32_e32 v94, s22
	s_add_i32 s22, s10, s15
	s_add_i32 s15, s15, s3
	s_lshl_b32 s27, s22, 3
	v_fma_f64 v[72:73], -v[12:13], v[64:65], v[104:105]
	ds_load_2addr_b64 v[62:65], v46 offset1:1
	ds_load_b64 v[46:47], v47
	v_fma_f64 v[104:105], -v[82:83], v[56:57], v[106:107]
	v_fma_f64 v[106:107], -v[0:1], v[60:61], v[50:51]
	s_add_i32 s22, s27, 0xee0
	ds_load_2addr_b64 v[94:97], v94 offset1:1
	s_add_i32 s25, s27, 0xe00
	s_waitcnt vmcnt(4)
	v_fma_f64 v[102:103], v[18:19], s[4:5], -v[54:55]
	s_lshl_b32 s15, s15, 3
	v_fma_f64 v[16:17], v[16:17], s[4:5], -v[100:101]
	s_waitcnt lgkmcnt(5)
	v_fma_f64 v[88:89], -v[6:7], v[88:89], v[98:99]
	v_fma_f64 v[98:99], -v[14:15], v[70:71], v[68:69]
	s_waitcnt lgkmcnt(2)
	v_fma_f64 v[36:37], -v[12:13], v[64:65], v[36:37]
	v_fma_f64 v[92:93], -v[2:3], v[92:93], v[58:59]
	s_waitcnt lgkmcnt(1)
	v_mul_f64 v[18:19], v[46:47], v[72:73]
	v_mov_b32_e32 v46, s22
	s_add_i32 s22, s14, 0x8c0
	v_fma_f64 v[90:91], -v[2:3], v[90:91], v[104:105]
	v_mov_b32_e32 v47, s22
	s_add_i32 s22, s29, 0xfffffe40
	ds_load_2addr_b64 v[50:53], v46 offset1:1
	v_mov_b32_e32 v46, s23
	ds_load_2addr_b64 v[54:57], v47 offset1:1
	ds_load_2addr_b64 v[58:61], v46 offset1:1
	v_fma_f64 v[72:73], -v[82:83], v[44:45], v[102:103]
	v_mov_b32_e32 v47, s14
	s_add_i32 s14, s19, 0xb60
	v_mov_b32_e32 v46, s22
	v_mov_b32_e32 v44, s14
	ds_load_2addr_b64 v[64:67], v46 offset1:1
	ds_load_2addr_b64 v[68:71], v47 offset0:252 offset1:253
	v_fma_f64 v[40:41], -v[4:5], v[40:41], v[88:89]
	v_fma_f64 v[98:99], -v[12:13], v[62:63], v[98:99]
	s_sub_i32 s22, s2, 22
	s_add_i32 s23, s19, 0xa80
	v_fma_f64 v[42:43], -v[82:83], v[42:43], v[16:17]
	s_waitcnt lgkmcnt(4)
	v_mul_f64 v[52:53], v[80:81], v[52:53]
	v_mul_f64 v[50:51], v[80:81], v[50:51]
	s_add_i32 s14, s2, -15
	s_waitcnt lgkmcnt(3)
	v_fma_f64 v[56:57], -v[0:1], v[56:57], v[92:93]
	v_fma_f64 v[92:93], -v[6:7], v[86:87], v[106:107]
	s_waitcnt lgkmcnt(2)
	v_fma_f64 v[84:85], -v[14:15], v[60:61], v[84:85]
	v_mov_b32_e32 v60, s11
	ds_load_2addr_b64 v[44:47], v44 offset1:1
	ds_load_2addr_b64 v[60:63], v60 offset1:1
	v_fma_f64 v[36:37], -v[18:19], v[96:97], v[36:37]
	s_add_i32 s11, s6, 0xfffffdec
	v_mov_b32_e32 v86, s23
	v_fma_f64 v[106:107], -v[0:1], v[54:55], v[90:91]
	s_add_i32 s23, s11, s22
	s_add_i32 s20, s3, s14
	s_lshl_b32 s23, s23, 3
	s_lshl_b32 s20, s20, 3
	s_add_i32 s24, s23, 0x10a0
	ds_load_2addr_b64 v[86:89], v86 offset1:1
	s_add_i32 s26, s20, 0xfffffd60
	s_add_i32 s34, s23, 0xe00
	;; [unrolled: 1-line block ×4, first 2 shown]
	s_lshl_b32 s22, s22, 3
	s_lshl_b32 s14, s14, 3
	s_waitcnt lgkmcnt(2)
	v_fma_f64 v[46:47], -v[2:3], v[46:47], v[72:73]
	v_fma_f64 v[58:59], -v[14:15], v[58:59], v[40:41]
	;; [unrolled: 1-line block ×3, first 2 shown]
	s_waitcnt vmcnt(3)
	v_fma_f64 v[52:53], v[34:35], s[4:5], -v[52:53]
	v_dual_mov_b32 v34, s24 :: v_dual_mov_b32 v35, s25
	s_add_i32 s24, s29, 0xfffffd60
	v_fma_f64 v[108:109], -v[6:7], v[70:71], v[56:57]
	v_fma_f64 v[110:111], -v[4:5], v[38:39], v[92:93]
	;; [unrolled: 1-line block ×3, first 2 shown]
	s_add_i32 s25, s20, 0xffffff20
	ds_load_2addr_b64 v[38:41], v34 offset1:1
	ds_load_2addr_b64 v[54:57], v35 offset1:1
	v_dual_mov_b32 v35, s24 :: v_dual_mov_b32 v34, s25
	s_waitcnt lgkmcnt(3)
	v_mul_f64 v[16:17], v[62:63], v[36:37]
	v_mov_b32_e32 v36, s18
	ds_load_2addr_b64 v[70:73], v36 offset1:1
	ds_load_2addr_b64 v[90:93], v34 offset1:1
	;; [unrolled: 1-line block ×3, first 2 shown]
	v_fma_f64 v[32:33], v[32:33], s[4:5], -v[50:51]
	v_fma_f64 v[62:63], -v[2:3], v[44:45], v[42:43]
	v_fma_f64 v[68:69], -v[6:7], v[68:69], v[106:107]
	s_add_i32 s18, s7, 0xfffff268
	s_add_i32 s24, s27, 0xd20
	v_mov_b32_e32 v37, s18
	s_add_i32 s18, s29, 0xfffffc80
	s_add_i32 s25, s23, 0xfc0
	s_waitcnt lgkmcnt(4)
	v_mul_f64 v[40:41], v[80:81], v[40:41]
	v_mov_b32_e32 v34, s18
	v_fma_f64 v[46:47], -v[0:1], v[88:89], v[46:47]
	s_add_i32 s18, s19, 0x9a0
	v_mov_b32_e32 v35, s24
	v_fma_f64 v[58:59], -v[12:13], v[64:65], v[58:59]
	v_mov_b32_e32 v42, s18
	s_add_i32 s18, s20, 0xfffffe40
	s_delay_alu instid0(SALU_CYCLE_1)
	v_dual_mov_b32 v36, s25 :: v_dual_mov_b32 v43, s18
	s_waitcnt lgkmcnt(3)
	v_fma_f64 v[56:57], -v[82:83], v[56:57], v[52:53]
	ds_load_b64 v[84:85], v37
	ds_load_2addr_b64 v[98:101], v34 offset1:1
	ds_load_2addr_b64 v[102:105], v35 offset1:1
	ds_load_2addr_b64 v[34:37], v36 offset1:1
	s_sub_i32 s25, s2, 24
	s_add_i32 s18, s6, 0xfffffdb4
	s_waitcnt lgkmcnt(6)
	v_fma_f64 v[72:73], -v[4:5], v[72:73], v[108:109]
	s_waitcnt lgkmcnt(5)
	v_fma_f64 v[88:89], -v[14:15], v[92:93], v[110:111]
	s_waitcnt lgkmcnt(4)
	v_fma_f64 v[64:65], -v[18:19], v[96:97], v[66:67]
	ds_load_2addr_b64 v[106:109], v42 offset1:1
	s_add_i32 s24, s18, s25
	v_mul_f64 v[92:93], v[80:81], v[38:39]
	s_sub_i32 s19, s2, 17
	v_mov_b32_e32 v50, s21
	v_fma_f64 v[60:61], -v[16:17], v[60:61], v[112:113]
	ds_load_2addr_b64 v[110:113], v43 offset1:1
	v_mov_b32_e32 v42, s26
	s_lshl_b32 s26, s24, 3
	s_add_i32 s30, s3, s19
	s_add_i32 s24, s26, 0x1260
	ds_load_2addr_b64 v[42:45], v42 offset1:1
	ds_load_2addr_b64 v[50:53], v50 offset1:1
	v_fma_f64 v[114:115], -v[82:83], v[54:55], v[32:33]
	v_fma_f64 v[116:117], -v[0:1], v[86:87], v[62:63]
	;; [unrolled: 1-line block ×3, first 2 shown]
	v_mov_b32_e32 v32, s24
	s_lshl_b32 s24, s30, 3
	s_add_i32 s30, s27, 0xc40
	s_add_i32 s31, s24, 0xffffff20
	v_mov_b32_e32 v33, s30
	s_waitcnt vmcnt(2)
	v_fma_f64 v[96:97], v[30:31], s[4:5], -v[40:41]
	s_add_i32 s21, s7, 0xfffff438
	s_waitcnt lgkmcnt(3)
	v_fma_f64 v[108:109], -v[6:7], v[108:109], v[46:47]
	v_mov_b32_e32 v38, s28
	s_add_i32 s29, s20, 0xfffffc80
	v_fma_f64 v[122:123], -v[18:19], v[94:95], v[58:59]
	s_sub_i32 s28, s2, 26
	s_add_i32 s25, s25, s3
	ds_load_2addr_b64 v[66:69], v33 offset1:1
	v_mov_b32_e32 v33, s13
	v_fma_f64 v[104:105], -v[2:3], v[104:105], v[56:57]
	s_add_i32 s13, s24, 0xfffffe40
	s_lshl_b32 s25, s25, 3
	v_mov_b32_e32 v46, s13
	v_fma_f64 v[120:121], -v[14:15], v[90:91], v[72:73]
	s_waitcnt lgkmcnt(3)
	v_fma_f64 v[112:113], -v[12:13], v[112:113], v[88:89]
	v_fma_f64 v[100:101], -v[16:17], v[100:101], v[64:65]
	ds_load_2addr_b64 v[70:73], v32 offset1:1
	v_mov_b32_e32 v32, s31
	v_fma_f64 v[92:93], v[28:29], s[4:5], -v[92:93]
	s_sub_i32 s31, s2, 28
	s_sub_i32 s13, s2, 21
	v_mul_f64 v[30:31], v[48:49], v[60:61]
	ds_load_2addr_b64 v[62:65], v32 offset1:1
	ds_load_2addr_b64 v[58:61], v33 offset1:1
	v_mov_b32_e32 v32, s21
	s_add_i32 s21, s27, 0xb60
	s_add_i32 s27, s23, 0xee0
	v_mov_b32_e32 v54, s21
	ds_load_b64 v[32:33], v32
	ds_load_2addr_b64 v[38:41], v38 offset1:1
	ds_load_2addr_b64 v[46:49], v46 offset1:1
	;; [unrolled: 1-line block ×3, first 2 shown]
	v_fma_f64 v[88:89], -v[2:3], v[102:103], v[114:115]
	s_sub_i32 s21, s2, 19
	s_addk_i32 s23, 0xd20
	s_add_i32 s30, s3, s21
	s_add_i32 s19, s19, s9
	s_add_i32 s21, s21, s10
	s_waitcnt lgkmcnt(6)
	v_mul_f64 v[94:95], v[80:81], v[72:73]
	v_fma_f64 v[90:91], -v[82:83], v[36:37], v[96:97]
	v_fma_f64 v[72:73], -v[6:7], v[106:107], v[116:117]
	s_lshl_b32 s19, s19, 3
	s_lshl_b32 s10, s21, 3
	s_waitcnt lgkmcnt(5)
	v_fma_f64 v[64:65], -v[14:15], v[64:65], v[118:119]
	v_fma_f64 v[36:37], -v[16:17], v[98:99], v[122:123]
	;; [unrolled: 1-line block ×6, first 2 shown]
	v_mul_f64 v[112:113], v[80:81], v[70:71]
	s_waitcnt lgkmcnt(4)
	v_fma_f64 v[28:29], -v[30:31], v[60:61], v[100:101]
	v_mov_b32_e32 v60, s27
	s_add_i32 s27, s6, 0xfffffd7c
	v_mov_b32_e32 v61, s34
	s_add_i32 s33, s27, s28
	s_addk_i32 s6, 0xfd44
	ds_load_2addr_b64 v[96:99], v60 offset1:1
	v_mov_b32_e32 v60, s29
	s_lshl_b32 s29, s30, 3
	v_fma_f64 v[114:115], -v[0:1], v[66:67], v[88:89]
	s_add_i32 s30, s20, 0xfffffba0
	s_add_i32 s28, s28, s3
	ds_load_2addr_b64 v[100:103], v60 offset1:1
	v_mov_b32_e32 v60, s30
	s_lshl_b32 s30, s33, 3
	s_add_i32 s33, s26, 0x1180
	s_add_i32 s34, s30, 0x1420
	s_waitcnt vmcnt(1)
	v_fma_f64 v[22:23], v[22:23], s[4:5], -v[94:95]
	v_fma_f64 v[94:95], -v[82:83], v[34:35], v[92:93]
	v_fma_f64 v[72:73], -v[4:5], v[50:51], v[72:73]
	v_mov_b32_e32 v34, s34
	s_waitcnt lgkmcnt(3)
	v_fma_f64 v[120:121], -v[12:13], v[48:49], v[64:65]
	v_fma_f64 v[36:37], -v[30:31], v[58:59], v[36:37]
	v_mov_b32_e32 v35, s33
	s_add_i32 s34, s24, 0xfffffd60
	s_add_i32 s33, s29, 0xffffff20
	s_waitcnt lgkmcnt(1)
	v_fma_f64 v[98:99], -v[2:3], v[98:99], v[90:91]
	v_fma_f64 v[116:117], -v[6:7], v[56:57], v[86:87]
	;; [unrolled: 1-line block ×3, first 2 shown]
	ds_load_2addr_b64 v[104:107], v60 offset1:1
	ds_load_2addr_b64 v[108:111], v61 offset1:1
	v_fma_f64 v[52:53], -v[18:19], v[42:43], v[52:53]
	v_mov_b32_e32 v56, s15
	s_waitcnt lgkmcnt(2)
	v_fma_f64 v[44:45], -v[16:17], v[102:103], v[44:45]
	v_fma_f64 v[112:113], v[20:21], s[4:5], -v[112:113]
	ds_load_2addr_b64 v[48:51], v35 offset1:1
	v_dual_mov_b32 v35, s34 :: v_dual_mov_b32 v20, s23
	s_add_i32 s23, s29, 0xfffffe40
	v_mul_f64 v[28:29], v[40:41], v[28:29]
	ds_load_2addr_b64 v[40:43], v34 offset1:1
	v_mov_b32_e32 v34, s33
	ds_load_2addr_b64 v[56:59], v56 offset1:1
	ds_load_2addr_b64 v[60:63], v34 offset1:1
	;; [unrolled: 1-line block ×3, first 2 shown]
	s_add_i32 s15, s7, 0xffffeec8
	v_fma_f64 v[54:55], -v[6:7], v[54:55], v[114:115]
	v_mov_b32_e32 v68, s15
	s_add_i32 s15, s24, 0xfffffc80
	s_add_i32 s33, s26, 0x10a0
	;; [unrolled: 1-line block ×3, first 2 shown]
	v_dual_mov_b32 v69, s15 :: v_dual_mov_b32 v86, s33
	v_mov_b32_e32 v90, s34
	s_waitcnt lgkmcnt(4)
	v_fma_f64 v[122:123], -v[82:83], v[50:51], v[22:23]
	v_fma_f64 v[124:125], -v[2:3], v[96:97], v[94:95]
	ds_load_b64 v[34:35], v68
	ds_load_2addr_b64 v[68:71], v69 offset1:1
	ds_load_2addr_b64 v[86:89], v86 offset1:1
	;; [unrolled: 1-line block ×4, first 2 shown]
	s_waitcnt lgkmcnt(8)
	v_mul_f64 v[102:103], v[80:81], v[42:43]
	s_add_i32 s15, s6, s31
	s_add_i32 s8, s30, 0x1260
	s_lshl_b32 s15, s15, 3
	v_fma_f64 v[110:111], -v[0:1], v[110:111], v[98:99]
	s_waitcnt lgkmcnt(7)
	v_fma_f64 v[58:59], -v[4:5], v[58:59], v[116:117]
	s_waitcnt lgkmcnt(6)
	v_fma_f64 v[62:63], -v[14:15], v[62:63], v[72:73]
	v_fma_f64 v[46:47], -v[12:13], v[46:47], v[118:119]
	s_waitcnt lgkmcnt(5)
	v_fma_f64 v[66:67], -v[18:19], v[66:67], v[120:121]
	v_fma_f64 v[72:73], -v[16:17], v[100:101], v[52:53]
	;; [unrolled: 1-line block ×3, first 2 shown]
	v_mul_f64 v[116:117], v[80:81], v[40:41]
	v_fma_f64 v[48:49], -v[82:83], v[48:49], v[112:113]
	v_mov_b32_e32 v98, s22
	s_add_i32 s22, s3, s13
	s_add_i32 s13, s13, s11
	v_fma_f64 v[114:115], -v[28:29], v[38:39], v[36:37]
	v_mov_b32_e32 v36, s23
	s_add_i32 s23, s20, 0xfffffac0
	s_addk_i32 s20, 0xf9e0
	v_mov_b32_e32 v42, s23
	v_mov_b32_e32 v50, s20
	ds_load_2addr_b64 v[36:39], v36 offset1:1
	s_add_i32 s20, s15, 0x15e0
	s_add_i32 s23, s29, 0xfffffd60
	ds_load_2addr_b64 v[42:45], v42 offset1:1
	v_fma_f64 v[112:113], -v[4:5], v[56:57], v[54:55]
	v_mov_b32_e32 v126, s20
	s_lshl_b32 s20, s22, 3
	v_mov_b32_e32 v94, s23
	s_add_i32 s22, s26, 0xfc0
	s_add_i32 s23, s20, 0xffffff20
	ds_load_2addr_b64 v[50:53], v50 offset1:1
	ds_load_2addr_b64 v[94:97], v94 offset1:1
	;; [unrolled: 1-line block ×3, first 2 shown]
	s_waitcnt lgkmcnt(7)
	v_fma_f64 v[88:89], -v[2:3], v[88:89], v[122:123]
	v_fma_f64 v[108:109], -v[0:1], v[108:109], v[124:125]
	s_addk_i32 s26, 0xee0
	s_waitcnt vmcnt(0)
	v_fma_f64 v[26:27], v[26:27], s[4:5], -v[102:103]
	v_mov_b32_e32 v102, s26
	s_add_i32 s26, s30, 0x1180
	s_add_i32 s9, s20, 0xfffffba0
	s_waitcnt lgkmcnt(5)
	v_fma_f64 v[110:111], -v[6:7], v[22:23], v[110:111]
	v_fma_f64 v[118:119], -v[14:15], v[60:61], v[58:59]
	s_waitcnt lgkmcnt(4)
	v_fma_f64 v[120:121], -v[12:13], v[38:39], v[62:63]
	v_fma_f64 v[122:123], -v[18:19], v[64:65], v[46:47]
	;; [unrolled: 1-line block ×4, first 2 shown]
	s_waitcnt lgkmcnt(3)
	v_fma_f64 v[106:107], -v[28:29], v[44:45], v[106:107]
	ds_load_2addr_b64 v[38:41], v126 offset1:1
	v_mul_f64 v[22:23], v[32:33], v[114:115]
	v_dual_mov_b32 v32, s22 :: v_dual_mov_b32 v33, s23
	s_add_i32 s22, s24, 0xfffffba0
	s_add_i32 s23, s20, 0xfffffe40
	v_fma_f64 v[114:115], v[24:25], s[4:5], -v[116:117]
	ds_load_2addr_b64 v[44:47], v32 offset1:1
	ds_load_2addr_b64 v[54:57], v33 offset1:1
	v_mov_b32_e32 v32, s22
	s_add_i32 s22, s24, 0xfffffac0
	v_mov_b32_e32 v33, s23
	v_fma_f64 v[116:117], -v[2:3], v[86:87], v[48:49]
	v_mov_b32_e32 v24, s8
	ds_load_2addr_b64 v[58:61], v32 offset1:1
	v_mov_b32_e32 v32, s22
	ds_load_2addr_b64 v[62:65], v32 offset1:1
	ds_load_2addr_b64 v[70:73], v33 offset1:1
	;; [unrolled: 1-line block ×3, first 2 shown]
	s_waitcnt lgkmcnt(6)
	v_mul_f64 v[32:33], v[80:81], v[40:41]
	v_fma_f64 v[92:93], -v[82:83], v[92:93], v[26:27]
	v_fma_f64 v[20:21], -v[6:7], v[20:21], v[108:109]
	s_add_i32 s8, s29, 0xfffffc80
	v_mov_b32_e32 v40, s14
	s_add_i32 s23, s29, 0xfffffba0
	s_waitcnt lgkmcnt(5)
	v_fma_f64 v[126:127], -v[0:1], v[46:47], v[88:89]
	v_fma_f64 v[100:101], -v[4:5], v[100:101], v[110:111]
	s_waitcnt lgkmcnt(4)
	v_fma_f64 v[56:57], -v[14:15], v[56:57], v[112:113]
	v_fma_f64 v[36:37], -v[12:13], v[36:37], v[118:119]
	;; [unrolled: 1-line block ×5, first 2 shown]
	s_waitcnt lgkmcnt(3)
	v_fma_f64 v[60:61], -v[30:31], v[60:61], v[66:67]
	v_mov_b32_e32 v46, s8
	ds_load_2addr_b64 v[24:27], v24 offset1:1
	ds_load_2addr_b64 v[40:43], v40 offset1:1
	s_sub_i32 s8, s2, 23
	s_add_i32 s22, s7, 0xffffeb28
	v_fma_f64 v[52:53], -v[22:23], v[52:53], v[106:107]
	ds_load_2addr_b64 v[46:49], v46 offset1:1
	s_add_i32 s14, s3, s8
	v_mov_b32_e32 v66, s23
	s_add_i32 s23, s15, 0x1500
	s_lshl_b32 s14, s14, 3
	v_mov_b32_e32 v120, s23
	s_add_i32 s23, s20, 0xfffffd60
	v_mov_b32_e32 v86, s26
	s_add_i32 s26, s14, 0xffffff20
	ds_load_2addr_b64 v[66:69], v66 offset1:1
	ds_load_2addr_b64 v[86:89], v86 offset1:1
	v_fma_f64 v[106:107], -v[0:1], v[44:45], v[116:117]
	s_add_i32 s8, s8, s18
	s_delay_alu instid0(SALU_CYCLE_1)
	s_lshl_b32 s8, s8, 3
	v_fma_f64 v[10:11], v[10:11], s[4:5], -v[32:33]
	v_fma_f64 v[32:33], -v[82:83], v[90:91], v[114:115]
	s_waitcnt lgkmcnt(4)
	v_fma_f64 v[26:27], -v[2:3], v[26:27], v[92:93]
	v_fma_f64 v[112:113], -v[4:5], v[98:99], v[20:21]
	v_mov_b32_e32 v90, s22
	s_add_i32 s22, s24, 0xfffff9e0
	v_fma_f64 v[104:105], -v[6:7], v[104:105], v[126:127]
	v_fma_f64 v[114:115], -v[14:15], v[54:55], v[100:101]
	;; [unrolled: 1-line block ×4, first 2 shown]
	s_waitcnt lgkmcnt(2)
	v_fma_f64 v[118:119], -v[16:17], v[48:49], v[96:97]
	v_fma_f64 v[108:109], -v[30:31], v[58:59], v[108:109]
	v_mov_b32_e32 v56, s22
	v_fma_f64 v[60:61], -v[28:29], v[64:65], v[60:61]
	v_fma_f64 v[64:65], -v[22:23], v[50:51], v[110:111]
	v_mul_f64 v[110:111], v[80:81], v[38:39]
	v_mov_b32_e32 v48, s26
	ds_load_2addr_b64 v[36:39], v120 offset1:1
	v_mul_f64 v[20:21], v[42:43], v[52:53]
	v_mov_b32_e32 v42, s25
	v_mov_b32_e32 v52, s23
	ds_load_2addr_b64 v[42:45], v42 offset1:1
	ds_load_2addr_b64 v[48:51], v48 offset1:1
	;; [unrolled: 1-line block ×4, first 2 shown]
	s_add_i32 s22, s24, 0xfffff900
	s_add_i32 s23, s20, 0xfffffc80
	v_mov_b32_e32 v91, s22
	s_add_i32 s22, s30, 0x10a0
	v_fma_f64 v[102:103], -v[6:7], v[102:103], v[106:107]
	v_mov_b32_e32 v94, s23
	s_add_i32 s23, s29, 0xfffffac0
	s_add_i32 s25, s15, 0x1420
	;; [unrolled: 1-line block ×3, first 2 shown]
	v_mov_b32_e32 v98, s25
	ds_load_b64 v[120:121], v90
	ds_load_2addr_b64 v[90:93], v91 offset1:1
	ds_load_2addr_b64 v[94:97], v94 offset1:1
	;; [unrolled: 1-line block ×3, first 2 shown]
	s_waitcnt lgkmcnt(8)
	v_fma_f64 v[122:123], -v[82:83], v[38:39], v[10:11]
	v_fma_f64 v[32:33], -v[2:3], v[24:25], v[32:33]
	;; [unrolled: 1-line block ×3, first 2 shown]
	v_mov_b32_e32 v38, s23
	s_lshl_b32 s25, s28, 3
	s_waitcnt lgkmcnt(7)
	v_fma_f64 v[104:105], -v[4:5], v[44:45], v[104:105]
	s_waitcnt lgkmcnt(6)
	v_fma_f64 v[50:51], -v[14:15], v[50:51], v[112:113]
	v_fma_f64 v[70:71], -v[12:13], v[70:71], v[114:115]
	s_waitcnt lgkmcnt(5)
	v_fma_f64 v[54:55], -v[18:19], v[54:55], v[72:73]
	v_fma_f64 v[72:73], -v[16:17], v[46:47], v[116:117]
	v_fma_f64 v[68:69], -v[30:31], v[68:69], v[118:119]
	v_fma_f64 v[106:107], -v[28:29], v[62:63], v[108:109]
	s_waitcnt lgkmcnt(4)
	v_fma_f64 v[108:109], -v[22:23], v[58:59], v[60:61]
	v_mov_b32_e32 v62, s25
	v_fma_f64 v[110:111], v[8:9], s[4:5], -v[110:111]
	v_mov_b32_e32 v8, s22
	s_add_i32 s22, s14, 0xfffffe40
	v_fma_f64 v[112:113], -v[20:21], v[40:41], v[64:65]
	v_mov_b32_e32 v24, s22
	ds_load_2addr_b64 v[38:41], v38 offset1:1
	ds_load_2addr_b64 v[8:11], v8 offset1:1
	s_sub_i32 s22, s2, 25
	s_add_i32 s25, s15, 0x1340
	ds_load_2addr_b64 v[24:27], v24 offset1:1
	s_add_i32 s23, s3, s22
	s_add_i32 s28, s14, 0xfffffd60
	s_lshl_b32 s23, s23, 3
	v_mov_b32_e32 v44, s26
	v_mov_b32_e32 v58, s28
	ds_load_2addr_b64 v[44:47], v44 offset1:1
	ds_load_2addr_b64 v[58:61], v58 offset1:1
	;; [unrolled: 1-line block ×3, first 2 shown]
	v_fma_f64 v[116:117], -v[4:5], v[42:43], v[102:103]
	s_add_i32 s11, s23, 0xfffff740
	s_add_i32 s22, s22, s27
	s_waitcnt lgkmcnt(6)
	v_fma_f64 v[114:115], -v[2:3], v[100:101], v[122:123]
	v_fma_f64 v[32:33], -v[0:1], v[86:87], v[32:33]
	s_waitcnt lgkmcnt(4)
	v_fma_f64 v[88:89], -v[6:7], v[10:11], v[88:89]
	v_fma_f64 v[118:119], -v[14:15], v[48:49], v[104:105]
	;; [unrolled: 3-line block ×3, first 2 shown]
	v_fma_f64 v[96:97], -v[16:17], v[96:97], v[54:55]
	v_fma_f64 v[124:125], -v[30:31], v[66:67], v[72:73]
	;; [unrolled: 1-line block ×5, first 2 shown]
	v_mov_b32_e32 v40, s25
	v_fma_f64 v[36:37], -v[82:83], v[36:37], v[110:111]
	s_add_i32 s25, s23, 0xffffff20
	v_mov_b32_e32 v52, s9
	v_mul_f64 v[10:11], v[84:85], v[112:113]
	s_add_i32 s9, s24, 0xfffff820
	v_mov_b32_e32 v48, s25
	v_mov_b32_e32 v66, s9
	ds_load_2addr_b64 v[40:43], v40 offset1:1
	ds_load_2addr_b64 v[52:55], v52 offset1:1
	s_add_i32 s9, s20, 0xfffffac0
	ds_load_2addr_b64 v[48:51], v48 offset1:1
	ds_load_2addr_b64 v[66:69], v66 offset1:1
	v_mov_b32_e32 v84, s9
	s_add_i32 s9, s14, 0xfffffc80
	v_mov_b32_e32 v70, s19
	s_add_i32 s19, s23, 0xfffffe40
	s_add_i32 s24, s15, 0x1260
	v_mov_b32_e32 v100, s19
	v_mov_b32_e32 v104, s24
	ds_load_2addr_b64 v[70:73], v70 offset1:1
	ds_load_2addr_b64 v[84:87], v84 offset1:1
	ds_load_2addr_b64 v[100:103], v100 offset1:1
	ds_load_2addr_b64 v[104:107], v104 offset1:1
	s_add_i32 s19, s29, 0xfffff820
	s_add_i32 s24, s14, 0xfffffba0
	v_fma_f64 v[8:9], -v[6:7], v[8:9], v[32:33]
	s_waitcnt lgkmcnt(8)
	v_fma_f64 v[32:33], -v[4:5], v[64:65], v[88:89]
	s_waitcnt lgkmcnt(7)
	v_fma_f64 v[42:43], -v[0:1], v[42:43], v[114:115]
	v_mov_b32_e32 v88, s24
	v_fma_f64 v[64:65], -v[12:13], v[24:25], v[118:119]
	s_waitcnt lgkmcnt(5)
	v_fma_f64 v[50:51], -v[14:15], v[50:51], v[116:117]
	v_fma_f64 v[60:61], -v[18:19], v[60:61], v[26:27]
	v_fma_f64 v[94:95], -v[16:17], v[94:95], v[122:123]
	v_fma_f64 v[96:97], -v[30:31], v[54:55], v[96:97]
	v_fma_f64 v[108:109], -v[28:29], v[38:39], v[124:125]
	v_fma_f64 v[46:47], -v[22:23], v[46:47], v[126:127]
	v_fma_f64 v[110:111], -v[20:21], v[90:91], v[56:57]
	v_mov_b32_e32 v24, s9
	s_add_i32 s9, s29, 0xfffff900
	v_mov_b32_e32 v54, s19
	s_add_i32 s19, s23, 0xfffffd60
	s_waitcnt lgkmcnt(4)
	v_fma_f64 v[68:69], -v[10:11], v[68:69], v[92:93]
	v_fma_f64 v[92:93], -v[2:3], v[98:99], v[36:37]
	v_mov_b32_e32 v36, s9
	ds_load_2addr_b64 v[24:27], v24 offset1:1
	s_sub_i32 s9, s2, 27
	s_add_i32 s24, s15, 0x1180
	s_add_i32 s3, s3, s9
	ds_load_2addr_b64 v[36:39], v36 offset1:1
	s_lshl_b32 s3, s3, 3
	ds_load_2addr_b64 v[54:57], v54 offset1:1
	ds_load_2addr_b64 v[88:91], v88 offset1:1
	s_add_i32 s25, s3, 0xffffff20
	s_add_i32 s9, s9, s6
	v_fma_f64 v[32:33], -v[14:15], v[48:49], v[32:33]
	s_waitcnt lgkmcnt(4)
	v_fma_f64 v[98:99], -v[6:7], v[106:107], v[42:43]
	v_fma_f64 v[106:107], -v[4:5], v[62:63], v[8:9]
	;; [unrolled: 1-line block ×4, first 2 shown]
	s_waitcnt lgkmcnt(3)
	v_fma_f64 v[26:27], -v[16:17], v[26:27], v[60:61]
	v_fma_f64 v[94:95], -v[30:31], v[52:53], v[94:95]
	;; [unrolled: 1-line block ×4, first 2 shown]
	s_waitcnt lgkmcnt(2)
	v_fma_f64 v[108:109], -v[20:21], v[38:39], v[46:47]
	v_fma_f64 v[66:67], -v[10:11], v[66:67], v[110:111]
	v_mov_b32_e32 v46, s19
	s_add_i32 s19, s20, 0xfffff9e0
	v_mov_b32_e32 v38, s24
	v_mov_b32_e32 v42, s25
	v_mul_f64 v[8:9], v[72:73], v[68:69]
	v_fma_f64 v[68:69], -v[0:1], v[40:41], v[92:93]
	v_mov_b32_e32 v50, s19
	ds_load_2addr_b64 v[38:41], v38 offset1:1
	ds_load_2addr_b64 v[42:45], v42 offset1:1
	;; [unrolled: 1-line block ×4, first 2 shown]
	s_add_i32 s19, s7, 0xffffe788
	s_add_i32 s24, s20, 0xfffff900
	v_mov_b32_e32 v72, s19
	s_add_i32 s19, s3, 0xfffffe40
	v_mov_b32_e32 v58, s24
	s_add_i32 s24, s14, 0xfffffac0
	s_add_i32 s25, s23, 0xfffffc80
	s_delay_alu instid0(SALU_CYCLE_1)
	v_mov_b32_e32 v62, s25
	ds_load_2addr_b64 v[58:61], v58 offset1:1
	ds_load_2addr_b64 v[62:65], v62 offset1:1
	ds_load_b64 v[110:111], v72
	s_add_i32 s25, s3, 0xfffffd60
	v_fma_f64 v[32:33], -v[12:13], v[100:101], v[32:33]
	s_waitcnt lgkmcnt(6)
	v_fma_f64 v[40:41], -v[4:5], v[40:41], v[98:99]
	s_waitcnt lgkmcnt(5)
	v_fma_f64 v[44:45], -v[14:15], v[44:45], v[106:107]
	v_fma_f64 v[98:99], -v[16:17], v[24:25], v[112:113]
	s_waitcnt lgkmcnt(4)
	v_fma_f64 v[48:49], -v[18:19], v[48:49], v[102:103]
	v_fma_f64 v[100:101], -v[30:31], v[90:91], v[26:27]
	v_fma_f64 v[102:103], -v[28:29], v[84:85], v[94:95]
	s_waitcnt lgkmcnt(3)
	v_fma_f64 v[52:53], -v[22:23], v[52:53], v[86:87]
	v_fma_f64 v[36:37], -v[20:21], v[36:37], v[96:97]
	;; [unrolled: 1-line block ×3, first 2 shown]
	v_mov_b32_e32 v24, s19
	s_add_i32 s19, s7, 0xfffff098
	v_mov_b32_e32 v94, s25
	v_fma_f64 v[106:107], -v[8:9], v[70:71], v[66:67]
	v_fma_f64 v[104:105], -v[6:7], v[104:105], v[68:69]
	v_mov_b32_e32 v70, s19
	s_add_i32 s19, s29, 0xfffff740
	s_delay_alu instid0(SALU_CYCLE_1)
	v_dual_mov_b32 v66, s24 :: v_dual_mov_b32 v71, s19
	ds_load_2addr_b64 v[24:27], v24 offset1:1
	ds_load_2addr_b64 v[66:69], v66 offset1:1
	ds_load_b64 v[108:109], v70
	ds_load_2addr_b64 v[70:73], v71 offset1:1
	s_add_i32 s19, s29, 0xfffff660
	s_add_i32 s24, s14, 0xfffff9e0
	v_mov_b32_e32 v84, s19
	s_add_i32 s19, s23, 0xfffffba0
	v_mov_b32_e32 v90, s24
	ds_load_2addr_b64 v[84:87], v84 offset1:1
	ds_load_2addr_b64 v[90:93], v90 offset1:1
	;; [unrolled: 1-line block ×3, first 2 shown]
	s_add_i32 s24, s23, 0xfffffac0
	v_fma_f64 v[32:33], -v[18:19], v[46:47], v[32:33]
	v_fma_f64 v[112:113], -v[14:15], v[42:43], v[40:41]
	s_waitcnt lgkmcnt(6)
	v_fma_f64 v[114:115], -v[12:13], v[26:27], v[44:45]
	v_fma_f64 v[64:65], -v[16:17], v[64:65], v[48:49]
	;; [unrolled: 1-line block ×3, first 2 shown]
	s_waitcnt lgkmcnt(5)
	v_fma_f64 v[68:69], -v[28:29], v[68:69], v[100:101]
	v_fma_f64 v[98:99], -v[22:23], v[50:51], v[102:103]
	;; [unrolled: 1-line block ×4, first 2 shown]
	s_waitcnt lgkmcnt(3)
	v_fma_f64 v[56:57], -v[8:9], v[72:73], v[56:57]
	v_mov_b32_e32 v36, s19
	s_add_i32 s19, s20, 0xfffff820
	v_add_nc_u32_e64 v44, 0xc00, s15
	v_mov_b32_e32 v40, s19
	v_mul_f64 v[26:27], v[108:109], v[106:107]
	v_fma_f64 v[72:73], -v[4:5], v[38:39], v[104:105]
	ds_load_2addr_b64 v[36:39], v36 offset1:1
	ds_load_2addr_b64 v[40:43], v40 offset1:1
	ds_load_2addr_b64 v[44:47], v44 offset0:120 offset1:148
	s_add_i32 s19, s20, 0xfffff740
	v_mov_b32_e32 v52, s24
	v_mov_b32_e32 v48, s19
	s_add_i32 s19, s3, 0xfffffc80
	ds_load_2addr_b64 v[48:51], v48 offset1:1
	ds_load_2addr_b64 v[52:55], v52 offset1:1
	v_fma_f64 v[32:33], -v[16:17], v[62:63], v[32:33]
	v_fma_f64 v[24:25], -v[12:13], v[24:25], v[112:113]
	s_waitcnt lgkmcnt(5)
	v_fma_f64 v[96:97], -v[18:19], v[96:97], v[114:115]
	s_waitcnt lgkmcnt(4)
	v_fma_f64 v[38:39], -v[30:31], v[38:39], v[64:65]
	v_fma_f64 v[102:103], -v[28:29], v[66:67], v[88:89]
	;; [unrolled: 1-line block ×4, first 2 shown]
	s_waitcnt lgkmcnt(3)
	v_fma_f64 v[42:43], -v[10:11], v[42:43], v[60:61]
	v_fma_f64 v[100:101], -v[8:9], v[70:71], v[100:101]
	v_mov_b32_e32 v64, s10
	s_add_i32 s10, s14, 0xfffff820
	s_delay_alu instid0(SALU_CYCLE_1)
	v_mov_b32_e32 v68, s10
	s_add_i32 s10, s23, 0xfffff9e0
	v_fma_f64 v[104:105], -v[26:27], v[86:87], v[56:57]
	s_waitcnt lgkmcnt(2)
	v_fma_f64 v[46:47], -v[14:15], v[46:47], v[72:73]
	v_mov_b32_e32 v56, s19
	s_add_i32 s19, s14, 0xfffff900
	s_delay_alu instid0(SALU_CYCLE_1)
	v_mov_b32_e32 v60, s19
	s_add_i32 s19, s3, 0xfffffba0
	ds_load_2addr_b64 v[56:59], v56 offset1:1
	ds_load_2addr_b64 v[60:63], v60 offset1:1
	;; [unrolled: 1-line block ×3, first 2 shown]
	v_mov_b32_e32 v72, s19
	ds_load_2addr_b64 v[68:71], v68 offset1:1
	ds_load_2addr_b64 v[86:89], v72 offset1:1
	s_add_i32 s19, s23, 0xfffff900
	v_fma_f64 v[32:33], -v[30:31], v[36:37], v[32:33]
	v_fma_f64 v[72:73], -v[18:19], v[94:95], v[24:25]
	v_mov_b32_e32 v36, s10
	s_add_i32 s10, s20, 0xfffff660
	s_waitcnt lgkmcnt(4)
	v_fma_f64 v[58:59], -v[16:17], v[58:59], v[96:97]
	v_fma_f64 v[54:55], -v[28:29], v[54:55], v[38:39]
	;; [unrolled: 1-line block ×3, first 2 shown]
	s_waitcnt lgkmcnt(3)
	v_fma_f64 v[62:63], -v[20:21], v[62:63], v[92:93]
	v_fma_f64 v[98:99], -v[10:11], v[40:41], v[98:99]
	;; [unrolled: 1-line block ×4, first 2 shown]
	v_mov_b32_e32 v40, s10
	ds_load_2addr_b64 v[36:39], v36 offset1:1
	s_add_i32 s10, s20, 0xfffff580
	v_mov_b32_e32 v94, s19
	s_waitcnt lgkmcnt(3)
	v_mul_f64 v[24:25], v[66:67], v[104:105]
	v_fma_f64 v[66:67], -v[12:13], v[44:45], v[46:47]
	v_add_nc_u32_e64 v104, 0x800, s15
	ds_load_2addr_b64 v[40:43], v40 offset1:1
	ds_load_2addr_b64 v[44:47], v104 offset0:192 offset1:220
	v_mov_b32_e32 v90, s10
	s_add_i32 s10, s3, 0xfffffac0
	ds_load_2addr_b64 v[90:93], v90 offset1:1
	ds_load_2addr_b64 v[94:97], v94 offset1:1
	s_add_i32 s19, s3, 0xfffff9e0
	v_fma_f64 v[32:33], -v[28:29], v[52:53], v[32:33]
	v_fma_f64 v[72:73], -v[16:17], v[56:57], v[72:73]
	s_waitcnt lgkmcnt(5)
	v_fma_f64 v[88:89], -v[30:31], v[88:89], v[58:59]
	s_waitcnt lgkmcnt(4)
	v_fma_f64 v[38:39], -v[22:23], v[38:39], v[54:55]
	v_fma_f64 v[100:101], -v[20:21], v[60:61], v[102:103]
	v_fma_f64 v[62:63], -v[10:11], v[70:71], v[62:63]
	v_fma_f64 v[70:71], -v[8:9], v[48:49], v[98:99]
	s_waitcnt lgkmcnt(3)
	v_fma_f64 v[42:43], -v[26:27], v[42:43], v[50:51]
	v_mov_b32_e32 v58, s19
	v_fma_f64 v[64:65], -v[24:25], v[64:65], v[84:85]
	s_waitcnt lgkmcnt(2)
	v_fma_f64 v[66:67], -v[18:19], v[46:47], v[66:67]
	v_mov_b32_e32 v46, s10
	s_add_i32 s10, s14, 0xfffff740
	s_delay_alu instid0(SALU_CYCLE_1) | instskip(SKIP_3) | instid1(SALU_CYCLE_1)
	v_mov_b32_e32 v50, s10
	ds_load_2addr_b64 v[46:49], v46 offset1:1
	ds_load_2addr_b64 v[50:53], v50 offset1:1
	s_add_i32 s10, s14, 0xfffff660
	v_mov_b32_e32 v54, s10
	s_add_i32 s10, s23, 0xfffff820
	ds_load_2addr_b64 v[54:57], v54 offset1:1
	ds_load_2addr_b64 v[58:61], v58 offset1:1
	v_fma_f64 v[32:33], -v[22:23], v[36:37], v[32:33]
	v_fma_f64 v[84:85], -v[30:31], v[86:87], v[72:73]
	v_mov_b32_e32 v36, s10
	s_add_i32 s10, s20, 0xfffff4a0
	s_waitcnt lgkmcnt(3)
	v_fma_f64 v[48:49], -v[28:29], v[48:49], v[88:89]
	v_fma_f64 v[86:87], -v[20:21], v[96:97], v[38:39]
	;; [unrolled: 1-line block ×3, first 2 shown]
	s_waitcnt lgkmcnt(2)
	v_fma_f64 v[52:53], -v[8:9], v[52:53], v[62:63]
	v_fma_f64 v[96:97], -v[26:27], v[40:41], v[70:71]
	;; [unrolled: 1-line block ×3, first 2 shown]
	v_mov_b32_e32 v40, s10
	s_lshl_b32 s10, s13, 3
	v_mov_b32_e32 v70, s11
	s_add_i32 s11, s3, 0xfffff820
	v_mul_f64 v[34:35], v[34:35], v[64:65]
	v_fma_f64 v[44:45], -v[16:17], v[44:45], v[66:67]
	ds_load_2addr_b64 v[36:39], v36 offset1:1
	ds_load_2addr_b64 v[40:43], v40 offset1:1
	ds_load_2addr_b64 v[62:65], v104 offset0:136 offset1:164
	v_mov_b32_e32 v66, s10
	s_add_i32 s10, s3, 0xfffff900
	ds_load_2addr_b64 v[66:69], v66 offset1:1
	ds_load_2addr_b64 v[70:73], v70 offset1:1
	v_fma_f64 v[32:33], -v[20:21], v[94:95], v[32:33]
	v_fma_f64 v[98:99], -v[28:29], v[46:47], v[84:85]
	v_mov_b32_e32 v84, s11
	s_add_i32 s11, s14, 0xfffff3c0
	s_waitcnt lgkmcnt(5)
	v_fma_f64 v[60:61], -v[22:23], v[60:61], v[48:49]
	s_waitcnt lgkmcnt(4)
	v_fma_f64 v[38:39], -v[10:11], v[38:39], v[86:87]
	v_fma_f64 v[88:89], -v[8:9], v[50:51], v[88:89]
	;; [unrolled: 1-line block ×4, first 2 shown]
	s_waitcnt lgkmcnt(3)
	v_fma_f64 v[92:93], -v[34:35], v[42:43], v[92:93]
	s_waitcnt lgkmcnt(2)
	v_fma_f64 v[64:65], -v[30:31], v[64:65], v[44:45]
	v_mov_b32_e32 v42, s10
	s_add_i32 s10, s14, 0xfffff580
	s_delay_alu instid0(SALU_CYCLE_1) | instskip(SKIP_3) | instid1(SALU_CYCLE_1)
	v_mov_b32_e32 v46, s10
	ds_load_2addr_b64 v[42:45], v42 offset1:1
	ds_load_2addr_b64 v[46:49], v46 offset1:1
	s_add_i32 s10, s14, 0xfffff4a0
	v_mov_b32_e32 v50, s10
	s_add_i32 s10, s23, 0xfffff660
	ds_load_2addr_b64 v[50:53], v50 offset1:1
	ds_load_2addr_b64 v[84:87], v84 offset1:1
	v_fma_f64 v[96:97], -v[10:11], v[36:37], v[32:33]
	v_fma_f64 v[94:95], -v[22:23], v[58:59], v[98:99]
	v_mov_b32_e32 v36, s10
	s_add_i32 s10, s23, 0xfffff580
	s_waitcnt lgkmcnt(3)
	v_fma_f64 v[44:45], -v[20:21], v[44:45], v[60:61]
	v_fma_f64 v[72:73], -v[8:9], v[72:73], v[38:39]
	;; [unrolled: 1-line block ×3, first 2 shown]
	s_waitcnt lgkmcnt(2)
	v_fma_f64 v[48:49], -v[24:25], v[48:49], v[56:57]
	v_fma_f64 v[40:41], -v[34:35], v[40:41], v[90:91]
	ds_load_2addr_b64 v[36:39], v36 offset1:1
	ds_load_2addr_b64 v[54:57], v104 offset0:80 offset1:108
	v_mov_b32_e32 v58, s10
	s_add_i32 s10, s3, 0xfffff740
	v_mul_f64 v[32:33], v[68:69], v[92:93]
	v_fma_f64 v[62:63], -v[28:29], v[62:63], v[64:65]
	ds_load_2addr_b64 v[58:61], v58 offset1:1
	v_fma_f64 v[70:71], -v[8:9], v[70:71], v[96:97]
	v_fma_f64 v[68:69], -v[20:21], v[42:43], v[94:95]
	v_mov_b32_e32 v42, s11
	s_add_i32 s11, s3, 0xfffff660
	s_waitcnt lgkmcnt(3)
	v_fma_f64 v[86:87], -v[10:11], v[86:87], v[44:45]
	s_waitcnt lgkmcnt(2)
	v_fma_f64 v[72:73], -v[26:27], v[38:39], v[72:73]
	v_fma_f64 v[88:89], -v[24:25], v[46:47], v[88:89]
	;; [unrolled: 1-line block ×3, first 2 shown]
	v_mov_b32_e32 v38, s10
	s_add_i32 s10, s7, 0xffffecf8
	s_delay_alu instid0(SALU_CYCLE_1)
	v_mov_b32_e32 v46, s10
	s_add_i32 s10, s14, 0xfffff2e0
	v_fma_f64 v[66:67], -v[32:33], v[66:67], v[40:41]
	s_waitcnt lgkmcnt(1)
	v_fma_f64 v[56:57], -v[22:23], v[56:57], v[62:63]
	ds_load_2addr_b64 v[38:41], v38 offset1:1
	ds_load_2addr_b64 v[42:45], v42 offset1:1
	ds_load_b64 v[90:91], v46
	v_mov_b32_e32 v46, s10
	s_add_i32 s10, s23, 0xfffff4a0
	v_mov_b32_e32 v62, s11
	ds_load_2addr_b64 v[46:49], v46 offset1:1
	ds_load_2addr_b64 v[62:65], v62 offset1:1
	v_fma_f64 v[36:37], -v[26:27], v[36:37], v[70:71]
	v_fma_f64 v[84:85], -v[10:11], v[84:85], v[68:69]
	s_waitcnt lgkmcnt(4)
	v_fma_f64 v[86:87], -v[8:9], v[40:41], v[86:87]
	v_fma_f64 v[60:61], -v[24:25], v[60:61], v[72:73]
	;; [unrolled: 1-line block ×3, first 2 shown]
	s_waitcnt lgkmcnt(3)
	v_fma_f64 v[44:45], -v[32:33], v[44:45], v[52:53]
	v_mov_b32_e32 v50, s10
	s_add_i32 s10, s23, 0xfffff3c0
	s_waitcnt lgkmcnt(2)
	v_mul_f64 v[40:41], v[90:91], v[66:67]
	v_fma_f64 v[72:73], -v[20:21], v[54:55], v[56:57]
	ds_load_2addr_b64 v[50:53], v50 offset1:1
	ds_load_2addr_b64 v[54:57], v104 offset0:24 offset1:52
	v_mov_b32_e32 v66, s10
	s_add_i32 s10, s3, 0xfffff580
	ds_load_2addr_b64 v[66:69], v66 offset1:1
	v_fma_f64 v[84:85], -v[8:9], v[38:39], v[84:85]
	s_waitcnt lgkmcnt(3)
	v_fma_f64 v[64:65], -v[26:27], v[64:65], v[86:87]
	v_fma_f64 v[86:87], -v[24:25], v[58:59], v[36:37]
	s_waitcnt lgkmcnt(2)
	v_fma_f64 v[52:53], -v[34:35], v[52:53], v[60:61]
	v_fma_f64 v[60:61], -v[32:33], v[42:43], v[70:71]
	v_mov_b32_e32 v36, s10
	v_mov_b32_e32 v42, s8
	s_add_i32 s8, s3, 0xfffff4a0
	s_add_i32 s10, s7, 0xffffe958
	v_fma_f64 v[48:49], -v[40:41], v[48:49], v[44:45]
	s_waitcnt lgkmcnt(1)
	v_fma_f64 v[70:71], -v[10:11], v[56:57], v[72:73]
	ds_load_2addr_b64 v[36:39], v36 offset1:1
	ds_load_2addr_b64 v[42:45], v42 offset1:1
	v_mov_b32_e32 v56, s8
	s_add_i32 s8, s23, 0xfffff2e0
	ds_load_2addr_b64 v[56:59], v56 offset1:1
	v_fma_f64 v[62:63], -v[26:27], v[62:63], v[84:85]
	s_waitcnt lgkmcnt(2)
	v_fma_f64 v[64:65], -v[24:25], v[38:39], v[64:65]
	v_fma_f64 v[72:73], -v[34:35], v[50:51], v[86:87]
	;; [unrolled: 1-line block ×4, first 2 shown]
	v_mov_b32_e32 v86, s15
	s_waitcnt lgkmcnt(1)
	v_mul_f64 v[38:39], v[44:45], v[48:49]
	v_fma_f64 v[70:71], -v[8:9], v[54:55], v[70:71]
	v_mov_b32_e32 v44, s8
	ds_load_2addr_b64 v[44:47], v44 offset1:1
	ds_load_2addr_b64 v[48:51], v86 offset0:224 offset1:252
	s_add_i32 s8, s23, 0xfffff200
	s_delay_alu instid0(SALU_CYCLE_1)
	v_mov_b32_e32 v52, s8
	s_add_i32 s8, s3, 0xfffff3c0
	ds_load_2addr_b64 v[52:55], v52 offset1:1
	v_fma_f64 v[36:37], -v[24:25], v[36:37], v[62:63]
	s_waitcnt lgkmcnt(3)
	v_fma_f64 v[84:85], -v[34:35], v[58:59], v[64:65]
	v_fma_f64 v[66:67], -v[32:33], v[66:67], v[72:73]
	s_waitcnt lgkmcnt(2)
	v_fma_f64 v[46:47], -v[40:41], v[46:47], v[68:69]
	v_mov_b32_e32 v58, s8
	s_add_i32 s8, s3, 0xfffff2e0
	s_delay_alu instid0(SALU_CYCLE_1)
	v_mov_b32_e32 v62, s8
	s_add_i32 s8, s23, 0xfffff120
	v_fma_f64 v[42:43], -v[38:39], v[42:43], v[60:61]
	ds_load_2addr_b64 v[58:61], v58 offset1:1
	s_waitcnt lgkmcnt(2)
	v_fma_f64 v[50:51], -v[26:27], v[50:51], v[70:71]
	ds_load_2addr_b64 v[62:65], v62 offset1:1
	v_fma_f64 v[36:37], -v[34:35], v[56:57], v[36:37]
	s_waitcnt lgkmcnt(1)
	v_fma_f64 v[60:61], -v[32:33], v[60:61], v[84:85]
	v_fma_f64 v[70:71], -v[40:41], v[44:45], v[66:67]
	v_fma_f64 v[72:73], -v[38:39], v[54:55], v[46:47]
	v_mov_b32_e32 v46, s8
	s_lshl_b32 s8, s22, 3
	v_mul_f64 v[44:45], v[120:121], v[42:43]
	v_fma_f64 v[42:43], -v[24:25], v[48:49], v[50:51]
	ds_load_2addr_b64 v[46:49], v46 offset1:1
	ds_load_2addr_b64 v[54:57], v86 offset0:168 offset1:196
	v_mov_b32_e32 v50, s8
	s_add_i32 s8, s3, 0xfffff200
	ds_load_2addr_b64 v[66:69], v50 offset1:1
	v_fma_f64 v[36:37], -v[32:33], v[58:59], v[36:37]
	s_waitcnt lgkmcnt(3)
	v_fma_f64 v[60:61], -v[40:41], v[64:65], v[60:61]
	v_fma_f64 v[52:53], -v[38:39], v[52:53], v[70:71]
	s_waitcnt lgkmcnt(2)
	v_fma_f64 v[64:65], -v[44:45], v[48:49], v[72:73]
	s_waitcnt lgkmcnt(1)
	v_fma_f64 v[70:71], -v[34:35], v[56:57], v[42:43]
	v_mov_b32_e32 v42, s8
	s_add_i32 s8, s3, 0xfffff120
	ds_load_2addr_b64 v[48:51], v42 offset1:1
	v_mov_b32_e32 v42, s8
	s_add_i32 s8, s3, 0xfffff040
	s_addk_i32 s3, 0xef60
	ds_load_2addr_b64 v[56:59], v42 offset1:1
	v_fma_f64 v[36:37], -v[40:41], v[62:63], v[36:37]
	s_waitcnt lgkmcnt(1)
	v_fma_f64 v[60:61], -v[38:39], v[50:51], v[60:61]
	v_fma_f64 v[46:47], -v[44:45], v[46:47], v[52:53]
	ds_load_2addr_b64 v[50:53], v86 offset0:112 offset1:140
	v_mul_f64 v[42:43], v[68:69], v[64:65]
	v_fma_f64 v[54:55], -v[32:33], v[54:55], v[70:71]
	v_fma_f64 v[36:37], -v[38:39], v[48:49], v[36:37]
	s_waitcnt lgkmcnt(1)
	v_fma_f64 v[58:59], -v[44:45], v[58:59], v[60:61]
	s_delay_alu instid0(VALU_DEP_4)
	v_fma_f64 v[60:61], -v[42:43], v[66:67], v[46:47]
	v_mov_b32_e32 v46, s8
	s_waitcnt lgkmcnt(0)
	v_fma_f64 v[62:63], -v[40:41], v[52:53], v[54:55]
	v_mov_b32_e32 v52, s10
	ds_load_2addr_b64 v[46:49], v46 offset1:1
	ds_load_b64 v[64:65], v52
	v_mov_b32_e32 v52, s3
	s_lshl_b32 s3, s9, 3
	ds_load_2addr_b64 v[52:55], v52 offset1:1
	v_fma_f64 v[36:37], -v[44:45], v[56:57], v[36:37]
	s_waitcnt lgkmcnt(2)
	v_fma_f64 v[66:67], -v[42:43], v[48:49], v[58:59]
	ds_load_2addr_b64 v[56:59], v86 offset0:56 offset1:84
	s_waitcnt lgkmcnt(2)
	v_mul_f64 v[48:49], v[64:65], v[60:61]
	v_fma_f64 v[50:51], -v[38:39], v[50:51], v[62:63]
	v_fma_f64 v[36:37], -v[42:43], v[46:47], v[36:37]
	s_waitcnt lgkmcnt(1)
	s_delay_alu instid0(VALU_DEP_3) | instskip(SKIP_2) | instid1(VALU_DEP_4)
	v_fma_f64 v[46:47], -v[48:49], v[54:55], v[66:67]
	v_mov_b32_e32 v54, s3
	s_waitcnt lgkmcnt(0)
	v_fma_f64 v[50:51], -v[44:45], v[58:59], v[50:51]
	s_add_i32 s3, s15, 0xffffff20
	ds_load_2addr_b64 v[58:61], v54 offset1:1
	v_fma_f64 v[36:37], -v[48:49], v[52:53], v[36:37]
	s_waitcnt lgkmcnt(0)
	v_mul_f64 v[46:47], v[60:61], v[46:47]
	v_fma_f64 v[54:55], -v[42:43], v[56:57], v[50:51]
	ds_load_2addr_b64 v[50:53], v86 offset1:28
	v_fma_f64 v[36:37], -v[46:47], v[58:59], v[36:37]
	s_waitcnt lgkmcnt(0)
	v_fma_f64 v[54:55], -v[48:49], v[52:53], v[54:55]
	s_delay_alu instid0(VALU_DEP_2) | instskip(NEXT) | instid1(VALU_DEP_2)
	v_mul_f64 v[52:53], v[110:111], v[36:37]
	v_fma_f64 v[36:37], -v[46:47], v[50:51], v[54:55]
	v_mov_b32_e32 v50, s3
	s_add_i32 s3, s7, 0xffffe6a0
	ds_load_b64 v[50:51], v50
	s_waitcnt lgkmcnt(0)
	v_fma_f64 v[36:37], -v[52:53], v[50:51], v[36:37]
	v_mov_b32_e32 v50, s3
	s_ashr_i32 s3, s2, 31
	s_delay_alu instid0(SALU_CYCLE_1)
	s_lshl_b64 s[6:7], s[2:3], 3
	ds_load_b64 v[50:51], v50
	s_waitcnt lgkmcnt(0)
	v_mul_f64 v[50:51], v[50:51], v[36:37]
	v_add_co_u32 v36, vcc_lo, v74, s6
	v_add_co_ci_u32_e32 v37, vcc_lo, s7, v75, vcc_lo
	s_sub_i32 s6, s2, 29
	s_clause 0xe
	global_store_b64 v[78:79], v[80:81], off
	global_store_b64 v[36:37], v[82:83], off offset:-16
	global_store_b128 v[36:37], v[0:3], off offset:-32
	global_store_b128 v[36:37], v[4:7], off offset:-48
	;; [unrolled: 1-line block ×13, first 2 shown]
.LBB98_35:
	s_cmp_gt_i32 s6, -1
	s_cbranch_scc0 .LBB98_54
; %bb.36:
	s_cmp_lt_u32 s6, 23
	s_cbranch_scc1 .LBB98_41
; %bb.37:
	s_mov_b32 s7, 0
	s_delay_alu instid0(SALU_CYCLE_1)
	s_lshl_b64 s[8:9], s[6:7], 3
	s_cmp_le_i32 s12, s6
	v_add_co_u32 v20, vcc_lo, v74, s8
	v_add_co_ci_u32_e32 v21, vcc_lo, s9, v75, vcc_lo
	s_clause 0xb
	global_load_b128 v[0:3], v[20:21], off offset:-8
	global_load_b128 v[4:7], v[20:21], off offset:-24
	global_load_b128 v[8:11], v[20:21], off offset:-40
	global_load_b128 v[12:15], v[20:21], off offset:-56
	global_load_b128 v[16:19], v[20:21], off offset:-72
	global_load_b128 v[26:29], v[20:21], off offset:-88
	global_load_b128 v[30:33], v[20:21], off offset:-104
	global_load_b128 v[50:53], v[20:21], off offset:-120
	global_load_b128 v[54:57], v[20:21], off offset:-136
	global_load_b128 v[58:61], v[20:21], off offset:-152
	global_load_b128 v[62:65], v[20:21], off offset:-168
	global_load_b128 v[66:69], v[20:21], off offset:-184
	s_waitcnt vmcnt(11)
	v_mul_f64 v[22:23], v[2:3], s[4:5]
	v_mul_f64 v[48:49], v[0:1], s[4:5]
	s_waitcnt vmcnt(10)
	v_mul_f64 v[24:25], v[6:7], s[4:5]
	v_mul_f64 v[46:47], v[4:5], s[4:5]
	;; [unrolled: 3-line block ×12, first 2 shown]
	s_cbranch_scc1 .LBB98_40
; %bb.38:
	s_mul_i32 s3, s2, 0xe0
	s_lshl_b32 s7, s6, 3
	s_ashr_i32 s13, s12, 31
	s_add_i32 s3, s3, s7
	s_lshl_b64 s[8:9], s[12:13], 3
	s_addk_i32 s3, 0xfe68
	s_add_u32 s7, s16, s8
	s_addc_u32 s8, s17, s9
	s_add_u32 s7, s7, s0
	s_addc_u32 s8, s8, s1
	v_add_co_u32 v50, vcc_lo, s7, v76
	v_add_co_ci_u32_e32 v51, vcc_lo, s8, v77, vcc_lo
	s_mov_b32 s7, s12
.LBB98_39:                              ; =>This Inner Loop Header: Depth=1
	global_load_b64 v[72:73], v[50:51], off
	v_mov_b32_e32 v102, s3
	v_add_co_u32 v50, vcc_lo, v50, -8
	v_add_co_ci_u32_e32 v51, vcc_lo, -1, v51, vcc_lo
	ds_load_2addr_b64 v[52:55], v102 offset0:22 offset1:23
	ds_load_2addr_b64 v[56:59], v102 offset0:20 offset1:21
	;; [unrolled: 1-line block ×11, first 2 shown]
	ds_load_2addr_b64 v[102:105], v102 offset1:1
	s_add_i32 s7, s7, -1
	s_addk_i32 s3, 0xff20
	s_cmp_gt_i32 s7, s6
	s_waitcnt vmcnt(0) lgkmcnt(11)
	v_fma_f64 v[22:23], -v[72:73], v[54:55], v[22:23]
	v_fma_f64 v[48:49], -v[72:73], v[52:53], v[48:49]
	s_waitcnt lgkmcnt(10)
	v_fma_f64 v[24:25], -v[72:73], v[58:59], v[24:25]
	v_fma_f64 v[46:47], -v[72:73], v[56:57], v[46:47]
	s_waitcnt lgkmcnt(9)
	;; [unrolled: 3-line block ×11, first 2 shown]
	v_fma_f64 v[16:17], -v[72:73], v[104:105], v[16:17]
	v_fma_f64 v[26:27], -v[72:73], v[102:103], v[26:27]
	s_cbranch_scc1 .LBB98_39
.LBB98_40:
	s_mul_i32 s3, s6, 0xe8
	s_add_i32 s8, s6, -3
	s_add_i32 s7, s3, -8
	;; [unrolled: 1-line block ×3, first 2 shown]
	v_mov_b32_e32 v50, s7
	s_add_i32 s7, s3, 0xffffff18
	s_add_i32 s15, s6, -7
	v_mov_b32_e32 v54, s7
	s_mul_i32 s7, s6, 28
	ds_load_2addr_b64 v[50:53], v50 offset1:1
	s_add_i32 s9, s8, s7
	s_sub_i32 s10, s7, 28
	ds_load_b64 v[56:57], v54
	s_lshl_b32 s9, s9, 3
	s_add_i32 s13, s11, s7
	s_add_i32 s14, s15, s10
	s_lshl_b32 s13, s13, 3
	s_lshl_b32 s14, s14, 3
	s_add_i32 s22, s6, -9
	s_add_i32 s23, s6, -11
	;; [unrolled: 1-line block ×3, first 2 shown]
	s_add_i32 s19, s23, s10
	s_delay_alu instid0(SALU_CYCLE_1) | instskip(SKIP_2) | instid1(VALU_DEP_1)
	s_lshl_b32 s19, s19, 3
	s_waitcnt lgkmcnt(1)
	v_mul_f64 v[22:23], v[52:53], v[22:23]
	v_fma_f64 v[58:59], -v[22:23], v[50:51], v[48:49]
	v_mov_b32_e32 v48, s9
	s_add_i32 s9, s8, s10
	s_delay_alu instid0(SALU_CYCLE_1) | instskip(SKIP_3) | instid1(SALU_CYCLE_1)
	s_lshl_b32 s9, s9, 3
	ds_load_2addr_b64 v[48:51], v48 offset1:1
	v_mov_b32_e32 v52, s9
	s_sub_i32 s9, s7, 56
	s_add_i32 s8, s8, s9
	s_add_i32 s18, s15, s9
	ds_load_2addr_b64 v[52:55], v52 offset1:1
	s_lshl_b32 s8, s8, 3
	s_lshl_b32 s18, s18, 3
	s_add_i32 s27, s20, s9
	s_delay_alu instid0(SALU_CYCLE_1)
	s_lshl_b32 s27, s27, 3
	s_waitcnt lgkmcnt(1)
	v_fma_f64 v[50:51], -v[22:23], v[50:51], v[24:25]
	v_fma_f64 v[62:63], -v[22:23], v[48:49], v[46:47]
	v_mov_b32_e32 v46, s13
	s_add_i32 s13, s3, 0xfffffd48
	v_mul_f64 v[24:25], v[56:57], v[58:59]
	v_mov_b32_e32 v58, s13
	s_add_i32 s13, s11, s9
	s_delay_alu instid0(SALU_CYCLE_1) | instskip(SKIP_1) | instid1(VALU_DEP_2)
	s_lshl_b32 s13, s13, 3
	s_waitcnt lgkmcnt(0)
	v_fma_f64 v[50:51], -v[24:25], v[54:55], v[50:51]
	v_mov_b32_e32 v54, s8
	v_fma_f64 v[52:53], -v[24:25], v[52:53], v[62:63]
	s_add_i32 s8, s11, s10
	ds_load_2addr_b64 v[46:49], v46 offset1:1
	ds_load_2addr_b64 v[54:57], v54 offset1:1
	s_lshl_b32 s8, s8, 3
	s_delay_alu instid0(SALU_CYCLE_1) | instskip(SKIP_3) | instid1(SALU_CYCLE_1)
	v_mov_b32_e32 v59, s8
	ds_load_b64 v[64:65], v58
	ds_load_2addr_b64 v[58:61], v59 offset1:1
	s_add_i32 s8, s15, s7
	s_lshl_b32 s8, s8, 3
	s_waitcnt lgkmcnt(3)
	v_fma_f64 v[48:49], -v[22:23], v[48:49], v[2:3]
	s_waitcnt lgkmcnt(2)
	v_mul_f64 v[2:3], v[56:57], v[50:51]
	v_fma_f64 v[56:57], -v[22:23], v[46:47], v[44:45]
	v_mov_b32_e32 v44, s8
	s_waitcnt lgkmcnt(0)
	s_delay_alu instid0(VALU_DEP_4)
	v_fma_f64 v[66:67], -v[24:25], v[60:61], v[48:49]
	v_mov_b32_e32 v48, s13
	s_add_i32 s13, s7, 0xffffffac
	ds_load_2addr_b64 v[44:47], v44 offset1:1
	ds_load_2addr_b64 v[48:51], v48 offset1:1
	s_add_i32 s8, s11, s13
	v_mov_b32_e32 v60, s14
	s_lshl_b32 s8, s8, 3
	s_add_i32 s14, s22, s7
	s_delay_alu instid0(SALU_CYCLE_1)
	s_lshl_b32 s14, s14, 3
	v_fma_f64 v[68:69], -v[2:3], v[54:55], v[52:53]
	v_fma_f64 v[56:57], -v[24:25], v[58:59], v[56:57]
	v_mov_b32_e32 v52, s8
	s_add_i32 s8, s7, 0xffffff90
	ds_load_2addr_b64 v[52:55], v52 offset1:1
	ds_load_2addr_b64 v[60:63], v60 offset1:1
	s_add_i32 s11, s11, s8
	s_add_i32 s25, s23, s8
	s_waitcnt lgkmcnt(3)
	v_fma_f64 v[46:47], -v[22:23], v[46:47], v[0:1]
	v_fma_f64 v[58:59], -v[22:23], v[44:45], v[42:43]
	v_mov_b32_e32 v42, s14
	s_lshl_b32 s11, s11, 3
	s_add_i32 s14, s22, s10
	s_delay_alu instid0(SALU_CYCLE_1)
	s_lshl_b32 s14, s14, 3
	s_waitcnt lgkmcnt(2)
	v_fma_f64 v[50:51], -v[2:3], v[50:51], v[66:67]
	v_mov_b32_e32 v66, s14
	s_add_i32 s14, s15, s8
	v_mul_f64 v[0:1], v[64:65], v[68:69]
	v_fma_f64 v[72:73], -v[2:3], v[48:49], v[56:57]
	s_waitcnt lgkmcnt(0)
	v_fma_f64 v[70:71], -v[24:25], v[62:63], v[46:47]
	v_mov_b32_e32 v46, s18
	v_fma_f64 v[58:59], -v[24:25], v[60:61], v[58:59]
	s_add_i32 s18, s22, s9
	s_delay_alu instid0(SALU_CYCLE_1)
	s_lshl_b32 s18, s18, 3
	v_fma_f64 v[50:51], -v[0:1], v[54:55], v[50:51]
	v_mov_b32_e32 v54, s11
	v_fma_f64 v[52:53], -v[0:1], v[52:53], v[72:73]
	ds_load_2addr_b64 v[42:45], v42 offset1:1
	ds_load_2addr_b64 v[46:49], v46 offset1:1
	;; [unrolled: 1-line block ×3, first 2 shown]
	s_add_i32 s11, s3, 0xfffffb78
	s_delay_alu instid0(SALU_CYCLE_1) | instskip(SKIP_1) | instid1(SALU_CYCLE_1)
	v_mov_b32_e32 v62, s11
	s_add_i32 s11, s15, s13
	s_lshl_b32 s11, s11, 3
	s_delay_alu instid0(SALU_CYCLE_1) | instskip(SKIP_4) | instid1(SALU_CYCLE_1)
	v_mov_b32_e32 v63, s11
	ds_load_b64 v[78:79], v62
	ds_load_2addr_b64 v[62:65], v63 offset1:1
	ds_load_2addr_b64 v[66:69], v66 offset1:1
	s_add_i32 s11, s23, s7
	s_lshl_b32 s11, s11, 3
	s_waitcnt lgkmcnt(5)
	v_fma_f64 v[44:45], -v[22:23], v[44:45], v[6:7]
	s_waitcnt lgkmcnt(4)
	v_fma_f64 v[48:49], -v[2:3], v[48:49], v[70:71]
	v_fma_f64 v[60:61], -v[22:23], v[42:43], v[40:41]
	;; [unrolled: 1-line block ×3, first 2 shown]
	v_mov_b32_e32 v40, s11
	s_lshl_b32 s11, s14, 3
	s_waitcnt lgkmcnt(3)
	v_mul_f64 v[6:7], v[56:57], v[50:51]
	s_waitcnt lgkmcnt(0)
	v_fma_f64 v[72:73], -v[24:25], v[68:69], v[44:45]
	v_fma_f64 v[64:65], -v[0:1], v[64:65], v[48:49]
	v_mov_b32_e32 v48, s11
	v_mov_b32_e32 v44, s18
	ds_load_2addr_b64 v[40:43], v40 offset1:1
	ds_load_2addr_b64 v[44:47], v44 offset1:1
	;; [unrolled: 1-line block ×3, first 2 shown]
	v_fma_f64 v[60:61], -v[24:25], v[66:67], v[60:61]
	v_fma_f64 v[62:63], -v[0:1], v[62:63], v[80:81]
	s_add_i32 s11, s7, 0xffffff74
	s_add_i32 s18, s22, s13
	;; [unrolled: 1-line block ×3, first 2 shown]
	s_lshl_b32 s18, s18, 3
	s_lshl_b32 s14, s14, 3
	v_fma_f64 v[82:83], -v[6:7], v[54:55], v[52:53]
	v_mov_b32_e32 v52, s14
	v_mov_b32_e32 v56, s18
	;; [unrolled: 1-line block ×3, first 2 shown]
	s_add_i32 s14, s20, s7
	ds_load_2addr_b64 v[52:55], v52 offset1:1
	ds_load_2addr_b64 v[56:59], v56 offset1:1
	;; [unrolled: 1-line block ×3, first 2 shown]
	s_add_i32 s18, s22, s8
	s_add_i32 s19, s23, s9
	s_lshl_b32 s14, s14, 3
	s_waitcnt lgkmcnt(5)
	v_fma_f64 v[42:43], -v[22:23], v[42:43], v[4:5]
	v_fma_f64 v[66:67], -v[22:23], v[40:41], v[38:39]
	s_lshl_b32 s19, s19, 3
	v_mov_b32_e32 v38, s14
	s_lshl_b32 s14, s18, 3
	s_add_i32 s18, s3, 0xfffffa90
	s_add_i32 s26, s23, s11
	;; [unrolled: 1-line block ×3, first 2 shown]
	ds_load_2addr_b64 v[38:41], v38 offset1:1
	s_waitcnt lgkmcnt(5)
	v_fma_f64 v[46:47], -v[2:3], v[46:47], v[72:73]
	s_waitcnt lgkmcnt(4)
	v_fma_f64 v[50:51], -v[6:7], v[50:51], v[64:65]
	v_fma_f64 v[80:81], -v[2:3], v[44:45], v[60:61]
	;; [unrolled: 1-line block ×3, first 2 shown]
	s_waitcnt lgkmcnt(0)
	v_fma_f64 v[40:41], -v[22:23], v[40:41], v[10:11]
	v_mul_f64 v[4:5], v[78:79], v[82:83]
	v_fma_f64 v[86:87], -v[22:23], v[38:39], v[36:37]
	v_fma_f64 v[78:79], -v[24:25], v[70:71], v[42:43]
	v_mov_b32_e32 v42, s19
	v_fma_f64 v[66:67], -v[24:25], v[68:69], v[66:67]
	s_add_i32 s19, s20, s10
	s_delay_alu instid0(SALU_CYCLE_1) | instskip(NEXT) | instid1(SALU_CYCLE_1)
	s_lshl_b32 s19, s19, 3
	v_mov_b32_e32 v70, s19
	v_fma_f64 v[82:83], -v[0:1], v[58:59], v[46:47]
	v_mov_b32_e32 v46, s14
	s_add_i32 s14, s22, s11
	ds_load_2addr_b64 v[42:45], v42 offset1:1
	ds_load_2addr_b64 v[46:49], v46 offset1:1
	s_lshl_b32 s14, s14, 3
	s_delay_alu instid0(SALU_CYCLE_1) | instskip(SKIP_2) | instid1(SALU_CYCLE_1)
	v_mov_b32_e32 v58, s14
	v_fma_f64 v[56:57], -v[0:1], v[56:57], v[80:81]
	s_add_i32 s14, s7, 0xffffff58
	s_add_i32 s15, s15, s14
	;; [unrolled: 1-line block ×3, first 2 shown]
	s_lshl_b32 s15, s15, 3
	s_lshl_b32 s21, s21, 3
	v_fma_f64 v[50:51], -v[4:5], v[54:55], v[50:51]
	v_mov_b32_e32 v54, s18
	v_fma_f64 v[52:53], -v[4:5], v[52:53], v[84:85]
	s_add_i32 s18, s23, s13
	s_delay_alu instid0(SALU_CYCLE_1)
	s_lshl_b32 s18, s18, 3
	ds_load_b64 v[54:55], v54
	v_mov_b32_e32 v62, s18
	ds_load_2addr_b64 v[58:61], v58 offset1:1
	ds_load_2addr_b64 v[62:65], v62 offset1:1
	;; [unrolled: 1-line block ×3, first 2 shown]
	s_waitcnt lgkmcnt(5)
	v_fma_f64 v[44:45], -v[2:3], v[44:45], v[78:79]
	v_fma_f64 v[88:89], -v[2:3], v[42:43], v[66:67]
	s_add_i32 s18, s6, -15
	s_delay_alu instid0(SALU_CYCLE_1)
	s_add_i32 s19, s18, s7
	s_add_i32 s29, s18, s9
	s_lshl_b32 s19, s19, 3
	s_lshl_b32 s29, s29, 3
	v_mov_b32_e32 v36, s19
	s_waitcnt lgkmcnt(4)
	v_fma_f64 v[48:49], -v[6:7], v[48:49], v[82:83]
	s_lshl_b32 s19, s25, 3
	s_lshl_b32 s25, s26, 3
	s_add_i32 s30, s18, s13
	ds_load_2addr_b64 v[36:39], v36 offset1:1
	v_fma_f64 v[56:57], -v[6:7], v[46:47], v[56:57]
	s_waitcnt lgkmcnt(1)
	v_fma_f64 v[72:73], -v[24:25], v[72:73], v[40:41]
	v_mov_b32_e32 v40, s27
	v_fma_f64 v[70:71], -v[24:25], v[70:71], v[86:87]
	s_add_i32 s27, s20, s8
	ds_load_2addr_b64 v[40:43], v40 offset1:1
	v_mul_f64 v[10:11], v[54:55], v[50:51]
	v_mov_b32_e32 v50, s15
	s_add_i32 s15, s3, 0xfffff9a8
	s_delay_alu instid0(SALU_CYCLE_1)
	v_mov_b32_e32 v54, s15
	s_add_i32 s15, s7, 0xffffff3c
	ds_load_b64 v[50:51], v50
	s_waitcnt lgkmcnt(2)
	v_fma_f64 v[38:39], -v[22:23], v[38:39], v[8:9]
	s_add_i32 s24, s22, s15
	ds_load_b64 v[68:69], v54
	s_lshl_b32 s24, s24, 3
	s_add_i32 s26, s23, s15
	v_fma_f64 v[90:91], -v[0:1], v[64:65], v[44:45]
	v_mov_b32_e32 v44, s19
	v_fma_f64 v[62:63], -v[0:1], v[62:63], v[88:89]
	s_add_i32 s19, s20, s13
	v_mov_b32_e32 v64, s25
	s_lshl_b32 s19, s19, 3
	ds_load_2addr_b64 v[44:47], v44 offset1:1
	v_mov_b32_e32 v78, s19
	v_fma_f64 v[88:89], -v[22:23], v[36:37], v[34:35]
	v_fma_f64 v[60:61], -v[4:5], v[60:61], v[48:49]
	v_mov_b32_e32 v48, s21
	s_add_i32 s21, s18, s10
	s_sub_i32 s19, s6, 17
	s_lshl_b32 s21, s21, 3
	s_add_i32 s25, s19, s7
	v_mov_b32_e32 v82, s21
	s_add_i32 s21, s7, 0xffffff20
	s_lshl_b32 s25, s25, 3
	v_fma_f64 v[56:57], -v[4:5], v[58:59], v[56:57]
	s_waitcnt lgkmcnt(3)
	v_fma_f64 v[42:43], -v[2:3], v[42:43], v[72:73]
	s_add_i32 s22, s22, s21
	v_mov_b32_e32 v34, s25
	s_lshl_b32 s22, s22, 3
	s_lshl_b32 s25, s27, 3
	s_add_i32 s31, s19, s10
	s_add_i32 s33, s19, s9
	s_waitcnt lgkmcnt(2)
	v_fma_f64 v[92:93], -v[10:11], v[50:51], v[52:53]
	ds_load_2addr_b64 v[48:51], v48 offset1:1
	v_mov_b32_e32 v52, s24
	s_add_i32 s24, s3, 0xfffff7d8
	ds_load_2addr_b64 v[52:55], v52 offset1:1
	ds_load_2addr_b64 v[64:67], v64 offset1:1
	;; [unrolled: 1-line block ×4, first 2 shown]
	v_mov_b32_e32 v58, s24
	s_add_i32 s24, s23, s14
	ds_load_2addr_b64 v[34:37], v34 offset1:1
	s_lshl_b32 s24, s24, 3
	s_waitcnt lgkmcnt(6)
	v_fma_f64 v[46:47], -v[6:7], v[46:47], v[90:91]
	s_lshl_b32 s33, s33, 3
	v_fma_f64 v[62:63], -v[6:7], v[44:45], v[62:63]
	s_add_i32 s34, s19, s13
	s_waitcnt lgkmcnt(5)
	v_fma_f64 v[50:51], -v[10:11], v[50:51], v[60:61]
	s_waitcnt lgkmcnt(1)
	v_fma_f64 v[90:91], -v[24:25], v[84:85], v[38:39]
	v_mov_b32_e32 v38, s29
	v_fma_f64 v[82:83], -v[24:25], v[82:83], v[88:89]
	v_fma_f64 v[96:97], -v[10:11], v[48:49], v[56:57]
	;; [unrolled: 1-line block ×3, first 2 shown]
	v_mov_b32_e32 v42, s25
	s_lshl_b32 s25, s30, 3
	s_add_i32 s30, s18, s8
	s_add_i32 s29, s20, s15
	ds_load_2addr_b64 v[42:45], v42 offset1:1
	v_mul_f64 v[8:9], v[68:69], v[92:93]
	v_fma_f64 v[92:93], -v[2:3], v[40:41], v[70:71]
	ds_load_2addr_b64 v[38:41], v38 offset1:1
	s_waitcnt lgkmcnt(2)
	v_fma_f64 v[36:37], -v[22:23], v[36:37], v[14:15]
	v_mov_b32_e32 v70, s25
	s_lshl_b32 s29, s29, 3
	v_fma_f64 v[94:95], -v[4:5], v[66:67], v[46:47]
	v_mov_b32_e32 v46, s24
	v_fma_f64 v[62:63], -v[4:5], v[64:65], v[62:63]
	s_lshl_b32 s24, s28, 3
	s_add_i32 s28, s20, s14
	v_mov_b32_e32 v66, s24
	ds_load_2addr_b64 v[46:49], v46 offset1:1
	s_lshl_b32 s28, s28, 3
	s_add_i32 s24, s7, 0xffffff04
	s_delay_alu instid0(SALU_CYCLE_1) | instskip(NEXT) | instid1(SALU_CYCLE_1)
	s_add_i32 s27, s23, s24
	s_lshl_b32 s27, s27, 3
	s_waitcnt lgkmcnt(1)
	v_fma_f64 v[40:41], -v[2:3], v[40:41], v[90:91]
	v_fma_f64 v[82:83], -v[2:3], v[38:39], v[82:83]
	;; [unrolled: 1-line block ×4, first 2 shown]
	v_mov_b32_e32 v54, s22
	v_fma_f64 v[78:79], -v[0:1], v[78:79], v[92:93]
	v_fma_f64 v[52:53], -v[8:9], v[52:53], v[96:97]
	s_lshl_b32 s22, s26, 3
	s_lshl_b32 s26, s31, 3
	ds_load_2addr_b64 v[54:57], v54 offset1:1
	v_dual_mov_b32 v59, s22 :: v_dual_mov_b32 v84, s26
	ds_load_b64 v[98:99], v58
	ds_load_2addr_b64 v[58:61], v59 offset1:1
	ds_load_2addr_b64 v[66:69], v66 offset1:1
	;; [unrolled: 1-line block ×4, first 2 shown]
	s_waitcnt lgkmcnt(6)
	v_fma_f64 v[48:49], -v[10:11], v[48:49], v[94:95]
	s_sub_i32 s22, s6, 19
	v_fma_f64 v[96:97], -v[10:11], v[46:47], v[62:63]
	s_add_i32 s25, s22, s7
	s_add_i32 s26, s23, s21
	s_lshl_b32 s25, s25, 3
	s_lshl_b32 s26, s26, 3
	s_add_i32 s31, s18, s11
	s_add_i32 s35, s22, s10
	;; [unrolled: 1-line block ×3, first 2 shown]
	s_waitcnt lgkmcnt(1)
	v_fma_f64 v[72:73], -v[0:1], v[72:73], v[40:41]
	s_waitcnt lgkmcnt(0)
	v_fma_f64 v[64:65], -v[24:25], v[86:87], v[36:37]
	v_fma_f64 v[68:69], -v[4:5], v[68:69], v[44:45]
	v_mov_b32_e32 v36, s33
	v_mov_b32_e32 v44, s28
	s_lshl_b32 s28, s35, 3
	s_add_i32 s33, s19, s8
	v_mov_b32_e32 v90, s28
	v_mul_f64 v[14:15], v[56:57], v[50:51]
	v_fma_f64 v[56:57], -v[22:23], v[34:35], v[32:33]
	v_fma_f64 v[94:95], -v[6:7], v[42:43], v[78:79]
	v_mov_b32_e32 v32, s25
	s_lshl_b32 s25, s30, 3
	ds_load_2addr_b64 v[36:39], v36 offset1:1
	v_mov_b32_e32 v40, s25
	ds_load_2addr_b64 v[44:47], v44 offset1:1
	ds_load_2addr_b64 v[32:35], v32 offset1:1
	s_lshl_b32 s25, s31, 3
	s_add_i32 s30, s18, s14
	ds_load_2addr_b64 v[40:43], v40 offset1:1
	v_fma_f64 v[100:101], -v[8:9], v[60:61], v[48:49]
	v_mov_b32_e32 v48, s26
	v_fma_f64 v[58:59], -v[8:9], v[58:59], v[96:97]
	s_lshl_b32 s26, s34, 3
	v_mov_b32_e32 v60, s29
	v_mov_b32_e32 v78, s25
	ds_load_2addr_b64 v[48:51], v48 offset1:1
	v_mov_b32_e32 v86, s26
	s_sub_i32 s25, s6, 21
	s_add_i32 s26, s7, 0xfffffee8
	s_add_i32 s28, s25, s7
	;; [unrolled: 1-line block ×4, first 2 shown]
	s_lshl_b32 s28, s28, 3
	s_lshl_b32 s23, s23, 3
	;; [unrolled: 1-line block ×3, first 2 shown]
	s_waitcnt lgkmcnt(2)
	v_fma_f64 v[34:35], -v[22:23], v[34:35], v[12:13]
	s_lshl_b32 s33, s33, 3
	s_lshl_b32 s35, s35, 3
	v_fma_f64 v[38:39], -v[2:3], v[38:39], v[64:65]
	v_fma_f64 v[64:65], -v[0:1], v[70:71], v[82:83]
	s_waitcnt lgkmcnt(1)
	v_fma_f64 v[42:43], -v[6:7], v[42:43], v[72:73]
	v_fma_f64 v[46:47], -v[10:11], v[46:47], v[68:69]
	s_add_i32 s29, s20, s24
	s_add_i32 s31, s18, s15
	;; [unrolled: 1-line block ×3, first 2 shown]
	v_fma_f64 v[102:103], -v[14:15], v[54:55], v[52:53]
	v_fma_f64 v[56:57], -v[24:25], v[84:85], v[56:57]
	;; [unrolled: 1-line block ×3, first 2 shown]
	v_mov_b32_e32 v52, s27
	ds_load_2addr_b64 v[52:55], v52 offset1:1
	ds_load_2addr_b64 v[60:63], v60 offset1:1
	;; [unrolled: 1-line block ×5, first 2 shown]
	v_fma_f64 v[84:85], -v[22:23], v[32:33], v[30:31]
	s_add_i32 s27, s3, 0xfffff608
	v_mov_b32_e32 v30, s28
	s_waitcnt lgkmcnt(5)
	v_fma_f64 v[50:51], -v[14:15], v[50:51], v[100:101]
	v_mov_b32_e32 v68, s27
	v_fma_f64 v[58:59], -v[14:15], v[48:49], v[58:59]
	s_add_i32 s27, s20, s21
	ds_load_2addr_b64 v[30:33], v30 offset1:1
	s_lshl_b32 s27, s27, 3
	s_lshl_b32 s29, s29, 3
	s_add_i32 s37, s25, s10
	s_lshl_b32 s31, s31, 3
	s_lshl_b32 s34, s34, 3
	;; [unrolled: 1-line block ×3, first 2 shown]
	v_mov_b32_e32 v70, s34
	s_add_i32 s34, s19, s14
	s_add_i32 s36, s22, s8
	;; [unrolled: 1-line block ×3, first 2 shown]
	s_lshl_b32 s34, s34, 3
	s_waitcnt lgkmcnt(1)
	v_fma_f64 v[96:97], -v[24:25], v[92:93], v[34:35]
	v_mov_b32_e32 v34, s35
	s_lshl_b32 s35, s37, 3
	v_fma_f64 v[88:89], -v[0:1], v[88:89], v[38:39]
	v_fma_f64 v[100:101], -v[6:7], v[40:41], v[64:65]
	v_mov_b32_e32 v38, s33
	v_fma_f64 v[106:107], -v[8:9], v[62:63], v[46:47]
	v_mov_b32_e32 v46, s27
	v_mov_b32_e32 v62, s29
	;; [unrolled: 1-line block ×3, first 2 shown]
	v_mul_f64 v[12:13], v[98:99], v[102:103]
	v_fma_f64 v[98:99], -v[2:3], v[36:37], v[56:57]
	ds_load_2addr_b64 v[34:37], v34 offset1:1
	v_fma_f64 v[102:103], -v[4:5], v[80:81], v[42:43]
	v_fma_f64 v[104:105], -v[10:11], v[44:45], v[66:67]
	v_mov_b32_e32 v42, s30
	ds_load_2addr_b64 v[38:41], v38 offset1:1
	ds_load_2addr_b64 v[46:49], v46 offset1:1
	s_waitcnt lgkmcnt(3)
	v_fma_f64 v[32:33], -v[22:23], v[32:33], v[18:19]
	v_fma_f64 v[84:85], -v[24:25], v[90:91], v[84:85]
	ds_load_2addr_b64 v[42:45], v42 offset1:1
	v_mov_b32_e32 v66, s31
	v_mov_b32_e32 v80, s28
	v_fma_f64 v[90:91], -v[22:23], v[30:31], v[28:29]
	s_add_i32 s29, s20, s26
	s_add_i32 s31, s18, s21
	s_lshl_b32 s29, s29, 3
	s_lshl_b32 s31, s31, 3
	;; [unrolled: 1-line block ×4, first 2 shown]
	s_add_i32 s27, s7, 0xfffffecc
	s_add_i32 s33, s18, s24
	;; [unrolled: 1-line block ×4, first 2 shown]
	s_lshl_b32 s30, s30, 3
	s_add_i32 s37, s22, s11
	s_lshl_b32 s33, s33, 3
	s_add_i32 s39, s25, s13
	s_waitcnt lgkmcnt(3)
	v_fma_f64 v[36:37], -v[2:3], v[36:37], v[96:97]
	s_lshl_b32 s35, s35, 3
	s_lshl_b32 s37, s37, 3
	s_waitcnt lgkmcnt(2)
	v_fma_f64 v[40:41], -v[6:7], v[40:41], v[88:89]
	v_fma_f64 v[78:79], -v[4:5], v[78:79], v[100:101]
	s_lshl_b32 s39, s39, 3
	v_fma_f64 v[50:51], -v[12:13], v[54:55], v[50:51]
	v_mov_b32_e32 v54, s23
	v_fma_f64 v[86:87], -v[0:1], v[86:87], v[98:99]
	s_waitcnt lgkmcnt(0)
	v_fma_f64 v[44:45], -v[10:11], v[44:45], v[102:103]
	v_fma_f64 v[60:61], -v[8:9], v[60:61], v[104:105]
	;; [unrolled: 1-line block ×3, first 2 shown]
	ds_load_2addr_b64 v[54:57], v54 offset1:1
	v_fma_f64 v[48:49], -v[14:15], v[48:49], v[106:107]
	ds_load_b64 v[108:109], v68
	ds_load_2addr_b64 v[62:65], v62 offset1:1
	ds_load_2addr_b64 v[66:69], v66 offset1:1
	;; [unrolled: 1-line block ×5, first 2 shown]
	v_fma_f64 v[104:105], -v[2:3], v[34:35], v[84:85]
	s_sub_i32 s23, s6, 23
	s_delay_alu instid0(SALU_CYCLE_1)
	s_add_i32 s28, s23, s7
	s_add_i32 s10, s23, s10
	s_lshl_b32 s28, s28, 3
	s_lshl_b32 s10, s10, 3
	v_mov_b32_e32 v28, s28
	v_mov_b32_e32 v98, s10
	s_add_i32 s10, s7, 0xfffffeb0
	s_add_i32 s28, s3, 0xfffff438
	ds_load_2addr_b64 v[28:31], v28 offset1:1
	s_waitcnt lgkmcnt(1)
	v_fma_f64 v[102:103], -v[24:25], v[94:95], v[32:33]
	v_fma_f64 v[106:107], -v[0:1], v[82:83], v[36:37]
	v_mov_b32_e32 v32, s38
	v_fma_f64 v[72:73], -v[4:5], v[72:73], v[40:41]
	v_fma_f64 v[78:79], -v[10:11], v[42:43], v[78:79]
	v_mov_b32_e32 v36, s36
	v_mov_b32_e32 v40, s34
	ds_load_2addr_b64 v[32:35], v32 offset1:1
	v_fma_f64 v[90:91], -v[24:25], v[92:93], v[90:91]
	v_mov_b32_e32 v82, s35
	v_mul_f64 v[18:19], v[56:57], v[50:51]
	ds_load_2addr_b64 v[40:43], v40 offset1:1
	v_fma_f64 v[110:111], -v[6:7], v[38:39], v[86:87]
	v_fma_f64 v[68:69], -v[8:9], v[68:69], v[44:45]
	v_fma_f64 v[60:61], -v[14:15], v[46:47], v[60:61]
	v_mov_b32_e32 v44, s31
	ds_load_2addr_b64 v[36:39], v36 offset1:1
	v_fma_f64 v[64:65], -v[12:13], v[64:65], v[48:49]
	v_mov_b32_e32 v48, s29
	s_waitcnt lgkmcnt(3)
	v_fma_f64 v[30:31], -v[22:23], v[30:31], v[16:17]
	ds_load_2addr_b64 v[44:47], v44 offset1:1
	v_fma_f64 v[80:81], -v[0:1], v[80:81], v[104:105]
	v_mov_b32_e32 v56, s33
	ds_load_2addr_b64 v[48:51], v48 offset1:1
	v_mov_b32_e32 v86, s37
	v_mov_b32_e32 v94, s39
	s_add_i32 s29, s20, s10
	s_add_i32 s34, s18, s27
	;; [unrolled: 1-line block ×7, first 2 shown]
	s_lshl_b32 s9, s29, 3
	s_lshl_b32 s13, s34, 3
	s_lshl_b32 s34, s35, 3
	s_lshl_b32 s29, s36, 3
	s_lshl_b32 s35, s37, 3
	s_waitcnt lgkmcnt(4)
	v_fma_f64 v[34:35], -v[2:3], v[34:35], v[102:103]
	s_waitcnt lgkmcnt(2)
	v_fma_f64 v[38:39], -v[6:7], v[38:39], v[106:107]
	s_lshl_b32 s36, s39, 3
	v_fma_f64 v[42:43], -v[10:11], v[42:43], v[72:73]
	v_fma_f64 v[66:67], -v[8:9], v[66:67], v[78:79]
	s_add_i32 s38, s22, s15
	s_add_i32 s20, s25, s11
	;; [unrolled: 1-line block ×3, first 2 shown]
	v_fma_f64 v[90:91], -v[2:3], v[32:33], v[90:91]
	s_lshl_b32 s20, s20, 3
	v_fma_f64 v[112:113], -v[18:19], v[54:55], v[52:53]
	v_mov_b32_e32 v52, s30
	v_fma_f64 v[70:71], -v[4:5], v[70:71], v[110:111]
	s_waitcnt lgkmcnt(1)
	v_fma_f64 v[46:47], -v[14:15], v[46:47], v[68:69]
	v_fma_f64 v[60:61], -v[12:13], v[62:63], v[60:61]
	ds_load_2addr_b64 v[52:55], v52 offset1:1
	ds_load_2addr_b64 v[56:59], v56 offset1:1
	;; [unrolled: 1-line block ×6, first 2 shown]
	s_waitcnt lgkmcnt(6)
	v_fma_f64 v[50:51], -v[18:19], v[50:51], v[64:65]
	v_mov_b32_e32 v62, s28
	s_add_i32 s30, s18, s26
	s_add_i32 s28, s25, s8
	s_lshl_b32 s31, s30, 3
	s_lshl_b32 s28, s28, 3
	;; [unrolled: 1-line block ×3, first 2 shown]
	v_mov_b32_e32 v63, s29
	s_add_i32 s8, s23, s8
	s_add_i32 s29, s19, s27
	s_lshl_b32 s8, s8, 3
	s_lshl_b32 s29, s29, 3
	;; [unrolled: 1-line block ×3, first 2 shown]
	s_waitcnt lgkmcnt(0)
	v_fma_f64 v[92:93], -v[24:25], v[100:101], v[30:31]
	v_fma_f64 v[100:101], -v[6:7], v[36:37], v[80:81]
	v_fma_f64 v[96:97], -v[0:1], v[96:97], v[34:35]
	v_fma_f64 v[88:89], -v[4:5], v[88:89], v[38:39]
	v_mov_b32_e32 v30, s28
	v_fma_f64 v[84:85], -v[8:9], v[84:85], v[42:43]
	v_fma_f64 v[104:105], -v[14:15], v[44:45], v[66:67]
	v_mov_b32_e32 v34, s35
	v_mov_b32_e32 v38, s34
	;; [unrolled: 1-line block ×3, first 2 shown]
	v_fma_f64 v[90:91], -v[0:1], v[94:95], v[90:91]
	s_lshl_b32 s28, s33, 3
	v_mul_f64 v[16:17], v[108:109], v[112:113]
	ds_load_2addr_b64 v[34:37], v34 offset1:1
	v_fma_f64 v[102:103], -v[10:11], v[40:41], v[70:71]
	ds_load_2addr_b64 v[38:41], v38 offset1:1
	v_fma_f64 v[106:107], -v[12:13], v[58:59], v[46:47]
	v_fma_f64 v[108:109], -v[18:19], v[48:49], v[60:61]
	v_mov_b32_e32 v46, s9
	ds_load_2addr_b64 v[42:45], v42 offset1:1
	v_mov_b32_e32 v58, s13
	v_mov_b32_e32 v66, s30
	;; [unrolled: 1-line block ×3, first 2 shown]
	ds_load_2addr_b64 v[46:49], v46 offset1:1
	v_mov_b32_e32 v78, s28
	s_add_i32 s33, s25, s14
	s_add_i32 s13, s18, s10
	s_lshl_b32 s33, s33, 3
	s_add_i32 s28, s19, s26
	s_add_i32 s30, s22, s21
	s_lshl_b32 s13, s13, 3
	s_lshl_b32 s28, s28, 3
	s_add_i32 s9, s7, 0xfffffe94
	s_add_i32 s31, s22, s24
	;; [unrolled: 1-line block ×4, first 2 shown]
	s_lshl_b32 s20, s20, 3
	s_add_i32 s14, s23, s14
	s_add_i32 s15, s23, s15
	v_fma_f64 v[86:87], -v[4:5], v[86:87], v[100:101]
	s_lshl_b32 s14, s14, 3
	s_waitcnt lgkmcnt(3)
	v_fma_f64 v[36:37], -v[10:11], v[36:37], v[88:89]
	v_mov_b32_e32 v88, s11
	s_waitcnt lgkmcnt(2)
	v_fma_f64 v[40:41], -v[14:15], v[40:41], v[84:85]
	v_fma_f64 v[56:57], -v[12:13], v[56:57], v[104:105]
	s_add_i32 s11, s3, 0xfffff268
	s_lshl_b32 s15, s15, 3
	ds_load_2addr_b64 v[30:33], v30 offset1:1
	v_fma_f64 v[50:51], -v[16:17], v[54:55], v[50:51]
	v_fma_f64 v[54:55], -v[22:23], v[28:29], v[26:27]
	v_mov_b32_e32 v26, s36
	v_fma_f64 v[82:83], -v[8:9], v[82:83], v[102:103]
	s_waitcnt lgkmcnt(2)
	v_fma_f64 v[44:45], -v[18:19], v[44:45], v[106:107]
	v_fma_f64 v[52:53], -v[16:17], v[52:53], v[108:109]
	ds_load_2addr_b64 v[26:29], v26 offset1:1
	ds_load_b64 v[110:111], v62
	ds_load_2addr_b64 v[58:61], v58 offset1:1
	ds_load_2addr_b64 v[62:65], v63 offset1:1
	;; [unrolled: 1-line block ×5, first 2 shown]
	s_waitcnt lgkmcnt(7)
	v_fma_f64 v[32:33], -v[6:7], v[32:33], v[96:97]
	v_fma_f64 v[94:95], -v[6:7], v[30:31], v[90:91]
	s_waitcnt lgkmcnt(6)
	v_fma_f64 v[92:93], -v[2:3], v[28:29], v[92:93]
	v_fma_f64 v[96:97], -v[10:11], v[34:35], v[86:87]
	;; [unrolled: 3-line block ×3, first 2 shown]
	v_fma_f64 v[100:101], -v[18:19], v[42:43], v[56:57]
	v_mul_f64 v[28:29], v[48:49], v[50:51]
	v_fma_f64 v[48:49], -v[24:25], v[98:99], v[54:55]
	v_fma_f64 v[98:99], -v[14:15], v[38:39], v[82:83]
	;; [unrolled: 1-line block ×3, first 2 shown]
	s_waitcnt lgkmcnt(1)
	v_fma_f64 v[72:73], -v[4:5], v[72:73], v[32:33]
	v_fma_f64 v[70:71], -v[4:5], v[70:71], v[94:95]
	s_waitcnt lgkmcnt(0)
	v_fma_f64 v[92:93], -v[0:1], v[80:81], v[92:93]
	v_fma_f64 v[66:67], -v[8:9], v[66:67], v[96:97]
	v_fma_f64 v[58:59], -v[16:17], v[58:59], v[100:101]
	v_fma_f64 v[102:103], -v[28:29], v[46:47], v[52:53]
	v_fma_f64 v[104:105], -v[2:3], v[26:27], v[48:49]
	v_dual_mov_b32 v26, s8 :: v_dual_mov_b32 v27, s33
	s_lshl_b32 s8, s30, 3
	v_fma_f64 v[62:63], -v[12:13], v[62:63], v[98:99]
	v_mov_b32_e32 v38, s8
	ds_load_2addr_b64 v[30:33], v26 offset1:1
	ds_load_2addr_b64 v[34:37], v27 offset1:1
	v_dual_mov_b32 v26, s28 :: v_dual_mov_b32 v27, s13
	ds_load_2addr_b64 v[38:41], v38 offset1:1
	s_lshl_b32 s8, s31, 3
	s_lshl_b32 s13, s34, 3
	ds_load_2addr_b64 v[42:45], v26 offset1:1
	ds_load_2addr_b64 v[46:49], v27 offset1:1
	v_dual_mov_b32 v26, s20 :: v_dual_mov_b32 v27, s29
	v_mov_b32_e32 v80, s8
	v_mov_b32_e32 v84, s13
	ds_load_2addr_b64 v[50:53], v26 offset1:1
	ds_load_2addr_b64 v[54:57], v27 offset1:1
	;; [unrolled: 1-line block ×5, first 2 shown]
	s_add_i32 s8, s7, 0xfffffe78
	s_add_i32 s20, s22, s26
	;; [unrolled: 1-line block ×4, first 2 shown]
	s_lshl_b32 s18, s18, 3
	s_waitcnt lgkmcnt(9)
	v_fma_f64 v[32:33], -v[6:7], v[32:33], v[92:93]
	s_waitcnt lgkmcnt(8)
	v_fma_f64 v[36:37], -v[10:11], v[36:37], v[72:73]
	s_lshl_b32 s29, s29, 3
	s_add_i32 s13, s19, s9
	s_waitcnt lgkmcnt(7)
	v_fma_f64 v[40:41], -v[14:15], v[40:41], v[68:69]
	s_add_i32 s28, s22, s27
	s_add_i32 s30, s25, s24
	s_waitcnt lgkmcnt(6)
	v_fma_f64 v[44:45], -v[18:19], v[44:45], v[64:65]
	s_waitcnt lgkmcnt(5)
	v_fma_f64 v[48:49], -v[28:29], v[48:49], v[60:61]
	v_fma_f64 v[96:97], -v[28:29], v[46:47], v[58:59]
	v_mov_b32_e32 v64, s11
	v_mul_f64 v[26:27], v[110:111], v[102:103]
	v_fma_f64 v[60:61], -v[0:1], v[78:79], v[104:105]
	v_fma_f64 v[78:79], -v[10:11], v[34:35], v[70:71]
	s_add_i32 s11, s19, s10
	v_mov_b32_e32 v34, s29
	v_fma_f64 v[92:93], -v[18:19], v[42:43], v[62:63]
	s_lshl_b32 s11, s11, 3
	v_mov_b32_e32 v46, s18
	v_mov_b32_e32 v42, s11
	s_lshl_b32 s11, s13, 3
	s_lshl_b32 s13, s28, 3
	v_mov_b32_e32 v68, s15
	s_add_i32 s15, s22, s10
	s_add_i32 s18, s22, s9
	s_lshl_b32 s15, s15, 3
	s_lshl_b32 s18, s18, 3
	s_waitcnt lgkmcnt(0)
	v_fma_f64 v[72:73], -v[4:5], v[90:91], v[32:33]
	v_fma_f64 v[86:87], -v[8:9], v[86:87], v[36:37]
	;; [unrolled: 1-line block ×3, first 2 shown]
	ds_load_2addr_b64 v[34:37], v34 offset1:1
	v_fma_f64 v[82:83], -v[12:13], v[82:83], v[40:41]
	v_fma_f64 v[94:95], -v[16:17], v[56:57], v[44:45]
	v_mov_b32_e32 v56, s11
	s_add_i32 s11, s7, 0xfffffe5c
	ds_load_2addr_b64 v[42:45], v42 offset1:1
	v_fma_f64 v[52:53], -v[26:27], v[52:53], v[48:49]
	v_fma_f64 v[98:99], -v[6:7], v[30:31], v[60:61]
	v_mov_b32_e32 v30, s14
	s_lshl_b32 s14, s20, 3
	ds_load_2addr_b64 v[46:49], v46 offset1:1
	v_mov_b32_e32 v38, s14
	v_fma_f64 v[78:79], -v[8:9], v[84:85], v[78:79]
	ds_load_2addr_b64 v[30:33], v30 offset1:1
	v_fma_f64 v[54:55], -v[16:17], v[54:55], v[92:93]
	v_fma_f64 v[50:51], -v[26:27], v[50:51], v[96:97]
	ds_load_2addr_b64 v[38:41], v38 offset1:1
	s_lshl_b32 s14, s30, 3
	s_delay_alu instid0(SALU_CYCLE_1)
	v_dual_mov_b32 v60, s13 :: v_dual_mov_b32 v65, s14
	ds_load_b64 v[100:101], v64
	ds_load_2addr_b64 v[56:59], v56 offset1:1
	ds_load_2addr_b64 v[60:63], v60 offset1:1
	;; [unrolled: 1-line block ×4, first 2 shown]
	s_add_i32 s20, s23, s21
	s_add_i32 s21, s25, s26
	s_lshl_b32 s20, s20, 3
	s_lshl_b32 s21, s21, 3
	s_add_i32 s13, s19, s8
	s_add_i32 s14, s19, s11
	s_lshl_b32 s13, s13, 3
	s_lshl_b32 s14, s14, 3
	s_waitcnt lgkmcnt(6)
	v_fma_f64 v[72:73], -v[10:11], v[32:33], v[72:73]
	v_fma_f64 v[36:37], -v[14:15], v[36:37], v[86:87]
	v_fma_f64 v[80:81], -v[12:13], v[80:81], v[90:91]
	s_waitcnt lgkmcnt(5)
	v_fma_f64 v[40:41], -v[18:19], v[40:41], v[82:83]
	v_fma_f64 v[44:45], -v[28:29], v[44:45], v[94:95]
	v_mul_f64 v[32:33], v[48:49], v[52:53]
	v_fma_f64 v[48:49], -v[4:5], v[88:89], v[98:99]
	v_fma_f64 v[88:89], -v[14:15], v[34:35], v[78:79]
	;; [unrolled: 1-line block ×3, first 2 shown]
	v_mov_b32_e32 v42, s15
	s_add_i32 s15, s23, s24
	s_delay_alu instid0(SALU_CYCLE_1) | instskip(NEXT) | instid1(SALU_CYCLE_1)
	s_lshl_b32 s15, s15, 3
	v_mov_b32_e32 v82, s15
	s_add_i32 s15, s22, s8
	s_delay_alu instid0(SALU_CYCLE_1)
	s_lshl_b32 s15, s15, 3
	s_waitcnt lgkmcnt(0)
	v_fma_f64 v[86:87], -v[8:9], v[70:71], v[72:73]
	v_fma_f64 v[66:67], -v[12:13], v[66:67], v[36:37]
	;; [unrolled: 1-line block ×5, first 2 shown]
	ds_load_2addr_b64 v[42:45], v42 offset1:1
	v_fma_f64 v[92:93], -v[32:33], v[46:47], v[50:51]
	v_fma_f64 v[94:95], -v[10:11], v[30:31], v[48:49]
	v_dual_mov_b32 v30, s20 :: v_dual_mov_b32 v31, s21
	s_add_i32 s20, s25, s10
	s_add_i32 s10, s23, s10
	v_fma_f64 v[64:65], -v[12:13], v[64:65], v[88:89]
	ds_load_2addr_b64 v[34:37], v30 offset1:1
	ds_load_2addr_b64 v[38:41], v31 offset1:1
	v_mov_b32_e32 v30, s13
	s_add_i32 s13, s25, s27
	v_mov_b32_e32 v31, s18
	s_lshl_b32 s13, s13, 3
	v_fma_f64 v[54:55], -v[26:27], v[56:57], v[54:55]
	ds_load_2addr_b64 v[46:49], v30 offset1:1
	v_mov_b32_e32 v30, s14
	v_mov_b32_e32 v78, s13
	ds_load_2addr_b64 v[50:53], v30 offset1:1
	ds_load_2addr_b64 v[70:73], v31 offset1:1
	;; [unrolled: 1-line block ×4, first 2 shown]
	s_add_i32 s13, s7, 0xfffffe40
	s_add_i32 s18, s23, s26
	s_add_i32 s19, s19, s13
	s_lshl_b32 s18, s18, 3
	s_lshl_b32 s20, s20, 3
	s_add_i32 s14, s3, 0xfffff098
	s_waitcnt lgkmcnt(6)
	v_fma_f64 v[36:37], -v[14:15], v[36:37], v[86:87]
	s_waitcnt lgkmcnt(5)
	v_fma_f64 v[40:41], -v[18:19], v[40:41], v[66:67]
	v_fma_f64 v[60:61], -v[16:17], v[60:61], v[90:91]
	s_lshl_b32 s10, s10, 3
	v_fma_f64 v[44:45], -v[28:29], v[44:45], v[62:63]
	s_waitcnt lgkmcnt(4)
	v_fma_f64 v[48:49], -v[32:33], v[48:49], v[58:59]
	v_mul_f64 v[30:31], v[100:101], v[92:93]
	v_fma_f64 v[56:57], -v[8:9], v[68:69], v[94:95]
	v_fma_f64 v[64:65], -v[18:19], v[38:39], v[64:65]
	v_mov_b32_e32 v38, s20
	s_waitcnt lgkmcnt(0)
	v_fma_f64 v[66:67], -v[12:13], v[84:85], v[36:37]
	v_fma_f64 v[68:69], -v[16:17], v[80:81], v[40:41]
	;; [unrolled: 1-line block ×5, first 2 shown]
	v_mov_b32_e32 v42, s15
	s_add_i32 s15, s25, s9
	s_add_i32 s9, s23, s9
	s_lshl_b32 s15, s15, 3
	s_lshl_b32 s9, s9, 3
	ds_load_2addr_b64 v[42:45], v42 offset1:1
	v_fma_f64 v[86:87], -v[30:31], v[52:53], v[48:49]
	v_fma_f64 v[88:89], -v[14:15], v[34:35], v[56:57]
	v_mov_b32_e32 v34, s18
	s_lshl_b32 s18, s19, 3
	ds_load_2addr_b64 v[38:41], v38 offset1:1
	v_mov_b32_e32 v46, s18
	v_fma_f64 v[64:65], -v[16:17], v[78:79], v[64:65]
	ds_load_2addr_b64 v[34:37], v34 offset1:1
	v_mov_b32_e32 v52, s14
	s_add_i32 s14, s22, s11
	ds_load_2addr_b64 v[46:49], v46 offset1:1
	s_add_i32 s18, s23, s27
	s_lshl_b32 s14, s14, 3
	s_lshl_b32 s18, s18, 3
	v_dual_mov_b32 v53, s14 :: v_dual_mov_b32 v56, s15
	v_mov_b32_e32 v60, s18
	ds_load_b64 v[90:91], v52
	ds_load_2addr_b64 v[52:55], v53 offset1:1
	ds_load_2addr_b64 v[56:59], v56 offset1:1
	ds_load_2addr_b64 v[60:63], v60 offset1:1
	s_add_i32 s14, s22, s13
	s_add_i32 s15, s25, s8
	;; [unrolled: 1-line block ×3, first 2 shown]
	s_lshl_b32 s15, s15, 3
	s_lshl_b32 s8, s8, 3
	s_waitcnt lgkmcnt(5)
	v_fma_f64 v[66:67], -v[18:19], v[36:37], v[66:67]
	v_fma_f64 v[40:41], -v[28:29], v[40:41], v[68:69]
	;; [unrolled: 1-line block ×5, first 2 shown]
	v_mov_b32_e32 v70, s9
	s_add_i32 s9, s7, 0xfffffe08
	s_waitcnt lgkmcnt(4)
	v_mul_f64 v[36:37], v[48:49], v[86:87]
	v_fma_f64 v[48:49], -v[12:13], v[82:83], v[88:89]
	v_fma_f64 v[80:81], -v[28:29], v[38:39], v[64:65]
	s_waitcnt lgkmcnt(0)
	v_fma_f64 v[78:79], -v[16:17], v[62:63], v[66:67]
	v_fma_f64 v[58:59], -v[26:27], v[58:59], v[40:41]
	;; [unrolled: 1-line block ×6, first 2 shown]
	v_mov_b32_e32 v34, s10
	s_lshl_b32 s10, s14, 3
	s_delay_alu instid0(SALU_CYCLE_1)
	v_dual_mov_b32 v35, s15 :: v_dual_mov_b32 v46, s10
	ds_load_2addr_b64 v[38:41], v34 offset1:1
	ds_load_2addr_b64 v[42:45], v35 offset1:1
	s_add_i32 s10, s7, 0xfffffe24
	ds_load_2addr_b64 v[46:49], v46 offset1:1
	s_add_i32 s14, s22, s10
	s_add_i32 s15, s25, s11
	s_lshl_b32 s14, s14, 3
	s_lshl_b32 s15, s15, 3
	s_delay_alu instid0(SALU_CYCLE_1)
	v_dual_mov_b32 v34, s14 :: v_dual_mov_b32 v35, s15
	ds_load_2addr_b64 v[62:65], v34 offset1:1
	ds_load_2addr_b64 v[66:69], v35 offset1:1
	;; [unrolled: 1-line block ×3, first 2 shown]
	v_fma_f64 v[56:57], -v[26:27], v[56:57], v[80:81]
	s_add_i32 s14, s25, s13
	s_add_i32 s22, s22, s9
	s_lshl_b32 s14, s14, 3
	s_add_i32 s11, s23, s11
	s_waitcnt lgkmcnt(5)
	v_fma_f64 v[40:41], -v[28:29], v[40:41], v[78:79]
	s_waitcnt lgkmcnt(4)
	v_fma_f64 v[44:45], -v[32:33], v[44:45], v[58:59]
	v_fma_f64 v[52:53], -v[30:31], v[52:53], v[82:83]
	s_lshl_b32 s11, s11, 3
	s_waitcnt lgkmcnt(3)
	v_fma_f64 v[48:49], -v[36:37], v[48:49], v[54:55]
	v_mov_b32_e32 v54, s11
	s_add_i32 s11, s25, s9
	s_add_i32 s9, s23, s9
	s_lshl_b32 s11, s11, 3
	s_lshl_b32 s9, s9, 3
	v_mul_f64 v[34:35], v[90:91], v[50:51]
	v_fma_f64 v[50:51], -v[16:17], v[60:61], v[84:85]
	v_fma_f64 v[60:61], -v[32:33], v[42:43], v[56:57]
	v_mov_b32_e32 v42, s14
	s_waitcnt lgkmcnt(0)
	v_fma_f64 v[58:59], -v[26:27], v[72:73], v[40:41]
	v_fma_f64 v[68:69], -v[30:31], v[68:69], v[44:45]
	;; [unrolled: 1-line block ×5, first 2 shown]
	v_mov_b32_e32 v38, s8
	s_lshl_b32 s8, s22, 3
	s_delay_alu instid0(SALU_CYCLE_1) | instskip(SKIP_4) | instid1(SALU_CYCLE_1)
	v_mov_b32_e32 v46, s8
	ds_load_2addr_b64 v[38:41], v38 offset1:1
	ds_load_2addr_b64 v[42:45], v42 offset1:1
	;; [unrolled: 1-line block ×3, first 2 shown]
	s_add_i32 s8, s3, 0xffffeec8
	v_mov_b32_e32 v50, s8
	s_add_i32 s8, s25, s10
	s_add_i32 s10, s23, s10
	s_lshl_b32 s8, s8, 3
	s_lshl_b32 s10, s10, 3
	v_mov_b32_e32 v51, s8
	ds_load_b64 v[80:81], v50
	ds_load_2addr_b64 v[50:53], v51 offset1:1
	ds_load_2addr_b64 v[54:57], v54 offset1:1
	v_fma_f64 v[60:61], -v[30:31], v[66:67], v[60:61]
	s_add_i32 s8, s23, s13
	s_delay_alu instid0(SALU_CYCLE_1)
	s_lshl_b32 s8, s8, 3
	s_waitcnt lgkmcnt(5)
	v_fma_f64 v[58:59], -v[32:33], v[40:41], v[58:59]
	s_waitcnt lgkmcnt(4)
	v_fma_f64 v[44:45], -v[36:37], v[44:45], v[68:69]
	v_fma_f64 v[62:63], -v[34:35], v[62:63], v[72:73]
	s_waitcnt lgkmcnt(3)
	v_mul_f64 v[40:41], v[48:49], v[64:65]
	v_fma_f64 v[48:49], -v[26:27], v[70:71], v[78:79]
	v_fma_f64 v[66:67], -v[36:37], v[42:43], v[60:61]
	s_waitcnt lgkmcnt(0)
	v_fma_f64 v[64:65], -v[30:31], v[56:57], v[58:59]
	v_fma_f64 v[52:53], -v[34:35], v[52:53], v[44:45]
	;; [unrolled: 1-line block ×4, first 2 shown]
	v_dual_mov_b32 v38, s8 :: v_dual_mov_b32 v39, s11
	ds_load_2addr_b64 v[42:45], v38 offset1:1
	ds_load_2addr_b64 v[46:49], v39 offset1:1
	s_add_i32 s8, s7, 0xfffffdec
	v_mov_b32_e32 v39, s10
	s_add_i32 s11, s25, s8
	s_addk_i32 s7, 0xfdd0
	s_lshl_b32 s11, s11, 3
	s_add_i32 s25, s25, s7
	v_mov_b32_e32 v38, s11
	ds_load_2addr_b64 v[56:59], v38 offset1:1
	ds_load_2addr_b64 v[60:63], v39 offset1:1
	s_lshl_b32 s10, s25, 3
	v_fma_f64 v[50:51], -v[34:35], v[50:51], v[66:67]
	s_add_i32 s8, s23, s8
	s_add_i32 s23, s23, s7
	s_lshl_b32 s8, s8, 3
	s_lshl_b32 s7, s23, 3
	s_waitcnt lgkmcnt(3)
	v_fma_f64 v[44:45], -v[36:37], v[44:45], v[64:65]
	s_waitcnt lgkmcnt(2)
	v_fma_f64 v[48:49], -v[40:41], v[48:49], v[52:53]
	v_mul_f64 v[38:39], v[80:81], v[68:69]
	v_fma_f64 v[52:53], -v[30:31], v[54:55], v[70:71]
	s_waitcnt lgkmcnt(0)
	s_delay_alu instid0(VALU_DEP_4)
	v_fma_f64 v[54:55], -v[34:35], v[62:63], v[44:45]
	v_fma_f64 v[62:63], -v[40:41], v[46:47], v[50:51]
	v_dual_mov_b32 v46, s10 :: v_dual_mov_b32 v51, s8
	s_add_i32 s8, s7, 0xffffff20
	v_fma_f64 v[58:59], -v[38:39], v[58:59], v[48:49]
	v_fma_f64 v[64:65], -v[36:37], v[42:43], v[52:53]
	v_mov_b32_e32 v42, s9
	s_add_i32 s9, s3, 0xffffecf8
	ds_load_2addr_b64 v[42:45], v42 offset1:1
	ds_load_2addr_b64 v[46:49], v46 offset1:1
	v_mov_b32_e32 v50, s9
	ds_load_b64 v[66:67], v50
	ds_load_2addr_b64 v[50:53], v51 offset1:1
	s_addk_i32 s3, 0xeb28
	s_waitcnt lgkmcnt(3)
	v_fma_f64 v[54:55], -v[40:41], v[44:45], v[54:55]
	v_fma_f64 v[56:57], -v[38:39], v[56:57], v[62:63]
	s_waitcnt lgkmcnt(2)
	v_mul_f64 v[44:45], v[48:49], v[58:59]
	v_fma_f64 v[48:49], -v[34:35], v[60:61], v[64:65]
	s_waitcnt lgkmcnt(0)
	s_delay_alu instid0(VALU_DEP_4) | instskip(NEXT) | instid1(VALU_DEP_3)
	v_fma_f64 v[58:59], -v[38:39], v[52:53], v[54:55]
	v_fma_f64 v[56:57], -v[44:45], v[46:47], v[56:57]
	s_delay_alu instid0(VALU_DEP_3)
	v_fma_f64 v[60:61], -v[40:41], v[42:43], v[48:49]
	v_mov_b32_e32 v42, s7
	s_addk_i32 s7, 0xfe40
	ds_load_2addr_b64 v[46:49], v42 offset1:1
	v_mov_b32_e32 v42, s8
	ds_load_2addr_b64 v[52:55], v42 offset1:1
	s_waitcnt lgkmcnt(1)
	v_fma_f64 v[48:49], -v[44:45], v[48:49], v[58:59]
	v_mul_f64 v[42:43], v[66:67], v[56:57]
	v_fma_f64 v[50:51], -v[38:39], v[50:51], v[60:61]
	v_mov_b32_e32 v56, s3
	ds_load_b64 v[56:57], v56
	s_waitcnt lgkmcnt(1)
	v_fma_f64 v[54:55], -v[42:43], v[54:55], v[48:49]
	v_fma_f64 v[50:51], -v[44:45], v[46:47], v[50:51]
	v_mov_b32_e32 v46, s7
	s_ashr_i32 s7, s6, 31
	s_delay_alu instid0(SALU_CYCLE_1)
	s_lshl_b64 s[8:9], s[6:7], 3
	s_sub_i32 s6, s6, 24
	ds_load_2addr_b64 v[46:49], v46 offset1:1
	s_waitcnt lgkmcnt(0)
	v_mul_f64 v[48:49], v[48:49], v[54:55]
	v_fma_f64 v[50:51], -v[42:43], v[52:53], v[50:51]
	s_delay_alu instid0(VALU_DEP_1)
	v_fma_f64 v[46:47], -v[48:49], v[46:47], v[50:51]
	v_add_co_u32 v50, vcc_lo, v74, s8
	v_add_co_ci_u32_e32 v51, vcc_lo, s9, v75, vcc_lo
	s_clause 0xa
	global_store_b64 v[50:51], v[24:25], off offset:-8
	global_store_b128 v[50:51], v[0:3], off offset:-24
	global_store_b128 v[50:51], v[4:7], off offset:-40
	;; [unrolled: 1-line block ×10, first 2 shown]
	v_mul_f64 v[46:47], v[56:57], v[46:47]
	s_clause 0x1
	global_store_b64 v[20:21], v[22:23], off
	global_store_b128 v[50:51], v[46:49], off offset:-184
.LBB98_41:
	s_cmp_lt_i32 s6, 0
	s_cbranch_scc1 .LBB98_54
; %bb.42:
	s_bitcmp1_b32 s6, 0
	s_mov_b32 s8, s6
	s_cselect_b32 s3, -1, 0
	s_delay_alu instid0(SALU_CYCLE_1)
	s_and_b32 vcc_lo, exec_lo, s3
	s_cbranch_vccnz .LBB98_47
; %bb.43:
	s_mov_b32 s7, 0
	s_delay_alu instid0(SALU_CYCLE_1)
	s_lshl_b64 s[8:9], s[6:7], 3
	s_cmp_le_i32 s12, s6
	v_add_co_u32 v0, vcc_lo, v74, s8
	v_add_co_ci_u32_e32 v1, vcc_lo, s9, v75, vcc_lo
	global_load_b64 v[2:3], v[0:1], off
	s_waitcnt vmcnt(0)
	v_mul_f64 v[2:3], v[2:3], s[4:5]
	s_cbranch_scc1 .LBB98_46
; %bb.44:
	s_mul_i32 s3, s2, 0xe0
	s_lshl_b32 s7, s6, 3
	s_ashr_i32 s13, s12, 31
	s_add_i32 s3, s3, s7
	s_lshl_b64 s[8:9], s[12:13], 3
	s_addk_i32 s3, 0xff20
	s_add_u32 s7, s16, s8
	s_addc_u32 s8, s17, s9
	s_add_u32 s7, s7, s0
	s_addc_u32 s8, s8, s1
	v_add_co_u32 v4, vcc_lo, s7, v76
	v_add_co_ci_u32_e32 v5, vcc_lo, s8, v77, vcc_lo
	s_mov_b32 s7, s12
.LBB98_45:                              ; =>This Inner Loop Header: Depth=1
	global_load_b64 v[6:7], v[4:5], off
	v_mov_b32_e32 v8, s3
	v_add_co_u32 v4, vcc_lo, v4, -8
	v_add_co_ci_u32_e32 v5, vcc_lo, -1, v5, vcc_lo
	ds_load_b64 v[8:9], v8
	s_add_i32 s7, s7, -1
	s_addk_i32 s3, 0xff20
	s_cmp_gt_i32 s7, s6
	s_waitcnt vmcnt(0) lgkmcnt(0)
	v_fma_f64 v[2:3], -v[6:7], v[8:9], v[2:3]
	s_cbranch_scc1 .LBB98_45
.LBB98_46:
	s_mul_i32 s3, s6, 0xe8
	s_add_i32 s8, s6, -1
	v_mov_b32_e32 v4, s3
	ds_load_b64 v[4:5], v4
	s_waitcnt lgkmcnt(0)
	v_mul_f64 v[2:3], v[4:5], v[2:3]
	global_store_b64 v[0:1], v[2:3], off
.LBB98_47:
	s_cmp_eq_u32 s6, 0
	s_mov_b32 s9, 0
	s_cbranch_scc1 .LBB98_54
; %bb.48:
	s_mul_i32 s3, s2, 0xe0
	s_lshl_b32 s6, s8, 3
	s_ashr_i32 s13, s12, 31
	s_add_i32 s10, s3, s6
	s_lshl_b64 s[6:7], s[12:13], 3
	s_add_i32 s3, s10, 0xffffff20
	s_add_u32 s6, s16, s6
	s_addc_u32 s7, s17, s7
	s_add_u32 s0, s6, s0
	s_addc_u32 s1, s7, s1
	v_add_co_u32 v0, vcc_lo, s0, v76
	v_add_co_ci_u32_e32 v1, vcc_lo, s1, v77, vcc_lo
	s_add_i32 s0, s10, 0xffffff18
	s_branch .LBB98_50
.LBB98_49:                              ;   in Loop: Header=BB98_50 Depth=1
	s_addk_i32 s1, 0xff18
	s_add_i32 s3, s3, -16
	v_mov_b32_e32 v6, s1
	s_add_i32 s1, s8, -2
	s_add_i32 s0, s0, -16
	s_cmp_lt_i32 s8, 2
	s_mov_b32 s8, s1
	ds_load_b64 v[6:7], v6
	s_waitcnt lgkmcnt(0)
	v_mul_f64 v[4:5], v[6:7], v[4:5]
	global_store_b64 v[2:3], v[4:5], off offset:-8
	s_cbranch_scc1 .LBB98_54
.LBB98_50:                              ; =>This Loop Header: Depth=1
                                        ;     Child Loop BB98_51 Depth 2
                                        ;     Child Loop BB98_53 Depth 2
	s_lshl_b64 s[6:7], s[8:9], 3
	s_delay_alu instid0(VALU_DEP_1)
	v_dual_mov_b32 v5, v1 :: v_dual_mov_b32 v4, v0
	v_add_co_u32 v2, vcc_lo, v74, s6
	v_add_co_ci_u32_e32 v3, vcc_lo, s7, v75, vcc_lo
	s_cmp_le_i32 s12, s8
	s_mov_b32 s1, s3
	s_mov_b32 s6, s12
	global_load_b64 v[2:3], v[2:3], off
	s_waitcnt vmcnt(0)
	v_mul_f64 v[2:3], v[2:3], s[4:5]
	s_cbranch_scc1 .LBB98_52
.LBB98_51:                              ;   Parent Loop BB98_50 Depth=1
                                        ; =>  This Inner Loop Header: Depth=2
	global_load_b64 v[6:7], v[4:5], off
	v_mov_b32_e32 v8, s1
	v_add_co_u32 v4, vcc_lo, v4, -8
	v_add_co_ci_u32_e32 v5, vcc_lo, -1, v5, vcc_lo
	ds_load_b64 v[8:9], v8
	s_add_i32 s6, s6, -1
	s_addk_i32 s1, 0xff20
	s_cmp_gt_i32 s6, s8
	s_waitcnt vmcnt(0) lgkmcnt(0)
	v_fma_f64 v[2:3], -v[6:7], v[8:9], v[2:3]
	s_cbranch_scc1 .LBB98_51
.LBB98_52:                              ;   in Loop: Header=BB98_50 Depth=1
	s_add_i32 s6, s8, -1
	s_mov_b32 s7, s9
	s_mul_i32 s1, s8, 0xe8
	s_lshl_b64 s[6:7], s[6:7], 3
	v_mov_b32_e32 v6, s1
	v_add_co_u32 v4, vcc_lo, v74, s6
	v_add_co_ci_u32_e32 v5, vcc_lo, s7, v75, vcc_lo
	ds_load_b64 v[6:7], v6
	s_ashr_i32 s7, s8, 31
	s_mov_b32 s6, s8
	global_load_b64 v[4:5], v[4:5], off
	s_lshl_b64 s[6:7], s[6:7], 3
	s_cmp_lt_i32 s12, s8
	s_waitcnt lgkmcnt(0)
	v_mul_f64 v[8:9], v[6:7], v[2:3]
	v_add_co_u32 v2, vcc_lo, v74, s6
	v_add_co_ci_u32_e32 v3, vcc_lo, s7, v75, vcc_lo
	v_dual_mov_b32 v7, v1 :: v_dual_mov_b32 v6, v0
	s_mov_b32 s6, s0
	s_mov_b32 s7, s2
	global_store_b64 v[2:3], v[8:9], off
	s_waitcnt vmcnt(0)
	v_mul_f64 v[4:5], v[4:5], s[4:5]
	s_cbranch_scc1 .LBB98_49
.LBB98_53:                              ;   Parent Loop BB98_50 Depth=1
                                        ; =>  This Inner Loop Header: Depth=2
	global_load_b64 v[8:9], v[6:7], off
	v_mov_b32_e32 v10, s6
	v_add_co_u32 v6, vcc_lo, v6, -8
	v_add_co_ci_u32_e32 v7, vcc_lo, -1, v7, vcc_lo
	ds_load_b64 v[10:11], v10
	s_add_i32 s7, s7, -1
	s_addk_i32 s6, 0xff20
	s_cmp_gt_i32 s7, s8
	s_waitcnt vmcnt(0) lgkmcnt(0)
	v_fma_f64 v[4:5], -v[8:9], v[10:11], v[4:5]
	s_cbranch_scc1 .LBB98_53
	s_branch .LBB98_49
.LBB98_54:
	s_nop 0
	s_sendmsg sendmsg(MSG_DEALLOC_VGPRS)
	s_endpgm
	.section	.rodata,"a",@progbits
	.p2align	6, 0x0
	.amdhsa_kernel _ZL30rocblas_trsm_small_left_deviceILi28ELi28ELb0EddPKPKdPKPdEv13rocblas_fill_18rocblas_operation_17rocblas_diagonal_iiT3_T4_lilT5_lili
		.amdhsa_group_segment_fixed_size 6272
		.amdhsa_private_segment_fixed_size 0
		.amdhsa_kernarg_size 360
		.amdhsa_user_sgpr_count 14
		.amdhsa_user_sgpr_dispatch_ptr 0
		.amdhsa_user_sgpr_queue_ptr 0
		.amdhsa_user_sgpr_kernarg_segment_ptr 1
		.amdhsa_user_sgpr_dispatch_id 0
		.amdhsa_user_sgpr_private_segment_size 0
		.amdhsa_wavefront_size32 1
		.amdhsa_uses_dynamic_stack 0
		.amdhsa_enable_private_segment 0
		.amdhsa_system_sgpr_workgroup_id_x 1
		.amdhsa_system_sgpr_workgroup_id_y 0
		.amdhsa_system_sgpr_workgroup_id_z 1
		.amdhsa_system_sgpr_workgroup_info 0
		.amdhsa_system_vgpr_workitem_id 0
		.amdhsa_next_free_vgpr 148
		.amdhsa_next_free_sgpr 40
		.amdhsa_reserve_vcc 1
		.amdhsa_float_round_mode_32 0
		.amdhsa_float_round_mode_16_64 0
		.amdhsa_float_denorm_mode_32 3
		.amdhsa_float_denorm_mode_16_64 3
		.amdhsa_dx10_clamp 1
		.amdhsa_ieee_mode 1
		.amdhsa_fp16_overflow 0
		.amdhsa_workgroup_processor_mode 1
		.amdhsa_memory_ordered 1
		.amdhsa_forward_progress 0
		.amdhsa_shared_vgpr_count 0
		.amdhsa_exception_fp_ieee_invalid_op 0
		.amdhsa_exception_fp_denorm_src 0
		.amdhsa_exception_fp_ieee_div_zero 0
		.amdhsa_exception_fp_ieee_overflow 0
		.amdhsa_exception_fp_ieee_underflow 0
		.amdhsa_exception_fp_ieee_inexact 0
		.amdhsa_exception_int_div_zero 0
	.end_amdhsa_kernel
	.section	.text._ZL30rocblas_trsm_small_left_deviceILi28ELi28ELb0EddPKPKdPKPdEv13rocblas_fill_18rocblas_operation_17rocblas_diagonal_iiT3_T4_lilT5_lili,"axG",@progbits,_ZL30rocblas_trsm_small_left_deviceILi28ELi28ELb0EddPKPKdPKPdEv13rocblas_fill_18rocblas_operation_17rocblas_diagonal_iiT3_T4_lilT5_lili,comdat
.Lfunc_end98:
	.size	_ZL30rocblas_trsm_small_left_deviceILi28ELi28ELb0EddPKPKdPKPdEv13rocblas_fill_18rocblas_operation_17rocblas_diagonal_iiT3_T4_lilT5_lili, .Lfunc_end98-_ZL30rocblas_trsm_small_left_deviceILi28ELi28ELb0EddPKPKdPKPdEv13rocblas_fill_18rocblas_operation_17rocblas_diagonal_iiT3_T4_lilT5_lili
                                        ; -- End function
	.section	.AMDGPU.csdata,"",@progbits
; Kernel info:
; codeLenInByte = 29220
; NumSgprs: 42
; NumVgprs: 148
; ScratchSize: 0
; MemoryBound: 1
; FloatMode: 240
; IeeeMode: 1
; LDSByteSize: 6272 bytes/workgroup (compile time only)
; SGPRBlocks: 5
; VGPRBlocks: 18
; NumSGPRsForWavesPerEU: 42
; NumVGPRsForWavesPerEU: 148
; Occupancy: 5
; WaveLimiterHint : 1
; COMPUTE_PGM_RSRC2:SCRATCH_EN: 0
; COMPUTE_PGM_RSRC2:USER_SGPR: 14
; COMPUTE_PGM_RSRC2:TRAP_HANDLER: 0
; COMPUTE_PGM_RSRC2:TGID_X_EN: 1
; COMPUTE_PGM_RSRC2:TGID_Y_EN: 0
; COMPUTE_PGM_RSRC2:TGID_Z_EN: 1
; COMPUTE_PGM_RSRC2:TIDIG_COMP_CNT: 0
	.section	.text._ZL38rocblas_trsm_small_left_device_sharedBILi28ELi28ELb1EddPKPKdPKPdEv13rocblas_fill_18rocblas_operation_17rocblas_diagonal_iiT3_T4_lilT5_lili,"axG",@progbits,_ZL38rocblas_trsm_small_left_device_sharedBILi28ELi28ELb1EddPKPKdPKPdEv13rocblas_fill_18rocblas_operation_17rocblas_diagonal_iiT3_T4_lilT5_lili,comdat
	.globl	_ZL38rocblas_trsm_small_left_device_sharedBILi28ELi28ELb1EddPKPKdPKPdEv13rocblas_fill_18rocblas_operation_17rocblas_diagonal_iiT3_T4_lilT5_lili ; -- Begin function _ZL38rocblas_trsm_small_left_device_sharedBILi28ELi28ELb1EddPKPKdPKPdEv13rocblas_fill_18rocblas_operation_17rocblas_diagonal_iiT3_T4_lilT5_lili
	.p2align	8
	.type	_ZL38rocblas_trsm_small_left_device_sharedBILi28ELi28ELb1EddPKPKdPKPdEv13rocblas_fill_18rocblas_operation_17rocblas_diagonal_iiT3_T4_lilT5_lili,@function
_ZL38rocblas_trsm_small_left_device_sharedBILi28ELi28ELb1EddPKPKdPKPdEv13rocblas_fill_18rocblas_operation_17rocblas_diagonal_iiT3_T4_lilT5_lili: ; @_ZL38rocblas_trsm_small_left_device_sharedBILi28ELi28ELb1EddPKPKdPKPdEv13rocblas_fill_18rocblas_operation_17rocblas_diagonal_iiT3_T4_lilT5_lili
; %bb.0:
	s_load_b128 s[16:19], s[0:1], 0x40
	s_mov_b32 s20, s15
	s_mov_b32 s21, 0
	s_clause 0x1
	s_load_b128 s[4:7], s[0:1], 0x4
	s_load_b64 s[12:13], s[0:1], 0x28
	s_lshl_b64 s[22:23], s[20:21], 3
	s_mov_b32 s15, exec_lo
	s_waitcnt lgkmcnt(0)
	s_add_u32 s2, s16, s22
	s_addc_u32 s3, s17, s23
	s_load_b128 s[8:11], s[0:1], 0x18
	s_load_b64 s[2:3], s[2:3], 0x0
	s_min_i32 s20, s6, 28
	s_delay_alu instid0(SALU_CYCLE_1)
	s_add_i32 s28, s20, -1
	v_cmpx_gt_i32_e64 s20, v0
	s_cbranch_execz .LBB99_10
; %bb.1:
	s_load_b32 s16, s[0:1], 0x30
	s_waitcnt lgkmcnt(0)
	s_ashr_i32 s17, s16, 31
	s_add_u32 s10, s10, s22
	s_addc_u32 s11, s11, s23
	s_cmp_lt_u32 s28, 3
	s_load_b64 s[10:11], s[10:11], 0x0
	s_cbranch_scc1 .LBB99_4
; %bb.2:
	v_lshlrev_b32_e32 v3, 3, v0
	s_lshl_b64 s[22:23], s[12:13], 3
	s_mul_hi_i32 s29, s16, 24
	s_waitcnt lgkmcnt(0)
	s_add_u32 s21, s10, s22
	s_addc_u32 s22, s11, s23
	v_add_co_u32 v1, s21, s21, v3
	s_delay_alu instid0(VALU_DEP_1)
	v_add_co_ci_u32_e64 v2, null, s22, 0, s21
	s_and_b32 s21, s20, -4
	s_mul_i32 s30, s16, 24
	s_lshl_b64 s[22:23], s[16:17], 5
	s_lshl_b64 s[24:25], s[16:17], 4
	;; [unrolled: 1-line block ×3, first 2 shown]
	s_mov_b32 s31, 0
	.p2align	6
.LBB99_3:                               ; =>This Inner Loop Header: Depth=1
	v_add_co_u32 v4, vcc_lo, v1, s26
	v_add_co_ci_u32_e32 v5, vcc_lo, s27, v2, vcc_lo
	v_add_co_u32 v6, vcc_lo, v1, s24
	v_add_co_ci_u32_e32 v7, vcc_lo, s25, v2, vcc_lo
	;; [unrolled: 2-line block ×3, first 2 shown]
	s_clause 0x3
	global_load_b64 v[10:11], v[1:2], off
	global_load_b64 v[4:5], v[4:5], off
	;; [unrolled: 1-line block ×4, first 2 shown]
	v_add_co_u32 v1, vcc_lo, v1, s22
	v_add_co_ci_u32_e32 v2, vcc_lo, s23, v2, vcc_lo
	s_add_i32 s31, s31, 4
	s_waitcnt vmcnt(2)
	ds_store_2addr_b64 v3, v[10:11], v[4:5] offset1:28
	s_waitcnt vmcnt(0)
	ds_store_2addr_b64 v3, v[6:7], v[8:9] offset0:56 offset1:84
	v_add_nc_u32_e32 v3, 0x380, v3
	s_cmp_eq_u32 s21, s31
	s_cbranch_scc0 .LBB99_3
.LBB99_4:
	s_and_b32 s22, s20, 3
	s_delay_alu instid0(SALU_CYCLE_1)
	s_cmp_eq_u32 s22, 0
	s_cbranch_scc1 .LBB99_7
; %bb.5:
	s_mul_i32 s23, s17, s21
	s_mul_hi_u32 s24, s16, s21
	s_lshl_b64 s[12:13], s[12:13], 3
	s_add_i32 s25, s24, s23
	s_mul_i32 s24, s16, s21
	v_lshlrev_b32_e32 v1, 3, v0
	s_lshl_b64 s[24:25], s[24:25], 3
	s_mulk_i32 s21, 0xe0
	s_add_u32 s12, s24, s12
	s_addc_u32 s13, s25, s13
	s_waitcnt lgkmcnt(0)
	s_add_u32 s10, s10, s12
	s_addc_u32 s11, s11, s13
	v_add_co_u32 v1, s10, s10, v1
	v_lshl_add_u32 v3, v0, 3, s21
	v_add_co_ci_u32_e64 v2, null, s11, 0, s10
	s_lshl_b64 s[10:11], s[16:17], 3
.LBB99_6:                               ; =>This Inner Loop Header: Depth=1
	global_load_b64 v[4:5], v[1:2], off
	v_add_co_u32 v1, vcc_lo, v1, s10
	v_add_co_ci_u32_e32 v2, vcc_lo, s11, v2, vcc_lo
	s_add_i32 s22, s22, -1
	s_delay_alu instid0(SALU_CYCLE_1)
	s_cmp_lg_u32 s22, 0
	s_waitcnt vmcnt(0)
	ds_store_b64 v3, v[4:5]
	v_add_nc_u32_e32 v3, 0xe0, v3
	s_cbranch_scc1 .LBB99_6
.LBB99_7:
	v_mul_u32_u24_e32 v3, 29, v0
	v_mov_b32_e32 v1, 0
	v_mov_b32_e32 v2, 0x3ff00000
	s_cmpk_lg_i32 s5, 0x84
	s_delay_alu instid0(VALU_DEP_3)
	v_lshlrev_b32_e32 v3, 3, v3
	s_cbranch_scc0 .LBB99_9
; %bb.8:
	ds_load_b64 v[1:2], v3
	s_waitcnt lgkmcnt(0)
	v_div_scale_f64 v[4:5], null, v[1:2], v[1:2], 1.0
	s_delay_alu instid0(VALU_DEP_1) | instskip(SKIP_2) | instid1(VALU_DEP_1)
	v_rcp_f64_e32 v[6:7], v[4:5]
	s_waitcnt_depctr 0xfff
	v_fma_f64 v[8:9], -v[4:5], v[6:7], 1.0
	v_fma_f64 v[6:7], v[6:7], v[8:9], v[6:7]
	s_delay_alu instid0(VALU_DEP_1) | instskip(NEXT) | instid1(VALU_DEP_1)
	v_fma_f64 v[8:9], -v[4:5], v[6:7], 1.0
	v_fma_f64 v[6:7], v[6:7], v[8:9], v[6:7]
	v_div_scale_f64 v[8:9], vcc_lo, 1.0, v[1:2], 1.0
	s_delay_alu instid0(VALU_DEP_1) | instskip(NEXT) | instid1(VALU_DEP_1)
	v_mul_f64 v[10:11], v[8:9], v[6:7]
	v_fma_f64 v[4:5], -v[4:5], v[10:11], v[8:9]
	s_delay_alu instid0(VALU_DEP_1) | instskip(NEXT) | instid1(VALU_DEP_1)
	v_div_fmas_f64 v[4:5], v[4:5], v[6:7], v[10:11]
	v_div_fixup_f64 v[1:2], v[4:5], v[1:2], 1.0
.LBB99_9:
	ds_store_b64 v3, v[1:2]
.LBB99_10:
	s_or_b32 exec_lo, exec_lo, s15
	s_clause 0x1
	s_load_b32 s5, s[0:1], 0x68
	s_load_b32 s16, s[0:1], 0x50
	s_lshl_b64 s[0:1], s[18:19], 3
	s_waitcnt lgkmcnt(0)
	s_mul_i32 s11, s14, 0xffffffe4
	s_mul_i32 s10, s14, 28
	s_ashr_i32 s17, s16, 31
	s_add_u32 s15, s2, s0
	s_addc_u32 s18, s3, s1
	s_add_i32 s5, s5, -1
	s_add_i32 s11, s11, s7
	s_mul_hi_i32 s13, s16, s10
	s_cmp_ge_u32 s14, s5
	s_mul_i32 s12, s16, s10
	s_cselect_b32 s14, s11, 28
	s_lshl_b64 s[12:13], s[12:13], 3
	s_ashr_i32 s11, s10, 31
	s_add_u32 s5, s15, s12
	s_addc_u32 s7, s18, s13
	v_cmp_gt_i32_e32 vcc_lo, s14, v0
	s_cmp_gt_i32 s6, 0
	s_mov_b32 s12, 0
	s_cselect_b32 s13, -1, 0
	s_delay_alu instid0(SALU_CYCLE_1) | instskip(NEXT) | instid1(SALU_CYCLE_1)
	s_and_b32 s18, vcc_lo, s13
	s_and_saveexec_b32 s19, s18
	s_cbranch_execz .LBB99_17
; %bb.11:
	s_cmp_lt_i32 s6, 8
	s_cbranch_scc1 .LBB99_14
; %bb.12:
	v_mad_i64_i32 v[1:2], null, s16, v0, 0
	v_lshl_add_u32 v3, v0, 3, 0x1880
	s_lshl_b32 s12, s20, 3
	s_mov_b64 s[14:15], 0
	s_and_b32 s13, s12, 0xc0
	s_mov_b32 s12, 0
	s_delay_alu instid0(VALU_DEP_2) | instskip(NEXT) | instid1(VALU_DEP_1)
	v_lshlrev_b64 v[1:2], 3, v[1:2]
	v_add_co_u32 v1, vcc_lo, s5, v1
	s_delay_alu instid0(VALU_DEP_2)
	v_add_co_ci_u32_e32 v2, vcc_lo, s7, v2, vcc_lo
	s_set_inst_prefetch_distance 0x1
	.p2align	6
.LBB99_13:                              ; =>This Inner Loop Header: Depth=1
	s_delay_alu instid0(VALU_DEP_2) | instskip(NEXT) | instid1(VALU_DEP_2)
	v_add_co_u32 v16, vcc_lo, v1, s14
	v_add_co_ci_u32_e32 v17, vcc_lo, s15, v2, vcc_lo
	s_add_i32 s12, s12, 8
	s_add_u32 s14, s14, 64
	s_addc_u32 s15, s15, 0
	s_clause 0x3
	global_load_b128 v[4:7], v[16:17], off
	global_load_b128 v[8:11], v[16:17], off offset:16
	global_load_b128 v[12:15], v[16:17], off offset:32
	;; [unrolled: 1-line block ×3, first 2 shown]
	s_cmp_lg_u32 s13, s14
	s_waitcnt vmcnt(3)
	v_mul_f64 v[4:5], v[4:5], s[8:9]
	v_mul_f64 v[6:7], v[6:7], s[8:9]
	s_waitcnt vmcnt(2)
	v_mul_f64 v[8:9], v[8:9], s[8:9]
	v_mul_f64 v[10:11], v[10:11], s[8:9]
	;; [unrolled: 3-line block ×4, first 2 shown]
	ds_store_2addr_b64 v3, v[4:5], v[6:7] offset1:28
	ds_store_2addr_b64 v3, v[8:9], v[10:11] offset0:56 offset1:84
	ds_store_2addr_b64 v3, v[12:13], v[14:15] offset0:112 offset1:140
	;; [unrolled: 1-line block ×3, first 2 shown]
	v_add_nc_u32_e32 v3, 0x700, v3
	s_cbranch_scc1 .LBB99_13
.LBB99_14:
	s_set_inst_prefetch_distance 0x2
	s_and_b32 s14, s20, 7
	s_mov_b32 s13, 0
	s_cmp_eq_u32 s14, 0
	s_cbranch_scc1 .LBB99_17
; %bb.15:
	v_lshlrev_b32_e32 v3, 3, v0
	s_lshl_b64 s[22:23], s[10:11], 3
	s_lshl_b64 s[24:25], s[12:13], 3
	s_mulk_i32 s12, 0xe0
	s_delay_alu instid0(VALU_DEP_1) | instskip(NEXT) | instid1(VALU_DEP_1)
	v_add_co_u32 v4, s13, s22, v3
	v_add_co_ci_u32_e64 v5, null, s23, 0, s13
	s_add_u32 s13, s2, s24
	s_addc_u32 s15, s3, s25
	s_add_u32 s22, s13, s0
	s_addc_u32 s23, s15, s1
	v_mul_lo_u32 v5, v5, s16
	v_mad_u64_u32 v[1:2], null, v4, s16, s[22:23]
	v_mul_lo_u32 v4, v4, s17
	v_add3_u32 v3, s12, v3, 0x1880
	s_delay_alu instid0(VALU_DEP_2)
	v_add3_u32 v2, v5, v2, v4
.LBB99_16:                              ; =>This Inner Loop Header: Depth=1
	global_load_b64 v[4:5], v[1:2], off
	v_add_co_u32 v1, vcc_lo, v1, 8
	v_add_co_ci_u32_e32 v2, vcc_lo, 0, v2, vcc_lo
	s_add_i32 s14, s14, -1
	s_delay_alu instid0(SALU_CYCLE_1)
	s_cmp_lg_u32 s14, 0
	s_waitcnt vmcnt(0)
	v_mul_f64 v[4:5], v[4:5], s[8:9]
	ds_store_b64 v3, v[4:5]
	v_add_nc_u32_e32 v3, 0xe0, v3
	s_cbranch_scc1 .LBB99_16
.LBB99_17:
	s_or_b32 exec_lo, exec_lo, s19
	s_cmpk_eq_i32 s4, 0x6f
	s_mov_b32 s4, -1
	s_waitcnt vmcnt(0) lgkmcnt(0)
	s_waitcnt_vscnt null, 0x0
	; wave barrier
	s_waitcnt lgkmcnt(0)
	buffer_gl0_inv
	s_cbranch_scc1 .LBB99_40
; %bb.18:
	s_cmp_gt_i32 s6, 27
	s_mov_b32 s4, s28
	s_cbranch_scc0 .LBB99_20
; %bb.19:
	s_mul_i32 s19, s28, 0xe8
	s_mul_i32 s4, s28, 28
	v_mov_b32_e32 v1, s19
	v_add_lshl_u32 v2, s4, v0, 3
	s_mul_i32 s4, s20, 28
	s_add_i32 s13, s19, 0xffffff18
	s_sub_i32 s8, s4, 56
	ds_load_b64 v[5:6], v1
	ds_load_b64 v[7:8], v2 offset:6272
	s_add_i32 s9, s4, 0xffffffac
	s_add_i32 s12, s4, 0xffffff90
	v_add_lshl_u32 v109, s8, v0, 3
	v_add_lshl_u32 v110, s9, v0, 3
	;; [unrolled: 1-line block ×3, first 2 shown]
	v_mov_b32_e32 v1, s13
	ds_load_b64 v[9:10], v109 offset:6272
	ds_load_b64 v[11:12], v110 offset:6272
	ds_load_b64 v[15:16], v111 offset:6272
	ds_load_2addr_b64 v[1:4], v1 offset1:1
	s_add_i32 s9, s9, s28
	s_add_i32 s12, s12, s28
	s_lshl_b32 s8, s9, 3
	s_add_i32 s13, s4, 0xffffff20
	s_add_i32 s21, s4, 0xfffffecc
	v_add_lshl_u32 v115, s13, v0, 3
	s_add_i32 s13, s13, s28
	s_add_i32 s14, s4, 0xfffffeb0
	s_lshl_b32 s15, s13, 3
	v_add_lshl_u32 v118, s21, v0, 3
	v_add_lshl_u32 v119, s14, v0, 3
	s_waitcnt lgkmcnt(4)
	v_mul_f64 v[81:82], v[5:6], v[7:8]
	s_add_i32 s21, s21, s28
	s_add_i32 s14, s14, s28
	;; [unrolled: 1-line block ×3, first 2 shown]
	s_lshl_b32 s23, s14, 3
	s_add_i32 s14, s4, 0xfffffe5c
	s_delay_alu instid0(SALU_CYCLE_1) | instskip(SKIP_2) | instid1(VALU_DEP_2)
	v_add_lshl_u32 v122, s14, v0, 3
	s_add_i32 s14, s14, s28
	s_waitcnt lgkmcnt(0)
	v_fma_f64 v[7:8], -v[81:82], v[3:4], v[9:10]
	v_mov_b32_e32 v3, s8
	s_add_i32 s8, s19, 0xfffffe30
	ds_load_b64 v[9:10], v3
	v_mov_b32_e32 v3, s8
	s_lshl_b32 s8, s12, 3
	s_add_i32 s12, s4, 0xffffff3c
	s_add_i32 s8, s8, -8
	v_add_lshl_u32 v114, s12, v0, 3
	ds_load_2addr_b64 v[3:6], v3 offset1:1
	s_add_i32 s12, s12, s28
	s_delay_alu instid0(SALU_CYCLE_1)
	s_lshl_b32 s12, s12, 3
	s_waitcnt lgkmcnt(1)
	v_fma_f64 v[17:18], -v[81:82], v[9:10], v[11:12]
	v_mul_f64 v[83:84], v[1:2], v[7:8]
	v_mov_b32_e32 v1, s8
	s_add_i32 s8, s19, 0xfffffd48
	ds_load_2addr_b64 v[7:10], v1 offset1:1
	v_mov_b32_e32 v1, s8
	s_add_i32 s8, s4, 0xffffff74
	s_delay_alu instid0(SALU_CYCLE_1) | instskip(SKIP_4) | instid1(SALU_CYCLE_1)
	s_add_i32 s9, s8, s28
	v_add_lshl_u32 v112, s8, v0, 3
	ds_load_2addr_b64 v[11:14], v1 offset1:1
	s_lshl_b32 s9, s9, 3
	s_add_i32 s8, s4, 0xffffff58
	v_add_lshl_u32 v113, s8, v0, 3
	s_add_i32 s8, s8, s28
	s_delay_alu instid0(SALU_CYCLE_1)
	s_lshl_b32 s8, s8, 3
	s_waitcnt lgkmcnt(1)
	v_fma_f64 v[1:2], -v[81:82], v[9:10], v[15:16]
	v_mov_b32_e32 v9, s9
	s_add_i32 s9, s9, -16
	ds_load_b64 v[9:10], v9
	ds_load_b64 v[19:20], v112 offset:6272
	v_mov_b32_e32 v15, s9
	s_add_i32 s9, s8, -8
	s_sub_i32 s8, s8, 24
	v_fma_f64 v[5:6], -v[83:84], v[5:6], v[17:18]
	ds_load_b64 v[21:22], v113 offset:6272
	ds_load_b64 v[23:24], v114 offset:6272
	ds_load_b64 v[27:28], v115 offset:6272
	ds_load_2addr_b64 v[15:18], v15 offset1:1
	s_waitcnt lgkmcnt(4)
	v_fma_f64 v[9:10], -v[81:82], v[9:10], v[19:20]
	v_fma_f64 v[7:8], -v[83:84], v[7:8], v[1:2]
	v_mov_b32_e32 v1, s9
	s_add_i32 s9, s12, -8
	v_mul_f64 v[85:86], v[3:4], v[5:6]
	ds_load_2addr_b64 v[1:4], v1 offset1:1
	s_waitcnt lgkmcnt(1)
	v_fma_f64 v[17:18], -v[83:84], v[17:18], v[9:10]
	s_waitcnt lgkmcnt(0)
	v_fma_f64 v[19:20], -v[81:82], v[3:4], v[21:22]
	v_mov_b32_e32 v3, s9
	s_sub_i32 s9, s12, 24
	s_sub_i32 s12, s12, 40
	ds_load_2addr_b64 v[3:6], v3 offset1:1
	v_fma_f64 v[13:14], -v[85:86], v[13:14], v[7:8]
	v_mov_b32_e32 v7, s9
	s_add_i32 s9, s19, 0xfffffc60
	ds_load_2addr_b64 v[7:10], v7 offset1:1
	s_waitcnt lgkmcnt(1)
	v_fma_f64 v[5:6], -v[81:82], v[5:6], v[23:24]
	v_fma_f64 v[29:30], -v[85:86], v[15:16], v[17:18]
	v_mov_b32_e32 v15, s9
	s_add_i32 s9, s15, -16
	s_delay_alu instid0(SALU_CYCLE_1)
	v_mov_b32_e32 v23, s9
	v_fma_f64 v[1:2], -v[83:84], v[1:2], v[19:20]
	v_mul_f64 v[87:88], v[11:12], v[13:14]
	v_dual_mov_b32 v11, s15 :: v_dual_mov_b32 v12, s8
	s_add_i32 s8, s19, 0xfffffb78
	ds_load_b64 v[31:32], v11
	ds_load_2addr_b64 v[11:14], v12 offset1:1
	ds_load_2addr_b64 v[15:18], v15 offset1:1
	v_mov_b32_e32 v19, s8
	s_add_i32 s8, s4, 0xffffff04
	v_fma_f64 v[5:6], -v[83:84], v[3:4], v[5:6]
	s_add_i32 s9, s8, s28
	v_add_lshl_u32 v116, s8, v0, 3
	s_lshl_b32 s9, s9, 3
	ds_load_2addr_b64 v[19:22], v19 offset1:1
	ds_load_2addr_b64 v[23:26], v23 offset1:1
	s_add_i32 s13, s9, -8
	s_add_i32 s8, s4, 0xfffffee8
	s_delay_alu instid0(SALU_CYCLE_1)
	v_add_lshl_u32 v117, s8, v0, 3
	s_add_i32 s8, s8, s28
	s_waitcnt lgkmcnt(4)
	v_fma_f64 v[31:32], -v[81:82], v[31:32], v[27:28]
	s_waitcnt lgkmcnt(3)
	v_fma_f64 v[13:14], -v[85:86], v[13:14], v[1:2]
	v_mov_b32_e32 v1, s13
	s_sub_i32 s13, s9, 24
	ds_load_2addr_b64 v[1:4], v1 offset1:1
	ds_load_b64 v[33:34], v116 offset:6272
	v_mov_b32_e32 v27, s13
	s_lshl_b32 s13, s8, 3
	s_delay_alu instid0(SALU_CYCLE_1)
	s_add_i32 s8, s13, -16
	s_waitcnt lgkmcnt(4)
	v_fma_f64 v[17:18], -v[87:88], v[17:18], v[29:30]
	ds_load_b64 v[35:36], v117 offset:6272
	ds_load_b64 v[37:38], v118 offset:6272
	;; [unrolled: 1-line block ×3, first 2 shown]
	ds_load_2addr_b64 v[27:30], v27 offset1:1
	v_fma_f64 v[9:10], -v[85:86], v[9:10], v[5:6]
	s_waitcnt lgkmcnt(4)
	v_fma_f64 v[33:34], -v[81:82], v[3:4], v[33:34]
	v_mov_b32_e32 v3, s13
	v_fma_f64 v[25:26], -v[83:84], v[25:26], v[31:32]
	v_fma_f64 v[11:12], -v[87:88], v[11:12], v[13:14]
	ds_load_b64 v[13:14], v3
	v_mov_b32_e32 v3, s8
	s_lshl_b32 s8, s21, 3
	s_sub_i32 s21, s15, 32
	ds_load_2addr_b64 v[3:6], v3 offset1:1
	v_mul_f64 v[89:90], v[15:16], v[17:18]
	s_waitcnt lgkmcnt(1)
	v_fma_f64 v[31:32], -v[81:82], v[13:14], v[35:36]
	v_fma_f64 v[1:2], -v[83:84], v[1:2], v[33:34]
	;; [unrolled: 1-line block ×3, first 2 shown]
	v_dual_mov_b32 v7, s8 :: v_dual_mov_b32 v8, s21
	s_add_i32 s21, s4, 0xfffffe78
	s_delay_alu instid0(SALU_CYCLE_1)
	v_add_lshl_u32 v121, s21, v0, 3
	s_add_i32 s21, s21, s28
	v_fma_f64 v[25:26], -v[85:86], v[23:24], v[25:26]
	v_fma_f64 v[35:36], -v[89:90], v[21:22], v[11:12]
	v_mov_b32_e32 v11, s12
	s_sub_i32 s12, s15, 48
	ds_load_b64 v[41:42], v7
	ds_load_2addr_b64 v[7:10], v8 offset1:1
	ds_load_2addr_b64 v[11:14], v11 offset1:1
	v_mov_b32_e32 v15, s12
	s_add_i32 s12, s23, -8
	s_add_i32 s15, s8, -16
	s_waitcnt lgkmcnt(3)
	v_fma_f64 v[5:6], -v[83:84], v[5:6], v[31:32]
	v_mov_b32_e32 v21, s15
	ds_load_2addr_b64 v[15:18], v15 offset1:1
	ds_load_2addr_b64 v[21:24], v21 offset1:1
	v_fma_f64 v[1:2], -v[85:86], v[29:30], v[1:2]
	s_add_i32 s15, s4, 0xfffffe94
	s_delay_alu instid0(SALU_CYCLE_1)
	s_add_i32 s22, s15, s28
	v_add_lshl_u32 v120, s15, v0, 3
	s_lshl_b32 s24, s22, 3
	s_sub_i32 s22, s13, 32
	s_sub_i32 s15, s9, 40
	s_waitcnt lgkmcnt(4)
	v_fma_f64 v[37:38], -v[81:82], v[41:42], v[37:38]
	s_sub_i32 s9, s9, 56
	s_waitcnt lgkmcnt(3)
	v_fma_f64 v[9:10], -v[87:88], v[9:10], v[25:26]
	s_waitcnt lgkmcnt(2)
	v_fma_f64 v[13:14], -v[89:90], v[13:14], v[33:34]
	v_mul_f64 v[91:92], v[19:20], v[35:36]
	v_mov_b32_e32 v19, s12
	s_sub_i32 s12, s23, 24
	ds_load_2addr_b64 v[29:32], v19 offset1:1
	v_mov_b32_e32 v19, s12
	v_fma_f64 v[41:42], -v[85:86], v[3:4], v[5:6]
	v_mov_b32_e32 v5, s15
	s_add_i32 s12, s4, 0xfffffe40
	s_sub_i32 s15, s13, 48
	ds_load_2addr_b64 v[33:36], v19 offset1:1
	v_add_lshl_u32 v123, s12, v0, 3
	v_fma_f64 v[27:28], -v[87:88], v[27:28], v[1:2]
	v_dual_mov_b32 v1, s24 :: v_dual_mov_b32 v2, s22
	ds_load_b64 v[45:46], v1
	ds_load_b64 v[47:48], v120 offset:6272
	s_add_i32 s22, s24, -16
	s_add_i32 s12, s12, s28
	s_sub_i32 s13, s13, 64
	v_fma_f64 v[43:44], -v[89:90], v[7:8], v[9:10]
	v_mov_b32_e32 v9, s25
	s_waitcnt lgkmcnt(3)
	v_fma_f64 v[19:20], -v[81:82], v[31:32], v[39:40]
	v_fma_f64 v[31:32], -v[83:84], v[23:24], v[37:38]
	ds_load_2addr_b64 v[1:4], v2 offset1:1
	ds_load_2addr_b64 v[5:8], v5 offset1:1
	v_mov_b32_e32 v10, s15
	ds_load_b64 v[49:50], v9
	v_mov_b32_e32 v9, s9
	s_lshl_b32 s12, s12, 3
	s_delay_alu instid0(SALU_CYCLE_1)
	s_add_i32 s15, s12, -8
	s_sub_i32 s26, s12, 24
	s_sub_i32 s31, s12, 40
	;; [unrolled: 1-line block ×3, first 2 shown]
	v_fma_f64 v[13:14], -v[91:92], v[11:12], v[13:14]
	v_mov_b32_e32 v11, s22
	s_waitcnt lgkmcnt(3)
	v_fma_f64 v[45:46], -v[81:82], v[45:46], v[47:48]
	s_lshl_b32 s22, s21, 3
	ds_load_b64 v[51:52], v121 offset:6272
	ds_load_b64 v[53:54], v122 offset:6272
	ds_load_b64 v[55:56], v123 offset:6272
	ds_load_2addr_b64 v[23:26], v9 offset1:1
	ds_load_2addr_b64 v[37:40], v10 offset1:1
	;; [unrolled: 1-line block ×3, first 2 shown]
	s_add_i32 s9, s22, -8
	s_sub_i32 s21, s22, 24
	s_sub_i32 s25, s22, 40
	;; [unrolled: 1-line block ×3, first 2 shown]
	s_waitcnt lgkmcnt(8)
	v_fma_f64 v[3:4], -v[87:88], v[3:4], v[41:42]
	s_add_i32 s30, s22, 0xffffffb8
	s_addk_i32 s22, 0xffa8
	s_waitcnt lgkmcnt(7)
	v_fma_f64 v[7:8], -v[89:90], v[7:8], v[27:28]
	v_fma_f64 v[47:48], -v[83:84], v[29:30], v[19:20]
	;; [unrolled: 1-line block ×4, first 2 shown]
	s_waitcnt lgkmcnt(6)
	v_mul_f64 v[93:94], v[49:50], v[13:14]
	v_mov_b32_e32 v13, s9
	s_sub_i32 s9, s8, 32
	s_waitcnt lgkmcnt(0)
	v_fma_f64 v[11:12], -v[83:84], v[11:12], v[45:46]
	v_mov_b32_e32 v14, s9
	s_sub_i32 s9, s8, 48
	ds_load_2addr_b64 v[17:20], v13 offset1:1
	ds_load_2addr_b64 v[27:30], v14 offset1:1
	v_mov_b32_e32 v13, s9
	s_lshl_b32 s9, s14, 3
	v_fma_f64 v[1:2], -v[89:90], v[1:2], v[3:4]
	s_add_i32 s14, s19, 0xfffff9a8
	s_sub_i32 s8, s8, 64
	v_fma_f64 v[3:4], -v[91:92], v[5:6], v[7:8]
	v_mov_b32_e32 v7, s9
	ds_load_2addr_b64 v[41:44], v13 offset1:1
	ds_load_b64 v[7:8], v7
	v_fma_f64 v[35:36], -v[85:86], v[35:36], v[47:48]
	s_waitcnt lgkmcnt(3)
	v_fma_f64 v[13:14], -v[81:82], v[19:20], v[51:52]
	s_waitcnt lgkmcnt(2)
	v_fma_f64 v[29:30], -v[87:88], v[29:30], v[21:22]
	v_fma_f64 v[5:6], -v[93:94], v[15:16], v[31:32]
	v_mov_b32_e32 v15, s14
	s_waitcnt lgkmcnt(0)
	v_fma_f64 v[49:50], -v[81:82], v[7:8], v[53:54]
	v_fma_f64 v[51:52], -v[85:86], v[9:10], v[11:12]
	s_add_i32 s14, s9, -16
	v_mov_b32_e32 v9, s25
	ds_load_b64 v[15:16], v15
	v_mov_b32_e32 v19, s14
	s_sub_i32 s14, s23, 40
	v_fma_f64 v[39:40], -v[91:92], v[39:40], v[1:2]
	v_mov_b32_e32 v1, s15
	s_sub_i32 s15, s24, 32
	v_fma_f64 v[59:60], -v[93:94], v[25:26], v[3:4]
	v_dual_mov_b32 v2, s21 :: v_dual_mov_b32 v3, s15
	v_mov_b32_e32 v4, s14
	ds_load_2addr_b64 v[19:22], v19 offset1:1
	s_add_i32 s14, s4, 0xfffffe24
	s_sub_i32 s15, s23, 56
	s_sub_i32 s21, s24, 48
	v_add_lshl_u32 v124, s14, v0, 3
	s_addk_i32 s23, 0xffb8
	v_fma_f64 v[53:54], -v[87:88], v[33:34], v[35:36]
	v_fma_f64 v[17:18], -v[83:84], v[17:18], v[13:14]
	;; [unrolled: 1-line block ×3, first 2 shown]
	ds_load_2addr_b64 v[25:28], v1 offset1:1
	ds_load_2addr_b64 v[29:32], v2 offset1:1
	;; [unrolled: 1-line block ×4, first 2 shown]
	v_mov_b32_e32 v1, s15
	s_add_i32 s15, s14, s28
	v_mov_b32_e32 v13, s26
	s_lshl_b32 s15, s15, 3
	s_add_i32 s14, s19, 0xfffff8c0
	s_add_i32 s25, s15, -16
	s_addk_i32 s19, 0xf7d8
	s_sub_i32 s26, s9, 48
	s_waitcnt lgkmcnt(5)
	v_mul_f64 v[95:96], v[15:16], v[5:6]
	v_mov_b32_e32 v5, s21
	s_waitcnt lgkmcnt(4)
	v_fma_f64 v[49:50], -v[83:84], v[21:22], v[49:50]
	v_mov_b32_e32 v21, s15
	ds_load_2addr_b64 v[1:4], v1 offset1:1
	ds_load_2addr_b64 v[5:8], v5 offset1:1
	;; [unrolled: 1-line block ×4, first 2 shown]
	s_add_i32 s21, s4, 0xfffffdd0
	s_sub_i32 s35, s15, 32
	s_waitcnt lgkmcnt(7)
	v_fma_f64 v[27:28], -v[81:82], v[27:28], v[55:56]
	v_add_lshl_u32 v127, s21, v0, 3
	s_add_i32 s21, s21, s28
	v_fma_f64 v[39:40], -v[93:94], v[37:38], v[39:40]
	s_lshl_b32 s21, s21, 3
	s_delay_alu instid0(SALU_CYCLE_1)
	s_add_i32 s38, s21, -8
	s_sub_i32 s39, s21, 24
	s_sub_i32 s40, s21, 40
	;; [unrolled: 1-line block ×3, first 2 shown]
	s_waitcnt lgkmcnt(4)
	v_fma_f64 v[47:48], -v[89:90], v[47:48], v[53:54]
	v_fma_f64 v[17:18], -v[85:86], v[31:32], v[17:18]
	;; [unrolled: 1-line block ×4, first 2 shown]
	ds_load_b64 v[53:54], v21
	ds_load_b64 v[55:56], v124 offset:6272
	v_mov_b32_e32 v21, s13
	v_mov_b32_e32 v35, s14
	s_add_i32 s13, s4, 0xfffffe08
	s_add_i32 s14, s4, 0xfffffdec
	v_add_lshl_u32 v125, s13, v0, 3
	s_add_i32 s13, s13, s28
	v_add_lshl_u32 v126, s14, v0, 3
	v_fma_f64 v[51:52], -v[95:96], v[23:24], v[59:60]
	ds_load_2addr_b64 v[21:24], v21 offset1:1
	ds_load_b64 v[57:58], v35
	v_fma_f64 v[49:50], -v[85:86], v[19:20], v[49:50]
	s_lshl_b32 s13, s13, 3
	v_mov_b32_e32 v35, s25
	s_add_i32 s25, s13, -8
	ds_load_b64 v[59:60], v125 offset:6272
	ds_load_b64 v[61:62], v126 offset:6272
	;; [unrolled: 1-line block ×3, first 2 shown]
	ds_load_2addr_b64 v[35:38], v35 offset1:1
	s_add_i32 s14, s14, s28
	s_sub_i32 s36, s13, 24
	s_lshl_b32 s14, s14, 3
	s_sub_i32 s37, s13, 40
	s_add_i32 s34, s14, -16
	s_waitcnt lgkmcnt(6)
	v_fma_f64 v[53:54], -v[81:82], v[53:54], v[55:56]
	v_fma_f64 v[55:56], -v[83:84], v[25:26], v[27:28]
	v_mov_b32_e32 v27, s8
	s_mul_i32 s8, s20, 0xe8
	s_delay_alu instid0(SALU_CYCLE_1) | instskip(NEXT) | instid1(SALU_CYCLE_1)
	s_add_i32 s27, s8, 0xfffff520
	v_mov_b32_e32 v130, s27
	s_waitcnt lgkmcnt(5)
	v_fma_f64 v[65:66], -v[95:96], v[23:24], v[39:40]
	s_sub_i32 s27, s24, 64
	s_addk_i32 s24, 0xffb0
	v_fma_f64 v[63:64], -v[87:88], v[29:30], v[17:18]
	v_fma_f64 v[31:32], -v[89:90], v[33:34], v[31:32]
	;; [unrolled: 1-line block ×4, first 2 shown]
	v_mov_b32_e32 v17, s25
	s_sub_i32 s25, s9, 32
	v_mov_b32_e32 v43, s26
	v_mov_b32_e32 v23, s25
	s_add_i32 s25, s8, 0xfffff608
	ds_load_2addr_b64 v[17:20], v17 offset1:1
	ds_load_2addr_b64 v[23:26], v23 offset1:1
	;; [unrolled: 1-line block ×3, first 2 shown]
	s_waitcnt lgkmcnt(7)
	v_mul_f64 v[97:98], v[57:58], v[51:52]
	v_mov_b32_e32 v39, s25
	ds_load_2addr_b64 v[39:42], v39 offset1:1
	ds_load_2addr_b64 v[43:46], v43 offset1:1
	s_add_i32 s26, s4, 0xfffffdb4
	s_add_i32 s25, s8, 0xfffff438
	s_waitcnt lgkmcnt(5)
	v_fma_f64 v[37:38], -v[83:84], v[37:38], v[53:54]
	v_fma_f64 v[15:16], -v[85:86], v[15:16], v[55:56]
	s_waitcnt lgkmcnt(4)
	v_fma_f64 v[19:20], -v[81:82], v[19:20], v[59:60]
	s_waitcnt lgkmcnt(3)
	v_fma_f64 v[25:26], -v[87:88], v[25:26], v[49:50]
	v_fma_f64 v[11:12], -v[89:90], v[11:12], v[63:64]
	;; [unrolled: 1-line block ×4, first 2 shown]
	s_waitcnt lgkmcnt(2)
	v_fma_f64 v[29:30], -v[95:96], v[29:30], v[47:48]
	v_mov_b32_e32 v33, s19
	v_mov_b32_e32 v31, s14
	;; [unrolled: 1-line block ×3, first 2 shown]
	s_add_i32 s19, s26, s28
	s_sub_i32 s34, s15, 48
	ds_load_b64 v[33:34], v33
	ds_load_b64 v[31:32], v31
	ds_load_2addr_b64 v[47:50], v47 offset1:1
	s_lshl_b32 s19, s19, 3
	v_fma_f64 v[21:22], -v[97:98], v[21:22], v[65:66]
	s_sub_i32 s42, s19, 32
	s_sub_i32 s43, s19, 48
	v_fma_f64 v[35:36], -v[85:86], v[35:36], v[37:38]
	v_fma_f64 v[37:38], -v[87:88], v[13:14], v[15:16]
	v_mov_b32_e32 v13, s30
	s_add_i32 s30, s4, 0xfffffd28
	s_delay_alu instid0(SALU_CYCLE_1)
	v_add_lshl_u32 v133, s30, v0, 3
	v_fma_f64 v[103:104], -v[83:84], v[17:18], v[19:20]
	v_mov_b32_e32 v17, s33
	v_fma_f64 v[105:106], -v[89:90], v[23:24], v[25:26]
	v_mov_b32_e32 v25, s37
	s_add_i32 s37, s15, 0xffffffb0
	s_add_i32 s30, s30, s28
	v_mov_b32_e32 v161, s37
	s_add_i32 s37, s21, 0xffffffa8
	v_fma_f64 v[107:108], -v[91:92], v[9:10], v[11:12]
	v_fma_f64 v[128:129], -v[93:94], v[5:6], v[7:8]
	;; [unrolled: 1-line block ×4, first 2 shown]
	v_dual_mov_b32 v7, s38 :: v_dual_mov_b32 v8, s36
	v_mov_b32_e32 v6, s27
	v_dual_mov_b32 v10, s35 :: v_dual_mov_b32 v5, s23
	ds_load_2addr_b64 v[51:54], v7 offset1:1
	s_waitcnt lgkmcnt(2)
	v_fma_f64 v[101:102], -v[81:82], v[31:32], v[61:62]
	v_mov_b32_e32 v7, s29
	v_mov_b32_e32 v11, s31
	v_mul_f64 v[99:100], v[33:34], v[21:22]
	ds_load_2addr_b64 v[55:58], v8 offset1:1
	ds_load_2addr_b64 v[59:62], v10 offset1:1
	;; [unrolled: 1-line block ×6, first 2 shown]
	v_mov_b32_e32 v9, s24
	v_mov_b32_e32 v33, s19
	;; [unrolled: 1-line block ×4, first 2 shown]
	ds_load_2addr_b64 v[5:8], v130 offset1:1
	ds_load_2addr_b64 v[9:12], v9 offset1:1
	;; [unrolled: 1-line block ×7, first 2 shown]
	s_add_i32 s23, s4, 0xfffffd98
	s_sub_i32 s35, s14, 32
	s_add_i32 s27, s4, 0xfffffd7c
	s_add_i32 s31, s19, -16
	v_add_lshl_u32 v130, s27, v0, 3
	s_add_i32 s34, s8, 0xfffff350
	s_add_i32 s27, s27, s28
	s_waitcnt lgkmcnt(13)
	v_fma_f64 v[53:54], -v[81:82], v[53:54], v[79:80]
	s_lshl_b32 s27, s27, 3
	v_fma_f64 v[45:46], -v[91:92], v[45:46], v[105:106]
	s_sub_i32 s38, s13, 56
	s_waitcnt lgkmcnt(12)
	v_fma_f64 v[57:58], -v[85:86], v[57:58], v[103:104]
	s_waitcnt lgkmcnt(11)
	v_fma_f64 v[61:62], -v[87:88], v[61:62], v[35:36]
	s_waitcnt lgkmcnt(10)
	v_fma_f64 v[37:38], -v[89:90], v[65:66], v[37:38]
	s_add_i32 s46, s27, -16
	s_sub_i32 s36, s15, 64
	s_waitcnt lgkmcnt(9)
	v_fma_f64 v[65:66], -v[93:94], v[69:70], v[107:108]
	s_waitcnt lgkmcnt(8)
	v_fma_f64 v[69:70], -v[95:96], v[73:74], v[128:129]
	;; [unrolled: 2-line block ×3, first 2 shown]
	v_mov_b32_e32 v1, s25
	v_add_lshl_u32 v128, s26, v0, 3
	v_add_lshl_u32 v129, s23, v0, 3
	s_add_i32 s23, s23, s28
	s_add_i32 s26, s4, 0xfffffd60
	s_lshl_b32 s23, s23, 3
	v_add_lshl_u32 v131, s26, v0, 3
	v_fma_f64 v[79:80], -v[83:84], v[49:50], v[101:102]
	s_add_i32 s33, s23, -8
	v_mov_b32_e32 v107, s34
	v_fma_f64 v[41:42], -v[99:100], v[41:42], v[3:4]
	ds_load_2addr_b64 v[1:4], v1 offset1:1
	ds_load_b64 v[77:78], v33
	ds_load_b64 v[101:102], v128 offset:6272
	v_mov_b32_e32 v33, s31
	ds_load_b64 v[103:104], v129 offset:6272
	ds_load_b64 v[49:50], v130 offset:6272
	;; [unrolled: 1-line block ×3, first 2 shown]
	ds_load_2addr_b64 v[33:36], v33 offset1:1
	s_add_i32 s34, s9, 0xffffffb0
	s_add_i32 s26, s26, s28
	s_sub_i32 s44, s23, 24
	s_lshl_b32 s26, s26, 3
	v_mov_b32_e32 v108, s22
	s_add_i32 s47, s26, -8
	v_mov_b32_e32 v160, s36
	s_add_i32 s39, s13, 0xffffffb8
	s_sub_i32 s45, s23, 40
	s_sub_i32 s48, s26, 24
	s_add_i32 s25, s4, 0xfffffd44
	v_fma_f64 v[135:136], -v[83:84], v[51:52], v[53:54]
	v_add_lshl_u32 v132, s25, v0, 3
	v_fma_f64 v[45:46], -v[93:94], v[43:44], v[45:46]
	s_add_i32 s25, s25, s28
	s_add_i32 s29, s4, 0xfffffd0c
	s_waitcnt lgkmcnt(4)
	v_fma_f64 v[77:78], -v[81:82], v[77:78], v[101:102]
	v_fma_f64 v[137:138], -v[89:90], v[59:60], v[61:62]
	;; [unrolled: 1-line block ×3, first 2 shown]
	v_mov_b32_e32 v37, s33
	v_fma_f64 v[65:66], -v[95:96], v[67:68], v[65:66]
	v_fma_f64 v[67:68], -v[97:98], v[71:72], v[69:70]
	;; [unrolled: 1-line block ×3, first 2 shown]
	v_mov_b32_e32 v38, s35
	s_sub_i32 s35, s9, 64
	ds_load_2addr_b64 v[51:54], v37 offset1:1
	s_lshl_b32 s25, s25, 3
	v_add_lshl_u32 v134, s29, v0, 3
	v_mov_b32_e32 v157, s25
	s_add_i32 s22, s29, s28
	v_fma_f64 v[47:48], -v[85:86], v[47:48], v[79:80]
	v_fma_f64 v[79:80], -v[87:88], v[55:56], v[57:58]
	ds_load_2addr_b64 v[55:58], v38 offset1:1
	v_mul_f64 v[101:102], v[39:40], v[41:42]
	v_mov_b32_e32 v37, s35
	s_sub_i32 s35, s14, 48
	s_lshl_b32 s29, s30, 3
	v_mov_b32_e32 v41, s35
	s_add_i32 s35, s12, 0xffffffa8
	ds_load_2addr_b64 v[59:62], v37 offset1:1
	v_mov_b32_e32 v37, s34
	ds_load_2addr_b64 v[37:40], v37 offset1:1
	ds_load_2addr_b64 v[41:44], v41 offset1:1
	s_waitcnt lgkmcnt(4)
	v_fma_f64 v[53:54], -v[81:82], v[53:54], v[103:104]
	s_add_i32 s34, s12, 0xffffffb8
	v_mov_b32_e32 v159, s35
	v_fma_f64 v[31:32], -v[85:86], v[31:32], v[135:136]
	v_mov_b32_e32 v158, s34
	s_add_i32 s34, s25, -16
	s_add_i32 s24, s4, 0xfffffcf0
	s_addk_i32 s9, 0xffa0
	v_fma_f64 v[35:36], -v[83:84], v[35:36], v[77:78]
	v_fma_f64 v[23:24], -v[91:92], v[23:24], v[137:138]
	;; [unrolled: 1-line block ×3, first 2 shown]
	s_sub_i32 s35, s14, 64
	v_fma_f64 v[15:16], -v[97:98], v[15:16], v[65:66]
	s_waitcnt lgkmcnt(2)
	v_fma_f64 v[61:62], -v[95:96], v[61:62], v[45:46]
	v_fma_f64 v[11:12], -v[99:100], v[11:12], v[67:68]
	v_mov_b32_e32 v45, s27
	s_add_i32 s31, s8, 0xfffff268
	s_add_i32 s36, s14, 0xffffffb0
	;; [unrolled: 1-line block ×3, first 2 shown]
	s_addk_i32 s12, 0xff98
	ds_load_b64 v[63:64], v45
	s_add_i32 s30, s15, 0xffffffa0
	v_fma_f64 v[57:58], -v[87:88], v[57:58], v[47:48]
	v_fma_f64 v[27:28], -v[89:90], v[27:28], v[79:80]
	s_addk_i32 s15, 0xff90
	v_fma_f64 v[7:8], -v[101:102], v[7:8], v[69:70]
	s_sub_i32 s4, s4, 28
	v_fma_f64 v[137:138], -v[83:84], v[51:52], v[53:54]
	v_fma_f64 v[141:142], -v[87:88], v[29:30], v[31:32]
	v_mov_b32_e32 v29, s45
	v_fma_f64 v[139:140], -v[85:86], v[33:34], v[35:36]
	v_fma_f64 v[147:148], -v[93:94], v[21:22], v[23:24]
	;; [unrolled: 1-line block ×3, first 2 shown]
	v_mov_b32_e32 v17, s39
	v_fma_f64 v[153:154], -v[99:100], v[13:14], v[15:16]
	v_fma_f64 v[151:152], -v[97:98], v[59:60], v[61:62]
	;; [unrolled: 1-line block ×3, first 2 shown]
	v_mov_b32_e32 v9, s40
	v_mov_b32_e32 v21, s41
	;; [unrolled: 1-line block ×3, first 2 shown]
	s_sub_i32 s40, s27, 48
	s_sub_i32 s41, s26, 40
	s_add_i32 s39, s23, 0xffffffb8
	v_fma_f64 v[143:144], -v[89:90], v[55:56], v[57:58]
	v_fma_f64 v[145:146], -v[91:92], v[25:26], v[27:28]
	v_mov_b32_e32 v25, s43
	v_mul_f64 v[103:104], v[5:6], v[7:8]
	v_dual_mov_b32 v6, s47 :: v_dual_mov_b32 v5, s38
	v_dual_mov_b32 v7, s44 :: v_dual_mov_b32 v8, s42
	s_sub_i32 s43, s29, 24
	ds_load_2addr_b64 v[77:80], v6 offset1:1
	s_waitcnt lgkmcnt(1)
	v_fma_f64 v[135:136], -v[81:82], v[63:64], v[49:50]
	v_mov_b32_e32 v45, s46
	s_add_i32 s38, s19, 0xffffffb0
	s_sub_i32 s42, s25, 48
	s_sub_i32 s44, s29, 40
	ds_load_2addr_b64 v[45:48], v45 offset1:1
	ds_load_2addr_b64 v[73:76], v7 offset1:1
	;; [unrolled: 1-line block ×16, first 2 shown]
	s_waitcnt lgkmcnt(16)
	v_fma_f64 v[107:108], -v[81:82], v[79:80], v[105:106]
	s_waitcnt lgkmcnt(14)
	v_fma_f64 v[79:80], -v[85:86], v[75:76], v[137:138]
	;; [unrolled: 2-line block ×4, first 2 shown]
	v_fma_f64 v[67:68], -v[91:92], v[43:44], v[143:144]
	s_waitcnt lgkmcnt(11)
	v_fma_f64 v[63:64], -v[93:94], v[63:64], v[145:146]
	s_waitcnt lgkmcnt(10)
	v_fma_f64 v[59:60], -v[95:96], v[59:60], v[147:148]
	v_fma_f64 v[43:44], -v[99:100], v[39:40], v[151:152]
	s_waitcnt lgkmcnt(8)
	v_fma_f64 v[39:40], -v[101:102], v[51:52], v[153:154]
	v_fma_f64 v[3:4], -v[103:104], v[3:4], v[155:156]
	ds_load_b64 v[139:140], v157
	ds_load_b64 v[141:142], v132 offset:6272
	v_add_lshl_u32 v51, s24, v0, 3
	v_mov_b32_e32 v52, s33
	s_add_i32 s33, s13, 0xffffff98
	v_fma_f64 v[105:106], -v[83:84], v[47:48], v[135:136]
	v_fma_f64 v[47:48], -v[97:98], v[55:56], v[149:150]
	v_mov_b32_e32 v56, s34
	s_add_i32 s34, s29, -8
	ds_load_b64 v[143:144], v133 offset:6272
	ds_load_b64 v[145:146], v134 offset:6272
	;; [unrolled: 1-line block ×3, first 2 shown]
	ds_load_2addr_b64 v[135:138], v56 offset1:1
	v_mov_b32_e32 v55, s31
	s_add_i32 s31, s24, s28
	s_lshl_b32 s24, s22, 3
	s_lshl_b32 s22, s31, 3
	v_mov_b32_e32 v151, s24
	s_add_i32 s45, s24, -16
	s_add_i32 s31, s13, 0xffffffa8
	s_add_i32 s46, s22, -8
	s_sub_i32 s47, s22, 24
	s_waitcnt lgkmcnt(4)
	v_fma_f64 v[139:140], -v[81:82], v[139:140], v[141:142]
	v_fma_f64 v[77:78], -v[83:84], v[77:78], v[107:108]
	;; [unrolled: 1-line block ×10, first 2 shown]
	v_mul_f64 v[1:2], v[1:2], v[3:4]
	v_mov_b32_e32 v3, s34
	s_sub_i32 s34, s27, 32
	s_delay_alu instid0(SALU_CYCLE_1)
	v_mov_b32_e32 v4, s34
	v_fma_f64 v[105:106], -v[85:86], v[45:46], v[105:106]
	v_fma_f64 v[53:54], -v[99:100], v[53:54], v[47:48]
	ds_load_2addr_b64 v[37:40], v3 offset1:1
	s_add_i32 s34, s21, 0xffffffb8
	ds_load_2addr_b64 v[41:44], v4 offset1:1
	v_dual_mov_b32 v3, s35 :: v_dual_mov_b32 v4, s9
	s_sub_i32 s9, s23, 56
	s_sub_i32 s35, s19, 64
	ds_load_2addr_b64 v[45:48], v3 offset1:1
	ds_load_2addr_b64 v[56:59], v4 offset1:1
	v_dual_mov_b32 v3, s36 :: v_dual_mov_b32 v4, s40
	ds_load_2addr_b64 v[60:63], v55 offset1:1
	ds_load_2addr_b64 v[64:67], v3 offset1:1
	ds_load_2addr_b64 v[68:71], v4 offset1:1
	s_sub_i32 s40, s25, 32
	s_sub_i32 s36, s26, 56
	v_fma_f64 v[35:36], -v[85:86], v[35:36], v[77:78]
	v_mov_b32_e32 v55, s12
	v_mov_b32_e32 v77, s33
	s_waitcnt lgkmcnt(6)
	v_fma_f64 v[3:4], -v[81:82], v[39:40], v[143:144]
	v_fma_f64 v[39:40], -v[83:84], v[137:138], v[139:140]
	v_mov_b32_e32 v78, s34
	v_fma_f64 v[31:32], -v[89:90], v[31:32], v[73:74]
	v_fma_f64 v[27:28], -v[91:92], v[27:28], v[75:76]
	;; [unrolled: 1-line block ×3, first 2 shown]
	v_mov_b32_e32 v74, s30
	v_fma_f64 v[19:20], -v[97:98], v[19:20], v[141:142]
	s_waitcnt lgkmcnt(4)
	v_fma_f64 v[72:73], -v[95:96], v[47:48], v[107:108]
	v_fma_f64 v[15:16], -v[99:100], v[15:16], v[147:148]
	v_mov_b32_e32 v47, s45
	v_fma_f64 v[7:8], -v[1:2], v[7:8], v[49:50]
	v_dual_mov_b32 v107, s41 :: v_dual_mov_b32 v108, s40
	v_mov_b32_e32 v75, s15
	ds_load_2addr_b64 v[47:50], v47 offset1:1
	v_fma_f64 v[43:44], -v[87:88], v[43:44], v[105:106]
	v_fma_f64 v[11:12], -v[101:102], v[11:12], v[53:54]
	s_waitcnt lgkmcnt(4)
	v_fma_f64 v[53:54], -v[103:104], v[58:59], v[149:150]
	ds_load_b64 v[58:59], v151
	v_dual_mov_b32 v76, s31 :: v_dual_mov_b32 v79, s37
	v_dual_mov_b32 v105, s38 :: v_dual_mov_b32 v106, s9
	v_mov_b32_e32 v137, s39
	v_mov_b32_e32 v139, s36
	;; [unrolled: 1-line block ×4, first 2 shown]
	v_dual_mov_b32 v151, s47 :: v_dual_mov_b32 v80, s35
	s_sub_i32 s9, s24, 32
	s_add_i32 s12, s14, 0xffffff90
	s_add_i32 s15, s27, 0xffffffb0
	s_sub_i32 s30, s24, 48
	s_add_i32 s31, s23, 0xffffffa8
	v_fma_f64 v[163:164], -v[87:88], v[33:34], v[35:36]
	s_sub_i32 s38, s29, 56
	s_sub_i32 s36, s25, 64
	v_fma_f64 v[159:160], -v[83:84], v[37:38], v[3:4]
	s_waitcnt lgkmcnt(0)
	v_fma_f64 v[157:158], -v[81:82], v[58:59], v[145:146]
	v_fma_f64 v[161:162], -v[85:86], v[135:136], v[39:40]
	;; [unrolled: 1-line block ×5, first 2 shown]
	v_mov_b32_e32 v135, s46
	v_fma_f64 v[173:174], -v[99:100], v[17:18], v[19:20]
	v_fma_f64 v[45:46], -v[97:98], v[45:46], v[72:73]
	v_fma_f64 v[175:176], -v[101:102], v[13:14], v[15:16]
	s_add_i32 s34, s26, 0xffffffb8
	v_mul_f64 v[3:4], v[5:6], v[7:8]
	s_sub_i32 s40, s22, 40
	s_add_i32 s33, s23, 0xffffff98
	s_add_i32 s35, s26, 0xffffffa8
	;; [unrolled: 1-line block ×3, first 2 shown]
	v_fma_f64 v[165:166], -v[89:90], v[41:42], v[43:44]
	v_fma_f64 v[177:178], -v[103:104], v[9:10], v[11:12]
	;; [unrolled: 1-line block ×3, first 2 shown]
	v_mov_b32_e32 v9, s43
	ds_load_2addr_b64 v[5:8], v107 offset1:1
	ds_load_2addr_b64 v[9:12], v9 offset1:1
	;; [unrolled: 1-line block ×20, first 2 shown]
	s_sub_i32 s41, s22, 56
	s_add_i32 s37, s25, 0xffffffb0
	s_delay_alu instid0(SALU_CYCLE_1)
	v_mov_b32_e32 v80, s37
	s_waitcnt lgkmcnt(19)
	v_fma_f64 v[7:8], -v[89:90], v[7:8], v[163:164]
	s_waitcnt lgkmcnt(18)
	v_fma_f64 v[11:12], -v[85:86], v[11:12], v[159:160]
	v_fma_f64 v[49:50], -v[83:84], v[49:50], v[157:158]
	s_waitcnt lgkmcnt(17)
	v_fma_f64 v[15:16], -v[87:88], v[15:16], v[161:162]
	s_waitcnt lgkmcnt(14)
	;; [unrolled: 2-line block ×5, first 2 shown]
	v_fma_f64 v[39:40], -v[101:102], v[39:40], v[173:174]
	v_fma_f64 v[45:46], -v[99:100], v[66:67], v[45:46]
	s_waitcnt lgkmcnt(10)
	v_fma_f64 v[43:44], -v[103:104], v[43:44], v[175:176]
	s_waitcnt lgkmcnt(6)
	v_fma_f64 v[66:67], -v[81:82], v[78:79], v[155:156]
	v_fma_f64 v[70:71], -v[91:92], v[70:71], v[165:166]
	;; [unrolled: 1-line block ×5, first 2 shown]
	v_mov_b32_e32 v7, s9
	s_sub_i32 s9, s27, 64
	v_fma_f64 v[47:48], -v[85:86], v[47:48], v[49:50]
	v_fma_f64 v[49:50], -v[87:88], v[9:10], v[11:12]
	;; [unrolled: 1-line block ×5, first 2 shown]
	v_mov_b32_e32 v11, s9
	v_fma_f64 v[37:38], -v[103:104], v[37:38], v[39:40]
	v_fma_f64 v[45:46], -v[101:102], v[64:65], v[45:46]
	v_fma_f64 v[39:40], -v[1:2], v[41:42], v[43:44]
	v_fma_f64 v[41:42], -v[83:84], v[76:77], v[66:67]
	s_add_i32 s9, s14, 0xffffffa0
	ds_load_2addr_b64 v[7:10], v7 offset1:1
	ds_load_2addr_b64 v[11:14], v11 offset1:1
	v_mov_b32_e32 v15, s9
	s_add_i32 s9, s8, 0xfffff098
	v_fma_f64 v[68:69], -v[93:94], v[68:69], v[70:71]
	v_fma_f64 v[70:71], -v[95:96], v[25:26], v[27:28]
	v_fma_f64 v[19:20], -v[3:4], v[17:18], v[19:20]
	v_mul_f64 v[5:6], v[60:61], v[62:63]
	ds_load_2addr_b64 v[15:18], v15 offset1:1
	v_dual_mov_b32 v25, s12 :: v_dual_mov_b32 v66, s9
	v_mov_b32_e32 v29, s15
	v_mov_b32_e32 v33, s30
	s_add_i32 s9, s8, 0xffffefb0
	ds_load_2addr_b64 v[25:28], v25 offset1:1
	ds_load_2addr_b64 v[29:32], v29 offset1:1
	;; [unrolled: 1-line block ×3, first 2 shown]
	s_add_i32 s15, s19, 0xffffffa0
	s_add_i32 s12, s21, 0xffffff98
	;; [unrolled: 1-line block ×3, first 2 shown]
	v_mov_b32_e32 v76, s35
	s_add_i32 s35, s22, 0xffffffb8
	s_waitcnt lgkmcnt(5)
	v_fma_f64 v[9:10], -v[87:88], v[9:10], v[47:48]
	v_fma_f64 v[43:44], -v[89:90], v[149:150], v[49:50]
	;; [unrolled: 1-line block ×7, first 2 shown]
	s_waitcnt lgkmcnt(3)
	v_fma_f64 v[45:46], -v[103:104], v[17:18], v[45:46]
	v_fma_f64 v[39:40], -v[3:4], v[54:55], v[39:40]
	;; [unrolled: 1-line block ×3, first 2 shown]
	v_dual_mov_b32 v58, s15 :: v_dual_mov_b32 v55, s12
	s_add_i32 s12, s24, 0xffffffb0
	s_add_i32 s15, s23, 0xffffff78
	v_fma_f64 v[13:14], -v[95:96], v[13:14], v[68:69]
	v_fma_f64 v[60:61], -v[97:98], v[137:138], v[70:71]
	v_mov_b32_e32 v68, s30
	v_fma_f64 v[23:24], -v[5:6], v[23:24], v[19:20]
	ds_load_2addr_b64 v[17:20], v66 offset1:1
	v_mov_b32_e32 v66, s9
	s_add_i32 s9, s13, 0xffffff88
	s_add_i32 s13, s21, 0xffffff88
	s_delay_alu instid0(SALU_CYCLE_1)
	v_dual_mov_b32 v54, s9 :: v_dual_mov_b32 v67, s13
	s_sub_i32 s9, s24, 64
	s_add_i32 s30, s25, 0xffffffa0
	s_add_i32 s13, s19, 0xffffff70
	v_fma_f64 v[145:146], -v[89:90], v[7:8], v[9:10]
	v_fma_f64 v[147:148], -v[91:92], v[147:148], v[43:44]
	;; [unrolled: 1-line block ×10, first 2 shown]
	v_mov_b32_e32 v37, s31
	v_dual_mov_b32 v7, s38 :: v_dual_mov_b32 v56, s40
	v_dual_mov_b32 v72, s33 :: v_dual_mov_b32 v139, s41
	v_fma_f64 v[149:150], -v[97:98], v[11:12], v[13:14]
	v_fma_f64 v[153:154], -v[99:100], v[135:136], v[60:61]
	v_mov_b32_e32 v11, s36
	v_mul_f64 v[163:164], v[21:22], v[23:24]
	v_mov_b32_e32 v21, s34
	ds_load_2addr_b64 v[7:10], v7 offset1:1
	ds_load_2addr_b64 v[11:14], v11 offset1:1
	;; [unrolled: 1-line block ×7, first 2 shown]
	v_mov_b32_e32 v135, s39
	ds_load_2addr_b64 v[56:59], v56 offset1:1
	ds_load_2addr_b64 v[60:63], v66 offset1:1
	;; [unrolled: 1-line block ×9, first 2 shown]
	s_add_i32 s33, s29, 0xffffffa8
	s_add_i32 s31, s25, 0xffffff90
	;; [unrolled: 1-line block ×4, first 2 shown]
	s_waitcnt lgkmcnt(17)
	v_fma_f64 v[35:36], -v[91:92], v[35:36], v[145:146]
	s_waitcnt lgkmcnt(15)
	v_fma_f64 v[9:10], -v[93:94], v[9:10], v[147:148]
	;; [unrolled: 2-line block ×6, first 2 shown]
	v_fma_f64 v[15:16], -v[3:4], v[27:28], v[15:16]
	s_waitcnt lgkmcnt(9)
	v_fma_f64 v[27:28], -v[5:6], v[54:55], v[159:160]
	s_waitcnt lgkmcnt(8)
	v_fma_f64 v[49:50], -v[89:90], v[58:59], v[151:152]
	v_fma_f64 v[31:32], -v[99:100], v[31:32], v[149:150]
	;; [unrolled: 1-line block ×8, first 2 shown]
	v_mov_b32_e32 v7, s9
	s_add_i32 s9, s27, 0xffffffa0
	s_delay_alu instid0(SALU_CYCLE_1)
	v_mov_b32_e32 v11, s9
	s_add_i32 s9, s14, 0xffffff80
	ds_load_2addr_b64 v[7:10], v7 offset1:1
	s_add_i32 s14, s23, 0xffffff88
	ds_load_2addr_b64 v[11:14], v11 offset1:1
	v_fma_f64 v[31:32], -v[101:102], v[29:30], v[31:32]
	v_fma_f64 v[37:38], -v[103:104], v[37:38], v[39:40]
	;; [unrolled: 1-line block ×6, first 2 shown]
	v_mul_f64 v[143:144], v[17:18], v[19:20]
	v_fma_f64 v[47:48], -v[91:92], v[56:57], v[49:50]
	v_mov_b32_e32 v15, s9
	s_add_i32 s9, s8, 0xffffeec8
	v_mov_b32_e32 v27, s12
	v_mov_b32_e32 v19, s9
	s_add_i32 s9, s27, 0xffffff90
	ds_load_2addr_b64 v[15:18], v15 offset1:1
	v_mov_b32_e32 v23, s9
	s_add_i32 s9, s8, 0xffffede0
	s_add_i32 s12, s19, 0xffffff80
	;; [unrolled: 1-line block ×3, first 2 shown]
	ds_load_2addr_b64 v[19:22], v19 offset1:1
	ds_load_2addr_b64 v[23:26], v23 offset1:1
	;; [unrolled: 1-line block ×3, first 2 shown]
	v_mov_b32_e32 v52, s13
	v_mov_b32_e32 v56, s15
	s_add_i32 s15, s29, 0xffffff88
	s_add_i32 s13, s26, 0xffffff78
	s_waitcnt lgkmcnt(5)
	v_fma_f64 v[9:10], -v[95:96], v[9:10], v[33:34]
	v_fma_f64 v[33:34], -v[97:98], v[137:138], v[35:36]
	;; [unrolled: 1-line block ×4, first 2 shown]
	s_waitcnt lgkmcnt(4)
	v_fma_f64 v[13:14], -v[103:104], v[13:14], v[31:32]
	v_fma_f64 v[31:32], -v[1:2], v[74:75], v[37:38]
	;; [unrolled: 1-line block ×4, first 2 shown]
	s_waitcnt lgkmcnt(3)
	v_fma_f64 v[17:18], -v[163:164], v[17:18], v[43:44]
	v_fma_f64 v[41:42], -v[143:144], v[62:63], v[45:46]
	;; [unrolled: 1-line block ×3, first 2 shown]
	v_mov_b32_e32 v47, s9
	s_add_i32 s9, s21, 0xffffff78
	s_add_i32 s21, s26, 0xffffff88
	v_fma_f64 v[78:79], -v[97:98], v[7:8], v[9:10]
	v_mov_b32_e32 v7, s33
	v_fma_f64 v[107:108], -v[99:100], v[135:136], v[33:34]
	v_fma_f64 v[105:106], -v[101:102], v[105:106], v[35:36]
	;; [unrolled: 1-line block ×3, first 2 shown]
	v_mov_b32_e32 v35, s12
	s_add_i32 s12, s24, 0xffffff90
	v_fma_f64 v[135:136], -v[1:2], v[11:12], v[13:14]
	v_fma_f64 v[137:138], -v[3:4], v[72:73], v[31:32]
	;; [unrolled: 1-line block ×5, first 2 shown]
	v_mov_b32_e32 v31, s14
	v_mul_f64 v[149:150], v[60:61], v[41:42]
	v_fma_f64 v[139:140], -v[95:96], v[139:140], v[43:44]
	v_mov_b32_e32 v43, s35
	v_mov_b32_e32 v11, s30
	;; [unrolled: 1-line block ×4, first 2 shown]
	ds_load_2addr_b64 v[7:10], v7 offset1:1
	ds_load_2addr_b64 v[11:14], v11 offset1:1
	ds_load_2addr_b64 v[15:18], v15 offset1:1
	ds_load_2addr_b64 v[31:34], v31 offset1:1
	ds_load_2addr_b64 v[35:38], v35 offset1:1
	ds_load_2addr_b64 v[39:42], v39 offset1:1
	ds_load_2addr_b64 v[43:46], v43 offset1:1
	s_add_i32 s9, s24, 0xffffffa0
	v_mov_b32_e32 v60, s21
	v_mov_b32_e32 v64, s31
	v_mov_b32_e32 v68, s34
	v_mov_b32_e32 v72, s36
	ds_load_2addr_b64 v[47:50], v47 offset1:1
	ds_load_2addr_b64 v[52:55], v52 offset1:1
	;; [unrolled: 1-line block ×7, first 2 shown]
	s_waitcnt lgkmcnt(14)
	v_fma_f64 v[29:30], -v[99:100], v[29:30], v[78:79]
	s_add_i32 s19, s22, 0xffffff98
	s_add_i32 s14, s25, 0xffffff80
	s_waitcnt lgkmcnt(13)
	v_fma_f64 v[9:10], -v[101:102], v[9:10], v[107:108]
	s_waitcnt lgkmcnt(12)
	v_fma_f64 v[13:14], -v[103:104], v[13:14], v[105:106]
	;; [unrolled: 2-line block ×3, first 2 shown]
	v_fma_f64 v[25:26], -v[3:4], v[25:26], v[135:136]
	s_waitcnt lgkmcnt(10)
	v_fma_f64 v[33:34], -v[5:6], v[33:34], v[137:138]
	s_waitcnt lgkmcnt(9)
	v_fma_f64 v[37:38], -v[163:164], v[37:38], v[141:142]
	s_waitcnt lgkmcnt(8)
	v_fma_f64 v[41:42], -v[143:144], v[41:42], v[145:146]
	v_fma_f64 v[21:22], -v[149:150], v[21:22], v[147:148]
	s_waitcnt lgkmcnt(7)
	v_fma_f64 v[45:46], -v[97:98], v[45:46], v[139:140]
	v_fma_f64 v[27:28], -v[101:102], v[27:28], v[29:30]
	;; [unrolled: 1-line block ×5, first 2 shown]
	v_mov_b32_e32 v7, s9
	s_add_i32 s9, s27, 0xffffff80
	v_fma_f64 v[23:24], -v[5:6], v[23:24], v[25:26]
	v_fma_f64 v[25:26], -v[163:164], v[31:32], v[33:34]
	;; [unrolled: 1-line block ×4, first 2 shown]
	v_mov_b32_e32 v11, s9
	ds_load_2addr_b64 v[7:10], v7 offset1:1
	ds_load_2addr_b64 v[11:14], v11 offset1:1
	v_mul_f64 v[105:106], v[19:20], v[21:22]
	v_fma_f64 v[35:36], -v[99:100], v[43:44], v[45:46]
	s_add_i32 s9, s27, 0xffffff70
	v_mov_b32_e32 v19, s12
	v_mov_b32_e32 v15, s9
	s_add_i32 s9, s8, 0xffffecf8
	s_add_i32 s12, s23, 0xffffff68
	ds_load_2addr_b64 v[15:18], v15 offset1:1
	ds_load_2addr_b64 v[19:22], v19 offset1:1
	s_waitcnt lgkmcnt(3)
	v_fma_f64 v[9:10], -v[103:104], v[9:10], v[27:28]
	v_fma_f64 v[27:28], -v[1:2], v[70:71], v[29:30]
	;; [unrolled: 1-line block ×4, first 2 shown]
	s_waitcnt lgkmcnt(2)
	v_fma_f64 v[13:14], -v[163:164], v[13:14], v[23:24]
	v_fma_f64 v[39:40], -v[143:144], v[58:59], v[25:26]
	;; [unrolled: 1-line block ×3, first 2 shown]
	v_mov_b32_e32 v23, s9
	s_add_i32 s9, s8, 0xffffec10
	ds_load_2addr_b64 v[23:26], v23 offset1:1
	v_fma_f64 v[33:34], -v[105:106], v[49:50], v[33:34]
	v_fma_f64 v[35:36], -v[101:102], v[74:75], v[35:36]
	;; [unrolled: 1-line block ×3, first 2 shown]
	v_mov_b32_e32 v7, s15
	v_fma_f64 v[66:67], -v[3:4], v[68:69], v[27:28]
	v_fma_f64 v[64:65], -v[5:6], v[64:65], v[29:30]
	;; [unrolled: 1-line block ×3, first 2 shown]
	v_mov_b32_e32 v27, s13
	s_add_i32 s13, s29, 0xffffff78
	v_fma_f64 v[68:69], -v[143:144], v[11:12], v[13:14]
	v_fma_f64 v[70:71], -v[149:150], v[56:57], v[39:40]
	;; [unrolled: 1-line block ×3, first 2 shown]
	v_mov_b32_e32 v31, s12
	v_mov_b32_e32 v11, s14
	ds_load_2addr_b64 v[7:10], v7 offset1:1
	ds_load_2addr_b64 v[11:14], v11 offset1:1
	;; [unrolled: 1-line block ×3, first 2 shown]
	v_mul_f64 v[76:77], v[47:48], v[33:34]
	v_fma_f64 v[72:73], -v[103:104], v[72:73], v[35:36]
	v_mov_b32_e32 v35, s19
	ds_load_2addr_b64 v[31:34], v31 offset1:1
	v_mov_b32_e32 v39, s9
	s_add_i32 s9, s26, 0xffffff68
	s_add_i32 s12, s25, 0xffffff70
	ds_load_2addr_b64 v[35:38], v35 offset1:1
	v_mov_b32_e32 v43, s9
	s_add_i32 s9, s24, 0xffffff80
	s_add_i32 s14, s22, 0xffffff88
	v_dual_mov_b32 v47, s12 :: v_dual_mov_b32 v52, s13
	v_mov_b32_e32 v56, s14
	ds_load_2addr_b64 v[39:42], v39 offset1:1
	ds_load_2addr_b64 v[43:46], v43 offset1:1
	;; [unrolled: 1-line block ×5, first 2 shown]
	s_add_i32 s12, s24, 0xffffff70
	s_add_i32 s13, s29, 0xffffff68
	;; [unrolled: 1-line block ×3, first 2 shown]
	s_waitcnt lgkmcnt(11)
	v_fma_f64 v[21:22], -v[3:4], v[21:22], v[62:63]
	s_waitcnt lgkmcnt(9)
	v_fma_f64 v[9:10], -v[5:6], v[9:10], v[66:67]
	;; [unrolled: 2-line block ×4, first 2 shown]
	v_fma_f64 v[17:18], -v[149:150], v[17:18], v[68:69]
	s_waitcnt lgkmcnt(6)
	v_fma_f64 v[33:34], -v[105:106], v[33:34], v[70:71]
	v_fma_f64 v[25:26], -v[76:77], v[25:26], v[74:75]
	s_waitcnt lgkmcnt(5)
	v_fma_f64 v[37:38], -v[1:2], v[37:38], v[72:73]
	v_fma_f64 v[60:61], -v[5:6], v[19:20], v[21:22]
	v_mov_b32_e32 v19, s12
	s_add_i32 s12, s25, 0xffffff60
	v_fma_f64 v[62:63], -v[163:164], v[7:8], v[9:10]
	v_fma_f64 v[64:65], -v[143:144], v[11:12], v[13:14]
	;; [unrolled: 1-line block ×3, first 2 shown]
	v_mov_b32_e32 v7, s9
	s_add_i32 s9, s27, 0xffffff60
	v_fma_f64 v[29:30], -v[105:106], v[15:16], v[17:18]
	v_fma_f64 v[31:32], -v[76:77], v[31:32], v[33:34]
	v_mov_b32_e32 v11, s9
	ds_load_2addr_b64 v[7:10], v7 offset1:1
	ds_load_2addr_b64 v[11:14], v11 offset1:1
	s_add_i32 s9, s8, 0xffffeb28
	v_mul_f64 v[66:67], v[23:24], v[25:26]
	v_fma_f64 v[23:24], -v[3:4], v[35:36], v[37:38]
	v_mov_b32_e32 v15, s9
	s_add_i32 s9, s26, 0xffffff58
	ds_load_2addr_b64 v[15:18], v15 offset1:1
	ds_load_2addr_b64 v[19:22], v19 offset1:1
	s_waitcnt lgkmcnt(3)
	v_fma_f64 v[9:10], -v[163:164], v[9:10], v[60:61]
	v_fma_f64 v[25:26], -v[143:144], v[54:55], v[62:63]
	;; [unrolled: 1-line block ×4, first 2 shown]
	s_waitcnt lgkmcnt(2)
	v_fma_f64 v[13:14], -v[76:77], v[13:14], v[29:30]
	v_fma_f64 v[29:30], -v[66:67], v[41:42], v[31:32]
	;; [unrolled: 1-line block ×4, first 2 shown]
	v_mov_b32_e32 v7, s13
	s_add_i32 s13, s22, 0xffffff68
	v_fma_f64 v[52:53], -v[149:150], v[52:53], v[25:26]
	v_fma_f64 v[47:48], -v[105:106], v[47:48], v[33:34]
	;; [unrolled: 1-line block ×3, first 2 shown]
	v_mov_b32_e32 v27, s14
	v_mov_b32_e32 v43, s13
	s_add_i32 s13, s22, 0xffffff58
	v_fma_f64 v[58:59], -v[66:67], v[11:12], v[13:14]
	v_mov_b32_e32 v11, s12
	s_add_i32 s12, s29, 0xffffff58
	v_mul_f64 v[60:61], v[39:40], v[29:30]
	v_fma_f64 v[56:57], -v[163:164], v[56:57], v[23:24]
	v_mov_b32_e32 v23, s9
	ds_load_2addr_b64 v[7:10], v7 offset1:1
	ds_load_2addr_b64 v[11:14], v11 offset1:1
	;; [unrolled: 1-line block ×4, first 2 shown]
	s_add_i32 s9, s8, 0xffffea40
	v_mov_b32_e32 v39, s12
	v_mov_b32_e32 v31, s9
	s_add_i32 s9, s25, 0xffffff50
	s_add_i32 s12, s29, 0xffffff48
	v_mov_b32_e32 v35, s9
	s_add_i32 s9, s24, 0xffffff60
	ds_load_2addr_b64 v[31:34], v31 offset1:1
	ds_load_2addr_b64 v[35:38], v35 offset1:1
	;; [unrolled: 1-line block ×4, first 2 shown]
	s_waitcnt lgkmcnt(8)
	v_fma_f64 v[21:22], -v[149:150], v[21:22], v[49:50]
	s_waitcnt lgkmcnt(7)
	v_fma_f64 v[9:10], -v[105:106], v[9:10], v[52:53]
	;; [unrolled: 2-line block ×4, first 2 shown]
	v_fma_f64 v[17:18], -v[60:61], v[17:18], v[58:59]
	s_waitcnt lgkmcnt(4)
	v_fma_f64 v[29:30], -v[143:144], v[29:30], v[56:57]
	v_fma_f64 v[19:20], -v[105:106], v[19:20], v[21:22]
	;; [unrolled: 1-line block ×5, first 2 shown]
	v_mov_b32_e32 v7, s9
	s_add_i32 s9, s24, 0xffffff50
	s_delay_alu instid0(SALU_CYCLE_1)
	v_mov_b32_e32 v11, s9
	s_add_i32 s9, s8, 0xffffe958
	ds_load_2addr_b64 v[7:10], v7 offset1:1
	ds_load_2addr_b64 v[11:14], v11 offset1:1
	v_mul_f64 v[49:50], v[15:16], v[17:18]
	v_fma_f64 v[15:16], -v[149:150], v[27:28], v[29:30]
	s_waitcnt lgkmcnt(1)
	v_fma_f64 v[9:10], -v[76:77], v[9:10], v[19:20]
	v_fma_f64 v[17:18], -v[66:67], v[41:42], v[21:22]
	;; [unrolled: 1-line block ×6, first 2 shown]
	v_mov_b32_e32 v7, s12
	s_add_i32 s12, s22, 0xffffff48
	s_delay_alu instid0(SALU_CYCLE_1)
	v_mov_b32_e32 v27, s12
	v_fma_f64 v[37:38], -v[60:61], v[39:40], v[17:18]
	v_fma_f64 v[35:36], -v[49:50], v[35:36], v[19:20]
	v_mov_b32_e32 v19, s13
	v_mul_f64 v[31:32], v[31:32], v[21:22]
	v_fma_f64 v[39:40], -v[76:77], v[43:44], v[15:16]
	v_mov_b32_e32 v15, s9
	ds_load_2addr_b64 v[7:10], v7 offset1:1
	ds_load_2addr_b64 v[15:18], v15 offset1:1
	;; [unrolled: 1-line block ×3, first 2 shown]
	s_add_i32 s9, s8, 0xffffe870
	s_delay_alu instid0(SALU_CYCLE_1)
	v_mov_b32_e32 v23, s9
	s_add_i32 s9, s24, 0xffffff40
	ds_load_2addr_b64 v[23:26], v23 offset1:1
	ds_load_2addr_b64 v[27:30], v27 offset1:1
	s_waitcnt lgkmcnt(5)
	v_fma_f64 v[13:14], -v[60:61], v[13:14], v[33:34]
	s_waitcnt lgkmcnt(4)
	v_fma_f64 v[9:10], -v[49:50], v[9:10], v[37:38]
	;; [unrolled: 2-line block ×4, first 2 shown]
	s_delay_alu instid0(VALU_DEP_4) | instskip(NEXT) | instid1(VALU_DEP_4)
	v_fma_f64 v[33:34], -v[49:50], v[11:12], v[13:14]
	v_fma_f64 v[35:36], -v[31:32], v[7:8], v[9:10]
	v_mov_b32_e32 v7, s9
	s_add_i32 s9, s8, 0xffffe788
	s_addk_i32 s8, 0xe6a0
	v_mov_b32_e32 v11, s9
	s_add_i32 s9, s22, 0xffffff38
	ds_load_2addr_b64 v[7:10], v7 offset1:1
	ds_load_2addr_b64 v[11:14], v11 offset1:1
	v_mul_f64 v[37:38], v[15:16], v[17:18]
	v_fma_f64 v[15:16], -v[60:61], v[19:20], v[21:22]
	s_waitcnt lgkmcnt(1)
	v_fma_f64 v[9:10], -v[31:32], v[9:10], v[33:34]
	s_delay_alu instid0(VALU_DEP_3) | instskip(NEXT) | instid1(VALU_DEP_3)
	v_fma_f64 v[17:18], -v[37:38], v[25:26], v[35:36]
	v_fma_f64 v[15:16], -v[49:50], v[29:30], v[15:16]
	s_delay_alu instid0(VALU_DEP_3)
	v_fma_f64 v[19:20], -v[37:38], v[7:8], v[9:10]
	v_mov_b32_e32 v7, s9
	ds_load_2addr_b64 v[7:10], v7 offset1:1
	v_mul_f64 v[21:22], v[23:24], v[17:18]
	v_fma_f64 v[23:24], -v[31:32], v[27:28], v[15:16]
	v_mov_b32_e32 v15, s8
	ds_load_2addr_b64 v[15:18], v15 offset1:1
	s_waitcnt lgkmcnt(2)
	v_fma_f64 v[13:14], -v[21:22], v[13:14], v[19:20]
	s_waitcnt lgkmcnt(1)
	v_fma_f64 v[9:10], -v[37:38], v[9:10], v[23:24]
	s_delay_alu instid0(VALU_DEP_2) | instskip(NEXT) | instid1(VALU_DEP_2)
	v_mul_f64 v[11:12], v[11:12], v[13:14]
	v_fma_f64 v[7:8], -v[21:22], v[7:8], v[9:10]
	v_add_lshl_u32 v9, s4, v0, 3
	s_sub_i32 s4, s20, 29
	ds_store_b64 v9, v[81:82] offset:6272
	ds_store_b64 v109, v[83:84] offset:6272
	ds_store_b64 v110, v[85:86] offset:6272
	ds_store_b64 v111, v[87:88] offset:6272
	ds_store_b64 v112, v[89:90] offset:6272
	ds_store_b64 v113, v[91:92] offset:6272
	ds_store_b64 v114, v[93:94] offset:6272
	ds_store_b64 v115, v[95:96] offset:6272
	ds_store_b64 v116, v[97:98] offset:6272
	ds_store_b64 v117, v[99:100] offset:6272
	ds_store_b64 v118, v[101:102] offset:6272
	ds_store_b64 v119, v[103:104] offset:6272
	ds_store_b64 v120, v[1:2] offset:6272
	ds_store_b64 v121, v[3:4] offset:6272
	ds_store_b64 v122, v[5:6] offset:6272
	ds_store_b64 v123, v[163:164] offset:6272
	ds_store_b64 v124, v[143:144] offset:6272
	ds_store_b64 v125, v[149:150] offset:6272
	ds_store_b64 v126, v[105:106] offset:6272
	ds_store_b64 v127, v[76:77] offset:6272
	ds_store_b64 v128, v[66:67] offset:6272
	ds_store_b64 v129, v[60:61] offset:6272
	ds_store_b64 v130, v[49:50] offset:6272
	ds_store_b64 v131, v[31:32] offset:6272
	ds_store_b64 v132, v[37:38] offset:6272
	ds_store_b64 v133, v[21:22] offset:6272
	ds_store_b64 v134, v[11:12] offset:6272
	s_waitcnt lgkmcnt(27)
	v_fma_f64 v[7:8], -v[11:12], v[17:18], v[7:8]
	s_delay_alu instid0(VALU_DEP_1)
	v_mul_f64 v[7:8], v[15:16], v[7:8]
	ds_store_b64 v51, v[7:8] offset:6272
.LBB99_20:
	s_cmp_gt_i32 s4, -1
	s_cbranch_scc0 .LBB99_39
; %bb.21:
	s_cmp_lt_u32 s4, 23
	s_cbranch_scc1 .LBB99_26
; %bb.22:
	s_mul_i32 s21, s4, 28
	s_delay_alu instid0(SALU_CYCLE_1)
	s_sub_i32 s8, s21, 56
	s_add_i32 s9, s21, 0xffffffac
	s_sub_i32 s24, s21, 28
	v_add_lshl_u32 v1, s8, v0, 3
	s_add_i32 s8, s21, 0xffffff90
	v_add_lshl_u32 v45, s21, v0, 3
	v_add_lshl_u32 v2, s9, v0, 3
	s_add_i32 s9, s21, 0xffffff74
	v_add_lshl_u32 v46, s24, v0, 3
	;; [unrolled: 3-line block ×3, first 2 shown]
	s_add_i32 s9, s21, 0xffffff3c
	v_add_lshl_u32 v5, s8, v0, 3
	s_add_i32 s8, s21, 0xffffff20
	s_add_i32 s36, s21, 0xfffffe40
	v_add_lshl_u32 v6, s9, v0, 3
	s_add_i32 s9, s21, 0xffffff04
	s_add_i32 s31, s21, 0xfffffe24
	ds_load_b64 v[29:30], v45 offset:6272
	ds_load_b64 v[43:44], v46 offset:6272
	;; [unrolled: 1-line block ×8, first 2 shown]
	v_add_lshl_u32 v1, s8, v0, 3
	s_add_i32 s8, s21, 0xfffffee8
	v_add_lshl_u32 v64, s36, v0, 3
	s_add_i32 s30, s21, 0xfffffe08
	;; [unrolled: 2-line block ×7, first 2 shown]
	s_add_i32 s34, s21, 0xfffffe78
	s_add_i32 s35, s21, 0xfffffe5c
	v_add_lshl_u32 v67, s29, v0, 3
	s_add_i32 s26, s21, 0xfffffdb4
	s_add_i32 s25, s21, 0xfffffd98
	s_addk_i32 s21, 0xfd7c
	v_add_lshl_u32 v60, s38, v0, 3
	v_add_lshl_u32 v68, s27, v0, 3
	;; [unrolled: 1-line block ×5, first 2 shown]
	ds_load_b64 v[13:14], v1 offset:6272
	ds_load_b64 v[11:12], v2 offset:6272
	;; [unrolled: 1-line block ×8, first 2 shown]
	v_add_lshl_u32 v69, s26, v0, 3
	v_add_lshl_u32 v71, s25, v0, 3
	;; [unrolled: 1-line block ×3, first 2 shown]
	ds_load_b64 v[21:22], v64 offset:6272
	ds_load_b64 v[19:20], v65 offset:6272
	;; [unrolled: 1-line block ×8, first 2 shown]
	s_cmp_le_i32 s28, s4
	s_cbranch_scc1 .LBB99_25
; %bb.23:
	v_lshlrev_b32_e32 v49, 3, v0
	s_mul_i32 s12, s20, 0xe0
	s_mul_i32 s8, s4, 0xe0
	s_lshl_b32 s9, s20, 3
	s_delay_alu instid0(SALU_CYCLE_1)
	s_add_i32 s8, s8, s9
	v_add3_u32 v49, s12, v49, 0x17a0
	s_addk_i32 s8, 0xebd8
	s_mov_b32 s9, s28
.LBB99_24:                              ; =>This Inner Loop Header: Depth=1
	v_add_nc_u32_e64 v50, 0x1000, s8
	v_add_nc_u32_e64 v76, 0xc00, s8
	;; [unrolled: 1-line block ×3, first 2 shown]
	v_mov_b32_e32 v112, s8
	ds_load_b64 v[57:58], v49
	v_add_nc_u32_e32 v49, 0xffffff20, v49
	ds_load_2addr_b64 v[53:56], v50 offset0:104 offset1:132
	ds_load_2addr_b64 v[72:75], v50 offset0:48 offset1:76
	;; [unrolled: 1-line block ×11, first 2 shown]
	ds_load_2addr_b64 v[112:115], v112 offset1:28
	s_add_i32 s9, s9, -1
	s_add_i32 s8, s8, -8
	s_cmp_gt_i32 s9, s4
	s_waitcnt lgkmcnt(11)
	v_fma_f64 v[29:30], -v[57:58], v[55:56], v[29:30]
	v_fma_f64 v[43:44], -v[57:58], v[53:54], v[43:44]
	s_waitcnt lgkmcnt(10)
	v_fma_f64 v[31:32], -v[57:58], v[74:75], v[31:32]
	v_fma_f64 v[37:38], -v[57:58], v[72:73], v[37:38]
	;; [unrolled: 3-line block ×12, first 2 shown]
	s_cbranch_scc1 .LBB99_24
.LBB99_25:
	s_mul_i32 s8, s4, 0xe8
	s_delay_alu instid0(SALU_CYCLE_1)
	v_dual_mov_b32 v45, s8 :: v_dual_add_nc_u32 v72, 0x1880, v45
	v_add_nc_u32_e32 v73, 0x1880, v46
	s_add_i32 s9, s8, 0xffffff18
	s_add_i32 s36, s36, s4
	v_mov_b32_e32 v49, s9
	ds_load_b64 v[45:46], v45
	s_sub_i32 s9, s24, 28
	s_lshl_b32 s36, s36, 3
	s_add_i32 s12, s9, s4
	ds_load_2addr_b64 v[53:56], v49 offset1:1
	s_lshl_b32 s12, s12, 3
	s_add_i32 s30, s30, s4
	s_add_i32 s37, s37, s4
	s_lshl_b32 s30, s30, 3
	s_lshl_b32 s37, s37, 3
	s_add_i32 s38, s38, s4
	s_add_i32 s31, s31, s4
	s_lshl_b32 s38, s38, 3
	s_lshl_b32 s31, s31, 3
	s_sub_i32 s45, s36, 32
	s_sub_i32 s46, s31, 24
	s_add_i32 s33, s33, s4
	s_add_i32 s34, s34, s4
	s_lshl_b32 s33, s33, 3
	s_lshl_b32 s34, s34, 3
	s_waitcnt lgkmcnt(1)
	v_mul_f64 v[29:30], v[45:46], v[29:30]
	s_add_i32 s35, s35, s4
	s_add_i32 s25, s25, s4
	s_lshl_b32 s35, s35, 3
	s_lshl_b32 s25, s25, 3
	s_add_i32 s29, s29, s4
	s_add_i32 s21, s21, s4
	;; [unrolled: 1-line block ×3, first 2 shown]
	s_lshl_b32 s21, s21, 3
	s_lshl_b32 s26, s26, 3
	s_sub_i32 s51, s21, 24
	s_sub_i32 s47, s31, 40
	s_add_i32 s50, s21, -8
	s_waitcnt lgkmcnt(0)
	s_delay_alu instid0(VALU_DEP_1)
	v_fma_f64 v[49:50], -v[29:30], v[55:56], v[43:44]
	v_mov_b32_e32 v43, s12
	s_add_i32 s12, s8, 0xfffffe30
	ds_load_b64 v[55:56], v43
	v_mov_b32_e32 v43, s12
	s_sub_i32 s12, s24, 56
	s_delay_alu instid0(SALU_CYCLE_1) | instskip(NEXT) | instid1(SALU_CYCLE_1)
	s_add_i32 s13, s12, s4
	s_lshl_b32 s13, s13, 3
	ds_load_2addr_b64 v[43:46], v43 offset1:1
	s_add_i32 s13, s13, -8
	s_waitcnt lgkmcnt(1)
	v_fma_f64 v[57:58], -v[29:30], v[55:56], v[31:32]
	v_mul_f64 v[31:32], v[53:54], v[49:50]
	v_mov_b32_e32 v49, s13
	s_add_i32 s13, s8, 0xfffffd48
	ds_load_2addr_b64 v[53:56], v49 offset1:1
	v_mov_b32_e32 v49, s13
	s_add_i32 s13, s24, 0xffffffac
	s_delay_alu instid0(SALU_CYCLE_1) | instskip(NEXT) | instid1(SALU_CYCLE_1)
	s_add_i32 s14, s13, s4
	s_lshl_b32 s14, s14, 3
	ds_load_2addr_b64 v[74:77], v49 offset1:1
	v_mov_b32_e32 v49, s14
	s_add_i32 s14, s14, -16
	ds_load_b64 v[49:50], v49
	s_waitcnt lgkmcnt(2)
	v_fma_f64 v[37:38], -v[29:30], v[55:56], v[37:38]
	v_mov_b32_e32 v55, s14
	s_add_i32 s14, s24, 0xffffff90
	s_delay_alu instid0(SALU_CYCLE_1) | instskip(NEXT) | instid1(SALU_CYCLE_1)
	s_add_i32 s15, s14, s4
	s_lshl_b32 s22, s15, 3
	s_delay_alu instid0(SALU_CYCLE_1)
	s_add_i32 s15, s22, -8
	s_sub_i32 s22, s22, 24
	v_fma_f64 v[45:46], -v[31:32], v[45:46], v[57:58]
	s_waitcnt lgkmcnt(0)
	v_fma_f64 v[49:50], -v[29:30], v[49:50], v[33:34]
	ds_load_2addr_b64 v[55:58], v55 offset1:1
	v_fma_f64 v[37:38], -v[31:32], v[53:54], v[37:38]
	v_mul_f64 v[33:34], v[43:44], v[45:46]
	v_mov_b32_e32 v43, s15
	s_add_i32 s15, s24, 0xffffff74
	s_delay_alu instid0(SALU_CYCLE_1) | instskip(SKIP_2) | instid1(SALU_CYCLE_1)
	s_add_i32 s19, s15, s4
	ds_load_2addr_b64 v[43:46], v43 offset1:1
	s_lshl_b32 s42, s19, 3
	s_add_i32 s19, s42, -8
	s_waitcnt lgkmcnt(0)
	v_fma_f64 v[27:28], -v[29:30], v[45:46], v[27:28]
	v_fma_f64 v[45:46], -v[31:32], v[57:58], v[49:50]
	v_mov_b32_e32 v49, s19
	s_sub_i32 s19, s42, 24
	s_sub_i32 s42, s42, 40
	v_fma_f64 v[37:38], -v[33:34], v[76:77], v[37:38]
	ds_load_2addr_b64 v[76:79], v49 offset1:1
	v_mov_b32_e32 v49, s19
	s_add_i32 s19, s24, 0xffffff58
	s_delay_alu instid0(SALU_CYCLE_1)
	s_add_i32 s23, s19, s4
	ds_load_2addr_b64 v[80:83], v49 offset1:1
	s_lshl_b32 s43, s23, 3
	s_add_i32 s23, s8, 0xfffffc60
	s_sub_i32 s44, s43, 32
	s_waitcnt lgkmcnt(1)
	v_fma_f64 v[49:50], -v[29:30], v[78:79], v[25:26]
	v_dual_mov_b32 v25, s43 :: v_dual_mov_b32 v26, s22
	s_add_i32 s22, s8, 0xfffffb78
	v_fma_f64 v[57:58], -v[31:32], v[43:44], v[27:28]
	v_fma_f64 v[78:79], -v[33:34], v[55:56], v[45:46]
	v_mov_b32_e32 v43, s23
	s_add_i32 s23, s43, -16
	v_mov_b32_e32 v53, s22
	s_add_i32 s22, s24, 0xffffff3c
	v_mov_b32_e32 v84, s23
	s_add_i32 s23, s22, s4
	s_delay_alu instid0(SALU_CYCLE_1) | instskip(NEXT) | instid1(SALU_CYCLE_1)
	s_lshl_b32 s41, s23, 3
	s_add_i32 s23, s41, -8
	v_mul_f64 v[37:38], v[74:75], v[37:38]
	ds_load_b64 v[74:75], v25
	ds_load_2addr_b64 v[25:28], v26 offset1:1
	ds_load_2addr_b64 v[43:46], v43 offset1:1
	;; [unrolled: 1-line block ×4, first 2 shown]
	s_waitcnt lgkmcnt(4)
	v_fma_f64 v[15:16], -v[29:30], v[74:75], v[15:16]
	v_fma_f64 v[49:50], -v[31:32], v[76:77], v[49:50]
	s_waitcnt lgkmcnt(3)
	v_fma_f64 v[27:28], -v[33:34], v[27:28], v[57:58]
	v_mov_b32_e32 v57, s23
	s_sub_i32 s23, s41, 24
	ds_load_2addr_b64 v[74:77], v57 offset1:1
	v_mov_b32_e32 v57, s23
	s_add_i32 s23, s24, 0xffffff20
	s_addk_i32 s24, 0xff04
	s_add_i32 s39, s23, s4
	ds_load_2addr_b64 v[88:91], v57 offset1:1
	s_waitcnt lgkmcnt(4)
	v_fma_f64 v[45:46], -v[37:38], v[45:46], v[78:79]
	s_lshl_b32 s40, s39, 3
	s_delay_alu instid0(SALU_CYCLE_1)
	s_add_i32 s39, s40, -16
	s_waitcnt lgkmcnt(1)
	v_fma_f64 v[57:58], -v[29:30], v[76:77], v[13:14]
	v_mov_b32_e32 v13, s40
	v_fma_f64 v[76:77], -v[31:32], v[86:87], v[15:16]
	v_fma_f64 v[49:50], -v[33:34], v[82:83], v[49:50]
	;; [unrolled: 1-line block ×3, first 2 shown]
	ds_load_b64 v[27:28], v13
	v_mov_b32_e32 v13, s39
	s_add_i32 s39, s24, s4
	s_delay_alu instid0(SALU_CYCLE_1)
	s_lshl_b32 s39, s39, 3
	ds_load_2addr_b64 v[13:16], v13 offset1:1
	v_mul_f64 v[43:44], v[43:44], v[45:46]
	s_waitcnt lgkmcnt(1)
	v_fma_f64 v[11:12], -v[29:30], v[27:28], v[11:12]
	v_fma_f64 v[45:46], -v[31:32], v[74:75], v[57:58]
	;; [unrolled: 1-line block ×5, first 2 shown]
	v_dual_mov_b32 v25, s39 :: v_dual_mov_b32 v26, s44
	v_mov_b32_e32 v55, s42
	ds_load_b64 v[86:87], v25
	ds_load_2addr_b64 v[25:28], v26 offset1:1
	ds_load_2addr_b64 v[55:58], v55 offset1:1
	s_sub_i32 s42, s43, 48
	s_add_i32 s43, s39, -16
	v_mov_b32_e32 v74, s42
	s_add_i32 s42, s37, -8
	v_mov_b32_e32 v78, s43
	s_waitcnt lgkmcnt(3)
	v_fma_f64 v[15:16], -v[31:32], v[15:16], v[11:12]
	v_fma_f64 v[90:91], -v[33:34], v[90:91], v[45:46]
	ds_load_2addr_b64 v[74:77], v74 offset1:1
	ds_load_2addr_b64 v[78:81], v78 offset1:1
	s_sub_i32 s43, s40, 32
	s_sub_i32 s44, s41, 40
	;; [unrolled: 1-line block ×3, first 2 shown]
	s_waitcnt lgkmcnt(4)
	v_fma_f64 v[86:87], -v[29:30], v[86:87], v[9:10]
	v_mov_b32_e32 v9, s42
	s_waitcnt lgkmcnt(3)
	v_fma_f64 v[27:28], -v[37:38], v[27:28], v[82:83]
	s_waitcnt lgkmcnt(2)
	v_fma_f64 v[49:50], -v[43:44], v[57:58], v[49:50]
	s_sub_i32 s42, s37, 24
	ds_load_2addr_b64 v[9:12], v9 offset1:1
	v_mul_f64 v[45:46], v[53:54], v[84:85]
	v_mov_b32_e32 v53, s42
	s_add_i32 s42, s8, 0xfffffa90
	ds_load_2addr_b64 v[82:85], v53 offset1:1
	v_mov_b32_e32 v53, s42
	s_add_i32 s42, s38, -16
	s_waitcnt lgkmcnt(1)
	v_fma_f64 v[7:8], -v[29:30], v[11:12], v[7:8]
	v_mov_b32_e32 v11, s38
	v_fma_f64 v[15:16], -v[33:34], v[13:14], v[15:16]
	v_mov_b32_e32 v12, s43
	s_sub_i32 s43, s40, 48
	s_sub_i32 s40, s40, 64
	ds_load_b64 v[96:97], v11
	v_fma_f64 v[57:58], -v[31:32], v[80:81], v[86:87]
	v_fma_f64 v[80:81], -v[37:38], v[88:89], v[90:91]
	;; [unrolled: 1-line block ×3, first 2 shown]
	v_mov_b32_e32 v25, s44
	ds_load_2addr_b64 v[11:14], v12 offset1:1
	ds_load_2addr_b64 v[25:28], v25 offset1:1
	ds_load_b64 v[98:99], v53
	v_mov_b32_e32 v86, s41
	s_add_i32 s41, s33, -8
	v_dual_mov_b32 v53, s42 :: v_dual_mov_b32 v90, s43
	s_add_i32 s42, s35, -8
	s_sub_i32 s43, s33, 24
	v_fma_f64 v[49:50], -v[45:46], v[55:56], v[49:50]
	s_waitcnt lgkmcnt(3)
	v_fma_f64 v[96:97], -v[29:30], v[96:97], v[5:6]
	v_mov_b32_e32 v5, s41
	s_sub_i32 s41, s39, 32
	ds_load_2addr_b64 v[53:56], v53 offset1:1
	ds_load_2addr_b64 v[86:89], v86 offset1:1
	;; [unrolled: 1-line block ×3, first 2 shown]
	s_sub_i32 s44, s35, 24
	v_fma_f64 v[9:10], -v[31:32], v[9:10], v[7:8]
	s_waitcnt lgkmcnt(5)
	v_fma_f64 v[100:101], -v[37:38], v[13:14], v[15:16]
	v_mov_b32_e32 v13, s41
	ds_load_2addr_b64 v[5:8], v5 offset1:1
	ds_load_2addr_b64 v[13:16], v13 offset1:1
	s_sub_i32 s41, s39, 48
	s_sub_i32 s39, s39, 64
	v_fma_f64 v[57:58], -v[33:34], v[78:79], v[57:58]
	s_waitcnt lgkmcnt(6)
	v_fma_f64 v[27:28], -v[43:44], v[27:28], v[80:81]
	v_fma_f64 v[80:81], -v[45:46], v[76:77], v[94:95]
	v_mov_b32_e32 v76, s41
	s_add_i32 s41, s8, 0xfffff9a8
	ds_load_2addr_b64 v[76:79], v76 offset1:1
	s_waitcnt lgkmcnt(2)
	v_fma_f64 v[3:4], -v[29:30], v[7:8], v[3:4]
	v_mul_f64 v[49:50], v[98:99], v[49:50]
	v_fma_f64 v[7:8], -v[31:32], v[55:56], v[96:97]
	v_fma_f64 v[9:10], -v[33:34], v[84:85], v[9:10]
	;; [unrolled: 1-line block ×3, first 2 shown]
	s_waitcnt lgkmcnt(1)
	v_fma_f64 v[15:16], -v[37:38], v[15:16], v[57:58]
	v_fma_f64 v[55:56], -v[45:46], v[25:26], v[27:28]
	v_mov_b32_e32 v25, s34
	v_fma_f64 v[84:85], -v[31:32], v[5:6], v[3:4]
	v_fma_f64 v[57:58], -v[49:50], v[74:75], v[80:81]
	ds_load_b64 v[74:75], v25
	v_mov_b32_e32 v25, s41
	v_fma_f64 v[100:101], -v[33:34], v[53:54], v[7:8]
	s_add_i32 s41, s34, -16
	ds_load_b64 v[80:81], v25
	v_mov_b32_e32 v25, s41
	s_sub_i32 s41, s37, 40
	v_fma_f64 v[102:103], -v[37:38], v[82:83], v[9:10]
	v_mov_b32_e32 v4, s41
	ds_load_2addr_b64 v[25:28], v25 offset1:1
	v_fma_f64 v[106:107], -v[45:46], v[92:93], v[11:12]
	s_sub_i32 s41, s37, 56
	s_waitcnt lgkmcnt(2)
	v_fma_f64 v[74:75], -v[29:30], v[74:75], v[1:2]
	v_mov_b32_e32 v1, s42
	s_sub_i32 s42, s38, 32
	s_delay_alu instid0(SALU_CYCLE_1)
	v_dual_mov_b32 v2, s43 :: v_dual_mov_b32 v3, s42
	v_fma_f64 v[88:89], -v[49:50], v[88:89], v[55:56]
	v_fma_f64 v[104:105], -v[43:44], v[13:14], v[15:16]
	s_sub_i32 s42, s38, 48
	s_sub_i32 s43, s33, 40
	v_mov_b32_e32 v5, s42
	v_mov_b32_e32 v9, s43
	;; [unrolled: 1-line block ×3, first 2 shown]
	s_add_i32 s44, s30, -16
	s_sub_i32 s42, s35, 40
	s_sub_i32 s43, s35, 56
	s_waitcnt lgkmcnt(1)
	v_mul_f64 v[53:54], v[80:81], v[57:58]
	ds_load_2addr_b64 v[55:58], v1 offset1:1
	ds_load_2addr_b64 v[80:83], v2 offset1:1
	;; [unrolled: 1-line block ×4, first 2 shown]
	v_mov_b32_e32 v1, s41
	ds_load_2addr_b64 v[1:4], v1 offset1:1
	ds_load_2addr_b64 v[5:8], v5 offset1:1
	;; [unrolled: 1-line block ×4, first 2 shown]
	s_add_i32 s41, s8, 0xfffff8c0
	v_fma_f64 v[90:91], -v[49:50], v[90:91], v[106:107]
	s_waitcnt lgkmcnt(7)
	v_fma_f64 v[23:24], -v[29:30], v[57:58], v[23:24]
	s_waitcnt lgkmcnt(6)
	v_fma_f64 v[57:58], -v[33:34], v[82:83], v[84:85]
	v_mov_b32_e32 v82, s36
	v_fma_f64 v[27:28], -v[31:32], v[27:28], v[74:75]
	s_waitcnt lgkmcnt(5)
	v_fma_f64 v[74:75], -v[37:38], v[94:95], v[100:101]
	s_waitcnt lgkmcnt(4)
	v_fma_f64 v[94:95], -v[43:44], v[98:99], v[102:103]
	ds_load_b64 v[100:101], v82
	v_mov_b32_e32 v82, s40
	v_fma_f64 v[78:79], -v[45:46], v[78:79], v[104:105]
	s_add_i32 s40, s36, -16
	v_fma_f64 v[98:99], -v[53:54], v[86:87], v[88:89]
	v_mov_b32_e32 v86, s41
	ds_load_2addr_b64 v[82:85], v82 offset1:1
	ds_load_b64 v[102:103], v86
	v_mov_b32_e32 v86, s40
	s_waitcnt lgkmcnt(2)
	v_fma_f64 v[100:101], -v[29:30], v[100:101], v[21:22]
	s_add_i32 s40, s31, -8
	s_add_i32 s41, s8, 0xfffff608
	ds_load_2addr_b64 v[86:89], v86 offset1:1
	v_mov_b32_e32 v132, s41
	s_add_i32 s41, s33, 0xffffffb8
	v_fma_f64 v[104:105], -v[31:32], v[55:56], v[23:24]
	v_fma_f64 v[57:58], -v[37:38], v[80:81], v[57:58]
	;; [unrolled: 1-line block ×5, first 2 shown]
	v_mov_b32_e32 v74, s39
	s_sub_i32 s39, s34, 48
	s_waitcnt lgkmcnt(2)
	v_fma_f64 v[84:85], -v[53:54], v[84:85], v[90:91]
	v_fma_f64 v[96:97], -v[49:50], v[76:77], v[78:79]
	v_mov_b32_e32 v78, s39
	s_add_i32 s39, s27, s4
	s_lshl_b32 s27, s29, 3
	s_add_i32 s29, s37, 0xffffffb8
	s_add_i32 s48, s27, -8
	s_sub_i32 s37, s38, 64
	s_addk_i32 s38, 0xffb0
	s_sub_i32 s49, s27, 24
	s_sub_i32 s4, s4, 24
	s_waitcnt lgkmcnt(1)
	v_mul_f64 v[55:56], v[102:103], v[98:99]
	v_fma_f64 v[15:16], -v[33:34], v[15:16], v[104:105]
	v_fma_f64 v[11:12], -v[43:44], v[11:12], v[57:58]
	;; [unrolled: 1-line block ×4, first 2 shown]
	s_delay_alu instid0(VALU_DEP_4) | instskip(NEXT) | instid1(VALU_DEP_4)
	v_fma_f64 v[120:121], -v[37:38], v[13:14], v[15:16]
	v_fma_f64 v[124:125], -v[45:46], v[9:10], v[11:12]
	v_mov_b32_e32 v9, s41
	v_mov_b32_e32 v13, s43
	v_fma_f64 v[126:127], -v[49:50], v[5:6], v[7:8]
	v_fma_f64 v[128:129], -v[53:54], v[1:2], v[3:4]
	v_mov_b32_e32 v1, s29
	s_lshl_b32 s29, s39, 3
	s_sub_i32 s39, s36, 64
	v_mov_b32_e32 v21, s40
	s_sub_i32 s40, s34, 32
	s_delay_alu instid0(SALU_CYCLE_1)
	v_dual_mov_b32 v4, s46 :: v_dual_mov_b32 v25, s40
	s_add_i32 s40, s8, 0xfffff6f0
	ds_load_2addr_b64 v[21:24], v21 offset1:1
	ds_load_2addr_b64 v[25:28], v25 offset1:1
	;; [unrolled: 1-line block ×3, first 2 shown]
	v_mov_b32_e32 v90, s40
	ds_load_2addr_b64 v[78:81], v78 offset1:1
	ds_load_2addr_b64 v[90:93], v90 offset1:1
	s_add_i32 s40, s8, 0xfffff7d8
	s_sub_i32 s46, s29, 48
	v_dual_mov_b32 v3, s48 :: v_dual_mov_b32 v6, s45
	v_dual_mov_b32 v2, s37 :: v_dual_mov_b32 v7, s42
	s_sub_i32 s48, s26, 40
	v_mov_b32_e32 v5, s38
	s_add_i32 s37, s29, -16
	s_add_i32 s38, s8, 0xfffff520
	s_sub_i32 s41, s31, 56
	s_waitcnt lgkmcnt(4)
	v_fma_f64 v[19:20], -v[29:30], v[23:24], v[19:20]
	v_fma_f64 v[23:24], -v[31:32], v[88:89], v[100:101]
	s_waitcnt lgkmcnt(3)
	v_fma_f64 v[27:28], -v[37:38], v[27:28], v[106:107]
	s_waitcnt lgkmcnt(2)
	v_fma_f64 v[57:58], -v[53:54], v[76:77], v[96:97]
	v_fma_f64 v[76:77], -v[55:56], v[82:83], v[84:85]
	v_mov_b32_e32 v82, s30
	s_sub_i32 s43, s27, 40
	s_sub_i32 s45, s29, 32
	s_add_i32 s42, s31, 0xffffffb8
	ds_load_b64 v[88:89], v82
	v_mov_b32_e32 v82, s40
	s_sub_i32 s40, s33, 56
	s_addk_i32 s33, 0xffa8
	ds_load_b64 v[94:95], v82
	v_mov_b32_e32 v82, s44
	s_sub_i32 s44, s36, 48
	ds_load_2addr_b64 v[82:85], v82 offset1:1
	s_waitcnt lgkmcnt(2)
	v_fma_f64 v[114:115], -v[29:30], v[88:89], v[17:18]
	v_mov_b32_e32 v17, s44
	s_sub_i32 s44, s27, 56
	v_fma_f64 v[116:117], -v[31:32], v[21:22], v[19:20]
	v_fma_f64 v[118:119], -v[33:34], v[86:87], v[23:24]
	;; [unrolled: 1-line block ×4, first 2 shown]
	s_waitcnt lgkmcnt(1)
	v_mul_f64 v[57:58], v[94:95], v[76:77]
	ds_load_2addr_b64 v[74:77], v3 offset1:1
	v_mov_b32_e32 v3, s40
	ds_load_2addr_b64 v[86:89], v4 offset1:1
	ds_load_2addr_b64 v[94:97], v6 offset1:1
	;; [unrolled: 1-line block ×6, first 2 shown]
	v_mov_b32_e32 v25, s49
	s_add_i32 s49, s25, -16
	s_add_i32 s40, s36, 0xffffffb0
	s_waitcnt lgkmcnt(6)
	v_fma_f64 v[51:52], -v[29:30], v[76:77], v[51:52]
	v_fma_f64 v[76:77], -v[31:32], v[84:85], v[114:115]
	s_waitcnt lgkmcnt(5)
	v_fma_f64 v[84:85], -v[33:34], v[88:89], v[116:117]
	s_waitcnt lgkmcnt(4)
	;; [unrolled: 2-line block ×5, first 2 shown]
	v_fma_f64 v[104:105], -v[53:54], v[108:109], v[126:127]
	v_fma_f64 v[80:81], -v[45:46], v[80:81], v[122:123]
	s_waitcnt lgkmcnt(0)
	v_fma_f64 v[108:109], -v[55:56], v[112:113], v[128:129]
	v_fma_f64 v[92:93], -v[57:58], v[92:93], v[130:131]
	v_mov_b32_e32 v112, s29
	v_fma_f64 v[51:52], -v[31:32], v[74:75], v[51:52]
	v_fma_f64 v[118:119], -v[33:34], v[82:83], v[76:77]
	v_fma_f64 v[120:121], -v[37:38], v[86:87], v[84:85]
	v_fma_f64 v[122:123], -v[43:44], v[94:95], v[88:89]
	v_fma_f64 v[98:99], -v[45:46], v[98:99], v[96:97]
	v_fma_f64 v[100:101], -v[53:54], v[102:103], v[100:101]
	v_fma_f64 v[102:103], -v[55:56], v[106:107], v[104:105]
	v_mov_b32_e32 v106, s39
	s_add_i32 s39, s27, 0xffffffa8
	v_mov_b32_e32 v21, s47
	ds_load_2addr_b64 v[1:4], v132 offset1:1
	ds_load_2addr_b64 v[5:8], v5 offset1:1
	;; [unrolled: 1-line block ×7, first 2 shown]
	ds_load_b64 v[116:117], v112
	v_fma_f64 v[124:125], -v[49:50], v[78:79], v[80:81]
	v_fma_f64 v[104:105], -v[57:58], v[110:111], v[108:109]
	v_mov_b32_e32 v112, s37
	s_add_i32 s37, s26, -8
	v_mov_b32_e32 v86, s38
	v_mov_b32_e32 v74, s37
	s_sub_i32 s37, s30, 32
	ds_load_2addr_b64 v[112:115], v112 offset1:1
	v_mov_b32_e32 v78, s37
	s_sub_i32 s37, s34, 64
	ds_load_2addr_b64 v[74:77], v74 offset1:1
	v_mov_b32_e32 v82, s37
	s_add_i32 s37, s34, 0xffffffb0
	ds_load_2addr_b64 v[78:81], v78 offset1:1
	ds_load_2addr_b64 v[82:85], v82 offset1:1
	;; [unrolled: 1-line block ×3, first 2 shown]
	s_sub_i32 s38, s30, 48
	s_waitcnt lgkmcnt(6)
	v_fma_f64 v[27:28], -v[33:34], v[27:28], v[51:52]
	s_waitcnt lgkmcnt(5)
	v_fma_f64 v[116:117], -v[29:30], v[116:117], v[47:48]
	v_mul_f64 v[47:48], v[90:91], v[92:93]
	v_mov_b32_e32 v90, s37
	v_mov_b32_e32 v94, s38
	ds_load_2addr_b64 v[90:93], v90 offset1:1
	ds_load_2addr_b64 v[94:97], v94 offset1:1
	s_add_i32 s37, s8, 0xfffff438
	v_fma_f64 v[23:24], -v[43:44], v[23:24], v[120:121]
	v_fma_f64 v[19:20], -v[45:46], v[19:20], v[122:123]
	s_waitcnt lgkmcnt(5)
	v_fma_f64 v[41:42], -v[29:30], v[76:77], v[41:42]
	v_fma_f64 v[15:16], -v[49:50], v[15:16], v[98:99]
	;; [unrolled: 1-line block ×3, first 2 shown]
	s_waitcnt lgkmcnt(4)
	v_fma_f64 v[51:52], -v[37:38], v[80:81], v[118:119]
	v_fma_f64 v[7:8], -v[57:58], v[7:8], v[102:103]
	v_mov_b32_e32 v98, s49
	s_sub_i32 s47, s26, 24
	v_mov_b32_e32 v102, s37
	s_waitcnt lgkmcnt(3)
	v_fma_f64 v[80:81], -v[53:54], v[84:85], v[124:125]
	v_mov_b32_e32 v84, s25
	ds_load_2addr_b64 v[98:101], v98 offset1:1
	s_add_i32 s37, s35, 0xffffffb8
	s_add_i32 s38, s35, 0xffffffa8
	v_mov_b32_e32 v107, s42
	ds_load_b64 v[84:85], v84
	v_mov_b32_e32 v108, s44
	v_mov_b32_e32 v110, s46
	v_mov_b32_e32 v118, s51
	s_sub_i32 s42, s26, 56
	s_sub_i32 s44, s21, 40
	v_fma_f64 v[128:129], -v[37:38], v[25:26], v[27:28]
	v_fma_f64 v[76:77], -v[31:32], v[114:115], v[116:117]
	;; [unrolled: 1-line block ×3, first 2 shown]
	v_mov_b32_e32 v104, s37
	v_mov_b32_e32 v114, s48
	s_add_i32 s37, s31, 0xffffff98
	s_waitcnt lgkmcnt(0)
	v_fma_f64 v[122:123], -v[29:30], v[84:85], v[39:40]
	v_mov_b32_e32 v39, s50
	v_fma_f64 v[130:131], -v[45:46], v[21:22], v[23:24]
	v_fma_f64 v[132:133], -v[49:50], v[17:18], v[19:20]
	;; [unrolled: 1-line block ×7, first 2 shown]
	v_mov_b32_e32 v13, s41
	v_mov_b32_e32 v9, s43
	s_add_i32 s43, s26, 0xffffffb8
	v_fma_f64 v[136:137], -v[55:56], v[82:83], v[80:81]
	v_mov_b32_e32 v103, s33
	v_mov_b32_e32 v5, s45
	s_sub_i32 s45, s21, 56
	v_dual_mov_b32 v105, s38 :: v_dual_mov_b32 v82, s40
	s_sub_i32 s33, s25, 32
	s_sub_i32 s40, s29, 64
	s_add_i32 s38, s27, 0xffffffb8
	s_add_i32 s41, s29, 0xffffffb0
	v_fma_f64 v[126:127], -v[33:34], v[112:113], v[76:77]
	v_mul_f64 v[142:143], v[1:2], v[3:4]
	v_mov_b32_e32 v1, s47
	ds_load_2addr_b64 v[1:4], v1 offset1:1
	ds_load_2addr_b64 v[5:8], v5 offset1:1
	;; [unrolled: 1-line block ×16, first 2 shown]
	v_fma_f64 v[100:101], -v[31:32], v[100:101], v[122:123]
	v_fma_f64 v[51:52], -v[45:46], v[96:97], v[51:52]
	;; [unrolled: 1-line block ×3, first 2 shown]
	s_waitcnt lgkmcnt(8)
	v_fma_f64 v[35:36], -v[29:30], v[41:42], v[35:36]
	v_fma_f64 v[3:4], -v[33:34], v[3:4], v[124:125]
	v_fma_f64 v[15:16], -v[49:50], v[15:16], v[130:131]
	v_fma_f64 v[11:12], -v[43:44], v[11:12], v[128:129]
	v_fma_f64 v[19:20], -v[53:54], v[19:20], v[132:133]
	v_fma_f64 v[23:24], -v[55:56], v[23:24], v[134:135]
	v_fma_f64 v[27:28], -v[47:48], v[27:28], v[138:139]
	v_fma_f64 v[7:8], -v[37:38], v[7:8], v[126:127]
	v_fma_f64 v[88:89], -v[142:143], v[88:89], v[140:141]
	v_fma_f64 v[41:42], -v[33:34], v[98:99], v[100:101]
	v_fma_f64 v[51:52], -v[49:50], v[94:95], v[51:52]
	v_fma_f64 v[90:91], -v[47:48], v[90:91], v[92:93]
	v_fma_f64 v[96:97], -v[37:38], v[1:2], v[3:4]
	v_fma_f64 v[94:95], -v[53:54], v[13:14], v[15:16]
	v_fma_f64 v[100:101], -v[45:46], v[9:10], v[11:12]
	v_fma_f64 v[122:123], -v[55:56], v[17:18], v[19:20]
	v_fma_f64 v[124:125], -v[57:58], v[21:22], v[23:24]
	v_fma_f64 v[25:26], -v[142:143], v[25:26], v[27:28]
	v_fma_f64 v[27:28], -v[31:32], v[39:40], v[35:36]
	v_mov_b32_e32 v1, s33
	s_sub_i32 s33, s30, 64
	ds_load_2addr_b64 v[1:4], v1 offset1:1
	v_fma_f64 v[98:99], -v[43:44], v[5:6], v[7:8]
	v_mul_f64 v[126:127], v[86:87], v[88:89]
	v_mov_b32_e32 v5, s33
	s_add_i32 s33, s34, 0xffffffa0
	s_sub_i32 s34, s25, 48
	v_mov_b32_e32 v9, s33
	s_add_i32 s33, s8, 0xfffff350
	ds_load_2addr_b64 v[5:8], v5 offset1:1
	v_mov_b32_e32 v13, s33
	s_add_i32 s33, s30, 0xffffffb0
	ds_load_2addr_b64 v[9:12], v9 offset1:1
	v_mov_b32_e32 v17, s33
	s_add_i32 s33, s8, 0xfffff268
	v_mov_b32_e32 v21, s34
	s_add_i32 s34, s35, 0xffffff98
	;; [unrolled: 2-line block ×3, first 2 shown]
	s_add_i32 s35, s36, 0xffffff90
	s_add_i32 s36, s31, 0xffffffa8
	s_waitcnt lgkmcnt(2)
	v_fma_f64 v[3:4], -v[37:38], v[3:4], v[41:42]
	ds_load_2addr_b64 v[13:16], v13 offset1:1
	ds_load_2addr_b64 v[17:20], v17 offset1:1
	;; [unrolled: 1-line block ×3, first 2 shown]
	v_mov_b32_e32 v87, s35
	s_addk_i32 s31, 0xff88
	s_add_i32 s35, s29, 0xffffffa0
	v_fma_f64 v[35:36], -v[43:44], v[116:117], v[96:97]
	v_fma_f64 v[41:42], -v[49:50], v[108:109], v[100:101]
	s_waitcnt lgkmcnt(4)
	v_fma_f64 v[7:8], -v[53:54], v[7:8], v[51:52]
	v_fma_f64 v[51:52], -v[55:56], v[104:105], v[94:95]
	;; [unrolled: 1-line block ×4, first 2 shown]
	s_waitcnt lgkmcnt(3)
	v_fma_f64 v[11:12], -v[142:143], v[11:12], v[90:91]
	v_fma_f64 v[27:28], -v[33:34], v[120:121], v[27:28]
	v_mov_b32_e32 v90, s37
	v_mov_b32_e32 v94, s39
	s_add_i32 s37, s21, 0xffffffb8
	v_fma_f64 v[39:40], -v[45:46], v[112:113], v[98:99]
	v_fma_f64 v[25:26], -v[126:127], v[76:77], v[25:26]
	v_mov_b32_e32 v98, s41
	v_fma_f64 v[112:113], -v[43:44], v[1:2], v[3:4]
	v_mov_b32_e32 v1, s42
	v_fma_f64 v[35:36], -v[45:46], v[114:115], v[35:36]
	v_fma_f64 v[114:115], -v[53:54], v[106:107], v[41:42]
	;; [unrolled: 1-line block ×8, first 2 shown]
	v_dual_mov_b32 v78, s44 :: v_dual_mov_b32 v5, s40
	v_mov_b32_e32 v9, s38
	ds_load_2addr_b64 v[1:4], v1 offset1:1
	ds_load_2addr_b64 v[5:8], v5 offset1:1
	;; [unrolled: 1-line block ×3, first 2 shown]
	v_fma_f64 v[110:111], -v[49:50], v[110:111], v[39:40]
	v_mul_f64 v[128:129], v[74:75], v[25:26]
	v_mov_b32_e32 v25, s36
	v_dual_mov_b32 v39, s33 :: v_dual_mov_b32 v74, s34
	ds_load_2addr_b64 v[25:28], v25 offset1:1
	ds_load_2addr_b64 v[39:42], v39 offset1:1
	;; [unrolled: 1-line block ×4, first 2 shown]
	s_sub_i32 s33, s25, 64
	v_mov_b32_e32 v102, s43
	v_mov_b32_e32 v106, s45
	ds_load_2addr_b64 v[82:85], v86 offset1:1
	ds_load_2addr_b64 v[86:89], v87 offset1:1
	ds_load_2addr_b64 v[90:93], v90 offset1:1
	ds_load_2addr_b64 v[94:97], v94 offset1:1
	ds_load_2addr_b64 v[98:101], v98 offset1:1
	ds_load_2addr_b64 v[102:105], v102 offset1:1
	ds_load_2addr_b64 v[106:109], v106 offset1:1
	s_add_i32 s34, s25, 0xffffffb0
	s_add_i32 s36, s26, 0xffffffa8
	s_waitcnt lgkmcnt(14)
	v_fma_f64 v[23:24], -v[45:46], v[23:24], v[112:113]
	s_waitcnt lgkmcnt(13)
	v_fma_f64 v[3:4], -v[49:50], v[3:4], v[35:36]
	;; [unrolled: 2-line block ×3, first 2 shown]
	v_fma_f64 v[19:20], -v[57:58], v[19:20], v[116:117]
	s_waitcnt lgkmcnt(10)
	v_fma_f64 v[27:28], -v[47:48], v[27:28], v[51:52]
	s_waitcnt lgkmcnt(9)
	;; [unrolled: 2-line block ×4, first 2 shown]
	v_fma_f64 v[51:52], -v[43:44], v[80:81], v[118:119]
	v_fma_f64 v[7:8], -v[53:54], v[7:8], v[110:111]
	;; [unrolled: 1-line block ×5, first 2 shown]
	v_mov_b32_e32 v1, s33
	v_fma_f64 v[80:81], -v[57:58], v[9:10], v[11:12]
	v_fma_f64 v[17:18], -v[47:48], v[17:18], v[19:20]
	;; [unrolled: 1-line block ×5, first 2 shown]
	s_add_i32 s33, s30, 0xffffffa0
	v_fma_f64 v[39:40], -v[45:46], v[78:79], v[51:52]
	v_fma_f64 v[76:77], -v[55:56], v[5:6], v[7:8]
	v_mul_f64 v[35:36], v[13:14], v[15:16]
	v_mov_b32_e32 v5, s33
	ds_load_2addr_b64 v[1:4], v1 offset1:1
	ds_load_2addr_b64 v[5:8], v5 offset1:1
	s_add_i32 s33, s30, 0xffffff90
	v_mov_b32_e32 v13, s34
	v_mov_b32_e32 v9, s33
	s_add_i32 s33, s8, 0xfffff180
	s_add_i32 s34, s27, 0xffffff98
	ds_load_2addr_b64 v[9:12], v9 offset1:1
	ds_load_2addr_b64 v[13:16], v13 offset1:1
	s_addk_i32 s30, 0xff80
	s_waitcnt lgkmcnt(3)
	v_fma_f64 v[3:4], -v[53:54], v[3:4], v[21:22]
	v_fma_f64 v[21:22], -v[55:56], v[104:105], v[23:24]
	;; [unrolled: 1-line block ×3, first 2 shown]
	s_waitcnt lgkmcnt(2)
	v_fma_f64 v[7:8], -v[142:143], v[7:8], v[17:18]
	v_fma_f64 v[51:52], -v[126:127], v[92:93], v[19:20]
	;; [unrolled: 1-line block ×4, first 2 shown]
	v_mov_b32_e32 v17, s33
	s_add_i32 s33, s8, 0xfffff098
	s_delay_alu instid0(SALU_CYCLE_1)
	v_mov_b32_e32 v74, s33
	s_add_i32 s33, s29, 0xffffff90
	ds_load_2addr_b64 v[17:20], v17 offset1:1
	v_fma_f64 v[23:24], -v[57:58], v[100:101], v[76:77]
	v_fma_f64 v[27:28], -v[35:36], v[84:85], v[27:28]
	;; [unrolled: 1-line block ×9, first 2 shown]
	v_mov_b32_e32 v1, s36
	v_mov_b32_e32 v25, s31
	;; [unrolled: 1-line block ×5, first 2 shown]
	s_add_i32 s31, s27, 0xffffff88
	v_fma_f64 v[98:99], -v[47:48], v[98:99], v[23:24]
	v_mul_f64 v[108:109], v[82:83], v[27:28]
	ds_load_2addr_b64 v[1:4], v1 offset1:1
	ds_load_2addr_b64 v[5:8], v5 offset1:1
	;; [unrolled: 1-line block ×5, first 2 shown]
	v_mov_b32_e32 v78, s31
	s_add_i32 s31, s25, 0xffffffa0
	s_add_i32 s34, s26, 0xffffff98
	;; [unrolled: 1-line block ×3, first 2 shown]
	v_mov_b32_e32 v82, s33
	v_mov_b32_e32 v86, s34
	v_mov_b32_e32 v90, s35
	ds_load_2addr_b64 v[74:77], v74 offset1:1
	ds_load_2addr_b64 v[78:81], v78 offset1:1
	;; [unrolled: 1-line block ×5, first 2 shown]
	s_addk_i32 s27, 0xff78
	s_add_i32 s33, s21, 0xffffff98
	s_waitcnt lgkmcnt(11)
	v_fma_f64 v[15:16], -v[57:58], v[15:16], v[96:97]
	s_waitcnt lgkmcnt(9)
	v_fma_f64 v[3:4], -v[47:48], v[3:4], v[100:101]
	s_waitcnt lgkmcnt(7)
	v_fma_f64 v[23:24], -v[126:127], v[23:24], v[94:95]
	v_fma_f64 v[11:12], -v[128:129], v[11:12], v[102:103]
	s_waitcnt lgkmcnt(6)
	v_fma_f64 v[27:28], -v[35:36], v[27:28], v[51:52]
	s_waitcnt lgkmcnt(5)
	v_fma_f64 v[41:42], -v[55:56], v[41:42], v[106:107]
	v_fma_f64 v[7:8], -v[142:143], v[7:8], v[98:99]
	;; [unrolled: 1-line block ×8, first 2 shown]
	v_mov_b32_e32 v1, s31
	s_add_i32 s31, s25, 0xffffff90
	s_delay_alu instid0(SALU_CYCLE_1)
	v_mov_b32_e32 v13, s31
	s_add_i32 s31, s26, 0xffffff88
	v_fma_f64 v[96:97], -v[126:127], v[5:6], v[7:8]
	v_mul_f64 v[98:99], v[17:18], v[19:20]
	v_fma_f64 v[17:18], -v[57:58], v[39:40], v[41:42]
	v_mov_b32_e32 v5, s30
	ds_load_2addr_b64 v[1:4], v1 offset1:1
	ds_load_2addr_b64 v[5:8], v5 offset1:1
	s_add_i32 s30, s8, 0xffffefb0
	s_delay_alu instid0(SALU_CYCLE_1)
	v_mov_b32_e32 v9, s30
	s_add_i32 s30, s29, 0xffffff80
	ds_load_2addr_b64 v[9:12], v9 offset1:1
	ds_load_2addr_b64 v[13:16], v13 offset1:1
	s_waitcnt lgkmcnt(3)
	v_fma_f64 v[3:4], -v[142:143], v[3:4], v[51:52]
	v_fma_f64 v[19:20], -v[126:127], v[88:89], v[94:95]
	;; [unrolled: 1-line block ×3, first 2 shown]
	s_waitcnt lgkmcnt(2)
	v_fma_f64 v[7:8], -v[108:109], v[7:8], v[23:24]
	v_fma_f64 v[27:28], -v[128:129], v[84:85], v[96:97]
	v_fma_f64 v[23:24], -v[98:99], v[76:77], v[25:26]
	v_fma_f64 v[17:18], -v[47:48], v[92:93], v[17:18]
	v_fma_f64 v[51:52], -v[126:127], v[1:2], v[3:4]
	v_fma_f64 v[84:85], -v[128:129], v[86:87], v[19:20]
	v_fma_f64 v[86:87], -v[108:109], v[78:79], v[21:22]
	v_fma_f64 v[88:89], -v[98:99], v[5:6], v[7:8]
	v_mov_b32_e32 v1, s31
	v_mov_b32_e32 v5, s30
	;; [unrolled: 1-line block ×3, first 2 shown]
	s_add_i32 s30, s21, 0xffffff88
	s_delay_alu instid0(SALU_CYCLE_1)
	v_mov_b32_e32 v78, s30
	v_fma_f64 v[82:83], -v[35:36], v[82:83], v[27:28]
	v_mul_f64 v[92:93], v[74:75], v[23:24]
	v_fma_f64 v[90:91], -v[142:143], v[90:91], v[17:18]
	v_mov_b32_e32 v17, s27
	ds_load_2addr_b64 v[1:4], v1 offset1:1
	ds_load_2addr_b64 v[5:8], v5 offset1:1
	;; [unrolled: 1-line block ×4, first 2 shown]
	s_add_i32 s27, s8, 0xffffeec8
	s_delay_alu instid0(SALU_CYCLE_1)
	v_mov_b32_e32 v25, s27
	s_add_i32 s27, s29, 0xffffff70
	s_add_i32 s29, s26, 0xffffff78
	v_mov_b32_e32 v39, s27
	s_add_i32 s27, s25, 0xffffff80
	v_mov_b32_e32 v74, s29
	ds_load_2addr_b64 v[25:28], v25 offset1:1
	ds_load_2addr_b64 v[39:42], v39 offset1:1
	;; [unrolled: 1-line block ×4, first 2 shown]
	s_addk_i32 s26, 0xff68
	s_add_i32 s29, s21, 0xffffff78
	s_waitcnt lgkmcnt(8)
	v_fma_f64 v[15:16], -v[128:129], v[15:16], v[51:52]
	s_waitcnt lgkmcnt(7)
	v_fma_f64 v[3:4], -v[35:36], v[3:4], v[84:85]
	;; [unrolled: 2-line block ×3, first 2 shown]
	v_fma_f64 v[7:8], -v[108:109], v[7:8], v[82:83]
	v_fma_f64 v[11:12], -v[92:93], v[11:12], v[88:89]
	s_waitcnt lgkmcnt(4)
	v_fma_f64 v[23:24], -v[126:127], v[23:24], v[90:91]
	v_fma_f64 v[13:14], -v[35:36], v[13:14], v[15:16]
	;; [unrolled: 1-line block ×4, first 2 shown]
	v_mov_b32_e32 v1, s27
	s_add_i32 s27, s25, 0xffffff70
	s_addk_i32 s25, 0xff60
	ds_load_2addr_b64 v[1:4], v1 offset1:1
	v_fma_f64 v[51:52], -v[98:99], v[5:6], v[7:8]
	v_mul_f64 v[82:83], v[9:10], v[11:12]
	v_fma_f64 v[9:10], -v[128:129], v[21:22], v[23:24]
	v_mov_b32_e32 v5, s27
	s_add_i32 s27, s8, 0xffffede0
	ds_load_2addr_b64 v[5:8], v5 offset1:1
	s_waitcnt lgkmcnt(1)
	v_fma_f64 v[3:4], -v[108:109], v[3:4], v[13:14]
	v_fma_f64 v[11:12], -v[98:99], v[76:77], v[15:16]
	;; [unrolled: 1-line block ×7, first 2 shown]
	v_mov_b32_e32 v1, s26
	s_add_i32 s26, s8, 0xffffecf8
	s_delay_alu instid0(SALU_CYCLE_1)
	v_mov_b32_e32 v17, s26
	v_fma_f64 v[39:40], -v[82:83], v[39:40], v[13:14]
	v_mul_f64 v[25:26], v[25:26], v[15:16]
	v_fma_f64 v[51:52], -v[108:109], v[78:79], v[9:10]
	v_mov_b32_e32 v9, s27
	v_mov_b32_e32 v13, s29
	ds_load_2addr_b64 v[1:4], v1 offset1:1
	ds_load_2addr_b64 v[9:12], v9 offset1:1
	;; [unrolled: 1-line block ×3, first 2 shown]
	s_add_i32 s27, s21, 0xffffff68
	s_addk_i32 s21, 0xff58
	v_mov_b32_e32 v21, s27
	ds_load_2addr_b64 v[17:20], v17 offset1:1
	ds_load_2addr_b64 v[21:24], v21 offset1:1
	s_waitcnt lgkmcnt(5)
	v_fma_f64 v[7:8], -v[92:93], v[7:8], v[27:28]
	s_waitcnt lgkmcnt(4)
	v_fma_f64 v[3:4], -v[82:83], v[3:4], v[41:42]
	;; [unrolled: 2-line block ×4, first 2 shown]
	s_delay_alu instid0(VALU_DEP_4) | instskip(NEXT) | instid1(VALU_DEP_4)
	v_fma_f64 v[27:28], -v[82:83], v[5:6], v[7:8]
	v_fma_f64 v[39:40], -v[25:26], v[1:2], v[3:4]
	v_mov_b32_e32 v1, s25
	s_add_i32 s25, s8, 0xffffec10
	s_addk_i32 s8, 0xeb28
	v_mov_b32_e32 v5, s25
	ds_load_2addr_b64 v[1:4], v1 offset1:1
	ds_load_2addr_b64 v[5:8], v5 offset1:1
	v_mul_f64 v[41:42], v[9:10], v[11:12]
	v_fma_f64 v[9:10], -v[92:93], v[13:14], v[15:16]
	s_waitcnt lgkmcnt(1)
	v_fma_f64 v[3:4], -v[25:26], v[3:4], v[27:28]
	s_delay_alu instid0(VALU_DEP_3) | instskip(NEXT) | instid1(VALU_DEP_3)
	v_fma_f64 v[11:12], -v[41:42], v[19:20], v[39:40]
	v_fma_f64 v[9:10], -v[82:83], v[23:24], v[9:10]
	s_delay_alu instid0(VALU_DEP_3)
	v_fma_f64 v[13:14], -v[41:42], v[1:2], v[3:4]
	v_mov_b32_e32 v1, s21
	ds_load_2addr_b64 v[1:4], v1 offset1:1
	v_mul_f64 v[15:16], v[17:18], v[11:12]
	v_fma_f64 v[17:18], -v[25:26], v[21:22], v[9:10]
	v_mov_b32_e32 v9, s8
	ds_load_2addr_b64 v[9:12], v9 offset1:1
	s_waitcnt lgkmcnt(2)
	v_fma_f64 v[7:8], -v[15:16], v[7:8], v[13:14]
	s_waitcnt lgkmcnt(1)
	v_fma_f64 v[3:4], -v[41:42], v[3:4], v[17:18]
	s_delay_alu instid0(VALU_DEP_2) | instskip(NEXT) | instid1(VALU_DEP_2)
	v_mul_f64 v[5:6], v[5:6], v[7:8]
	v_fma_f64 v[1:2], -v[15:16], v[1:2], v[3:4]
	v_add_lshl_u32 v3, s9, v0, 3
	v_add_lshl_u32 v4, s12, v0, 3
	;; [unrolled: 1-line block ×4, first 2 shown]
	ds_store_b64 v72, v[29:30]
	ds_store_b64 v73, v[31:32]
	ds_store_b64 v3, v[33:34] offset:6272
	ds_store_b64 v4, v[37:38] offset:6272
	;; [unrolled: 1-line block ×4, first 2 shown]
	v_add_lshl_u32 v3, s15, v0, 3
	v_add_lshl_u32 v4, s19, v0, 3
	;; [unrolled: 1-line block ×4, first 2 shown]
	s_waitcnt lgkmcnt(6)
	v_fma_f64 v[1:2], -v[5:6], v[11:12], v[1:2]
	s_delay_alu instid0(VALU_DEP_1)
	v_mul_f64 v[1:2], v[9:10], v[1:2]
	v_add_lshl_u32 v9, s24, v0, 3
	ds_store_b64 v3, v[49:50] offset:6272
	ds_store_b64 v4, v[53:54] offset:6272
	ds_store_b64 v7, v[55:56] offset:6272
	ds_store_b64 v8, v[57:58] offset:6272
	ds_store_b64 v9, v[47:48] offset:6272
	ds_store_b64 v59, v[142:143] offset:6272
	ds_store_b64 v60, v[126:127] offset:6272
	ds_store_b64 v61, v[128:129] offset:6272
	ds_store_b64 v62, v[35:36] offset:6272
	ds_store_b64 v63, v[108:109] offset:6272
	ds_store_b64 v64, v[98:99] offset:6272
	ds_store_b64 v65, v[92:93] offset:6272
	ds_store_b64 v66, v[82:83] offset:6272
	ds_store_b64 v67, v[25:26] offset:6272
	ds_store_b64 v68, v[41:42] offset:6272
	ds_store_b64 v69, v[15:16] offset:6272
	ds_store_b64 v71, v[5:6] offset:6272
	ds_store_b64 v70, v[1:2] offset:6272
.LBB99_26:
	s_cmp_lt_i32 s4, 0
	s_cbranch_scc1 .LBB99_39
; %bb.27:
	s_bitcmp1_b32 s4, 0
	s_cselect_b32 s8, -1, 0
	s_delay_alu instid0(SALU_CYCLE_1)
	s_and_b32 vcc_lo, exec_lo, s8
	s_mov_b32 s8, s4
	s_cbranch_vccnz .LBB99_32
; %bb.28:
	s_mul_i32 s8, s4, 28
	s_cmp_le_i32 s28, s4
	v_add_lshl_u32 v3, s8, v0, 3
	ds_load_b64 v[1:2], v3 offset:6272
	s_cbranch_scc1 .LBB99_31
; %bb.29:
	v_lshlrev_b32_e32 v4, 3, v0
	s_mul_i32 s12, s20, 0xe0
	s_mul_i32 s8, s4, 0xe0
	s_lshl_b32 s9, s20, 3
	s_delay_alu instid0(SALU_CYCLE_1)
	s_add_i32 s8, s8, s9
	v_add3_u32 v4, s12, v4, 0x17a0
	s_add_i32 s8, s8, -8
	s_mov_b32 s9, s28
.LBB99_30:                              ; =>This Inner Loop Header: Depth=1
	v_mov_b32_e32 v7, s8
	s_add_i32 s9, s9, -1
	s_add_i32 s8, s8, -8
	s_cmp_gt_i32 s9, s4
	ds_load_b64 v[5:6], v4
	ds_load_b64 v[7:8], v7
	v_add_nc_u32_e32 v4, 0xffffff20, v4
	s_waitcnt lgkmcnt(0)
	v_fma_f64 v[1:2], -v[5:6], v[7:8], v[1:2]
	s_cbranch_scc1 .LBB99_30
.LBB99_31:
	s_mul_i32 s8, s4, 0xe8
	s_delay_alu instid0(SALU_CYCLE_1)
	v_dual_mov_b32 v4, s8 :: v_dual_add_nc_u32 v3, 0x1880, v3
	s_add_i32 s8, s4, -1
	ds_load_b64 v[4:5], v4
	s_waitcnt lgkmcnt(0)
	v_mul_f64 v[1:2], v[4:5], v[1:2]
	ds_store_b64 v3, v[1:2]
.LBB99_32:
	s_cmp_eq_u32 s4, 0
	s_cbranch_scc1 .LBB99_39
; %bb.33:
	v_lshlrev_b32_e32 v1, 3, v0
	s_mul_i32 s12, s20, 0xe0
	s_mul_i32 s4, s8, 0xe0
	s_lshl_b32 s9, s20, 3
	s_delay_alu instid0(SALU_CYCLE_1)
	s_add_i32 s9, s4, s9
	v_add3_u32 v5, s12, v1, 0x17a0
	s_add_i32 s4, s9, -8
	s_addk_i32 s9, 0xff18
	s_branch .LBB99_35
.LBB99_34:                              ;   in Loop: Header=BB99_35 Depth=1
	s_addk_i32 s12, 0xff18
	s_delay_alu instid0(SALU_CYCLE_1)
	v_dual_mov_b32 v2, s12 :: v_dual_add_nc_u32 v1, 0x1880, v6
	s_add_i32 s12, s8, -2
	s_addk_i32 s4, 0xfe40
	s_addk_i32 s9, 0xfe40
	s_cmp_lt_i32 s8, 2
	ds_load_b64 v[6:7], v2
	s_mov_b32 s8, s12
	s_waitcnt lgkmcnt(0)
	v_mul_f64 v[2:3], v[6:7], v[3:4]
	ds_store_b64 v1, v[2:3]
	s_cbranch_scc1 .LBB99_39
.LBB99_35:                              ; =>This Loop Header: Depth=1
                                        ;     Child Loop BB99_36 Depth 2
                                        ;     Child Loop BB99_38 Depth 2
	s_mul_i32 s13, s8, 28
	v_mov_b32_e32 v4, v5
	v_add_lshl_u32 v3, s13, v0, 3
	s_cmp_le_i32 s28, s8
	s_mov_b32 s12, s4
	s_mov_b32 s14, s28
	ds_load_b64 v[1:2], v3 offset:6272
	s_cbranch_scc1 .LBB99_37
.LBB99_36:                              ;   Parent Loop BB99_35 Depth=1
                                        ; =>  This Inner Loop Header: Depth=2
	v_mov_b32_e32 v8, s12
	s_add_i32 s14, s14, -1
	s_add_i32 s12, s12, -8
	s_cmp_gt_i32 s14, s8
	ds_load_b64 v[6:7], v4
	ds_load_b64 v[8:9], v8
	v_add_nc_u32_e32 v4, 0xffffff20, v4
	s_waitcnt lgkmcnt(0)
	v_fma_f64 v[1:2], -v[6:7], v[8:9], v[1:2]
	s_cbranch_scc1 .LBB99_36
.LBB99_37:                              ;   in Loop: Header=BB99_35 Depth=1
	s_mul_i32 s12, s8, 0xe8
	v_add_nc_u32_e32 v7, 0x1880, v3
	v_mov_b32_e32 v3, s12
	s_sub_i32 s13, s13, 28
	s_cmp_lt_i32 s28, s8
	v_add_lshl_u32 v6, s13, v0, 3
	s_mov_b32 s13, s9
	ds_load_b64 v[8:9], v3
	s_mov_b32 s14, s20
	ds_load_b64 v[3:4], v6 offset:6272
	s_waitcnt lgkmcnt(1)
	v_mul_f64 v[8:9], v[8:9], v[1:2]
	v_mov_b32_e32 v1, v5
	ds_store_b64 v7, v[8:9]
	s_cbranch_scc1 .LBB99_34
.LBB99_38:                              ;   Parent Loop BB99_35 Depth=1
                                        ; =>  This Inner Loop Header: Depth=2
	v_mov_b32_e32 v2, s13
	s_add_i32 s14, s14, -1
	s_add_i32 s13, s13, -8
	s_cmp_gt_i32 s14, s8
	ds_load_b64 v[7:8], v1
	ds_load_b64 v[9:10], v2
	v_add_nc_u32_e32 v1, 0xffffff20, v1
	s_waitcnt lgkmcnt(0)
	v_fma_f64 v[3:4], -v[7:8], v[9:10], v[3:4]
	s_cbranch_scc1 .LBB99_38
	s_branch .LBB99_34
.LBB99_39:
	s_mov_b32 s4, 0
.LBB99_40:
	s_delay_alu instid0(SALU_CYCLE_1)
	s_and_b32 vcc_lo, exec_lo, s4
	s_cbranch_vccz .LBB99_60
; %bb.41:
	s_cmp_gt_i32 s6, 27
	s_mov_b32 s8, 0
	s_cselect_b32 s4, -1, 0
	s_delay_alu instid0(SALU_CYCLE_1)
	s_and_b32 vcc_lo, exec_lo, s4
	s_cbranch_vccz .LBB99_43
; %bb.42:
	v_dual_mov_b32 v34, 0 :: v_dual_lshlrev_b32 v35, 3, v0
	s_mov_b32 s8, 28
	s_delay_alu instid0(VALU_DEP_1)
	v_add_nc_u32_e32 v33, 0x1800, v35
	v_add_nc_u32_e32 v36, 0x1c00, v35
	;; [unrolled: 1-line block ×3, first 2 shown]
	ds_load_2addr_b64 v[1:4], v33 offset0:16 offset1:44
	ds_load_b128 v[5:8], v34
	ds_load_b128 v[9:12], v34 offset:16
	s_waitcnt lgkmcnt(1)
	v_mul_f64 v[25:26], v[5:6], v[1:2]
	s_delay_alu instid0(VALU_DEP_1)
	v_fma_f64 v[17:18], -v[25:26], v[7:8], v[3:4]
	ds_load_2addr_b64 v[5:8], v33 offset0:72 offset1:100
	ds_load_2addr_b64 v[13:16], v34 offset0:29 offset1:30
	;; [unrolled: 1-line block ×3, first 2 shown]
	s_waitcnt lgkmcnt(2)
	v_fma_f64 v[5:6], -v[25:26], v[9:10], v[5:6]
	v_fma_f64 v[31:32], -v[25:26], v[11:12], v[7:8]
	s_waitcnt lgkmcnt(1)
	v_mul_f64 v[27:28], v[13:14], v[17:18]
	s_delay_alu instid0(VALU_DEP_1)
	v_fma_f64 v[29:30], -v[27:28], v[15:16], v[5:6]
	ds_load_2addr_b64 v[9:12], v33 offset0:128 offset1:156
	ds_load_b128 v[13:16], v34 offset:32
	ds_load_b128 v[5:8], v34 offset:464
	;; [unrolled: 1-line block ×3, first 2 shown]
	ds_load_2addr_b64 v[21:24], v34 offset0:53 offset1:54
	s_waitcnt lgkmcnt(5)
	v_fma_f64 v[1:2], -v[27:28], v[1:2], v[31:32]
	s_waitcnt lgkmcnt(3)
	v_fma_f64 v[13:14], -v[25:26], v[13:14], v[9:10]
	v_fma_f64 v[15:16], -v[25:26], v[15:16], v[11:12]
	s_waitcnt lgkmcnt(2)
	v_mul_f64 v[9:10], v[5:6], v[29:30]
	s_delay_alu instid0(VALU_DEP_3) | instskip(NEXT) | instid1(VALU_DEP_2)
	v_fma_f64 v[49:50], -v[27:28], v[3:4], v[13:14]
	v_fma_f64 v[51:52], -v[9:10], v[7:8], v[1:2]
	ds_load_2addr_b64 v[1:4], v33 offset0:184 offset1:212
	ds_load_2addr_b64 v[5:8], v34 offset0:33 offset1:34
	ds_load_b128 v[11:14], v34 offset:480
	ds_load_2addr_b64 v[29:32], v34 offset0:87 offset1:88
	ds_load_2addr_b64 v[37:40], v34 offset0:89 offset1:90
	ds_load_b128 v[41:44], v34 offset:496
	ds_load_2addr_b64 v[45:48], v34 offset0:35 offset1:36
	s_waitcnt lgkmcnt(6)
	v_fma_f64 v[1:2], -v[25:26], v[17:18], v[1:2]
	s_waitcnt lgkmcnt(5)
	v_fma_f64 v[5:6], -v[27:28], v[5:6], v[15:16]
	;; [unrolled: 2-line block ×3, first 2 shown]
	v_fma_f64 v[49:50], -v[25:26], v[19:20], v[3:4]
	s_waitcnt lgkmcnt(3)
	v_mul_f64 v[11:12], v[29:30], v[51:52]
	v_fma_f64 v[51:52], -v[27:28], v[7:8], v[1:2]
	v_fma_f64 v[53:54], -v[9:10], v[13:14], v[5:6]
	s_delay_alu instid0(VALU_DEP_3)
	v_fma_f64 v[55:56], -v[11:12], v[31:32], v[15:16]
	ds_load_b128 v[1:4], v34 offset:64
	ds_load_2addr_b64 v[5:8], v36 offset0:112 offset1:140
	ds_load_b128 v[13:16], v34 offset:928
	ds_load_b128 v[17:20], v34 offset:944
	;; [unrolled: 1-line block ×3, first 2 shown]
	s_waitcnt lgkmcnt(6)
	v_fma_f64 v[41:42], -v[9:10], v[41:42], v[51:52]
	v_fma_f64 v[37:38], -v[11:12], v[37:38], v[53:54]
	s_waitcnt lgkmcnt(3)
	v_fma_f64 v[1:2], -v[25:26], v[1:2], v[5:6]
	v_fma_f64 v[5:6], -v[27:28], v[45:46], v[49:50]
	;; [unrolled: 1-line block ×3, first 2 shown]
	s_waitcnt lgkmcnt(2)
	v_mul_f64 v[13:14], v[13:14], v[55:56]
	v_fma_f64 v[72:73], -v[11:12], v[39:40], v[41:42]
	v_fma_f64 v[68:69], -v[27:28], v[47:48], v[1:2]
	;; [unrolled: 1-line block ×3, first 2 shown]
	s_delay_alu instid0(VALU_DEP_4)
	v_fma_f64 v[15:16], -v[13:14], v[15:16], v[37:38]
	v_add_nc_u32_e32 v37, 0x2000, v35
	ds_load_2addr_b64 v[1:4], v37 offset0:40 offset1:68
	ds_load_2addr_b64 v[5:8], v34 offset0:37 offset1:38
	ds_load_b128 v[38:41], v34 offset:512
	ds_load_2addr_b64 v[42:45], v34 offset0:91 offset1:92
	ds_load_2addr_b64 v[46:49], v34 offset0:145 offset1:146
	;; [unrolled: 1-line block ×4, first 2 shown]
	ds_load_b128 v[58:61], v34 offset:528
	ds_load_2addr_b64 v[62:65], v34 offset0:39 offset1:40
	s_waitcnt lgkmcnt(10)
	v_fma_f64 v[17:18], -v[13:14], v[17:18], v[72:73]
	s_waitcnt lgkmcnt(8)
	v_fma_f64 v[1:2], -v[25:26], v[29:30], v[1:2]
	;; [unrolled: 2-line block ×5, first 2 shown]
	v_fma_f64 v[66:67], -v[25:26], v[31:32], v[3:4]
	s_waitcnt lgkmcnt(4)
	v_mul_f64 v[15:16], v[46:47], v[15:16]
	v_fma_f64 v[68:69], -v[27:28], v[7:8], v[1:2]
	v_fma_f64 v[70:71], -v[9:10], v[40:41], v[5:6]
	;; [unrolled: 1-line block ×4, first 2 shown]
	s_waitcnt lgkmcnt(0)
	v_fma_f64 v[62:63], -v[27:28], v[62:63], v[66:67]
	v_fma_f64 v[76:77], -v[15:16], v[48:49], v[17:18]
	ds_load_b128 v[5:8], v34 offset:96
	ds_load_2addr_b64 v[17:20], v37 offset0:96 offset1:124
	ds_load_b128 v[29:32], v34 offset:960
	ds_load_b128 v[38:41], v34 offset:1392
	;; [unrolled: 1-line block ×4, first 2 shown]
	ds_load_2addr_b64 v[1:4], v34 offset0:165 offset1:166
	s_waitcnt lgkmcnt(5)
	v_fma_f64 v[5:6], -v[25:26], v[5:6], v[17:18]
	v_fma_f64 v[19:20], -v[25:26], v[7:8], v[19:20]
	;; [unrolled: 1-line block ×4, first 2 shown]
	s_waitcnt lgkmcnt(4)
	v_fma_f64 v[29:30], -v[13:14], v[29:30], v[72:73]
	v_fma_f64 v[50:51], -v[15:16], v[50:51], v[74:75]
	;; [unrolled: 1-line block ×3, first 2 shown]
	s_waitcnt lgkmcnt(3)
	v_mul_f64 v[17:18], v[38:39], v[76:77]
	v_fma_f64 v[90:91], -v[27:28], v[64:65], v[5:6]
	v_fma_f64 v[94:95], -v[11:12], v[56:57], v[58:59]
	v_fma_f64 v[96:97], -v[13:14], v[31:32], v[54:55]
	v_fma_f64 v[98:99], -v[15:16], v[52:53], v[29:30]
	v_fma_f64 v[100:101], -v[17:18], v[40:41], v[50:51]
	ds_load_2addr_b64 v[5:8], v37 offset0:152 offset1:180
	ds_load_2addr_b64 v[29:32], v34 offset0:41 offset1:42
	ds_load_b128 v[38:41], v34 offset:544
	ds_load_2addr_b64 v[50:53], v34 offset0:95 offset1:96
	ds_load_2addr_b64 v[54:57], v34 offset0:149 offset1:150
	ds_load_b128 v[58:61], v34 offset:1408
	ds_load_2addr_b64 v[62:65], v34 offset0:203 offset1:204
	ds_load_2addr_b64 v[66:69], v34 offset0:205 offset1:206
	ds_load_b128 v[70:73], v34 offset:1424
	ds_load_2addr_b64 v[74:77], v34 offset0:151 offset1:152
	ds_load_2addr_b64 v[78:81], v34 offset0:97 offset1:98
	ds_load_b128 v[82:85], v34 offset:560
	ds_load_2addr_b64 v[86:89], v34 offset0:43 offset1:44
	s_waitcnt lgkmcnt(12)
	v_fma_f64 v[5:6], -v[25:26], v[46:47], v[5:6]
	s_waitcnt lgkmcnt(11)
	v_fma_f64 v[29:30], -v[27:28], v[29:30], v[19:20]
	;; [unrolled: 2-line block ×3, first 2 shown]
	v_fma_f64 v[38:39], -v[9:10], v[38:39], v[90:91]
	v_fma_f64 v[42:43], -v[13:14], v[42:43], v[94:95]
	s_waitcnt lgkmcnt(8)
	v_fma_f64 v[50:51], -v[15:16], v[54:55], v[96:97]
	s_waitcnt lgkmcnt(7)
	v_fma_f64 v[54:55], -v[17:18], v[58:59], v[98:99]
	v_fma_f64 v[58:59], -v[25:26], v[48:49], v[7:8]
	s_waitcnt lgkmcnt(6)
	v_mul_f64 v[19:20], v[62:63], v[100:101]
	v_fma_f64 v[62:63], -v[27:28], v[31:32], v[5:6]
	v_fma_f64 v[90:91], -v[9:10], v[40:41], v[29:30]
	v_fma_f64 v[94:95], -v[13:14], v[44:45], v[46:47]
	v_fma_f64 v[92:93], -v[11:12], v[52:53], v[38:39]
	v_fma_f64 v[96:97], -v[15:16], v[56:57], v[42:43]
	v_fma_f64 v[60:61], -v[17:18], v[60:61], v[50:51]
	s_waitcnt lgkmcnt(0)
	v_fma_f64 v[58:59], -v[27:28], v[86:87], v[58:59]
	v_fma_f64 v[64:65], -v[19:20], v[64:65], v[54:55]
	ds_load_b128 v[5:8], v34 offset:128
	ds_load_2addr_b64 v[29:32], v37 offset0:208 offset1:236
	ds_load_b128 v[38:41], v34 offset:992
	ds_load_b128 v[42:45], v34 offset:1856
	ds_load_b128 v[46:49], v34 offset:1872
	ds_load_b128 v[50:53], v34 offset:1008
	ds_load_b128 v[54:57], v34 offset:144
	v_fma_f64 v[62:63], -v[9:10], v[82:83], v[62:63]
	v_fma_f64 v[78:79], -v[11:12], v[78:79], v[90:91]
	;; [unrolled: 1-line block ×3, first 2 shown]
	s_waitcnt lgkmcnt(5)
	v_fma_f64 v[5:6], -v[25:26], v[5:6], v[29:30]
	s_waitcnt lgkmcnt(4)
	v_fma_f64 v[38:39], -v[13:14], v[38:39], v[92:93]
	v_fma_f64 v[70:71], -v[17:18], v[70:71], v[96:97]
	v_fma_f64 v[60:61], -v[19:20], v[66:67], v[60:61]
	v_fma_f64 v[31:32], -v[25:26], v[7:8], v[31:32]
	v_fma_f64 v[112:113], -v[9:10], v[84:85], v[58:59]
	s_waitcnt lgkmcnt(3)
	v_mul_f64 v[29:30], v[42:43], v[64:65]
	v_fma_f64 v[114:115], -v[11:12], v[80:81], v[62:63]
	v_fma_f64 v[116:117], -v[13:14], v[40:41], v[78:79]
	;; [unrolled: 1-line block ×6, first 2 shown]
	v_add_nc_u32_e32 v38, 0x2800, v35
	v_mov_b32_e32 v5, 0x828
	v_mov_b32_e32 v35, 0xbc8
	v_fma_f64 v[43:44], -v[29:30], v[44:45], v[60:61]
	ds_load_2addr_b64 v[39:42], v38 offset0:8 offset1:36
	ds_load_2addr_b64 v[58:61], v34 offset0:45 offset1:46
	ds_load_b128 v[62:65], v34 offset:576
	ds_load_2addr_b64 v[66:69], v34 offset0:99 offset1:100
	ds_load_2addr_b64 v[70:73], v34 offset0:153 offset1:154
	ds_load_b128 v[74:77], v34 offset:1440
	ds_load_2addr_b64 v[78:81], v34 offset0:207 offset1:208
	ds_load_2addr_b64 v[82:85], v5 offset1:1
	ds_load_2addr_b64 v[86:89], v34 offset0:209 offset1:210
	ds_load_b128 v[90:93], v34 offset:1456
	ds_load_2addr_b64 v[94:97], v34 offset0:155 offset1:156
	ds_load_2addr_b64 v[98:101], v34 offset0:101 offset1:102
	ds_load_b128 v[102:105], v34 offset:592
	ds_load_2addr_b64 v[106:109], v34 offset0:47 offset1:48
	ds_load_b128 v[5:8], v34 offset:6032
	s_waitcnt lgkmcnt(16)
	v_fma_f64 v[50:51], -v[13:14], v[50:51], v[114:115]
	s_waitcnt lgkmcnt(14)
	v_fma_f64 v[39:40], -v[25:26], v[54:55], v[39:40]
	;; [unrolled: 2-line block ×8, first 2 shown]
	v_fma_f64 v[45:46], -v[29:30], v[46:47], v[122:123]
	v_fma_f64 v[110:111], -v[25:26], v[56:57], v[41:42]
	s_waitcnt lgkmcnt(7)
	v_mul_f64 v[31:32], v[82:83], v[43:44]
	v_fma_f64 v[120:121], -v[15:16], v[72:73], v[50:51]
	v_fma_f64 v[112:113], -v[27:28], v[60:61], v[39:40]
	;; [unrolled: 1-line block ×8, first 2 shown]
	v_mov_b32_e32 v59, 0x838
	v_mov_b32_e32 v63, 0x9f8
	v_fma_f64 v[83:84], -v[31:32], v[84:85], v[45:46]
	ds_load_b128 v[39:42], v34 offset:160
	ds_load_2addr_b64 v[43:46], v38 offset0:64 offset1:92
	ds_load_b128 v[47:50], v34 offset:1024
	ds_load_b128 v[51:54], v34 offset:2320
	ds_load_b128 v[55:58], v34 offset:1888
	ds_load_2addr_b64 v[59:62], v59 offset1:1
	ds_load_2addr_b64 v[63:66], v63 offset1:1
	ds_load_b128 v[67:70], v34 offset:2336
	ds_load_b128 v[71:74], v34 offset:1904
	;; [unrolled: 1-line block ×4, first 2 shown]
	s_waitcnt lgkmcnt(16)
	v_fma_f64 v[90:91], -v[17:18], v[90:91], v[120:121]
	s_waitcnt lgkmcnt(13)
	v_fma_f64 v[102:103], -v[9:10], v[102:103], v[112:113]
	v_fma_f64 v[98:99], -v[11:12], v[98:99], v[114:115]
	s_waitcnt lgkmcnt(8)
	v_fma_f64 v[47:48], -v[13:14], v[47:48], v[116:117]
	v_fma_f64 v[39:40], -v[25:26], v[39:40], v[43:44]
	;; [unrolled: 1-line block ×5, first 2 shown]
	s_waitcnt lgkmcnt(6)
	v_fma_f64 v[55:56], -v[29:30], v[55:56], v[124:125]
	s_waitcnt lgkmcnt(5)
	v_fma_f64 v[59:60], -v[31:32], v[59:60], v[126:127]
	v_fma_f64 v[119:120], -v[25:26], v[41:42], v[45:46]
	v_mov_b32_e32 v87, 0x848
	v_mul_f64 v[127:128], v[51:52], v[83:84]
	v_fma_f64 v[135:136], -v[19:20], v[88:89], v[90:91]
	v_mov_b32_e32 v91, 0xa08
	v_fma_f64 v[125:126], -v[11:12], v[100:101], v[102:103]
	v_fma_f64 v[129:130], -v[13:14], v[49:50], v[98:99]
	;; [unrolled: 1-line block ×9, first 2 shown]
	ds_load_2addr_b64 v[39:42], v38 offset0:120 offset1:148
	ds_load_2addr_b64 v[43:46], v34 offset0:49 offset1:50
	ds_load_b128 v[47:50], v34 offset:608
	ds_load_2addr_b64 v[51:54], v34 offset0:103 offset1:104
	ds_load_2addr_b64 v[55:58], v34 offset0:157 offset1:158
	ds_load_b128 v[59:62], v34 offset:1472
	ds_load_2addr_b64 v[83:86], v34 offset0:211 offset1:212
	ds_load_2addr_b64 v[87:90], v87 offset1:1
	ds_load_2addr_b64 v[91:94], v91 offset1:1
	ds_load_2addr_b64 v[95:98], v34 offset0:213 offset1:214
	ds_load_b128 v[99:102], v34 offset:1488
	ds_load_2addr_b64 v[103:106], v34 offset0:159 offset1:160
	ds_load_2addr_b64 v[107:110], v34 offset0:105 offset1:106
	ds_load_b128 v[111:114], v34 offset:624
	ds_load_2addr_b64 v[115:118], v34 offset0:51 offset1:52
	s_waitcnt lgkmcnt(17)
	v_fma_f64 v[71:72], -v[29:30], v[71:72], v[135:136]
	s_waitcnt lgkmcnt(14)
	v_fma_f64 v[39:40], -v[25:26], v[79:80], v[39:40]
	;; [unrolled: 2-line block ×3, first 2 shown]
	v_fma_f64 v[75:76], -v[13:14], v[75:76], v[125:126]
	s_waitcnt lgkmcnt(12)
	v_fma_f64 v[47:48], -v[9:10], v[47:48], v[121:122]
	s_waitcnt lgkmcnt(11)
	;; [unrolled: 2-line block ×6, first 2 shown]
	v_fma_f64 v[83:84], -v[31:32], v[87:88], v[137:138]
	v_fma_f64 v[67:68], -v[127:128], v[67:68], v[139:140]
	;; [unrolled: 1-line block ×3, first 2 shown]
	v_mul_f64 v[129:130], v[63:64], v[141:142]
	v_fma_f64 v[89:90], -v[31:32], v[89:90], v[71:72]
	v_fma_f64 v[119:120], -v[27:28], v[45:46], v[39:40]
	;; [unrolled: 1-line block ×10, first 2 shown]
	ds_load_b128 v[39:42], v34 offset:192
	ds_load_2addr_b64 v[43:46], v38 offset0:176 offset1:204
	v_mov_b32_e32 v55, 0x858
	v_fma_f64 v[141:142], -v[129:130], v[65:66], v[67:68]
	ds_load_b128 v[47:50], v34 offset:1056
	ds_load_b128 v[51:54], v34 offset:1920
	ds_load_2addr_b64 v[55:58], v55 offset1:1
	ds_load_b128 v[59:62], v34 offset:2352
	ds_load_b128 v[63:66], v34 offset:2784
	;; [unrolled: 1-line block ×7, first 2 shown]
	s_waitcnt lgkmcnt(10)
	v_fma_f64 v[39:40], -v[25:26], v[39:40], v[43:44]
	v_fma_f64 v[43:44], -v[27:28], v[115:116], v[87:88]
	s_waitcnt lgkmcnt(6)
	v_fma_f64 v[59:60], -v[127:128], v[59:60], v[89:90]
	v_fma_f64 v[87:88], -v[9:10], v[111:112], v[119:120]
	;; [unrolled: 1-line block ×11, first 2 shown]
	v_mov_b32_e32 v91, 0xa18
	s_waitcnt lgkmcnt(5)
	v_mul_f64 v[131:132], v[63:64], v[141:142]
	v_mov_b32_e32 v63, 0x868
	v_fma_f64 v[135:136], -v[27:28], v[117:118], v[39:40]
	v_fma_f64 v[137:138], -v[9:10], v[113:114], v[43:44]
	ds_load_2addr_b64 v[39:42], v159 offset0:104 offset1:132
	v_fma_f64 v[155:156], -v[129:130], v[93:94], v[59:60]
	v_fma_f64 v[139:140], -v[11:12], v[109:110], v[87:88]
	;; [unrolled: 1-line block ×9, first 2 shown]
	ds_load_b128 v[43:46], v34 offset:640
	ds_load_2addr_b64 v[47:50], v34 offset0:107 offset1:108
	ds_load_2addr_b64 v[51:54], v34 offset0:161 offset1:162
	ds_load_b128 v[55:58], v34 offset:1504
	ds_load_2addr_b64 v[59:62], v34 offset0:215 offset1:216
	v_mov_b32_e32 v99, 0xbd8
	v_fma_f64 v[21:22], -v[27:28], v[21:22], v[133:134]
	s_waitcnt lgkmcnt(5)
	v_fma_f64 v[39:40], -v[25:26], v[79:80], v[39:40]
	v_fma_f64 v[157:158], -v[131:132], v[65:66], v[89:90]
	ds_load_2addr_b64 v[63:66], v63 offset1:1
	ds_load_2addr_b64 v[87:90], v35 offset1:1
	;; [unrolled: 1-line block ×3, first 2 shown]
	ds_load_b128 v[95:98], v34 offset:2800
	ds_load_2addr_b64 v[99:102], v99 offset1:1
	ds_load_b128 v[103:106], v34 offset:2816
	ds_load_2addr_b64 v[107:110], v34 offset0:217 offset1:218
	ds_load_b128 v[111:114], v34 offset:1520
	ds_load_2addr_b64 v[115:118], v34 offset0:163 offset1:164
	ds_load_2addr_b64 v[119:122], v34 offset0:109 offset1:110
	ds_load_b128 v[123:126], v34 offset:656
	v_mov_b32_e32 v35, 0x878
	s_waitcnt lgkmcnt(15)
	v_fma_f64 v[43:44], -v[9:10], v[43:44], v[135:136]
	s_waitcnt lgkmcnt(14)
	v_fma_f64 v[47:48], -v[11:12], v[47:48], v[137:138]
	v_fma_f64 v[75:76], -v[13:14], v[75:76], v[139:140]
	s_waitcnt lgkmcnt(13)
	v_fma_f64 v[51:52], -v[15:16], v[51:52], v[141:142]
	;; [unrolled: 3-line block ×3, first 2 shown]
	s_waitcnt lgkmcnt(11)
	v_fma_f64 v[59:60], -v[19:20], v[59:60], v[145:146]
	s_waitcnt lgkmcnt(10)
	v_fma_f64 v[63:64], -v[31:32], v[63:64], v[149:150]
	v_fma_f64 v[67:68], -v[127:128], v[67:68], v[151:152]
	s_waitcnt lgkmcnt(8)
	v_fma_f64 v[79:80], -v[129:130], v[91:92], v[153:154]
	s_waitcnt lgkmcnt(7)
	v_fma_f64 v[91:92], -v[131:132], v[95:96], v[155:156]
	v_fma_f64 v[153:154], -v[25:26], v[81:82], v[41:42]
	;; [unrolled: 1-line block ×4, first 2 shown]
	ds_load_b128 v[21:24], v34 offset:1088
	v_mul_f64 v[133:134], v[87:88], v[157:158]
	v_fma_f64 v[137:138], -v[11:12], v[49:50], v[43:44]
	v_fma_f64 v[139:140], -v[13:14], v[77:78], v[47:48]
	;; [unrolled: 1-line block ×10, first 2 shown]
	v_mov_b32_e32 v51, 0xa28
	ds_load_b128 v[39:42], v34 offset:1952
	ds_load_2addr_b64 v[43:46], v35 offset1:1
	ds_load_b128 v[47:50], v34 offset:2384
	ds_load_2addr_b64 v[51:54], v51 offset1:1
	v_mov_b32_e32 v63, 0xbe8
	v_mov_b32_e32 v35, 0xa38
	s_waitcnt lgkmcnt(5)
	v_fma_f64 v[95:96], -v[9:10], v[123:124], v[95:96]
	v_fma_f64 v[119:120], -v[11:12], v[119:120], v[135:136]
	;; [unrolled: 1-line block ×3, first 2 shown]
	ds_load_b128 v[55:58], v34 offset:3248
	ds_load_2addr_b64 v[59:62], v34 offset0:55 offset1:111
	ds_load_2addr_b64 v[63:66], v63 offset1:1
	ds_load_2addr_b64 v[67:70], v35 offset1:1
	ds_load_b128 v[71:74], v34 offset:2400
	ds_load_b128 v[75:78], v34 offset:1968
	;; [unrolled: 1-line block ×4, first 2 shown]
	v_mov_b32_e32 v35, 0x888
	s_waitcnt lgkmcnt(12)
	v_fma_f64 v[21:22], -v[13:14], v[21:22], v[137:138]
	v_fma_f64 v[115:116], -v[15:16], v[115:116], v[139:140]
	;; [unrolled: 1-line block ×4, first 2 shown]
	s_waitcnt lgkmcnt(9)
	v_fma_f64 v[47:48], -v[127:128], v[47:48], v[149:150]
	v_fma_f64 v[39:40], -v[29:30], v[39:40], v[145:146]
	;; [unrolled: 1-line block ×3, first 2 shown]
	s_waitcnt lgkmcnt(8)
	v_fma_f64 v[51:52], -v[129:130], v[51:52], v[151:152]
	v_fma_f64 v[93:94], -v[131:132], v[103:104], v[93:94]
	;; [unrolled: 1-line block ×4, first 2 shown]
	s_waitcnt lgkmcnt(7)
	v_mul_f64 v[123:124], v[55:56], v[91:92]
	s_waitcnt lgkmcnt(6)
	v_fma_f64 v[55:56], -v[27:28], v[59:60], v[153:154]
	v_fma_f64 v[59:60], -v[11:12], v[121:122], v[95:96]
	;; [unrolled: 1-line block ×11, first 2 shown]
	ds_load_b128 v[21:24], v34 offset:1536
	ds_load_2addr_b64 v[39:42], v34 offset0:219 offset1:220
	ds_load_2addr_b64 v[43:46], v35 offset1:1
	v_mov_b32_e32 v35, 0xd98
	v_fma_f64 v[1:2], -v[15:16], v[1:2], v[119:120]
	v_fma_f64 v[143:144], -v[123:124], v[57:58], v[97:98]
	;; [unrolled: 1-line block ×3, first 2 shown]
	ds_load_b128 v[47:50], v34 offset:2832
	ds_load_b128 v[51:54], v34 offset:3264
	ds_load_2addr_b64 v[55:58], v35 offset1:1
	s_waitcnt lgkmcnt(7)
	v_fma_f64 v[59:60], -v[13:14], v[79:80], v[59:60]
	v_mov_b32_e32 v35, 0xa48
	ds_load_b128 v[91:94], v34 offset:3280
	ds_load_b128 v[95:98], v34 offset:2848
	ds_load_2addr_b64 v[99:102], v35 offset1:1
	ds_load_2addr_b64 v[103:106], v34 offset0:221 offset1:222
	ds_load_b128 v[107:110], v34 offset:1552
	v_mov_b32_e32 v35, 0xda8
	s_waitcnt lgkmcnt(10)
	v_fma_f64 v[21:22], -v[17:18], v[21:22], v[117:118]
	s_waitcnt lgkmcnt(9)
	v_fma_f64 v[39:40], -v[19:20], v[39:40], v[113:114]
	v_fma_f64 v[75:76], -v[29:30], v[75:76], v[111:112]
	s_waitcnt lgkmcnt(8)
	v_fma_f64 v[43:44], -v[31:32], v[43:44], v[115:116]
	s_waitcnt lgkmcnt(7)
	v_fma_f64 v[47:48], -v[131:132], v[47:48], v[137:138]
	v_fma_f64 v[71:72], -v[127:128], v[71:72], v[121:122]
	;; [unrolled: 1-line block ×4, first 2 shown]
	s_waitcnt lgkmcnt(6)
	v_fma_f64 v[51:52], -v[123:124], v[51:52], v[141:142]
	v_fma_f64 v[113:114], -v[17:18], v[23:24], v[1:2]
	s_waitcnt lgkmcnt(5)
	v_mul_f64 v[111:112], v[55:56], v[143:144]
	v_fma_f64 v[55:56], -v[11:12], v[61:62], v[125:126]
	v_fma_f64 v[79:80], -v[15:16], v[3:4], v[59:60]
	v_mov_b32_e32 v59, 0xf68
	v_fma_f64 v[115:116], -v[19:20], v[41:42], v[21:22]
	v_fma_f64 v[117:118], -v[29:30], v[77:78], v[39:40]
	v_mov_b32_e32 v21, 0x898
	v_fma_f64 v[119:120], -v[31:32], v[45:46], v[75:76]
	v_fma_f64 v[121:122], -v[127:128], v[73:74], v[43:44]
	;; [unrolled: 1-line block ×6, first 2 shown]
	v_mov_b32_e32 v43, 0xbf8
	ds_load_b128 v[1:4], v34 offset:1984
	ds_load_2addr_b64 v[21:24], v21 offset1:1
	ds_load_b128 v[39:42], v34 offset:2416
	ds_load_2addr_b64 v[43:46], v43 offset1:1
	s_waitcnt lgkmcnt(5)
	v_fma_f64 v[103:104], -v[19:20], v[103:104], v[113:114]
	v_fma_f64 v[141:142], -v[111:112], v[57:58], v[51:52]
	v_fma_f64 v[81:82], -v[13:14], v[81:82], v[55:56]
	ds_load_2addr_b64 v[47:50], v35 offset1:1
	ds_load_b128 v[51:54], v34 offset:3712
	ds_load_2addr_b64 v[55:58], v34 offset0:167 offset1:223
	s_waitcnt lgkmcnt(7)
	v_fma_f64 v[79:80], -v[17:18], v[107:108], v[79:80]
	v_mov_b32_e32 v35, 0xdb8
	ds_load_2addr_b64 v[59:62], v59 offset1:1
	ds_load_b128 v[63:66], v34 offset:3728
	ds_load_2addr_b64 v[67:70], v35 offset1:1
	ds_load_b128 v[71:74], v34 offset:2432
	ds_load_b128 v[75:78], v34 offset:2000
	v_mov_b32_e32 v35, 0xc08
	s_waitcnt lgkmcnt(11)
	v_fma_f64 v[1:2], -v[29:30], v[1:2], v[115:116]
	s_waitcnt lgkmcnt(10)
	v_fma_f64 v[21:22], -v[31:32], v[21:22], v[117:118]
	s_waitcnt lgkmcnt(9)
	v_fma_f64 v[39:40], -v[127:128], v[39:40], v[119:120]
	v_fma_f64 v[99:100], -v[129:130], v[99:100], v[121:122]
	v_fma_f64 v[91:92], -v[123:124], v[91:92], v[137:138]
	v_fma_f64 v[95:96], -v[131:132], v[95:96], v[125:126]
	s_waitcnt lgkmcnt(8)
	v_fma_f64 v[43:44], -v[133:134], v[43:44], v[135:136]
	s_waitcnt lgkmcnt(7)
	v_fma_f64 v[47:48], -v[111:112], v[47:48], v[139:140]
	v_fma_f64 v[103:104], -v[29:30], v[3:4], v[103:104]
	s_waitcnt lgkmcnt(6)
	v_mul_f64 v[107:108], v[51:52], v[141:142]
	s_waitcnt lgkmcnt(5)
	v_fma_f64 v[51:52], -v[15:16], v[55:56], v[81:82]
	v_fma_f64 v[55:56], -v[19:20], v[105:106], v[79:80]
	;; [unrolled: 1-line block ×4, first 2 shown]
	v_mov_b32_e32 v1, 0x8a8
	v_mov_b32_e32 v21, 0xa58
	v_fma_f64 v[101:102], -v[129:130], v[101:102], v[39:40]
	v_fma_f64 v[99:100], -v[131:132], v[97:98], v[99:100]
	;; [unrolled: 1-line block ×5, first 2 shown]
	v_mov_b32_e32 v91, 0xc18
	v_fma_f64 v[121:122], -v[107:108], v[53:54], v[47:48]
	v_fma_f64 v[109:110], -v[17:18], v[109:110], v[51:52]
	ds_load_2addr_b64 v[1:4], v1 offset1:1
	ds_load_2addr_b64 v[21:24], v21 offset1:1
	ds_load_b128 v[39:42], v34 offset:2864
	ds_load_2addr_b64 v[43:46], v35 offset1:1
	ds_load_b128 v[47:50], v34 offset:3296
	s_waitcnt lgkmcnt(5)
	v_fma_f64 v[55:56], -v[29:30], v[75:76], v[55:56]
	v_mov_b32_e32 v35, 0xdc8
	ds_load_2addr_b64 v[51:54], v35 offset1:1
	ds_load_b128 v[79:82], v34 offset:3312
	ds_load_2addr_b64 v[91:94], v91 offset1:1
	ds_load_b128 v[95:98], v34 offset:2880
	v_fma_f64 v[71:72], -v[127:128], v[71:72], v[105:106]
	v_mov_b32_e32 v35, 0xf78
	s_waitcnt lgkmcnt(8)
	v_fma_f64 v[1:2], -v[31:32], v[1:2], v[103:104]
	s_waitcnt lgkmcnt(7)
	v_fma_f64 v[21:22], -v[129:130], v[21:22], v[113:114]
	;; [unrolled: 2-line block ×5, first 2 shown]
	v_fma_f64 v[67:68], -v[111:112], v[67:68], v[117:118]
	v_fma_f64 v[63:64], -v[107:108], v[63:64], v[119:120]
	v_add_nc_u32_e64 v117, 0x800, 0
	v_mul_f64 v[99:100], v[59:60], v[121:122]
	v_fma_f64 v[57:58], -v[19:20], v[57:58], v[109:110]
	v_fma_f64 v[75:76], -v[31:32], v[3:4], v[55:56]
	v_fma_f64 v[71:72], -v[129:130], v[23:24], v[71:72]
	v_fma_f64 v[73:74], -v[127:128], v[73:74], v[1:2]
	v_fma_f64 v[101:102], -v[131:132], v[41:42], v[21:22]
	v_fma_f64 v[103:104], -v[133:134], v[45:46], v[39:40]
	v_fma_f64 v[105:106], -v[123:124], v[49:50], v[43:44]
	v_fma_f64 v[109:110], -v[111:112], v[69:70], v[47:48]
	v_fma_f64 v[113:114], -v[107:108], v[65:66], v[67:68]
	v_mov_b32_e32 v1, 0xa68
	v_mov_b32_e32 v67, 0xc28
	ds_load_2addr_b64 v[1:4], v1 offset1:1
	ds_load_b128 v[21:24], v34 offset:3744
	ds_load_2addr_b64 v[39:42], v35 offset1:1
	ds_load_b128 v[43:46], v34 offset:4176
	ds_load_2addr_b64 v[47:50], v117 offset0:23 offset1:79
	v_mov_b32_e32 v35, 0x1138
	v_fma_f64 v[115:116], -v[99:100], v[61:62], v[63:64]
	v_fma_f64 v[77:78], -v[29:30], v[77:78], v[57:58]
	ds_load_2addr_b64 v[55:58], v35 offset1:1
	ds_load_b128 v[59:62], v34 offset:4192
	ds_load_b128 v[63:66], v34 offset:3760
	ds_load_2addr_b64 v[67:70], v67 offset1:1
	v_fma_f64 v[75:76], -v[127:128], v[83:84], v[75:76]
	v_mov_b32_e32 v35, 0xf88
	s_waitcnt lgkmcnt(9)
	v_fma_f64 v[71:72], -v[131:132], v[95:96], v[71:72]
	s_waitcnt lgkmcnt(8)
	v_fma_f64 v[1:2], -v[129:130], v[1:2], v[73:74]
	v_fma_f64 v[73:74], -v[133:134], v[91:92], v[101:102]
	;; [unrolled: 1-line block ×4, first 2 shown]
	s_waitcnt lgkmcnt(7)
	v_fma_f64 v[21:22], -v[107:108], v[21:22], v[109:110]
	s_waitcnt lgkmcnt(6)
	v_fma_f64 v[39:40], -v[99:100], v[39:40], v[113:114]
	s_waitcnt lgkmcnt(5)
	v_mul_f64 v[83:84], v[43:44], v[115:116]
	s_waitcnt lgkmcnt(4)
	v_fma_f64 v[43:44], -v[31:32], v[47:48], v[77:78]
	v_fma_f64 v[47:48], -v[129:130], v[3:4], v[75:76]
	;; [unrolled: 1-line block ×8, first 2 shown]
	v_mov_b32_e32 v21, 0xdd8
	v_mov_b32_e32 v51, 0xf98
	v_fma_f64 v[95:96], -v[83:84], v[45:46], v[39:40]
	v_fma_f64 v[85:86], -v[127:128], v[85:86], v[43:44]
	ds_load_b128 v[1:4], v34 offset:3328
	ds_load_2addr_b64 v[21:24], v21 offset1:1
	ds_load_2addr_b64 v[39:42], v35 offset1:1
	v_fma_f64 v[47:48], -v[131:132], v[87:88], v[47:48]
	v_mov_b32_e32 v35, 0x1148
	ds_load_2addr_b64 v[43:46], v35 offset1:1
	ds_load_2addr_b64 v[51:54], v51 offset1:1
	ds_load_b128 v[71:74], v34 offset:3344
	v_mov_b32_e32 v35, 0xfa8
	s_waitcnt lgkmcnt(6)
	v_fma_f64 v[67:68], -v[133:134], v[67:68], v[75:76]
	s_waitcnt lgkmcnt(5)
	v_fma_f64 v[1:2], -v[123:124], v[1:2], v[77:78]
	s_waitcnt lgkmcnt(4)
	v_fma_f64 v[21:22], -v[111:112], v[21:22], v[81:82]
	v_fma_f64 v[63:64], -v[107:108], v[63:64], v[79:80]
	s_waitcnt lgkmcnt(3)
	v_fma_f64 v[39:40], -v[99:100], v[39:40], v[91:92]
	v_fma_f64 v[59:60], -v[83:84], v[59:60], v[93:94]
	v_mul_f64 v[79:80], v[55:56], v[95:96]
	v_fma_f64 v[49:50], -v[129:130], v[49:50], v[85:86]
	v_fma_f64 v[81:82], -v[133:134], v[69:70], v[47:48]
	v_fma_f64 v[85:86], -v[123:124], v[3:4], v[67:68]
	v_fma_f64 v[87:88], -v[111:112], v[23:24], v[1:2]
	v_fma_f64 v[91:92], -v[107:108], v[65:66], v[21:22]
	v_fma_f64 v[93:94], -v[99:100], v[41:42], v[63:64]
	v_fma_f64 v[95:96], -v[83:84], v[61:62], v[39:40]
	v_mov_b32_e32 v1, 0xde8
	v_fma_f64 v[97:98], -v[79:80], v[57:58], v[59:60]
	v_fma_f64 v[89:90], -v[131:132], v[89:90], v[49:50]
	ds_load_2addr_b64 v[1:4], v1 offset1:1
	ds_load_b128 v[21:24], v34 offset:3776
	ds_load_b128 v[39:42], v34 offset:4208
	;; [unrolled: 1-line block ×3, first 2 shown]
	ds_load_2addr_b64 v[55:58], v117 offset0:135 offset1:191
	s_waitcnt lgkmcnt(5)
	v_fma_f64 v[71:72], -v[123:124], v[71:72], v[81:82]
	ds_load_b128 v[59:62], v34 offset:4224
	ds_load_2addr_b64 v[63:66], v35 offset1:1
	ds_load_b128 v[67:70], v34 offset:3792
	ds_load_b128 v[75:78], v34 offset:4240
	v_mov_b32_e32 v35, 0x1308
	s_waitcnt lgkmcnt(8)
	v_fma_f64 v[1:2], -v[111:112], v[1:2], v[85:86]
	s_waitcnt lgkmcnt(7)
	v_fma_f64 v[21:22], -v[107:108], v[21:22], v[87:88]
	v_fma_f64 v[51:52], -v[99:100], v[51:52], v[91:92]
	s_waitcnt lgkmcnt(6)
	v_fma_f64 v[39:40], -v[83:84], v[39:40], v[93:94]
	v_fma_f64 v[43:44], -v[79:80], v[43:44], v[95:96]
	s_waitcnt lgkmcnt(5)
	v_mul_f64 v[81:82], v[47:48], v[97:98]
	s_waitcnt lgkmcnt(4)
	v_fma_f64 v[47:48], -v[133:134], v[55:56], v[89:90]
	v_fma_f64 v[55:56], -v[111:112], v[3:4], v[71:72]
	;; [unrolled: 1-line block ×3, first 2 shown]
	v_mov_b32_e32 v1, 0x1158
	v_fma_f64 v[53:54], -v[99:100], v[53:54], v[21:22]
	v_fma_f64 v[51:52], -v[83:84], v[41:42], v[51:52]
	;; [unrolled: 1-line block ×3, first 2 shown]
	ds_load_2addr_b64 v[1:4], v1 offset1:1
	ds_load_b128 v[21:24], v34 offset:4656
	ds_load_2addr_b64 v[39:42], v35 offset1:1
	v_mov_b32_e32 v35, 0x1318
	v_fma_f64 v[87:88], -v[81:82], v[49:50], v[43:44]
	v_fma_f64 v[73:74], -v[123:124], v[73:74], v[47:48]
	ds_load_2addr_b64 v[43:46], v35 offset1:1
	ds_load_b128 v[47:50], v34 offset:4672
	s_waitcnt lgkmcnt(6)
	v_fma_f64 v[55:56], -v[107:108], v[67:68], v[55:56]
	v_add_nc_u32_e64 v35, 0xc00, 0
	v_fma_f64 v[63:64], -v[99:100], v[63:64], v[71:72]
	v_fma_f64 v[53:54], -v[83:84], v[59:60], v[53:54]
	s_waitcnt lgkmcnt(4)
	v_fma_f64 v[1:2], -v[79:80], v[1:2], v[51:52]
	s_waitcnt lgkmcnt(3)
	;; [unrolled: 2-line block ×3, first 2 shown]
	v_mul_f64 v[59:60], v[39:40], v[87:88]
	v_fma_f64 v[39:40], -v[111:112], v[57:58], v[73:74]
	v_fma_f64 v[65:66], -v[99:100], v[65:66], v[55:56]
	;; [unrolled: 1-line block ×5, first 2 shown]
	v_mov_b32_e32 v1, 0x1168
	v_fma_f64 v[71:72], -v[59:60], v[41:42], v[21:22]
	v_fma_f64 v[69:70], -v[107:108], v[69:70], v[39:40]
	ds_load_2addr_b64 v[1:4], v1 offset1:1
	ds_load_b128 v[21:24], v34 offset:5104
	ds_load_2addr_b64 v[39:42], v35 offset0:119 offset1:175
	v_fma_f64 v[65:66], -v[83:84], v[75:76], v[65:66]
	v_mov_b32_e32 v35, 0x1328
	ds_load_2addr_b64 v[51:54], v35 offset1:1
	ds_load_b128 v[55:58], v34 offset:4688
	v_add_nc_u32_e64 v35, 0x1000, 0
	s_waitcnt lgkmcnt(4)
	v_fma_f64 v[1:2], -v[79:80], v[1:2], v[61:62]
	v_fma_f64 v[47:48], -v[81:82], v[47:48], v[63:64]
	;; [unrolled: 1-line block ×3, first 2 shown]
	s_waitcnt lgkmcnt(3)
	v_mul_f64 v[61:62], v[21:22], v[71:72]
	s_waitcnt lgkmcnt(2)
	v_fma_f64 v[21:22], -v[99:100], v[39:40], v[69:70]
	v_fma_f64 v[39:40], -v[79:80], v[3:4], v[65:66]
	;; [unrolled: 1-line block ×6, first 2 shown]
	v_mov_b32_e32 v21, 0x14d8
	s_waitcnt lgkmcnt(0)
	v_fma_f64 v[39:40], -v[81:82], v[55:56], v[39:40]
	ds_load_b128 v[1:4], v34 offset:5120
	ds_load_2addr_b64 v[21:24], v21 offset1:1
	ds_load_b128 v[43:46], v34 offset:5136
	v_fma_f64 v[49:50], -v[59:60], v[51:52], v[49:50]
	s_waitcnt lgkmcnt(2)
	v_fma_f64 v[1:2], -v[61:62], v[1:2], v[47:48]
	s_waitcnt lgkmcnt(1)
	v_mul_f64 v[55:56], v[21:22], v[63:64]
	v_fma_f64 v[21:22], -v[79:80], v[41:42], v[65:66]
	v_fma_f64 v[63:64], -v[59:60], v[53:54], v[39:40]
	;; [unrolled: 1-line block ×3, first 2 shown]
	s_delay_alu instid0(VALU_DEP_4) | instskip(NEXT) | instid1(VALU_DEP_4)
	v_fma_f64 v[67:68], -v[55:56], v[23:24], v[1:2]
	v_fma_f64 v[57:58], -v[81:82], v[57:58], v[21:22]
	v_mov_b32_e32 v1, 0x14e8
	ds_load_2addr_b64 v[1:4], v1 offset1:1
	ds_load_b128 v[21:24], v34 offset:5568
	ds_load_2addr_b64 v[39:42], v35 offset0:103 offset1:159
	v_mov_b32_e32 v35, 0x16a8
	ds_load_2addr_b64 v[47:50], v35 offset1:1
	ds_load_b128 v[51:54], v34 offset:5584
	s_waitcnt lgkmcnt(5)
	v_fma_f64 v[34:35], -v[61:62], v[43:44], v[63:64]
	s_waitcnt lgkmcnt(4)
	v_fma_f64 v[1:2], -v[55:56], v[1:2], v[65:66]
	s_waitcnt lgkmcnt(3)
	v_mul_f64 v[21:22], v[21:22], v[67:68]
	s_waitcnt lgkmcnt(2)
	v_fma_f64 v[39:40], -v[59:60], v[39:40], v[57:58]
	s_delay_alu instid0(VALU_DEP_4) | instskip(NEXT) | instid1(VALU_DEP_3)
	v_fma_f64 v[3:4], -v[55:56], v[3:4], v[34:35]
	v_fma_f64 v[1:2], -v[21:22], v[23:24], v[1:2]
	s_delay_alu instid0(VALU_DEP_3) | instskip(SKIP_1) | instid1(VALU_DEP_3)
	v_fma_f64 v[23:24], -v[61:62], v[45:46], v[39:40]
	s_waitcnt lgkmcnt(0)
	v_fma_f64 v[3:4], -v[21:22], v[51:52], v[3:4]
	s_delay_alu instid0(VALU_DEP_3) | instskip(NEXT) | instid1(VALU_DEP_3)
	v_mul_f64 v[34:35], v[47:48], v[1:2]
	v_fma_f64 v[1:2], -v[55:56], v[41:42], v[23:24]
	s_delay_alu instid0(VALU_DEP_2) | instskip(NEXT) | instid1(VALU_DEP_2)
	v_fma_f64 v[23:24], -v[34:35], v[49:50], v[3:4]
	v_fma_f64 v[39:40], -v[21:22], v[53:54], v[1:2]
	v_add_nc_u32_e64 v1, 0x1400, 0
	ds_load_2addr_b64 v[1:4], v1 offset0:87 offset1:143
	ds_store_2addr_b64 v33, v[25:26], v[27:28] offset0:16 offset1:44
	ds_store_2addr_b64 v33, v[9:10], v[11:12] offset0:72 offset1:100
	;; [unrolled: 1-line block ×13, first 2 shown]
	v_mul_f64 v[5:6], v[5:6], v[23:24]
	s_waitcnt lgkmcnt(13)
	v_fma_f64 v[1:2], -v[34:35], v[1:2], v[39:40]
	s_delay_alu instid0(VALU_DEP_1) | instskip(NEXT) | instid1(VALU_DEP_1)
	v_fma_f64 v[1:2], -v[5:6], v[7:8], v[1:2]
	v_mul_f64 v[1:2], v[3:4], v[1:2]
	ds_store_2addr_b64 v159, v[5:6], v[1:2] offset0:104 offset1:132
.LBB99_43:
	s_cmp_lt_i32 s8, s20
	s_cbranch_scc0 .LBB99_60
; %bb.44:
	s_add_i32 s9, s8, 23
	s_delay_alu instid0(SALU_CYCLE_1)
	s_cmp_ge_u32 s9, s20
	s_cbranch_scc1 .LBB99_49
; %bb.45:
	s_mul_i32 s12, s8, 28
	s_and_not1_b32 vcc_lo, exec_lo, s4
	v_add_lshl_u32 v45, s12, v0, 3
	s_delay_alu instid0(VALU_DEP_1)
	v_add_nc_u32_e32 v1, 0x1800, v45
	v_add_nc_u32_e32 v2, 0x1c00, v45
	;; [unrolled: 1-line block ×4, first 2 shown]
	ds_load_2addr_b64 v[37:40], v1 offset0:16 offset1:44
	ds_load_2addr_b64 v[41:44], v1 offset0:72 offset1:100
	;; [unrolled: 1-line block ×12, first 2 shown]
	s_cbranch_vccnz .LBB99_48
; %bb.46:
	v_lshl_add_u32 v46, v0, 3, 0x1880
	s_lshl_b32 s4, s8, 3
	s_mov_b32 s13, 0
.LBB99_47:                              ; =>This Inner Loop Header: Depth=1
	v_mov_b32_e32 v97, s4
	s_add_i32 s13, s13, 1
	s_addk_i32 s4, 0xe0
	s_cmp_lt_u32 s13, s8
	ds_load_b64 v[51:52], v46
	ds_load_b128 v[47:50], v97
	ds_load_b128 v[57:60], v97 offset:16
	ds_load_b128 v[61:64], v97 offset:32
	;; [unrolled: 1-line block ×11, first 2 shown]
	v_add_nc_u32_e32 v46, 0xe0, v46
	s_waitcnt lgkmcnt(11)
	v_fma_f64 v[37:38], -v[51:52], v[47:48], v[37:38]
	v_fma_f64 v[39:40], -v[51:52], v[49:50], v[39:40]
	s_waitcnt lgkmcnt(10)
	v_fma_f64 v[41:42], -v[51:52], v[57:58], v[41:42]
	v_fma_f64 v[43:44], -v[51:52], v[59:60], v[43:44]
	;; [unrolled: 3-line block ×12, first 2 shown]
	s_cbranch_scc1 .LBB99_47
.LBB99_48:
	s_mul_i32 s4, s8, 0xe8
	s_delay_alu instid0(SALU_CYCLE_1)
	v_dual_mov_b32 v70, s4 :: v_dual_add_nc_u32 v69, 0x1880, v45
	s_add_i32 s13, s12, 28
	s_add_i32 s21, s8, s12
	;; [unrolled: 1-line block ×3, first 2 shown]
	s_lshl_b32 s21, s21, 3
	ds_load_b128 v[45:48], v70
	ds_load_b128 v[49:52], v70 offset:16
	s_lshl_b32 s14, s14, 3
	s_add_i32 s26, s4, 0x828
	v_mov_b32_e32 v71, s14
	s_add_i32 s14, s12, 56
	s_add_i32 s28, s4, 0x9f8
	;; [unrolled: 1-line block ×4, first 2 shown]
	s_lshl_b32 s15, s15, 3
	s_add_i32 s33, s4, 0xd98
	s_add_i32 s35, s4, 0xf68
	;; [unrolled: 1-line block ×3, first 2 shown]
	s_addk_i32 s4, 0x1308
	v_mov_b32_e32 v136, s21
	s_waitcnt lgkmcnt(1)
	v_mul_f64 v[57:58], v[45:46], v[37:38]
	s_delay_alu instid0(VALU_DEP_1)
	v_fma_f64 v[59:60], -v[57:58], v[47:48], v[39:40]
	ds_load_2addr_b64 v[45:48], v70 offset0:29 offset1:30
	ds_load_b128 v[37:40], v70 offset:64
	s_waitcnt lgkmcnt(2)
	v_fma_f64 v[41:42], -v[57:58], v[49:50], v[41:42]
	v_fma_f64 v[65:66], -v[57:58], v[51:52], v[43:44]
	s_waitcnt lgkmcnt(0)
	v_fma_f64 v[37:38], -v[57:58], v[37:38], v[29:30]
	v_fma_f64 v[31:32], -v[57:58], v[39:40], v[31:32]
	v_mul_f64 v[59:60], v[45:46], v[59:60]
	s_delay_alu instid0(VALU_DEP_1)
	v_fma_f64 v[67:68], -v[59:60], v[47:48], v[41:42]
	ds_load_b128 v[61:64], v70 offset:32
	ds_load_2addr_b64 v[72:75], v71 offset0:3 offset1:4
	ds_load_b128 v[76:79], v70 offset:464
	ds_load_2addr_b64 v[41:44], v70 offset0:87 offset1:88
	;; [unrolled: 2-line block ×3, first 2 shown]
	s_waitcnt lgkmcnt(5)
	v_fma_f64 v[53:54], -v[57:58], v[61:62], v[53:54]
	s_waitcnt lgkmcnt(4)
	v_fma_f64 v[72:73], -v[59:60], v[72:73], v[65:66]
	;; [unrolled: 2-line block ×3, first 2 shown]
	v_fma_f64 v[35:36], -v[57:58], v[51:52], v[35:36]
	v_mul_f64 v[61:62], v[76:77], v[67:68]
	v_fma_f64 v[67:68], -v[57:58], v[63:64], v[55:56]
	v_fma_f64 v[65:66], -v[59:60], v[74:75], v[53:54]
	s_delay_alu instid0(VALU_DEP_3)
	v_fma_f64 v[63:64], -v[61:62], v[78:79], v[72:73]
	v_mov_b32_e32 v72, s15
	ds_load_b128 v[53:56], v72 offset:32
	ds_load_b64 v[109:110], v71 offset:184
	s_waitcnt lgkmcnt(2)
	v_fma_f64 v[45:46], -v[59:60], v[45:46], v[67:68]
	v_fma_f64 v[67:68], -v[59:60], v[47:48], v[49:50]
	s_add_i32 s15, s12, 0x54
	s_delay_alu instid0(SALU_CYCLE_1) | instskip(NEXT) | instid1(SALU_CYCLE_1)
	s_add_i32 s19, s8, s15
	s_lshl_b32 s19, s19, 3
	s_delay_alu instid0(SALU_CYCLE_1) | instskip(SKIP_1) | instid1(SALU_CYCLE_1)
	v_mov_b32_e32 v135, s19
	s_add_i32 s19, s12, 0x70
	s_add_i32 s22, s8, s19
	s_delay_alu instid0(SALU_CYCLE_1) | instskip(NEXT) | instid1(SALU_CYCLE_1)
	s_lshl_b32 s21, s22, 3
	v_mov_b32_e32 v137, s21
	s_add_i32 s21, s12, 0x8c
	s_waitcnt lgkmcnt(1)
	v_fma_f64 v[53:54], -v[61:62], v[53:54], v[65:66]
	s_add_i32 s22, s8, s21
	s_delay_alu instid0(SALU_CYCLE_1) | instskip(NEXT) | instid1(SALU_CYCLE_1)
	s_lshl_b32 s22, s22, 3
	v_mov_b32_e32 v138, s22
	s_add_i32 s22, s12, 0xa8
	s_delay_alu instid0(SALU_CYCLE_1) | instskip(NEXT) | instid1(SALU_CYCLE_1)
	s_add_i32 s23, s8, s22
	s_lshl_b32 s23, s23, 3
	s_delay_alu instid0(SALU_CYCLE_1) | instskip(SKIP_2) | instid1(SALU_CYCLE_1)
	v_mov_b32_e32 v139, s23
	v_mul_f64 v[33:34], v[41:42], v[63:64]
	s_add_i32 s23, s12, 0xc4
	s_add_i32 s24, s8, s23
	s_delay_alu instid0(SALU_CYCLE_1) | instskip(NEXT) | instid1(SALU_CYCLE_1)
	s_lshl_b32 s24, s24, 3
	v_mov_b32_e32 v140, s24
	v_fma_f64 v[85:86], -v[61:62], v[55:56], v[45:46]
	s_add_i32 s24, s12, 0xe0
	s_delay_alu instid0(SALU_CYCLE_1) | instskip(NEXT) | instid1(SALU_CYCLE_1)
	s_add_i32 s25, s8, s24
	s_lshl_b32 s25, s25, 3
	s_delay_alu instid0(SALU_CYCLE_1) | instskip(SKIP_1) | instid1(VALU_DEP_4)
	v_mov_b32_e32 v141, s25
	s_add_i32 s25, s12, 0xfc
	v_fma_f64 v[87:88], -v[33:34], v[43:44], v[53:54]
	ds_load_2addr_b64 v[41:44], v71 offset0:7 offset1:8
	ds_load_b128 v[45:48], v72 offset:48
	ds_load_2addr_b64 v[49:52], v135 offset0:5 offset1:6
	ds_load_b128 v[53:56], v70 offset:928
	;; [unrolled: 2-line block ×4, first 2 shown]
	s_waitcnt lgkmcnt(7)
	v_fma_f64 v[35:36], -v[59:60], v[41:42], v[35:36]
	s_waitcnt lgkmcnt(6)
	v_fma_f64 v[41:42], -v[61:62], v[45:46], v[67:68]
	s_waitcnt lgkmcnt(5)
	v_fma_f64 v[45:46], -v[33:34], v[49:50], v[85:86]
	s_waitcnt lgkmcnt(1)
	v_fma_f64 v[31:32], -v[59:60], v[77:78], v[31:32]
	v_mul_f64 v[29:30], v[53:54], v[87:88]
	v_fma_f64 v[53:54], -v[59:60], v[43:44], v[37:38]
	v_fma_f64 v[67:68], -v[61:62], v[47:48], v[35:36]
	;; [unrolled: 1-line block ×5, first 2 shown]
	ds_load_b128 v[35:38], v136 offset:80
	ds_load_2addr_b64 v[39:42], v135 offset0:7 offset1:8
	ds_load_b128 v[43:46], v137 offset:48
	ds_load_2addr_b64 v[47:50], v135 offset0:9 offset1:10
	ds_load_b64 v[111:112], v135 offset:184
	s_waitcnt lgkmcnt(4)
	v_fma_f64 v[25:26], -v[57:58], v[35:36], v[25:26]
	v_fma_f64 v[35:36], -v[61:62], v[73:74], v[53:54]
	s_waitcnt lgkmcnt(3)
	v_fma_f64 v[39:40], -v[33:34], v[39:40], v[67:68]
	s_waitcnt lgkmcnt(2)
	v_fma_f64 v[43:44], -v[29:30], v[43:44], v[51:52]
	v_fma_f64 v[67:68], -v[57:58], v[37:38], v[27:28]
	s_waitcnt lgkmcnt(1)
	v_fma_f64 v[31:32], -v[33:34], v[47:48], v[31:32]
	v_mul_f64 v[55:56], v[63:64], v[55:56]
	v_fma_f64 v[97:98], -v[59:60], v[79:80], v[25:26]
	v_fma_f64 v[99:100], -v[33:34], v[41:42], v[35:36]
	;; [unrolled: 1-line block ×3, first 2 shown]
	s_delay_alu instid0(VALU_DEP_4)
	v_fma_f64 v[103:104], -v[55:56], v[65:66], v[43:44]
	ds_load_b128 v[25:28], v136 offset:96
	ds_load_2addr_b64 v[35:38], v71 offset0:11 offset1:12
	ds_load_b128 v[39:42], v72 offset:80
	ds_load_b128 v[43:46], v137 offset:64
	ds_load_2addr_b64 v[51:54], v138 offset0:7 offset1:8
	ds_load_2addr_b64 v[63:66], v70 offset0:174 offset1:203
	ds_load_b128 v[73:76], v136 offset:112
	ds_load_2addr_b64 v[77:80], v138 offset0:9 offset1:10
	ds_load_b128 v[85:88], v137 offset:80
	ds_load_b128 v[89:92], v72 offset:96
	ds_load_2addr_b64 v[93:96], v71 offset0:13 offset1:14
	s_waitcnt lgkmcnt(10)
	v_fma_f64 v[21:22], -v[57:58], v[25:26], v[21:22]
	s_waitcnt lgkmcnt(9)
	v_fma_f64 v[25:26], -v[59:60], v[35:36], v[67:68]
	v_fma_f64 v[47:48], -v[57:58], v[27:28], v[23:24]
	s_waitcnt lgkmcnt(7)
	v_fma_f64 v[31:32], -v[29:30], v[45:46], v[31:32]
	v_fma_f64 v[35:36], -v[61:62], v[39:40], v[97:98]
	;; [unrolled: 1-line block ×3, first 2 shown]
	s_waitcnt lgkmcnt(6)
	v_fma_f64 v[43:44], -v[55:56], v[51:52], v[101:102]
	ds_load_2addr_b64 v[97:100], v139 offset0:7 offset1:8
	ds_load_b64 v[113:114], v138 offset:184
	s_waitcnt lgkmcnt(6)
	v_fma_f64 v[17:18], -v[57:58], v[73:74], v[17:18]
	v_fma_f64 v[117:118], -v[57:58], v[75:76], v[19:20]
	v_mul_f64 v[67:68], v[63:64], v[103:104]
	v_fma_f64 v[37:38], -v[59:60], v[37:38], v[21:22]
	v_fma_f64 v[41:42], -v[61:62], v[41:42], v[25:26]
	ds_load_2addr_b64 v[21:24], v135 offset0:11 offset1:12
	ds_load_2addr_b64 v[25:28], v135 offset0:13 offset1:14
	s_waitcnt lgkmcnt(4)
	v_fma_f64 v[51:52], -v[59:60], v[93:94], v[47:48]
	v_fma_f64 v[31:32], -v[55:56], v[77:78], v[31:32]
	;; [unrolled: 1-line block ×5, first 2 shown]
	s_waitcnt lgkmcnt(3)
	v_fma_f64 v[43:44], -v[67:68], v[97:98], v[43:44]
	v_fma_f64 v[53:54], -v[61:62], v[89:90], v[37:38]
	s_waitcnt lgkmcnt(1)
	v_fma_f64 v[21:22], -v[33:34], v[21:22], v[41:42]
	v_fma_f64 v[121:122], -v[61:62], v[91:92], v[51:52]
	;; [unrolled: 1-line block ×4, first 2 shown]
	v_mul_f64 v[115:116], v[65:66], v[43:44]
	ds_load_2addr_b64 v[35:38], v139 offset0:9 offset1:10
	ds_load_b128 v[39:42], v140 offset:64
	ds_load_b128 v[43:46], v140 offset:80
	ds_load_2addr_b64 v[47:50], v139 offset0:11 offset1:12
	v_fma_f64 v[123:124], -v[33:34], v[23:24], v[53:54]
	v_fma_f64 v[125:126], -v[29:30], v[87:88], v[21:22]
	s_waitcnt lgkmcnt(4)
	v_fma_f64 v[25:26], -v[33:34], v[25:26], v[121:122]
	v_fma_f64 v[127:128], -v[55:56], v[79:80], v[63:64]
	s_waitcnt lgkmcnt(3)
	v_fma_f64 v[31:32], -v[67:68], v[35:36], v[31:32]
	s_waitcnt lgkmcnt(2)
	v_fma_f64 v[35:36], -v[115:116], v[39:40], v[73:74]
	ds_load_b128 v[17:20], v136 offset:128
	ds_load_2addr_b64 v[21:24], v71 offset0:15 offset1:16
	ds_load_b128 v[51:54], v72 offset:112
	ds_load_b128 v[63:66], v137 offset:96
	ds_load_2addr_b64 v[73:76], v138 offset0:11 offset1:12
	ds_load_b128 v[77:80], v70 offset:1856
	ds_load_b128 v[85:88], v70 offset:2320
	;; [unrolled: 1-line block ×3, first 2 shown]
	ds_load_2addr_b64 v[93:96], v138 offset0:13 offset1:14
	ds_load_b128 v[97:100], v137 offset:112
	ds_load_b128 v[101:104], v72 offset:128
	ds_load_2addr_b64 v[105:108], v71 offset0:17 offset1:18
	s_waitcnt lgkmcnt(11)
	v_fma_f64 v[13:14], -v[57:58], v[17:18], v[13:14]
	s_waitcnt lgkmcnt(10)
	v_fma_f64 v[17:18], -v[59:60], v[21:22], v[117:118]
	;; [unrolled: 2-line block ×5, first 2 shown]
	v_fma_f64 v[65:66], -v[29:30], v[65:66], v[25:26]
	v_fma_f64 v[37:38], -v[67:68], v[37:38], v[127:128]
	;; [unrolled: 1-line block ×4, first 2 shown]
	s_waitcnt lgkmcnt(4)
	v_fma_f64 v[9:10], -v[57:58], v[89:90], v[9:10]
	v_fma_f64 v[119:120], -v[57:58], v[91:92], v[11:12]
	v_mul_f64 v[117:118], v[77:78], v[35:36]
	v_fma_f64 v[63:64], -v[59:60], v[23:24], v[13:14]
	v_fma_f64 v[53:54], -v[61:62], v[53:54], v[17:18]
	;; [unrolled: 1-line block ×5, first 2 shown]
	v_mov_b32_e32 v21, s26
	s_add_i32 s26, s8, s25
	v_fma_f64 v[43:44], -v[115:116], v[43:44], v[37:38]
	ds_load_2addr_b64 v[13:16], v135 offset0:15 offset1:16
	s_lshl_b32 s26, s26, 3
	s_waitcnt lgkmcnt(1)
	v_fma_f64 v[75:76], -v[59:60], v[105:106], v[41:42]
	v_mov_b32_e32 v142, s26
	ds_load_b128 v[17:20], v141 offset:80
	ds_load_2addr_b64 v[21:24], v21 offset1:1
	ds_load_b128 v[25:28], v141 offset:96
	ds_load_2addr_b64 v[35:38], v135 offset0:17 offset1:18
	v_fma_f64 v[65:66], -v[55:56], v[93:94], v[65:66]
	v_fma_f64 v[121:122], -v[59:60], v[107:108], v[9:10]
	s_add_i32 s26, s12, 0x118
	s_delay_alu instid0(SALU_CYCLE_1) | instskip(NEXT) | instid1(SALU_CYCLE_1)
	s_add_i32 s27, s8, s26
	s_lshl_b32 s27, s27, 3
	v_fma_f64 v[31:32], -v[117:118], v[79:80], v[31:32]
	v_fma_f64 v[63:64], -v[61:62], v[101:102], v[63:64]
	s_waitcnt lgkmcnt(4)
	v_fma_f64 v[13:14], -v[33:34], v[13:14], v[53:54]
	v_fma_f64 v[73:74], -v[29:30], v[97:98], v[73:74]
	v_fma_f64 v[77:78], -v[67:68], v[49:50], v[39:40]
	v_fma_f64 v[79:80], -v[115:116], v[45:46], v[47:48]
	s_waitcnt lgkmcnt(3)
	v_fma_f64 v[17:18], -v[117:118], v[17:18], v[43:44]
	ds_load_2addr_b64 v[39:42], v139 offset0:13 offset1:14
	ds_load_b128 v[43:46], v140 offset:96
	ds_load_b128 v[47:50], v140 offset:112
	ds_load_2addr_b64 v[51:54], v139 offset0:15 offset1:16
	v_fma_f64 v[123:124], -v[61:62], v[103:104], v[75:76]
	s_waitcnt lgkmcnt(3)
	v_fma_f64 v[39:40], -v[67:68], v[39:40], v[65:66]
	v_mul_f64 v[31:32], v[21:22], v[31:32]
	v_fma_f64 v[125:126], -v[33:34], v[15:16], v[63:64]
	v_fma_f64 v[127:128], -v[29:30], v[99:100], v[13:14]
	;; [unrolled: 1-line block ×3, first 2 shown]
	s_waitcnt lgkmcnt(2)
	v_fma_f64 v[43:44], -v[115:116], v[43:44], v[77:78]
	v_fma_f64 v[131:132], -v[117:118], v[19:20], v[79:80]
	;; [unrolled: 1-line block ×4, first 2 shown]
	ds_load_b128 v[9:12], v136 offset:160
	ds_load_2addr_b64 v[13:16], v71 offset0:19 offset1:20
	ds_load_b128 v[17:20], v72 offset:144
	ds_load_b128 v[21:24], v137 offset:128
	ds_load_2addr_b64 v[63:66], v138 offset0:15 offset1:16
	ds_load_2addr_b64 v[73:76], v142 offset0:11 offset1:12
	ds_load_b128 v[77:80], v136 offset:176
	ds_load_2addr_b64 v[89:92], v138 offset0:17 offset1:18
	ds_load_b128 v[93:96], v137 offset:144
	ds_load_b128 v[97:100], v72 offset:160
	ds_load_2addr_b64 v[101:104], v71 offset0:21 offset1:22
	ds_load_b128 v[105:108], v141 offset:176
	v_fma_f64 v[41:42], -v[67:68], v[41:42], v[129:130]
	v_fma_f64 v[25:26], -v[117:118], v[25:26], v[43:44]
	s_waitcnt lgkmcnt(8)
	v_fma_f64 v[21:22], -v[29:30], v[21:22], v[125:126]
	v_mov_b32_e32 v129, s27
	s_waitcnt lgkmcnt(6)
	v_fma_f64 v[43:44], -v[31:32], v[73:74], v[131:132]
	s_waitcnt lgkmcnt(5)
	v_fma_f64 v[1:2], -v[57:58], v[77:78], v[1:2]
	v_fma_f64 v[79:80], -v[57:58], v[79:80], v[3:4]
	v_fma_f64 v[5:6], -v[57:58], v[9:10], v[5:6]
	v_fma_f64 v[9:10], -v[59:60], v[13:14], v[119:120]
	v_fma_f64 v[13:14], -v[61:62], v[17:18], v[121:122]
	v_fma_f64 v[17:18], -v[33:34], v[35:36], v[123:124]
	v_fma_f64 v[35:36], -v[55:56], v[63:64], v[127:128]
	v_fma_f64 v[45:46], -v[57:58], v[11:12], v[7:8]
	s_add_i32 s27, s12, 0x134
	v_fma_f64 v[121:122], -v[117:118], v[27:28], v[39:40]
	v_mul_f64 v[119:120], v[85:86], v[133:134]
	v_fma_f64 v[47:48], -v[115:116], v[47:48], v[41:42]
	v_fma_f64 v[75:76], -v[31:32], v[75:76], v[25:26]
	;; [unrolled: 1-line block ×3, first 2 shown]
	v_mov_b32_e32 v21, s28
	s_add_i32 s28, s8, s27
	s_delay_alu instid0(SALU_CYCLE_1)
	s_lshl_b32 s28, s28, 3
	v_fma_f64 v[63:64], -v[59:60], v[15:16], v[5:6]
	v_fma_f64 v[71:72], -v[61:62], v[19:20], v[9:10]
	;; [unrolled: 1-line block ×5, first 2 shown]
	ds_load_2addr_b64 v[5:8], v135 offset0:19 offset1:20
	ds_load_b128 v[9:12], v141 offset:112
	ds_load_2addr_b64 v[13:16], v142 offset0:13 offset1:14
	ds_load_b128 v[17:20], v129 offset:96
	ds_load_2addr_b64 v[21:24], v21 offset1:1
	ds_load_2addr_b64 v[25:28], v142 offset0:15 offset1:16
	ds_load_b128 v[35:38], v141 offset:128
	ds_load_2addr_b64 v[39:42], v135 offset0:21 offset1:22
	s_waitcnt lgkmcnt(9)
	v_fma_f64 v[77:78], -v[59:60], v[101:102], v[45:46]
	v_mov_b32_e32 v130, s28
	s_add_i32 s28, s12, 0x150
	s_delay_alu instid0(SALU_CYCLE_1) | instskip(NEXT) | instid1(SALU_CYCLE_1)
	s_add_i32 s29, s8, s28
	s_lshl_b32 s29, s29, 3
	v_fma_f64 v[43:44], -v[119:120], v[87:88], v[43:44]
	s_waitcnt lgkmcnt(5)
	v_fma_f64 v[13:14], -v[31:32], v[13:14], v[121:122]
	v_fma_f64 v[9:10], -v[117:118], v[9:10], v[47:48]
	s_waitcnt lgkmcnt(4)
	v_fma_f64 v[17:18], -v[119:120], v[17:18], v[75:76]
	v_fma_f64 v[87:88], -v[61:62], v[97:98], v[63:64]
	;; [unrolled: 1-line block ×9, first 2 shown]
	s_waitcnt lgkmcnt(3)
	v_mul_f64 v[93:94], v[21:22], v[43:44]
	ds_load_2addr_b64 v[43:46], v139 offset0:17 offset1:18
	ds_load_b128 v[47:50], v140 offset:128
	ds_load_b128 v[51:54], v140 offset:144
	ds_load_2addr_b64 v[63:66], v139 offset0:19 offset1:20
	v_fma_f64 v[125:126], -v[119:120], v[19:20], v[13:14]
	v_fma_f64 v[123:124], -v[31:32], v[15:16], v[9:10]
	;; [unrolled: 1-line block ×5, first 2 shown]
	s_waitcnt lgkmcnt(3)
	v_fma_f64 v[43:44], -v[67:68], v[43:44], v[73:74]
	s_waitcnt lgkmcnt(2)
	v_fma_f64 v[47:48], -v[115:116], v[47:48], v[85:86]
	v_fma_f64 v[121:122], -v[117:118], v[11:12], v[89:90]
	ds_load_b128 v[1:4], v137 offset:160
	ds_load_2addr_b64 v[5:8], v138 offset0:19 offset1:20
	v_fma_f64 v[81:82], -v[61:62], v[81:82], v[97:98]
	v_fma_f64 v[39:40], -v[33:34], v[39:40], v[99:100]
	;; [unrolled: 1-line block ×3, first 2 shown]
	ds_load_b128 v[9:12], v129 offset:112
	ds_load_2addr_b64 v[13:16], v130 offset0:13 offset1:14
	ds_load_b128 v[17:20], v70 offset:2784
	ds_load_b128 v[21:24], v70 offset:3248
	ds_load_b128 v[71:74], v129 offset:128
	ds_load_2addr_b64 v[75:78], v138 offset0:21 offset1:22
	ds_load_b128 v[85:88], v137 offset:176
	ds_load_b128 v[89:92], v129 offset:176
	s_waitcnt lgkmcnt(7)
	v_fma_f64 v[9:10], -v[119:120], v[9:10], v[123:124]
	s_waitcnt lgkmcnt(6)
	v_fma_f64 v[13:14], -v[93:94], v[13:14], v[125:126]
	v_mov_b32_e32 v123, s29
	s_add_i32 s29, s12, 0x16c
	v_fma_f64 v[1:2], -v[29:30], v[1:2], v[101:102]
	v_fma_f64 v[5:6], -v[55:56], v[5:6], v[95:96]
	;; [unrolled: 1-line block ×8, first 2 shown]
	s_waitcnt lgkmcnt(5)
	v_mul_f64 v[95:96], v[17:18], v[127:128]
	v_fma_f64 v[17:18], -v[59:60], v[109:110], v[79:80]
	v_fma_f64 v[101:102], -v[93:94], v[15:16], v[9:10]
	;; [unrolled: 1-line block ×8, first 2 shown]
	s_waitcnt lgkmcnt(1)
	v_fma_f64 v[85:86], -v[29:30], v[85:86], v[47:48]
	v_fma_f64 v[75:76], -v[55:56], v[75:76], v[49:50]
	;; [unrolled: 1-line block ×4, first 2 shown]
	v_mov_b32_e32 v17, s30
	ds_load_b128 v[1:4], v141 offset:144
	ds_load_2addr_b64 v[5:8], v142 offset0:17 offset1:18
	ds_load_2addr_b64 v[9:12], v130 offset0:15 offset1:16
	ds_load_b128 v[13:16], v123 offset:112
	ds_load_2addr_b64 v[17:20], v17 offset1:1
	ds_load_b128 v[25:28], v123 offset:128
	ds_load_2addr_b64 v[35:38], v130 offset0:17 offset1:18
	ds_load_2addr_b64 v[39:42], v142 offset0:19 offset1:20
	ds_load_b128 v[43:46], v141 offset:160
	ds_load_b64 v[109:110], v130 offset:184
	s_add_i32 s30, s8, s29
	s_delay_alu instid0(SALU_CYCLE_1)
	s_lshl_b32 s30, s30, 3
	s_waitcnt lgkmcnt(6)
	v_fma_f64 v[13:14], -v[95:96], v[13:14], v[101:102]
	v_fma_f64 v[79:80], -v[67:68], v[65:66], v[79:80]
	;; [unrolled: 1-line block ×7, first 2 shown]
	v_mov_b32_e32 v97, s30
	v_fma_f64 v[77:78], -v[55:56], v[77:78], v[85:86]
	s_add_i32 s30, s12, 0x188
	s_delay_alu instid0(SALU_CYCLE_1) | instskip(NEXT) | instid1(SALU_CYCLE_1)
	s_add_i32 s31, s8, s30
	s_lshl_b32 s31, s31, 3
	s_delay_alu instid0(SALU_CYCLE_1)
	v_mov_b32_e32 v98, s31
	s_add_i32 s31, s12, 0x1a4
	s_waitcnt lgkmcnt(5)
	v_mul_f64 v[81:82], v[17:18], v[103:104]
	v_fma_f64 v[17:18], -v[33:34], v[111:112], v[83:84]
	ds_load_2addr_b64 v[47:50], v139 offset0:21 offset1:22
	ds_load_b128 v[51:54], v140 offset:160
	ds_load_b128 v[63:66], v140 offset:176
	ds_load_b64 v[83:84], v139 offset:184
	s_waitcnt lgkmcnt(3)
	v_fma_f64 v[47:48], -v[67:68], v[47:48], v[75:76]
	s_waitcnt lgkmcnt(2)
	v_fma_f64 v[51:52], -v[115:116], v[51:52], v[79:80]
	v_fma_f64 v[75:76], -v[117:118], v[3:4], v[121:122]
	v_fma_f64 v[79:80], -v[31:32], v[7:8], v[1:2]
	v_fma_f64 v[73:74], -v[119:120], v[73:74], v[5:6]
	v_fma_f64 v[71:72], -v[93:94], v[11:12], v[71:72]
	v_fma_f64 v[85:86], -v[95:96], v[15:16], v[9:10]
	v_fma_f64 v[49:50], -v[67:68], v[49:50], v[77:78]
	v_fma_f64 v[19:20], -v[81:82], v[19:20], v[13:14]
	v_fma_f64 v[17:18], -v[29:30], v[87:88], v[17:18]
	ds_load_b128 v[1:4], v129 offset:144
	ds_load_2addr_b64 v[5:8], v97 offset0:15 offset1:16
	ds_load_b128 v[9:12], v129 offset:160
	ds_load_b128 v[13:16], v123 offset:176
	v_fma_f64 v[47:48], -v[115:116], v[53:54], v[47:48]
	v_fma_f64 v[43:44], -v[117:118], v[43:44], v[51:52]
	v_fma_f64 v[39:40], -v[31:32], v[39:40], v[75:76]
	s_waitcnt lgkmcnt(3)
	v_fma_f64 v[1:2], -v[119:120], v[1:2], v[79:80]
	v_fma_f64 v[35:36], -v[93:94], v[35:36], v[73:74]
	;; [unrolled: 1-line block ×3, first 2 shown]
	s_waitcnt lgkmcnt(2)
	v_fma_f64 v[5:6], -v[81:82], v[5:6], v[85:86]
	v_fma_f64 v[53:54], -v[115:116], v[63:64], v[49:50]
	v_mul_f64 v[51:52], v[21:22], v[19:20]
	v_fma_f64 v[17:18], -v[55:56], v[113:114], v[17:18]
	v_fma_f64 v[63:64], -v[117:118], v[45:46], v[47:48]
	;; [unrolled: 1-line block ×7, first 2 shown]
	ds_load_2addr_b64 v[1:4], v142 offset0:21 offset1:22
	v_mov_b32_e32 v35, s33
	v_fma_f64 v[53:54], -v[117:118], v[105:106], v[53:54]
	s_add_i32 s33, s8, s31
	s_delay_alu instid0(SALU_CYCLE_1)
	s_lshl_b32 s33, s33, 3
	v_fma_f64 v[85:86], -v[51:52], v[23:24], v[5:6]
	v_fma_f64 v[83:84], -v[67:68], v[83:84], v[17:18]
	ds_load_2addr_b64 v[5:8], v130 offset0:19 offset1:20
	ds_load_b128 v[17:20], v123 offset:144
	ds_load_2addr_b64 v[21:24], v97 offset0:17 offset1:18
	ds_load_b128 v[25:28], v98 offset:128
	ds_load_2addr_b64 v[35:38], v35 offset1:1
	ds_load_2addr_b64 v[39:42], v97 offset0:19 offset1:20
	ds_load_b128 v[43:46], v123 offset:160
	ds_load_2addr_b64 v[47:50], v130 offset0:21 offset1:22
	ds_load_b64 v[87:88], v142 offset:184
	s_waitcnt lgkmcnt(9)
	v_fma_f64 v[1:2], -v[31:32], v[1:2], v[63:64]
	v_fma_f64 v[9:10], -v[119:120], v[9:10], v[71:72]
	s_waitcnt lgkmcnt(8)
	v_fma_f64 v[5:6], -v[93:94], v[5:6], v[73:74]
	s_waitcnt lgkmcnt(7)
	;; [unrolled: 2-line block ×4, first 2 shown]
	v_fma_f64 v[25:26], -v[51:52], v[25:26], v[79:80]
	v_fma_f64 v[53:54], -v[31:32], v[3:4], v[53:54]
	s_waitcnt lgkmcnt(4)
	v_mul_f64 v[63:64], v[35:36], v[85:86]
	v_fma_f64 v[35:36], -v[115:116], v[65:66], v[83:84]
	v_mov_b32_e32 v83, s33
	s_add_i32 s33, s12, 0x1c0
	s_delay_alu instid0(SALU_CYCLE_1) | instskip(NEXT) | instid1(SALU_CYCLE_1)
	s_add_i32 s34, s8, s33
	s_lshl_b32 s34, s34, 3
	s_delay_alu instid0(SALU_CYCLE_1)
	v_mov_b32_e32 v85, s34
	s_add_i32 s34, s12, 0x1dc
	v_fma_f64 v[65:66], -v[119:120], v[11:12], v[1:2]
	v_fma_f64 v[71:72], -v[93:94], v[7:8], v[9:10]
	;; [unrolled: 1-line block ×8, first 2 shown]
	ds_load_b128 v[1:4], v98 offset:144
	ds_load_2addr_b64 v[5:8], v83 offset0:17 offset1:18
	ds_load_b128 v[9:12], v70 offset:3712
	ds_load_b128 v[17:20], v70 offset:4176
	;; [unrolled: 1-line block ×4, first 2 shown]
	s_waitcnt lgkmcnt(7)
	v_fma_f64 v[47:48], -v[93:94], v[47:48], v[65:66]
	v_fma_f64 v[43:44], -v[95:96], v[43:44], v[71:72]
	;; [unrolled: 1-line block ×3, first 2 shown]
	s_waitcnt lgkmcnt(5)
	v_fma_f64 v[1:2], -v[51:52], v[1:2], v[75:76]
	s_waitcnt lgkmcnt(4)
	v_fma_f64 v[5:6], -v[63:64], v[5:6], v[77:78]
	v_fma_f64 v[49:50], -v[93:94], v[49:50], v[53:54]
	s_waitcnt lgkmcnt(3)
	v_mul_f64 v[65:66], v[9:10], v[37:38]
	v_fma_f64 v[9:10], -v[31:32], v[87:88], v[35:36]
	v_mov_b32_e32 v35, s35
	s_add_i32 s35, s8, s34
	s_delay_alu instid0(SALU_CYCLE_1)
	s_lshl_b32 s35, s35, 3
	v_fma_f64 v[47:48], -v[95:96], v[45:46], v[47:48]
	v_fma_f64 v[53:54], -v[81:82], v[41:42], v[43:44]
	;; [unrolled: 1-line block ×7, first 2 shown]
	ds_load_2addr_b64 v[1:4], v97 offset0:21 offset1:22
	ds_load_2addr_b64 v[5:8], v83 offset0:19 offset1:20
	ds_load_b128 v[9:12], v85 offset:144
	ds_load_2addr_b64 v[35:38], v35 offset1:1
	ds_load_b128 v[39:42], v85 offset:160
	ds_load_2addr_b64 v[43:46], v83 offset0:21 offset1:22
	ds_load_b64 v[79:80], v97 offset:184
	ds_load_b64 v[83:84], v83 offset:184
	s_waitcnt lgkmcnt(7)
	v_fma_f64 v[1:2], -v[81:82], v[1:2], v[47:48]
	v_fma_f64 v[21:22], -v[51:52], v[21:22], v[53:54]
	s_waitcnt lgkmcnt(6)
	v_fma_f64 v[5:6], -v[63:64], v[5:6], v[71:72]
	s_waitcnt lgkmcnt(5)
	v_fma_f64 v[9:10], -v[65:66], v[9:10], v[73:74]
	v_fma_f64 v[13:14], -v[81:82], v[3:4], v[13:14]
	s_waitcnt lgkmcnt(4)
	v_mul_f64 v[35:36], v[35:36], v[75:76]
	v_fma_f64 v[47:48], -v[93:94], v[109:110], v[77:78]
	v_fma_f64 v[23:24], -v[51:52], v[23:24], v[1:2]
	;; [unrolled: 1-line block ×7, first 2 shown]
	v_mov_b32_e32 v37, s35
	s_add_i32 s35, s12, 0x1f8
	ds_load_2addr_b64 v[1:4], v37 offset0:19 offset1:20
	ds_load_b128 v[5:8], v85 offset:176
	s_add_i32 s36, s8, s35
	s_delay_alu instid0(SALU_CYCLE_1)
	s_lshl_b32 s36, s36, 3
	s_waitcnt lgkmcnt(4)
	v_fma_f64 v[23:24], -v[63:64], v[43:44], v[23:24]
	v_fma_f64 v[21:22], -v[65:66], v[39:40], v[21:22]
	v_mov_b32_e32 v39, s36
	s_add_i32 s36, s12, 0x214
	s_waitcnt lgkmcnt(1)
	v_fma_f64 v[1:2], -v[35:36], v[1:2], v[11:12]
	v_fma_f64 v[25:26], -v[63:64], v[45:46], v[13:14]
	v_mov_b32_e32 v13, s37
	s_add_i32 s37, s8, s36
	s_delay_alu instid0(SALU_CYCLE_1) | instskip(NEXT) | instid1(SALU_CYCLE_1)
	s_lshl_b32 s37, s37, 3
	v_mov_b32_e32 v40, s37
	s_add_i32 s37, s12, 0x230
	s_delay_alu instid0(SALU_CYCLE_1) | instskip(NEXT) | instid1(SALU_CYCLE_1)
	s_add_i32 s38, s8, s37
	s_lshl_b32 s38, s38, 3
	v_mul_f64 v[17:18], v[17:18], v[9:10]
	v_fma_f64 v[9:10], -v[81:82], v[79:80], v[15:16]
	v_fma_f64 v[23:24], -v[65:66], v[41:42], v[23:24]
	;; [unrolled: 1-line block ×3, first 2 shown]
	s_waitcnt lgkmcnt(0)
	v_fma_f64 v[5:6], -v[65:66], v[5:6], v[25:26]
	v_fma_f64 v[19:20], -v[17:18], v[19:20], v[1:2]
	v_fma_f64 v[27:28], -v[51:52], v[27:28], v[9:10]
	ds_load_2addr_b64 v[1:4], v37 offset0:21 offset1:22
	ds_load_b128 v[9:12], v39 offset:160
	ds_load_2addr_b64 v[13:16], v13 offset1:1
	ds_load_b64 v[37:38], v37 offset:184
	s_waitcnt lgkmcnt(3)
	v_fma_f64 v[1:2], -v[35:36], v[1:2], v[23:24]
	s_waitcnt lgkmcnt(2)
	v_fma_f64 v[9:10], -v[17:18], v[9:10], v[21:22]
	v_fma_f64 v[21:22], -v[35:36], v[3:4], v[5:6]
	s_waitcnt lgkmcnt(1)
	v_mul_f64 v[19:20], v[13:14], v[19:20]
	v_fma_f64 v[13:14], -v[63:64], v[83:84], v[27:28]
	v_fma_f64 v[23:24], -v[17:18], v[11:12], v[1:2]
	s_delay_alu instid0(VALU_DEP_3) | instskip(NEXT) | instid1(VALU_DEP_3)
	v_fma_f64 v[25:26], -v[19:20], v[15:16], v[9:10]
	v_fma_f64 v[27:28], -v[65:66], v[7:8], v[13:14]
	ds_load_b128 v[1:4], v39 offset:176
	ds_load_2addr_b64 v[5:8], v40 offset0:21 offset1:22
	ds_load_b128 v[9:12], v70 offset:4640
	ds_load_b128 v[13:16], v70 offset:5104
	s_waitcnt lgkmcnt(3)
	v_fma_f64 v[1:2], -v[17:18], v[1:2], v[21:22]
	s_waitcnt lgkmcnt(2)
	v_fma_f64 v[5:6], -v[19:20], v[5:6], v[23:24]
	s_waitcnt lgkmcnt(1)
	v_mul_f64 v[9:10], v[9:10], v[25:26]
	v_fma_f64 v[21:22], -v[35:36], v[37:38], v[27:28]
	s_delay_alu instid0(VALU_DEP_4) | instskip(SKIP_1) | instid1(VALU_DEP_4)
	v_fma_f64 v[23:24], -v[19:20], v[7:8], v[1:2]
	v_mov_b32_e32 v1, s38
	v_fma_f64 v[11:12], -v[9:10], v[11:12], v[5:6]
	s_delay_alu instid0(VALU_DEP_4)
	v_fma_f64 v[21:22], -v[17:18], v[3:4], v[21:22]
	v_mov_b32_e32 v5, s4
	ds_load_b128 v[1:4], v1 offset:176
	ds_load_2addr_b64 v[5:8], v5 offset1:1
	ds_load_b64 v[25:26], v40 offset:184
	s_add_i32 s4, s12, 0x24c
	s_addk_i32 s12, 0x268
	s_add_i32 s38, s8, s4
	s_add_i32 s8, s8, 24
	s_lshl_b32 s38, s38, 3
	s_delay_alu instid0(SALU_CYCLE_1)
	v_mov_b32_e32 v27, s38
	s_mul_i32 s38, s9, 0xe8
	s_mul_i32 s9, s9, 28
	ds_load_b64 v[27:28], v27 offset:184
	s_waitcnt lgkmcnt(3)
	v_fma_f64 v[1:2], -v[9:10], v[1:2], v[23:24]
	s_waitcnt lgkmcnt(2)
	v_mul_f64 v[5:6], v[5:6], v[11:12]
	s_waitcnt lgkmcnt(1)
	v_fma_f64 v[11:12], -v[19:20], v[25:26], v[21:22]
	s_delay_alu instid0(VALU_DEP_2) | instskip(NEXT) | instid1(VALU_DEP_2)
	v_fma_f64 v[1:2], -v[5:6], v[7:8], v[1:2]
	v_fma_f64 v[3:4], -v[9:10], v[3:4], v[11:12]
	v_mov_b32_e32 v7, s38
	v_add_lshl_u32 v11, s13, v0, 3
	v_add_lshl_u32 v12, s14, v0, 3
	ds_load_b64 v[7:8], v7
	v_mul_f64 v[1:2], v[13:14], v[1:2]
	s_waitcnt lgkmcnt(1)
	v_fma_f64 v[3:4], -v[5:6], v[27:28], v[3:4]
	v_add_lshl_u32 v13, s15, v0, 3
	v_add_lshl_u32 v14, s19, v0, 3
	s_delay_alu instid0(VALU_DEP_3)
	v_fma_f64 v[3:4], -v[1:2], v[15:16], v[3:4]
	v_add_lshl_u32 v16, s22, v0, 3
	v_add_lshl_u32 v15, s21, v0, 3
	ds_store_b64 v69, v[57:58]
	ds_store_b64 v11, v[59:60] offset:6272
	ds_store_b64 v12, v[61:62] offset:6272
	;; [unrolled: 1-line block ×5, first 2 shown]
	v_add_lshl_u32 v11, s25, v0, 3
	v_add_lshl_u32 v12, s26, v0, 3
	;; [unrolled: 1-line block ×3, first 2 shown]
	ds_store_b64 v16, v[67:68] offset:6272
	v_add_lshl_u32 v14, s34, v0, 3
	v_add_lshl_u32 v15, s35, v0, 3
	;; [unrolled: 1-line block ×3, first 2 shown]
	s_waitcnt lgkmcnt(7)
	v_mul_f64 v[3:4], v[7:8], v[3:4]
	v_add_lshl_u32 v7, s23, v0, 3
	v_add_lshl_u32 v8, s24, v0, 3
	ds_store_b64 v7, v[115:116] offset:6272
	ds_store_b64 v8, v[117:118] offset:6272
	;; [unrolled: 1-line block ×5, first 2 shown]
	v_add_lshl_u32 v7, s28, v0, 3
	v_add_lshl_u32 v8, s29, v0, 3
	;; [unrolled: 1-line block ×5, first 2 shown]
	ds_store_b64 v7, v[95:96] offset:6272
	ds_store_b64 v8, v[81:82] offset:6272
	;; [unrolled: 1-line block ×8, first 2 shown]
	v_add_lshl_u32 v7, s37, v0, 3
	v_add_lshl_u32 v8, s4, v0, 3
	;; [unrolled: 1-line block ×4, first 2 shown]
	ds_store_b64 v7, v[9:10] offset:6272
	ds_store_b64 v8, v[5:6] offset:6272
	;; [unrolled: 1-line block ×4, first 2 shown]
.LBB99_49:
	s_cmp_ge_i32 s8, s20
	s_cbranch_scc1 .LBB99_60
; %bb.50:
	v_lshl_add_u32 v3, v0, 3, 0x1880
	s_add_i32 s4, s8, -1
	s_lshl_b32 s9, s8, 3
	s_mov_b32 s12, 0
	s_mov_b32 s13, s8
	s_branch .LBB99_52
.LBB99_51:                              ;   in Loop: Header=BB99_52 Depth=1
	s_mul_i32 s14, s8, 0xe8
	s_delay_alu instid0(SALU_CYCLE_1)
	v_dual_mov_b32 v5, s14 :: v_dual_add_nc_u32 v4, 0x1880, v4
	s_add_i32 s8, s8, 1
	s_add_i32 s12, s12, 1
	;; [unrolled: 1-line block ×3, first 2 shown]
	s_cmp_ge_i32 s8, s20
	ds_load_b64 v[5:6], v5
	s_waitcnt lgkmcnt(0)
	v_mul_f64 v[1:2], v[5:6], v[1:2]
	v_add_nc_u16 v5, s13, 1
	s_delay_alu instid0(VALU_DEP_1)
	v_readfirstlane_b32 s13, v5
	ds_store_b64 v4, v[1:2]
	s_cbranch_scc1 .LBB99_60
.LBB99_52:                              ; =>This Loop Header: Depth=1
                                        ;     Child Loop BB99_55 Depth 2
                                        ;     Child Loop BB99_59 Depth 2
	s_mul_i32 s14, s8, 28
	s_cmp_eq_u32 s8, 0
	v_add_lshl_u32 v4, s14, v0, 3
	ds_load_b64 v[1:2], v4 offset:6272
	s_cbranch_scc1 .LBB99_51
; %bb.53:                               ;   in Loop: Header=BB99_52 Depth=1
	s_add_i32 s14, s4, s12
	s_delay_alu instid0(SALU_CYCLE_1)
	s_cmp_lt_u32 s14, 7
	s_cbranch_scc1 .LBB99_57
; %bb.54:                               ;   in Loop: Header=BB99_52 Depth=1
	v_mov_b32_e32 v5, v3
	s_and_b32 s14, s8, -8
	s_mov_b32 s15, 0
	s_mov_b32 s19, s9
	s_set_inst_prefetch_distance 0x1
	.p2align	6
.LBB99_55:                              ;   Parent Loop BB99_52 Depth=1
                                        ; =>  This Inner Loop Header: Depth=2
	v_mov_b32_e32 v14, s19
	s_add_i32 s15, s15, 8
	s_addk_i32 s19, 0x700
	s_cmp_lg_u32 s14, s15
	ds_load_2addr_b64 v[6:9], v5 offset1:28
	ds_load_2addr_b64 v[10:13], v14 offset1:28
	s_waitcnt lgkmcnt(0)
	v_fma_f64 v[1:2], -v[6:7], v[10:11], v[1:2]
	s_delay_alu instid0(VALU_DEP_1) | instskip(SKIP_4) | instid1(VALU_DEP_1)
	v_fma_f64 v[1:2], -v[8:9], v[12:13], v[1:2]
	ds_load_2addr_b64 v[6:9], v5 offset0:56 offset1:84
	ds_load_2addr_b64 v[10:13], v14 offset0:56 offset1:84
	s_waitcnt lgkmcnt(0)
	v_fma_f64 v[1:2], -v[6:7], v[10:11], v[1:2]
	v_fma_f64 v[1:2], -v[8:9], v[12:13], v[1:2]
	ds_load_2addr_b64 v[6:9], v5 offset0:112 offset1:140
	ds_load_2addr_b64 v[10:13], v14 offset0:112 offset1:140
	s_waitcnt lgkmcnt(0)
	v_fma_f64 v[1:2], -v[6:7], v[10:11], v[1:2]
	s_delay_alu instid0(VALU_DEP_1)
	v_fma_f64 v[1:2], -v[8:9], v[12:13], v[1:2]
	ds_load_2addr_b64 v[6:9], v5 offset0:168 offset1:196
	ds_load_2addr_b64 v[10:13], v14 offset0:168 offset1:196
	v_add_nc_u32_e32 v5, 0x700, v5
	s_waitcnt lgkmcnt(0)
	v_fma_f64 v[1:2], -v[6:7], v[10:11], v[1:2]
	s_delay_alu instid0(VALU_DEP_1)
	v_fma_f64 v[1:2], -v[8:9], v[12:13], v[1:2]
	s_cbranch_scc1 .LBB99_55
; %bb.56:                               ;   in Loop: Header=BB99_52 Depth=1
	s_set_inst_prefetch_distance 0x2
	s_and_b32 s15, s8, 7
	s_delay_alu instid0(SALU_CYCLE_1)
	s_cmp_eq_u32 s15, 0
	s_cbranch_scc0 .LBB99_58
	s_branch .LBB99_51
.LBB99_57:                              ;   in Loop: Header=BB99_52 Depth=1
	s_mov_b32 s14, 0
	s_and_b32 s15, s8, 7
	s_delay_alu instid0(SALU_CYCLE_1)
	s_cmp_eq_u32 s15, 0
	s_cbranch_scc1 .LBB99_51
.LBB99_58:                              ;   in Loop: Header=BB99_52 Depth=1
	s_and_b32 s15, s13, 7
	s_mulk_i32 s14, 0xe0
.LBB99_59:                              ;   Parent Loop BB99_52 Depth=1
                                        ; =>  This Inner Loop Header: Depth=2
	s_delay_alu instid0(SALU_CYCLE_1)
	s_add_i32 s19, s9, s14
	v_add_nc_u32_e32 v5, s14, v3
	v_mov_b32_e32 v7, s19
	s_add_i32 s15, s15, -1
	s_addk_i32 s14, 0xe0
	s_cmp_lg_u32 s15, 0
	ds_load_b64 v[5:6], v5
	ds_load_b64 v[7:8], v7
	s_waitcnt lgkmcnt(0)
	v_fma_f64 v[1:2], -v[5:6], v[7:8], v[1:2]
	s_cbranch_scc1 .LBB99_59
	s_branch .LBB99_51
.LBB99_60:
	s_waitcnt vmcnt(0) lgkmcnt(0)
	s_waitcnt_vscnt null, 0x0
	; wave barrier
	s_waitcnt lgkmcnt(0)
	buffer_gl0_inv
	s_and_saveexec_b32 s4, s18
	s_cbranch_execz .LBB99_67
; %bb.61:
	s_cmp_lt_i32 s6, 8
	s_mov_b32 s4, 0
	s_cbranch_scc1 .LBB99_64
; %bb.62:
	v_mad_i64_i32 v[1:2], null, s16, v0, 0
	v_lshl_add_u32 v3, v0, 3, 0x1880
	s_lshl_b32 s4, s20, 3
	s_delay_alu instid0(VALU_DEP_2) | instskip(NEXT) | instid1(VALU_DEP_1)
	v_lshlrev_b64 v[1:2], 3, v[1:2]
	v_add_co_u32 v1, vcc_lo, s5, v1
	s_delay_alu instid0(VALU_DEP_2)
	v_add_co_ci_u32_e32 v2, vcc_lo, s7, v2, vcc_lo
	s_and_b32 s5, s4, 0xc0
	s_mov_b32 s4, 0
	s_mov_b64 s[6:7], 0
	.p2align	6
.LBB99_63:                              ; =>This Inner Loop Header: Depth=1
	ds_load_2addr_b64 v[4:7], v3 offset1:28
	ds_load_2addr_b64 v[8:11], v3 offset0:56 offset1:84
	ds_load_2addr_b64 v[12:15], v3 offset0:112 offset1:140
	;; [unrolled: 1-line block ×3, first 2 shown]
	v_add_co_u32 v20, vcc_lo, v1, s6
	v_add_co_ci_u32_e32 v21, vcc_lo, s7, v2, vcc_lo
	s_add_i32 s4, s4, 8
	v_add_nc_u32_e32 v3, 0x700, v3
	s_add_u32 s6, s6, 64
	s_addc_u32 s7, s7, 0
	s_cmp_lg_u32 s5, s6
	s_waitcnt lgkmcnt(3)
	global_store_b128 v[20:21], v[4:7], off
	s_waitcnt lgkmcnt(2)
	global_store_b128 v[20:21], v[8:11], off offset:16
	s_waitcnt lgkmcnt(1)
	global_store_b128 v[20:21], v[12:15], off offset:32
	s_waitcnt lgkmcnt(0)
	global_store_b128 v[20:21], v[16:19], off offset:48
	s_cbranch_scc1 .LBB99_63
.LBB99_64:
	s_and_b32 s6, s20, 7
	s_mov_b32 s5, 0
	s_cmp_eq_u32 s6, 0
	s_cbranch_scc1 .LBB99_67
; %bb.65:
	v_lshlrev_b32_e32 v2, 3, v0
	s_lshl_b64 s[8:9], s[10:11], 3
	s_lshl_b64 s[10:11], s[4:5], 3
	s_delay_alu instid0(SALU_CYCLE_1) | instskip(NEXT) | instid1(VALU_DEP_1)
	s_add_u32 s2, s2, s10
	v_add_co_u32 v3, s5, s8, v2
	s_delay_alu instid0(VALU_DEP_1) | instskip(SKIP_3) | instid1(VALU_DEP_1)
	v_add_co_ci_u32_e64 v4, null, s9, 0, s5
	s_addc_u32 s3, s3, s11
	s_add_u32 s0, s2, s0
	s_addc_u32 s1, s3, s1
	v_mul_lo_u32 v4, v4, s16
	v_mad_u64_u32 v[0:1], null, v3, s16, s[0:1]
	v_mul_lo_u32 v3, v3, s17
	s_mul_i32 s0, s4, 0xe0
	s_delay_alu instid0(SALU_CYCLE_1) | instskip(NEXT) | instid1(VALU_DEP_2)
	v_add3_u32 v2, s0, v2, 0x1880
	v_add3_u32 v1, v4, v1, v3
.LBB99_66:                              ; =>This Inner Loop Header: Depth=1
	ds_load_b64 v[3:4], v2
	v_add_nc_u32_e32 v2, 0xe0, v2
	s_add_i32 s6, s6, -1
	s_delay_alu instid0(SALU_CYCLE_1)
	s_cmp_lg_u32 s6, 0
	s_waitcnt lgkmcnt(0)
	global_store_b64 v[0:1], v[3:4], off
	v_add_co_u32 v0, vcc_lo, v0, 8
	v_add_co_ci_u32_e32 v1, vcc_lo, 0, v1, vcc_lo
	s_cbranch_scc1 .LBB99_66
.LBB99_67:
	s_nop 0
	s_sendmsg sendmsg(MSG_DEALLOC_VGPRS)
	s_endpgm
	.section	.rodata,"a",@progbits
	.p2align	6, 0x0
	.amdhsa_kernel _ZL38rocblas_trsm_small_left_device_sharedBILi28ELi28ELb1EddPKPKdPKPdEv13rocblas_fill_18rocblas_operation_17rocblas_diagonal_iiT3_T4_lilT5_lili
		.amdhsa_group_segment_fixed_size 12544
		.amdhsa_private_segment_fixed_size 0
		.amdhsa_kernarg_size 360
		.amdhsa_user_sgpr_count 14
		.amdhsa_user_sgpr_dispatch_ptr 0
		.amdhsa_user_sgpr_queue_ptr 0
		.amdhsa_user_sgpr_kernarg_segment_ptr 1
		.amdhsa_user_sgpr_dispatch_id 0
		.amdhsa_user_sgpr_private_segment_size 0
		.amdhsa_wavefront_size32 1
		.amdhsa_uses_dynamic_stack 0
		.amdhsa_enable_private_segment 0
		.amdhsa_system_sgpr_workgroup_id_x 1
		.amdhsa_system_sgpr_workgroup_id_y 0
		.amdhsa_system_sgpr_workgroup_id_z 1
		.amdhsa_system_sgpr_workgroup_info 0
		.amdhsa_system_vgpr_workitem_id 0
		.amdhsa_next_free_vgpr 181
		.amdhsa_next_free_sgpr 52
		.amdhsa_reserve_vcc 1
		.amdhsa_float_round_mode_32 0
		.amdhsa_float_round_mode_16_64 0
		.amdhsa_float_denorm_mode_32 3
		.amdhsa_float_denorm_mode_16_64 3
		.amdhsa_dx10_clamp 1
		.amdhsa_ieee_mode 1
		.amdhsa_fp16_overflow 0
		.amdhsa_workgroup_processor_mode 1
		.amdhsa_memory_ordered 1
		.amdhsa_forward_progress 0
		.amdhsa_shared_vgpr_count 0
		.amdhsa_exception_fp_ieee_invalid_op 0
		.amdhsa_exception_fp_denorm_src 0
		.amdhsa_exception_fp_ieee_div_zero 0
		.amdhsa_exception_fp_ieee_overflow 0
		.amdhsa_exception_fp_ieee_underflow 0
		.amdhsa_exception_fp_ieee_inexact 0
		.amdhsa_exception_int_div_zero 0
	.end_amdhsa_kernel
	.section	.text._ZL38rocblas_trsm_small_left_device_sharedBILi28ELi28ELb1EddPKPKdPKPdEv13rocblas_fill_18rocblas_operation_17rocblas_diagonal_iiT3_T4_lilT5_lili,"axG",@progbits,_ZL38rocblas_trsm_small_left_device_sharedBILi28ELi28ELb1EddPKPKdPKPdEv13rocblas_fill_18rocblas_operation_17rocblas_diagonal_iiT3_T4_lilT5_lili,comdat
.Lfunc_end99:
	.size	_ZL38rocblas_trsm_small_left_device_sharedBILi28ELi28ELb1EddPKPKdPKPdEv13rocblas_fill_18rocblas_operation_17rocblas_diagonal_iiT3_T4_lilT5_lili, .Lfunc_end99-_ZL38rocblas_trsm_small_left_device_sharedBILi28ELi28ELb1EddPKPKdPKPdEv13rocblas_fill_18rocblas_operation_17rocblas_diagonal_iiT3_T4_lilT5_lili
                                        ; -- End function
	.section	.AMDGPU.csdata,"",@progbits
; Kernel info:
; codeLenInByte = 30368
; NumSgprs: 54
; NumVgprs: 181
; ScratchSize: 0
; MemoryBound: 0
; FloatMode: 240
; IeeeMode: 1
; LDSByteSize: 12544 bytes/workgroup (compile time only)
; SGPRBlocks: 6
; VGPRBlocks: 22
; NumSGPRsForWavesPerEU: 54
; NumVGPRsForWavesPerEU: 181
; Occupancy: 3
; WaveLimiterHint : 1
; COMPUTE_PGM_RSRC2:SCRATCH_EN: 0
; COMPUTE_PGM_RSRC2:USER_SGPR: 14
; COMPUTE_PGM_RSRC2:TRAP_HANDLER: 0
; COMPUTE_PGM_RSRC2:TGID_X_EN: 1
; COMPUTE_PGM_RSRC2:TGID_Y_EN: 0
; COMPUTE_PGM_RSRC2:TGID_Z_EN: 1
; COMPUTE_PGM_RSRC2:TIDIG_COMP_CNT: 0
	.section	.text._ZL30rocblas_trsm_small_left_deviceILi28ELi28ELb1EddPKPKdPKPdEv13rocblas_fill_18rocblas_operation_17rocblas_diagonal_iiT3_T4_lilT5_lili,"axG",@progbits,_ZL30rocblas_trsm_small_left_deviceILi28ELi28ELb1EddPKPKdPKPdEv13rocblas_fill_18rocblas_operation_17rocblas_diagonal_iiT3_T4_lilT5_lili,comdat
	.globl	_ZL30rocblas_trsm_small_left_deviceILi28ELi28ELb1EddPKPKdPKPdEv13rocblas_fill_18rocblas_operation_17rocblas_diagonal_iiT3_T4_lilT5_lili ; -- Begin function _ZL30rocblas_trsm_small_left_deviceILi28ELi28ELb1EddPKPKdPKPdEv13rocblas_fill_18rocblas_operation_17rocblas_diagonal_iiT3_T4_lilT5_lili
	.p2align	8
	.type	_ZL30rocblas_trsm_small_left_deviceILi28ELi28ELb1EddPKPKdPKPdEv13rocblas_fill_18rocblas_operation_17rocblas_diagonal_iiT3_T4_lilT5_lili,@function
_ZL30rocblas_trsm_small_left_deviceILi28ELi28ELb1EddPKPKdPKPdEv13rocblas_fill_18rocblas_operation_17rocblas_diagonal_iiT3_T4_lilT5_lili: ; @_ZL30rocblas_trsm_small_left_deviceILi28ELi28ELb1EddPKPKdPKPdEv13rocblas_fill_18rocblas_operation_17rocblas_diagonal_iiT3_T4_lilT5_lili
; %bb.0:
	s_load_b128 s[16:19], s[0:1], 0x40
	s_mov_b32 s2, s15
	s_mov_b32 s3, 0
	s_clause 0x1
	s_load_b128 s[8:11], s[0:1], 0x4
	s_load_b64 s[20:21], s[0:1], 0x28
	s_lshl_b64 s[24:25], s[2:3], 3
	s_mov_b32 s15, exec_lo
	s_waitcnt lgkmcnt(0)
	s_add_u32 s12, s16, s24
	s_addc_u32 s13, s17, s25
	s_load_b128 s[4:7], s[0:1], 0x18
	s_load_b64 s[12:13], s[12:13], 0x0
	s_min_i32 s2, s10, 28
	s_delay_alu instid0(SALU_CYCLE_1)
	s_add_i32 s16, s2, -1
	v_cmpx_gt_i32_e64 s2, v0
	s_cbranch_execz .LBB100_10
; %bb.1:
	s_load_b32 s22, s[0:1], 0x30
	v_lshlrev_b32_e32 v3, 3, v0
	s_waitcnt lgkmcnt(0)
	s_ashr_i32 s23, s22, 31
	s_add_u32 s6, s6, s24
	s_addc_u32 s7, s7, s25
	s_cmp_lt_u32 s16, 3
	s_load_b64 s[6:7], s[6:7], 0x0
	s_cbranch_scc1 .LBB100_4
; %bb.2:
	s_lshl_b64 s[24:25], s[20:21], 3
	v_mov_b32_e32 v4, v3
	s_waitcnt lgkmcnt(0)
	s_add_u32 s3, s6, s24
	s_addc_u32 s17, s7, s25
	v_add_co_u32 v1, s3, s3, v3
	s_delay_alu instid0(VALU_DEP_1)
	v_add_co_ci_u32_e64 v2, null, s17, 0, s3
	s_and_b32 s3, s2, -4
	s_mul_hi_i32 s17, s22, 24
	s_mul_i32 s30, s22, 24
	s_lshl_b64 s[24:25], s[22:23], 5
	s_lshl_b64 s[26:27], s[22:23], 4
	;; [unrolled: 1-line block ×3, first 2 shown]
	s_mov_b32 s31, 0
	.p2align	6
.LBB100_3:                              ; =>This Inner Loop Header: Depth=1
	v_add_co_u32 v5, vcc_lo, v1, s28
	v_add_co_ci_u32_e32 v6, vcc_lo, s29, v2, vcc_lo
	v_add_co_u32 v7, vcc_lo, v1, s26
	v_add_co_ci_u32_e32 v8, vcc_lo, s27, v2, vcc_lo
	v_add_co_u32 v9, vcc_lo, v1, s30
	v_add_co_ci_u32_e32 v10, vcc_lo, s17, v2, vcc_lo
	s_clause 0x3
	global_load_b64 v[11:12], v[1:2], off
	global_load_b64 v[5:6], v[5:6], off
	;; [unrolled: 1-line block ×4, first 2 shown]
	v_add_co_u32 v1, vcc_lo, v1, s24
	v_add_co_ci_u32_e32 v2, vcc_lo, s25, v2, vcc_lo
	s_add_i32 s31, s31, 4
	s_waitcnt vmcnt(2)
	ds_store_2addr_b64 v4, v[11:12], v[5:6] offset1:28
	s_waitcnt vmcnt(0)
	ds_store_2addr_b64 v4, v[7:8], v[9:10] offset0:56 offset1:84
	v_add_nc_u32_e32 v4, 0x380, v4
	s_cmp_eq_u32 s3, s31
	s_cbranch_scc0 .LBB100_3
.LBB100_4:
	s_and_b32 s17, s2, 3
	s_delay_alu instid0(SALU_CYCLE_1)
	s_cmp_eq_u32 s17, 0
	s_cbranch_scc1 .LBB100_7
; %bb.5:
	s_mul_i32 s24, s23, s3
	s_mul_hi_u32 s25, s22, s3
	s_lshl_b64 s[20:21], s[20:21], 3
	s_add_i32 s25, s25, s24
	s_mul_i32 s24, s22, s3
	s_mulk_i32 s3, 0xe0
	s_lshl_b64 s[24:25], s[24:25], 3
	v_lshl_add_u32 v4, v0, 3, s3
	s_add_u32 s3, s24, s20
	s_addc_u32 s20, s25, s21
	s_waitcnt lgkmcnt(0)
	s_add_u32 s3, s6, s3
	s_addc_u32 s6, s7, s20
	v_add_co_u32 v1, s3, s3, v3
	s_delay_alu instid0(VALU_DEP_1)
	v_add_co_ci_u32_e64 v2, null, s6, 0, s3
	s_lshl_b64 s[6:7], s[22:23], 3
.LBB100_6:                              ; =>This Inner Loop Header: Depth=1
	global_load_b64 v[5:6], v[1:2], off
	v_add_co_u32 v1, vcc_lo, v1, s6
	v_add_co_ci_u32_e32 v2, vcc_lo, s7, v2, vcc_lo
	s_add_i32 s17, s17, -1
	s_delay_alu instid0(SALU_CYCLE_1)
	s_cmp_lg_u32 s17, 0
	s_waitcnt vmcnt(0)
	ds_store_b64 v4, v[5:6]
	v_add_nc_u32_e32 v4, 0xe0, v4
	s_cbranch_scc1 .LBB100_6
.LBB100_7:
	v_mul_u32_u24_e32 v3, 29, v0
	v_mov_b32_e32 v1, 0
	v_mov_b32_e32 v2, 0x3ff00000
	s_cmpk_lg_i32 s9, 0x84
	s_delay_alu instid0(VALU_DEP_3)
	v_lshlrev_b32_e32 v3, 3, v3
	s_cbranch_scc0 .LBB100_9
; %bb.8:
	ds_load_b64 v[1:2], v3
	s_waitcnt lgkmcnt(0)
	v_div_scale_f64 v[4:5], null, v[1:2], v[1:2], 1.0
	s_delay_alu instid0(VALU_DEP_1) | instskip(SKIP_2) | instid1(VALU_DEP_1)
	v_rcp_f64_e32 v[6:7], v[4:5]
	s_waitcnt_depctr 0xfff
	v_fma_f64 v[8:9], -v[4:5], v[6:7], 1.0
	v_fma_f64 v[6:7], v[6:7], v[8:9], v[6:7]
	s_delay_alu instid0(VALU_DEP_1) | instskip(NEXT) | instid1(VALU_DEP_1)
	v_fma_f64 v[8:9], -v[4:5], v[6:7], 1.0
	v_fma_f64 v[6:7], v[6:7], v[8:9], v[6:7]
	v_div_scale_f64 v[8:9], vcc_lo, 1.0, v[1:2], 1.0
	s_delay_alu instid0(VALU_DEP_1) | instskip(NEXT) | instid1(VALU_DEP_1)
	v_mul_f64 v[10:11], v[8:9], v[6:7]
	v_fma_f64 v[4:5], -v[4:5], v[10:11], v[8:9]
	s_delay_alu instid0(VALU_DEP_1) | instskip(NEXT) | instid1(VALU_DEP_1)
	v_div_fmas_f64 v[4:5], v[4:5], v[6:7], v[10:11]
	v_div_fixup_f64 v[1:2], v[4:5], v[1:2], 1.0
.LBB100_9:
	ds_store_b64 v3, v[1:2]
.LBB100_10:
	s_or_b32 exec_lo, exec_lo, s15
	s_load_b32 s3, s[0:1], 0x68
	s_waitcnt lgkmcnt(0)
	s_mul_i32 s6, s14, 0xffffffe4
	s_delay_alu instid0(SALU_CYCLE_1) | instskip(SKIP_2) | instid1(SALU_CYCLE_1)
	s_add_i32 s6, s6, s11
	; wave barrier
	buffer_gl0_inv
	s_add_i32 s3, s3, -1
	s_cmp_ge_u32 s14, s3
	s_cselect_b32 s3, s6, 28
	s_delay_alu instid0(SALU_CYCLE_1)
	v_cmp_gt_i32_e32 vcc_lo, s3, v0
	s_mov_b32 s3, -1
	s_and_saveexec_b32 s6, vcc_lo
	s_cbranch_execz .LBB100_54
; %bb.11:
	s_load_b32 s0, s[0:1], 0x50
	v_mad_u64_u32 v[1:2], null, s14, 28, v[0:1]
	s_waitcnt lgkmcnt(0)
	s_delay_alu instid0(VALU_DEP_1) | instskip(SKIP_1) | instid1(SALU_CYCLE_1)
	v_mad_i64_i32 v[2:3], null, s0, v1, 0
	s_lshl_b64 s[0:1], s[18:19], 3
	s_add_u32 s6, s12, s0
	s_addc_u32 s7, s13, s1
	s_cmpk_eq_i32 s8, 0x6f
	s_delay_alu instid0(VALU_DEP_1) | instskip(NEXT) | instid1(VALU_DEP_1)
	v_lshlrev_b64 v[92:93], 3, v[2:3]
	v_add_co_u32 v90, vcc_lo, s6, v92
	s_delay_alu instid0(VALU_DEP_2)
	v_add_co_ci_u32_e32 v91, vcc_lo, s7, v93, vcc_lo
	s_cbranch_scc1 .LBB100_34
; %bb.12:
	s_cmp_gt_i32 s10, 27
	s_mov_b32 s6, s16
	s_cbranch_scc0 .LBB100_14
; %bb.13:
	s_ashr_i32 s17, s16, 31
	s_mov_b32 s3, 0
	s_lshl_b64 s[6:7], s[16:17], 3
	s_delay_alu instid0(SALU_CYCLE_1) | instskip(SKIP_2) | instid1(SALU_CYCLE_1)
	v_add_co_u32 v94, vcc_lo, v90, s6
	v_add_co_ci_u32_e32 v95, vcc_lo, s7, v91, vcc_lo
	s_lshl_b64 s[6:7], s[2:3], 3
	v_add_co_u32 v36, vcc_lo, v90, s6
	global_load_b64 v[12:13], v[94:95], off
	v_add_co_ci_u32_e32 v37, vcc_lo, s7, v91, vcc_lo
	s_clause 0x4
	global_load_b64 v[20:21], v[36:37], off offset:-16
	global_load_b128 v[0:3], v[36:37], off offset:-32
	global_load_b128 v[4:7], v[36:37], off offset:-48
	;; [unrolled: 1-line block ×4, first 2 shown]
	s_mul_i32 s6, s16, 0xe8
	global_load_b128 v[28:31], v[36:37], off offset:-80
	s_add_i32 s3, s6, 0xffffff18
	s_waitcnt vmcnt(6)
	v_mul_f64 v[22:23], v[12:13], s[4:5]
	v_mov_b32_e32 v12, s6
	ds_load_b64 v[24:25], v12
	v_mov_b32_e32 v12, s3
	s_mul_i32 s3, s2, 28
	s_delay_alu instid0(SALU_CYCLE_1) | instskip(SKIP_2) | instid1(SALU_CYCLE_1)
	s_add_i32 s3, s3, s16
	ds_load_2addr_b64 v[12:15], v12 offset1:1
	s_lshl_b32 s3, s3, 3
	s_add_i32 s7, s3, 0xfffffd60
	s_add_i32 s15, s3, 0xfffff1e8
	;; [unrolled: 1-line block ×16, first 2 shown]
	v_mov_b32_e32 v120, s22
	v_mov_b32_e32 v124, s21
	s_add_i32 s22, s3, 0xffffec98
	s_add_i32 s26, s3, 0xffffea10
	;; [unrolled: 1-line block ×4, first 2 shown]
	v_mov_b32_e32 v141, s23
	s_waitcnt lgkmcnt(1)
	v_mul_f64 v[96:97], v[24:25], v[22:23]
	v_mov_b32_e32 v22, s7
	s_add_i32 s7, s6, 0xfffffe30
	s_add_i32 s23, s3, 0xffffec88
	v_mov_b32_e32 v24, s7
	s_add_i32 s7, s3, 0xfffffc78
	ds_load_b64 v[22:23], v22
	ds_load_2addr_b64 v[24:27], v24 offset1:1
	s_waitcnt lgkmcnt(2)
	v_mul_f64 v[14:15], v[96:97], v[14:15]
	s_waitcnt lgkmcnt(1)
	v_mul_f64 v[42:43], v[96:97], v[22:23]
	s_waitcnt vmcnt(5)
	s_delay_alu instid0(VALU_DEP_2) | instskip(SKIP_3) | instid1(VALU_DEP_3)
	v_fma_f64 v[14:15], v[20:21], s[4:5], -v[14:15]
	v_mov_b32_e32 v20, s7
	s_add_i32 s7, s6, 0xfffffd48
	s_waitcnt vmcnt(4)
	v_fma_f64 v[2:3], v[2:3], s[4:5], -v[42:43]
	v_mov_b32_e32 v38, s7
	s_add_i32 s7, s3, 0xfffffba0
	ds_load_2addr_b64 v[32:35], v20 offset1:1
	ds_load_2addr_b64 v[38:41], v38 offset1:1
	v_mul_f64 v[98:99], v[12:13], v[14:15]
	v_mov_b32_e32 v12, s7
	s_add_i32 s7, s3, 0xfffffb90
	s_delay_alu instid0(SALU_CYCLE_1)
	v_mov_b32_e32 v14, s7
	s_add_i32 s7, s3, 0xfffffab8
	ds_load_b64 v[12:13], v12
	ds_load_2addr_b64 v[42:45], v14 offset1:1
	global_load_b128 v[20:23], v[36:37], off offset:-96
	s_waitcnt lgkmcnt(3)
	v_mul_f64 v[34:35], v[96:97], v[34:35]
	v_fma_f64 v[26:27], -v[98:99], v[26:27], v[2:3]
	s_delay_alu instid0(VALU_DEP_2)
	v_fma_f64 v[34:35], v[0:1], s[4:5], -v[34:35]
	v_mov_b32_e32 v0, s7
	s_add_i32 s7, s3, 0xfffff9e0
	ds_load_2addr_b64 v[0:3], v0 offset1:1
	s_waitcnt lgkmcnt(2)
	v_mul_f64 v[46:47], v[96:97], v[12:13]
	global_load_b128 v[12:15], v[36:37], off offset:-112
	s_waitcnt lgkmcnt(0)
	v_mul_f64 v[48:49], v[96:97], v[2:3]
	v_mul_f64 v[2:3], v[24:25], v[26:27]
	v_mov_b32_e32 v24, s7
	s_add_i32 s7, s3, 0xfffff900
	ds_load_b64 v[24:25], v24
	v_fma_f64 v[32:33], -v[98:99], v[32:33], v[34:35]
	s_waitcnt vmcnt(5)
	v_fma_f64 v[6:7], v[6:7], s[4:5], -v[46:47]
	s_waitcnt lgkmcnt(0)
	v_mul_f64 v[34:35], v[96:97], v[24:25]
	v_mov_b32_e32 v24, s7
	s_add_i32 s7, s6, 0xfffffc60
	v_fma_f64 v[4:5], v[4:5], s[4:5], -v[48:49]
	v_fma_f64 v[32:33], -v[2:3], v[40:41], v[32:33]
	ds_load_b64 v[40:41], v24
	global_load_b128 v[24:27], v[36:37], off offset:-128
	v_fma_f64 v[6:7], -v[98:99], v[44:45], v[6:7]
	s_waitcnt vmcnt(5)
	v_fma_f64 v[18:19], v[18:19], s[4:5], -v[34:35]
	s_waitcnt lgkmcnt(0)
	v_mul_f64 v[46:47], v[96:97], v[40:41]
	v_fma_f64 v[48:49], -v[98:99], v[0:1], v[4:5]
	v_mov_b32_e32 v4, s8
	s_add_i32 s8, s3, 0xfffffaa8
	v_mov_b32_e32 v5, s9
	s_add_i32 s9, s3, 0xfffff7f8
	v_mul_f64 v[0:1], v[38:39], v[32:33]
	v_mov_b32_e32 v32, s7
	s_add_i32 s7, s6, 0xfffffb78
	s_delay_alu instid0(SALU_CYCLE_1)
	v_mov_b32_e32 v38, s7
	s_add_i32 s7, s3, 0xfffff740
	v_fma_f64 v[50:51], -v[2:3], v[42:43], v[6:7]
	v_mov_b32_e32 v6, s8
	ds_load_b64 v[52:53], v4
	ds_load_b64 v[54:55], v5
	ds_load_2addr_b64 v[4:7], v6 offset1:1
	ds_load_2addr_b64 v[32:35], v32 offset1:1
	s_add_i32 s8, s3, 0xfffff9c8
	s_delay_alu instid0(SALU_CYCLE_1)
	v_mov_b32_e32 v42, s8
	s_add_i32 s8, s3, 0xfffff8f0
	ds_load_2addr_b64 v[38:41], v38 offset1:1
	ds_load_2addr_b64 v[42:45], v42 offset1:1
	v_fma_f64 v[58:59], v[16:17], s[4:5], -v[46:47]
	v_mov_b32_e32 v46, s8
	v_mov_b32_e32 v16, s7
	s_add_i32 s7, s3, 0xfffff8e0
	s_add_i32 s8, s3, 0xfffff818
	s_waitcnt lgkmcnt(5)
	v_mul_f64 v[56:57], v[96:97], v[52:53]
	s_waitcnt lgkmcnt(4)
	v_fma_f64 v[54:55], -v[98:99], v[54:55], v[18:19]
	s_waitcnt lgkmcnt(3)
	v_fma_f64 v[6:7], -v[2:3], v[6:7], v[48:49]
	ds_load_2addr_b64 v[46:49], v46 offset1:1
	ds_load_b64 v[60:61], v16
	global_load_b128 v[16:19], v[36:37], off offset:-144
	s_waitcnt lgkmcnt(4)
	v_fma_f64 v[34:35], -v[0:1], v[34:35], v[50:51]
	v_mov_b32_e32 v50, s7
	s_add_i32 s7, s3, 0xfffff660
	ds_load_2addr_b64 v[50:53], v50 offset1:1
	s_waitcnt lgkmcnt(1)
	v_mul_f64 v[60:61], v[96:97], v[60:61]
	v_fma_f64 v[48:49], -v[98:99], v[48:49], v[58:59]
	s_waitcnt vmcnt(4)
	v_fma_f64 v[30:31], v[30:31], s[4:5], -v[56:57]
	v_fma_f64 v[44:45], -v[2:3], v[44:45], v[54:55]
	v_fma_f64 v[4:5], -v[0:1], v[4:5], v[6:7]
	v_mul_f64 v[6:7], v[32:33], v[34:35]
	v_mov_b32_e32 v32, s7
	v_mov_b32_e32 v34, s8
	ds_load_b64 v[32:33], v32
	ds_load_b64 v[34:35], v34
	s_add_i32 s7, s3, 0xfffff808
	s_add_i32 s8, s3, 0xfffff730
	v_mov_b32_e32 v54, s7
	s_add_i32 s7, s3, 0xfffff578
	v_fma_f64 v[64:65], v[28:29], s[4:5], -v[60:61]
	v_mov_b32_e32 v28, s7
	s_add_i32 s7, s3, 0xfffff9b8
	v_fma_f64 v[48:49], -v[2:3], v[46:47], v[48:49]
	v_mov_b32_e32 v29, s8
	ds_load_2addr_b64 v[54:57], v54 offset1:1
	s_add_i32 s8, s3, 0xfffff658
	v_fma_f64 v[68:69], -v[0:1], v[42:43], v[44:45]
	v_mov_b32_e32 v44, s7
	s_add_i32 s7, s3, 0xfffff720
	s_waitcnt lgkmcnt(2)
	v_mul_f64 v[62:63], v[96:97], v[32:33]
	s_waitcnt lgkmcnt(1)
	v_fma_f64 v[66:67], -v[98:99], v[34:35], v[30:31]
	global_load_b128 v[32:35], v[36:37], off offset:-160
	v_mov_b32_e32 v58, s7
	s_add_i32 s7, s3, 0xfffff4a0
	v_fma_f64 v[4:5], -v[6:7], v[40:41], v[4:5]
	ds_load_2addr_b64 v[40:43], v28 offset1:1
	ds_load_2addr_b64 v[28:31], v29 offset1:1
	;; [unrolled: 1-line block ×4, first 2 shown]
	v_fma_f64 v[52:53], -v[0:1], v[52:53], v[48:49]
	s_waitcnt lgkmcnt(3)
	v_mul_f64 v[42:43], v[96:97], v[42:43]
	s_waitcnt lgkmcnt(2)
	v_fma_f64 v[30:31], -v[98:99], v[30:31], v[64:65]
	v_fma_f64 v[56:57], -v[2:3], v[56:57], v[66:67]
	v_mul_f64 v[4:5], v[38:39], v[4:5]
	v_mov_b32_e32 v38, s7
	s_add_i32 s7, s3, 0xfffff648
	s_waitcnt vmcnt(4)
	v_fma_f64 v[22:23], v[22:23], s[4:5], -v[62:63]
	s_waitcnt lgkmcnt(1)
	v_fma_f64 v[62:63], -v[6:7], v[46:47], v[68:69]
	v_mov_b32_e32 v46, s8
	ds_load_b64 v[38:39], v38
	ds_load_b64 v[64:65], v46
	v_fma_f64 v[74:75], -v[6:7], v[50:51], v[52:53]
	v_mov_b32_e32 v46, s7
	s_add_i32 s7, s3, 0xfffff3b8
	s_add_i32 s8, s6, 0xfffffa90
	v_fma_f64 v[66:67], v[20:21], s[4:5], -v[42:43]
	v_fma_f64 v[70:71], -v[2:3], v[28:29], v[30:31]
	v_mov_b32_e32 v20, s7
	s_add_i32 s7, s3, 0xfffff8d0
	v_mov_b32_e32 v21, s9
	v_fma_f64 v[72:73], -v[0:1], v[54:55], v[56:57]
	v_mov_b32_e32 v50, s7
	v_mov_b32_e32 v54, s8
	ds_load_2addr_b64 v[46:49], v46 offset1:1
	global_load_b128 v[28:31], v[36:37], off offset:-176
	s_add_i32 s7, s3, 0xfffff7e8
	s_add_i32 s8, s3, 0xfffff3a8
	s_waitcnt lgkmcnt(2)
	v_mul_f64 v[38:39], v[96:97], v[38:39]
	s_add_i32 s9, s3, 0xfffff638
	s_waitcnt lgkmcnt(1)
	v_fma_f64 v[68:69], -v[98:99], v[64:65], v[22:23]
	v_fma_f64 v[76:77], -v[4:5], v[44:45], v[62:63]
	ds_load_2addr_b64 v[42:45], v20 offset1:1
	ds_load_2addr_b64 v[20:23], v21 offset1:1
	ds_load_2addr_b64 v[50:53], v50 offset1:1
	ds_load_b64 v[78:79], v54
	v_mov_b32_e32 v54, s7
	s_add_i32 s7, s3, 0xfffff2e0
	v_mov_b32_e32 v62, s8
	s_add_i32 s8, s3, 0xfffff490
	ds_load_2addr_b64 v[54:57], v54 offset1:1
	ds_load_2addr_b64 v[62:65], v62 offset1:1
	v_fma_f64 v[82:83], -v[98:99], v[40:41], v[66:67]
	v_fma_f64 v[60:61], -v[0:1], v[60:61], v[70:71]
	s_waitcnt lgkmcnt(4)
	v_fma_f64 v[22:23], -v[6:7], v[22:23], v[72:73]
	v_mul_f64 v[44:45], v[96:97], v[44:45]
	s_waitcnt lgkmcnt(3)
	v_fma_f64 v[52:53], -v[4:5], v[52:53], v[74:75]
	s_waitcnt vmcnt(4)
	v_fma_f64 v[80:81], v[14:15], s[4:5], -v[38:39]
	v_mov_b32_e32 v38, s7
	s_add_i32 s7, s3, 0xfffff568
	s_delay_alu instid0(SALU_CYCLE_1)
	v_dual_mov_b32 v39, s8 :: v_dual_mov_b32 v66, s7
	s_add_i32 s7, s3, 0xfffff558
	s_add_i32 s8, s3, 0xfffff480
	v_mov_b32_e32 v70, s7
	s_add_i32 s7, s3, 0xfffff1f8
	v_mov_b32_e32 v74, s8
	s_add_i32 s8, s6, 0xfffff9a8
	v_fma_f64 v[48:49], -v[2:3], v[48:49], v[68:69]
	s_waitcnt lgkmcnt(2)
	v_mul_f64 v[14:15], v[78:79], v[76:77]
	ds_load_b64 v[78:79], v38
	ds_load_2addr_b64 v[38:41], v39 offset1:1
	ds_load_2addr_b64 v[66:69], v66 offset1:1
	;; [unrolled: 1-line block ×4, first 2 shown]
	v_fma_f64 v[100:101], -v[6:7], v[58:59], v[60:61]
	s_waitcnt lgkmcnt(4)
	v_mul_f64 v[86:87], v[96:97], v[78:79]
	v_fma_f64 v[102:103], -v[4:5], v[20:21], v[22:23]
	v_fma_f64 v[12:13], v[12:13], s[4:5], -v[44:45]
	v_mov_b32_e32 v20, s7
	s_add_i32 s7, s3, 0xfffff710
	s_waitcnt lgkmcnt(3)
	v_fma_f64 v[40:41], -v[98:99], v[40:41], v[80:81]
	v_mov_b32_e32 v58, s7
	v_mov_b32_e32 v78, s8
	s_waitcnt lgkmcnt(2)
	v_fma_f64 v[68:69], -v[2:3], v[68:69], v[82:83]
	s_add_i32 s7, s3, 0xfffff700
	s_add_i32 s8, s3, 0xfffff628
	s_delay_alu instid0(SALU_CYCLE_1)
	v_mov_b32_e32 v82, s8
	s_add_i32 s8, s3, 0xfffff2d0
	v_fma_f64 v[88:89], -v[0:1], v[46:47], v[48:49]
	v_fma_f64 v[52:53], -v[14:15], v[50:51], v[52:53]
	v_mov_b32_e32 v48, s9
	ds_load_2addr_b64 v[44:47], v20 offset1:1
	global_load_b128 v[20:23], v[36:37], off offset:-192
	ds_load_2addr_b64 v[48:51], v48 offset1:1
	ds_load_2addr_b64 v[58:61], v58 offset1:1
	ds_load_b64 v[104:105], v78
	v_mov_b32_e32 v78, s7
	s_add_i32 s7, s3, 0xfffff120
	ds_load_2addr_b64 v[78:81], v78 offset1:1
	ds_load_2addr_b64 v[82:85], v82 offset1:1
	s_add_i32 s9, s3, 0xfffff470
	s_waitcnt vmcnt(4)
	v_fma_f64 v[26:27], v[26:27], s[4:5], -v[86:87]
	v_fma_f64 v[56:57], -v[14:15], v[56:57], v[102:103]
	v_fma_f64 v[86:87], -v[98:99], v[42:43], v[12:13]
	s_waitcnt lgkmcnt(5)
	v_mul_f64 v[46:47], v[96:97], v[46:47]
	v_fma_f64 v[38:39], -v[2:3], v[38:39], v[40:41]
	v_dual_mov_b32 v40, s7 :: v_dual_mov_b32 v41, s8
	s_waitcnt lgkmcnt(3)
	v_fma_f64 v[60:61], -v[4:5], v[60:61], v[100:101]
	v_fma_f64 v[106:107], -v[0:1], v[66:67], v[68:69]
	s_add_i32 s7, s3, 0xfffff2c0
	s_add_i32 s8, s3, 0xfffff548
	v_mov_b32_e32 v66, s7
	s_add_i32 s7, s3, 0xfffff038
	v_fma_f64 v[50:51], -v[6:7], v[50:51], v[88:89]
	s_waitcnt lgkmcnt(2)
	v_mul_f64 v[12:13], v[104:105], v[52:53]
	ds_load_b64 v[52:53], v40
	ds_load_2addr_b64 v[40:43], v41 offset1:1
	ds_load_2addr_b64 v[66:69], v66 offset1:1
	s_waitcnt lgkmcnt(2)
	v_mul_f64 v[52:53], v[96:97], v[52:53]
	s_waitcnt lgkmcnt(1)
	v_fma_f64 v[42:43], -v[98:99], v[42:43], v[26:27]
	v_fma_f64 v[64:65], -v[2:3], v[64:65], v[86:87]
	v_fma_f64 v[46:47], v[24:25], s[4:5], -v[46:47]
	v_fma_f64 v[76:77], -v[0:1], v[76:77], v[38:39]
	v_mov_b32_e32 v24, s7
	s_add_i32 s7, s6, 0xfffff8c0
	s_addk_i32 s6, 0xf7d8
	v_fma_f64 v[72:73], -v[6:7], v[72:73], v[106:107]
	ds_load_2addr_b64 v[86:89], v24 offset1:1
	v_fma_f64 v[48:49], -v[4:5], v[48:49], v[50:51]
	v_fma_f64 v[50:51], -v[14:15], v[58:59], v[60:61]
	;; [unrolled: 1-line block ×4, first 2 shown]
	v_mov_b32_e32 v40, s17
	v_fma_f64 v[62:63], -v[0:1], v[62:63], v[64:65]
	v_fma_f64 v[64:65], -v[6:7], v[74:75], v[76:77]
	;; [unrolled: 1-line block ×3, first 2 shown]
	v_mov_b32_e32 v42, s18
	ds_load_b64 v[118:119], v40
	global_load_b128 v[24:27], v[36:37], off offset:-208
	v_mov_b32_e32 v36, s7
	s_waitcnt lgkmcnt(1)
	v_mul_f64 v[60:61], v[96:97], v[88:89]
	s_waitcnt vmcnt(4)
	v_fma_f64 v[88:89], v[18:19], s[4:5], -v[52:53]
	v_fma_f64 v[116:117], -v[4:5], v[70:71], v[72:73]
	s_add_i32 s7, s3, 0xfffff028
	ds_load_b64 v[56:57], v36
	v_mov_b32_e32 v36, s7
	v_mov_b32_e32 v44, s14
	v_fma_f64 v[84:85], -v[14:15], v[84:85], v[48:49]
	v_fma_f64 v[80:81], -v[12:13], v[80:81], v[50:51]
	v_dual_mov_b32 v43, s15 :: v_dual_mov_b32 v40, s9
	v_mov_b32_e32 v41, s8
	ds_load_2addr_b64 v[36:39], v36 offset1:1
	ds_load_2addr_b64 v[70:73], v42 offset1:1
	;; [unrolled: 1-line block ×6, first 2 shown]
	s_add_i32 s7, s3, 0xfffff538
	s_add_i32 s8, s3, 0xfffff388
	s_waitcnt lgkmcnt(7)
	v_mul_f64 v[118:119], v[96:97], v[118:119]
	v_mov_b32_e32 v40, s7
	s_add_i32 s7, s3, 0xffffee78
	s_add_i32 s9, s3, 0xfffff1d8
	v_mov_b32_e32 v44, s11
	s_add_i32 s14, s3, 0xfffff100
	v_mov_b32_e32 v48, s8
	s_waitcnt lgkmcnt(6)
	v_mul_f64 v[18:19], v[56:57], v[54:55]
	v_mov_b32_e32 v52, s9
	v_mov_b32_e32 v56, s14
	ds_load_2addr_b64 v[40:43], v40 offset1:1
	ds_load_2addr_b64 v[44:47], v44 offset1:1
	;; [unrolled: 1-line block ×5, first 2 shown]
	s_add_i32 s8, s3, 0xfffff2a0
	v_fma_f64 v[68:69], -v[0:1], v[68:69], v[114:115]
	s_add_i32 s9, s3, 0xffffef40
	s_add_i32 s17, s3, 0xfffff018
	;; [unrolled: 1-line block ×3, first 2 shown]
	s_waitcnt lgkmcnt(6)
	v_fma_f64 v[64:65], -v[4:5], v[106:107], v[64:65]
	v_fma_f64 v[76:77], -v[2:3], v[76:77], v[112:113]
	s_add_i32 s18, s3, 0xfffff1c8
	s_add_i32 s15, s3, 0xfffff1b8
	;; [unrolled: 1-line block ×3, first 2 shown]
	v_fma_f64 v[16:17], v[16:17], s[4:5], -v[60:61]
	v_fma_f64 v[72:73], -v[98:99], v[72:73], v[88:89]
	v_fma_f64 v[88:89], -v[6:7], v[102:103], v[62:63]
	s_waitcnt lgkmcnt(5)
	v_fma_f64 v[102:103], -v[14:15], v[110:111], v[116:117]
	v_mov_b32_e32 v60, s7
	s_add_i32 s7, s3, 0xfffff618
	v_fma_f64 v[106:107], -v[12:13], v[82:83], v[84:85]
	ds_load_2addr_b64 v[60:63], v60 offset1:1
	s_waitcnt vmcnt(3)
	v_fma_f64 v[34:35], v[34:35], s[4:5], -v[118:119]
	v_fma_f64 v[78:79], -v[18:19], v[78:79], v[80:81]
	v_dual_mov_b32 v80, s7 :: v_dual_mov_b32 v81, s6
	ds_load_2addr_b64 v[82:85], v80 offset1:1
	ds_load_b64 v[80:81], v81
	s_waitcnt lgkmcnt(2)
	v_mul_f64 v[62:63], v[96:97], v[62:63]
	v_fma_f64 v[114:115], -v[6:7], v[66:67], v[68:69]
	v_fma_f64 v[64:65], -v[14:15], v[104:105], v[64:65]
	;; [unrolled: 1-line block ×3, first 2 shown]
	s_add_i32 s6, s3, 0xffffeda0
	s_add_i32 s7, s3, 0xffffef50
	v_mov_b32_e32 v66, s6
	v_fma_f64 v[86:87], -v[98:99], v[86:87], v[16:17]
	v_fma_f64 v[110:111], -v[2:3], v[70:71], v[72:73]
	;; [unrolled: 1-line block ×4, first 2 shown]
	s_add_i32 s6, s3, 0xfffff2b0
	s_delay_alu instid0(SALU_CYCLE_1)
	v_dual_mov_b32 v67, s7 :: v_dual_mov_b32 v70, s6
	ds_load_b64 v[102:103], v66
	s_mul_i32 s6, s2, 0xe8
	v_mov_b32_e32 v75, s8
	s_add_i32 s7, s6, 0xfffff608
	ds_load_2addr_b64 v[70:73], v70 offset1:1
	s_waitcnt lgkmcnt(3)
	v_fma_f64 v[84:85], -v[18:19], v[84:85], v[106:107]
	ds_load_2addr_b64 v[66:69], v67 offset1:1
	v_mov_b32_e32 v74, s7
	s_add_i32 s7, s6, 0xfffff520
	s_add_i32 s8, s6, 0xfffff438
	v_mov_b32_e32 v106, s7
	s_add_i32 s7, s3, 0xffffecb8
	ds_load_b64 v[104:105], v74
	v_mov_b32_e32 v140, s8
	s_add_i32 s8, s3, 0xfffff008
	s_waitcnt lgkmcnt(4)
	v_mul_f64 v[16:17], v[80:81], v[78:79]
	v_mov_b32_e32 v78, s9
	ds_load_2addr_b64 v[74:77], v75 offset1:1
	ds_load_2addr_b64 v[78:81], v78 offset1:1
	s_waitcnt lgkmcnt(5)
	v_mul_f64 v[102:103], v[96:97], v[102:103]
	v_fma_f64 v[32:33], v[32:33], s[4:5], -v[62:63]
	v_mov_b32_e32 v62, s7
	s_waitcnt lgkmcnt(3)
	v_fma_f64 v[34:35], -v[98:99], v[68:69], v[34:35]
	v_fma_f64 v[68:69], -v[4:5], v[72:73], v[114:115]
	;; [unrolled: 1-line block ×4, first 2 shown]
	s_add_i32 s7, s3, 0xffffee58
	v_fma_f64 v[38:39], -v[2:3], v[38:39], v[86:87]
	v_fma_f64 v[58:59], -v[0:1], v[58:59], v[110:111]
	;; [unrolled: 1-line block ×4, first 2 shown]
	ds_load_2addr_b64 v[86:89], v62 offset1:1
	s_add_i32 s9, s3, 0xffffed80
	v_fma_f64 v[72:73], -v[16:17], v[82:83], v[84:85]
	ds_load_2addr_b64 v[82:85], v106 offset1:1
	s_waitcnt vmcnt(2)
	v_fma_f64 v[128:129], v[30:31], s[4:5], -v[102:103]
	v_fma_f64 v[32:33], -v[98:99], v[60:61], v[32:33]
	v_fma_f64 v[34:35], -v[2:3], v[66:67], v[34:35]
	;; [unrolled: 1-line block ×5, first 2 shown]
	v_mov_b32_e32 v44, s15
	v_fma_f64 v[60:61], -v[0:1], v[36:37], v[38:39]
	v_mov_b32_e32 v37, s25
	v_fma_f64 v[130:131], -v[6:7], v[56:57], v[58:59]
	v_fma_f64 v[134:135], -v[12:13], v[48:49], v[50:51]
	;; [unrolled: 1-line block ×3, first 2 shown]
	v_dual_mov_b32 v38, s20 :: v_dual_mov_b32 v39, s19
	v_mov_b32_e32 v40, s17
	v_mov_b32_e32 v36, s18
	;; [unrolled: 1-line block ×6, first 2 shown]
	s_add_i32 s11, s3, 0xffffef30
	s_add_i32 s7, s6, 0xfffff350
	;; [unrolled: 1-line block ×10, first 2 shown]
	s_waitcnt lgkmcnt(4)
	v_mul_f64 v[30:31], v[104:105], v[72:73]
	ds_load_b64 v[72:73], v37
	s_waitcnt lgkmcnt(2)
	v_mul_f64 v[88:89], v[96:97], v[88:89]
	v_dual_mov_b32 v62, s24 :: v_dual_mov_b32 v37, s14
	s_add_i32 s24, s3, 0xffffeaf8
	s_add_i32 s14, s3, 0xffffeff8
	ds_load_2addr_b64 v[62:65], v62 offset1:1
	ds_load_2addr_b64 v[100:103], v38 offset1:1
	;; [unrolled: 1-line block ×8, first 2 shown]
	v_fma_f64 v[76:77], -v[12:13], v[76:77], v[70:71]
	ds_load_2addr_b64 v[36:39], v140 offset1:1
	ds_load_2addr_b64 v[40:43], v141 offset1:1
	;; [unrolled: 1-line block ×7, first 2 shown]
	v_fma_f64 v[80:81], -v[0:1], v[80:81], v[34:35]
	s_waitcnt lgkmcnt(15)
	v_mul_f64 v[140:141], v[96:97], v[72:73]
	s_waitcnt lgkmcnt(11)
	v_fma_f64 v[60:61], -v[6:7], v[110:111], v[60:61]
	s_waitcnt lgkmcnt(9)
	v_fma_f64 v[110:111], -v[14:15], v[118:119], v[132:133]
	;; [unrolled: 2-line block ×3, first 2 shown]
	v_fma_f64 v[84:85], -v[30:31], v[84:85], v[138:139]
	v_fma_f64 v[28:29], v[28:29], s[4:5], -v[88:89]
	v_fma_f64 v[88:89], -v[98:99], v[102:103], v[128:129]
	v_fma_f64 v[102:103], -v[2:3], v[106:107], v[32:33]
	;; [unrolled: 1-line block ×4, first 2 shown]
	v_mov_b32_e32 v32, s24
	s_add_i32 s24, s3, 0xffffeae8
	ds_load_2addr_b64 v[70:73], v32 offset1:1
	v_fma_f64 v[130:131], -v[6:7], v[78:79], v[80:81]
	v_mov_b32_e32 v80, s15
	s_add_i32 s15, s3, 0xffffefe8
	s_waitcnt vmcnt(1)
	v_fma_f64 v[22:23], v[22:23], s[4:5], -v[140:141]
	v_fma_f64 v[60:61], -v[4:5], v[108:109], v[60:61]
	v_fma_f64 v[110:111], -v[12:13], v[116:117], v[110:111]
	;; [unrolled: 1-line block ×3, first 2 shown]
	v_mov_b32_e32 v124, s20
	s_add_i32 s20, s3, 0xffffed70
	v_fma_f64 v[126:127], -v[98:99], v[86:87], v[28:29]
	v_fma_f64 v[88:89], -v[2:3], v[100:101], v[88:89]
	;; [unrolled: 1-line block ×5, first 2 shown]
	v_mov_b32_e32 v76, s11
	v_fma_f64 v[114:115], -v[16:17], v[120:121], v[114:115]
	v_mul_f64 v[28:29], v[82:83], v[84:85]
	ds_load_2addr_b64 v[80:83], v80 offset1:1
	v_mov_b32_e32 v84, s17
	ds_load_2addr_b64 v[76:79], v76 offset1:1
	s_waitcnt lgkmcnt(2)
	v_mul_f64 v[122:123], v[96:97], v[72:73]
	v_mov_b32_e32 v32, s7
	v_dual_mov_b32 v72, s8 :: v_dual_mov_b32 v73, s9
	v_mov_b32_e32 v100, s18
	v_mov_b32_e32 v104, s19
	ds_load_2addr_b64 v[32:35], v32 offset1:1
	ds_load_b64 v[118:119], v72
	ds_load_2addr_b64 v[72:75], v73 offset1:1
	ds_load_2addr_b64 v[84:87], v84 offset1:1
	;; [unrolled: 1-line block ×4, first 2 shown]
	s_add_i32 s18, s3, 0xffffee48
	s_add_i32 s9, s3, 0xfffff0d0
	s_add_i32 s7, s3, 0xfffff1a8
	s_add_i32 s8, s3, 0xfffff198
	s_add_i32 s11, s3, 0xfffff0c0
	v_fma_f64 v[54:55], -v[14:15], v[54:55], v[60:61]
	s_add_i32 s19, s3, 0xffffee38
	v_fma_f64 v[46:47], -v[18:19], v[46:47], v[110:111]
	v_mov_b32_e32 v110, s9
	s_waitcnt lgkmcnt(6)
	v_fma_f64 v[78:79], -v[4:5], v[78:79], v[130:131]
	s_add_i32 s17, s3, 0xffffea00
	v_mov_b32_e32 v111, s11
	s_add_i32 s9, s3, 0xffffeba0
	s_add_i32 s11, s3, 0xffffe840
	s_waitcnt lgkmcnt(4)
	v_mul_f64 v[118:119], v[96:97], v[118:119]
	s_waitcnt lgkmcnt(3)
	v_fma_f64 v[74:75], -v[98:99], v[74:75], v[22:23]
	v_fma_f64 v[64:65], -v[2:3], v[64:65], v[126:127]
	;; [unrolled: 1-line block ×8, first 2 shown]
	v_dual_mov_b32 v58, s27 :: v_dual_mov_b32 v117, s28
	v_fma_f64 v[120:121], v[20:21], s[4:5], -v[122:123]
	ds_load_2addr_b64 v[20:23], v124 offset1:1
	v_mov_b32_e32 v116, s20
	v_mov_b32_e32 v114, s18
	ds_load_2addr_b64 v[58:61], v58 offset1:1
	ds_load_b64 v[150:151], v117
	v_mov_b32_e32 v112, s14
	v_dual_mov_b32 v108, s7 :: v_dual_mov_b32 v109, s8
	v_mov_b32_e32 v113, s15
	v_dual_mov_b32 v115, s19 :: v_dual_mov_b32 v124, s25
	v_mov_b32_e32 v128, s17
	s_add_i32 s7, s3, 0xffffe778
	s_add_i32 s8, s3, 0xffffebb0
	v_fma_f64 v[142:143], -v[12:13], v[52:53], v[54:55]
	s_add_i32 s20, s3, 0xffffeac8
	v_fma_f64 v[146:147], -v[16:17], v[44:45], v[46:47]
	v_mov_b32_e32 v44, s22
	s_add_i32 s22, s3, 0xffffe9f0
	s_add_i32 s18, s3, 0xffffec78
	s_waitcnt lgkmcnt(2)
	v_mul_f64 v[132:133], v[96:97], v[22:23]
	s_add_i32 s15, s3, 0xffffed50
	s_add_i32 s14, s3, 0xffffee18
	;; [unrolled: 1-line block ×3, first 2 shown]
	s_waitcnt lgkmcnt(0)
	v_mul_f64 v[150:151], v[96:97], v[150:151]
	s_add_i32 s19, s3, 0xffffec68
	s_waitcnt vmcnt(0)
	v_fma_f64 v[26:27], v[26:27], s[4:5], -v[118:119]
	v_fma_f64 v[136:137], -v[2:3], v[72:73], v[74:75]
	v_fma_f64 v[138:139], -v[0:1], v[62:63], v[64:65]
	;; [unrolled: 1-line block ×8, first 2 shown]
	v_mul_f64 v[22:23], v[36:37], v[38:39]
	v_mov_b32_e32 v36, s26
	v_fma_f64 v[134:135], -v[98:99], v[70:71], v[120:121]
	v_mov_b32_e32 v40, s24
	ds_load_2addr_b64 v[36:39], v36 offset1:1
	ds_load_2addr_b64 v[40:43], v40 offset1:1
	;; [unrolled: 1-line block ×5, first 2 shown]
	v_mov_b32_e32 v118, s21
	v_mov_b32_e32 v120, s23
	ds_load_2addr_b64 v[62:65], v112 offset1:1
	ds_load_2addr_b64 v[66:69], v110 offset1:1
	;; [unrolled: 1-line block ×11, first 2 shown]
	s_add_i32 s24, s3, 0xffffe918
	s_add_i32 s21, s3, 0xffffeab8
	;; [unrolled: 1-line block ×6, first 2 shown]
	s_waitcnt lgkmcnt(10)
	v_fma_f64 v[64:65], -v[18:19], v[64:65], v[142:143]
	v_fma_f64 v[132:133], v[24:25], s[4:5], -v[132:133]
	s_waitcnt lgkmcnt(8)
	v_fma_f64 v[72:73], -v[30:31], v[72:73], v[146:147]
	v_mov_b32_e32 v24, s7
	s_add_i32 s7, s6, 0xfffff268
	v_fma_f64 v[10:11], v[10:11], s[4:5], -v[150:151]
	v_fma_f64 v[38:39], -v[98:99], v[38:39], v[26:27]
	v_fma_f64 v[106:107], -v[0:1], v[106:107], v[136:137]
	;; [unrolled: 1-line block ×4, first 2 shown]
	ds_load_2addr_b64 v[24:27], v24 offset1:1
	v_fma_f64 v[88:89], -v[12:13], v[102:103], v[88:89]
	v_fma_f64 v[68:69], -v[16:17], v[68:69], v[144:145]
	;; [unrolled: 1-line block ×6, first 2 shown]
	v_mov_b32_e32 v54, s7
	s_add_i32 s7, s3, 0xffffe850
	s_delay_alu instid0(SALU_CYCLE_1)
	v_mov_b32_e32 v138, s7
	s_add_i32 s7, s6, 0xfffff180
	ds_load_2addr_b64 v[54:57], v54 offset1:1
	s_waitcnt lgkmcnt(1)
	v_mul_f64 v[26:27], v[96:97], v[26:27]
	v_fma_f64 v[86:87], -v[98:99], v[20:21], v[132:133]
	v_fma_f64 v[70:71], -v[28:29], v[70:71], v[72:73]
	;; [unrolled: 1-line block ×6, first 2 shown]
	v_mov_b32_e32 v36, s8
	v_fma_f64 v[88:89], -v[18:19], v[100:101], v[88:89]
	v_fma_f64 v[100:101], -v[16:17], v[62:63], v[64:65]
	;; [unrolled: 1-line block ×3, first 2 shown]
	s_add_i32 s8, s6, 0xfffff098
	v_mul_f64 v[20:21], v[32:33], v[34:35]
	ds_load_2addr_b64 v[32:35], v138 offset1:1
	v_fma_f64 v[132:133], -v[0:1], v[40:41], v[42:43]
	v_fma_f64 v[52:53], -v[12:13], v[52:53], v[134:135]
	;; [unrolled: 1-line block ×3, first 2 shown]
	v_mov_b32_e32 v40, s7
	s_add_i32 s7, s3, 0xffffef10
	ds_load_2addr_b64 v[36:39], v36 offset1:1
	ds_load_2addr_b64 v[40:43], v40 offset1:1
	v_mov_b32_e32 v44, s7
	v_mov_b32_e32 v150, s8
	s_add_i32 s8, s3, 0xffffef00
	v_mov_b32_e32 v62, s9
	v_mov_b32_e32 v48, s8
	ds_load_2addr_b64 v[44:47], v44 offset1:1
	v_fma_f64 v[8:9], v[8:9], s[4:5], -v[26:27]
	v_mov_b32_e32 v66, s11
	ds_load_2addr_b64 v[48:51], v48 offset1:1
	ds_load_2addr_b64 v[62:65], v62 offset1:1
	;; [unrolled: 1-line block ×3, first 2 shown]
	s_waitcnt lgkmcnt(6)
	v_fma_f64 v[10:11], -v[98:99], v[34:35], v[10:11]
	s_add_i32 s11, s3, 0xffffee28
	v_fma_f64 v[34:35], -v[2:3], v[60:61], v[86:87]
	v_fma_f64 v[70:71], -v[22:23], v[76:77], v[70:71]
	s_add_i32 s8, s3, 0xffffefd8
	v_mov_b32_e32 v77, s15
	s_add_i32 s7, s3, 0xfffff0b0
	s_add_i32 s9, s3, 0xffffefc8
	v_fma_f64 v[60:61], -v[0:1], v[130:131], v[102:103]
	s_waitcnt lgkmcnt(5)
	v_fma_f64 v[38:39], -v[4:5], v[38:39], v[104:105]
	v_fma_f64 v[84:85], -v[14:15], v[122:123], v[106:107]
	;; [unrolled: 1-line block ×3, first 2 shown]
	v_dual_mov_b32 v103, s20 :: v_dual_mov_b32 v102, s18
	s_waitcnt lgkmcnt(3)
	v_fma_f64 v[46:47], -v[16:17], v[46:47], v[88:89]
	v_fma_f64 v[88:89], -v[30:31], v[110:111], v[100:101]
	v_mov_b32_e32 v76, s7
	v_fma_f64 v[56:57], -v[20:21], v[56:57], v[72:73]
	v_mov_b32_e32 v73, s11
	v_fma_f64 v[82:83], -v[6:7], v[126:127], v[132:133]
	v_fma_f64 v[52:53], -v[18:19], v[114:115], v[52:53]
	;; [unrolled: 1-line block ×3, first 2 shown]
	v_mov_b32_e32 v72, s8
	v_dual_mov_b32 v100, s9 :: v_dual_mov_b32 v101, s14
	v_mov_b32_e32 v104, s17
	v_mov_b32_e32 v110, s19
	s_add_i32 s7, s3, 0xffffe830
	s_add_i32 s9, s3, 0xffffe820
	;; [unrolled: 1-line block ×6, first 2 shown]
	v_fma_f64 v[8:9], -v[98:99], v[24:25], v[8:9]
	v_mov_b32_e32 v24, s24
	s_add_i32 s11, s3, 0xffffed20
	s_add_i32 s15, s3, 0xffffec48
	;; [unrolled: 1-line block ×3, first 2 shown]
	v_fma_f64 v[130:131], -v[2:3], v[32:33], v[10:11]
	v_mov_b32_e32 v32, s22
	v_fma_f64 v[132:133], -v[0:1], v[58:59], v[34:35]
	v_fma_f64 v[148:149], -v[20:21], v[74:75], v[70:71]
	s_add_i32 s20, s3, 0xffffe9c0
	s_add_i32 s22, s3, 0xffffe8e8
	;; [unrolled: 1-line block ×3, first 2 shown]
	v_fma_f64 v[60:61], -v[6:7], v[128:129], v[60:61]
	v_fma_f64 v[134:135], -v[14:15], v[36:37], v[38:39]
	;; [unrolled: 1-line block ×4, first 2 shown]
	ds_load_2addr_b64 v[24:27], v24 offset1:1
	ds_load_2addr_b64 v[32:35], v32 offset1:1
	;; [unrolled: 1-line block ×3, first 2 shown]
	v_mov_b32_e32 v116, s23
	v_fma_f64 v[142:143], -v[30:31], v[44:45], v[46:47]
	v_fma_f64 v[144:145], -v[28:29], v[108:109], v[88:89]
	v_mov_b32_e32 v120, s25
	v_mul_f64 v[10:11], v[54:55], v[56:57]
	v_mov_b32_e32 v86, s26
	v_fma_f64 v[128:129], -v[4:5], v[124:125], v[82:83]
	v_fma_f64 v[140:141], -v[16:17], v[112:113], v[52:53]
	;; [unrolled: 1-line block ×3, first 2 shown]
	v_mov_b32_e32 v112, s21
	v_mov_b32_e32 v124, s27
	ds_load_2addr_b64 v[44:47], v102 offset1:1
	ds_load_2addr_b64 v[52:55], v77 offset1:1
	;; [unrolled: 1-line block ×15, first 2 shown]
	s_add_i32 s21, s3, 0xffffe8f8
	s_add_i32 s23, s3, 0xffffe748
	s_waitcnt lgkmcnt(18)
	v_fma_f64 v[68:69], -v[0:1], v[68:69], v[130:131]
	s_waitcnt lgkmcnt(17)
	v_fma_f64 v[26:27], -v[6:7], v[26:27], v[132:133]
	s_waitcnt lgkmcnt(16)
	v_fma_f64 v[34:35], -v[4:5], v[34:35], v[60:61]
	v_fma_f64 v[60:61], -v[12:13], v[64:65], v[134:135]
	s_waitcnt lgkmcnt(14)
	v_fma_f64 v[46:47], -v[18:19], v[46:47], v[136:137]
	s_waitcnt lgkmcnt(13)
	v_fma_f64 v[54:55], -v[16:17], v[54:55], v[138:139]
	v_fma_f64 v[50:51], -v[28:29], v[50:51], v[142:143]
	s_waitcnt lgkmcnt(11)
	v_fma_f64 v[64:65], -v[22:23], v[72:73], v[144:145]
	v_fma_f64 v[42:43], -v[10:11], v[42:43], v[148:149]
	;; [unrolled: 1-line block ×4, first 2 shown]
	s_waitcnt lgkmcnt(10)
	v_fma_f64 v[72:73], -v[20:21], v[76:77], v[146:147]
	s_waitcnt lgkmcnt(7)
	v_fma_f64 v[76:77], -v[2:3], v[88:89], v[8:9]
	v_fma_f64 v[66:67], -v[6:7], v[66:67], v[68:69]
	;; [unrolled: 1-line block ×3, first 2 shown]
	v_mov_b32_e32 v24, s7
	s_add_i32 s7, s3, 0xffffeb90
	v_fma_f64 v[88:89], -v[14:15], v[32:33], v[34:35]
	v_fma_f64 v[60:61], -v[18:19], v[62:63], v[60:61]
	;; [unrolled: 1-line block ×4, first 2 shown]
	v_mov_b32_e32 v32, s7
	s_add_i32 s7, s3, 0xffffeef0
	ds_load_2addr_b64 v[24:27], v24 offset1:1
	v_mov_b32_e32 v44, s8
	s_add_i32 s8, s3, 0xffffedf8
	v_mul_f64 v[8:9], v[40:41], v[42:43]
	v_fma_f64 v[128:129], -v[12:13], v[36:37], v[38:39]
	v_fma_f64 v[54:55], -v[28:29], v[56:57], v[58:59]
	;; [unrolled: 1-line block ×6, first 2 shown]
	v_mov_b32_e32 v36, s7
	ds_load_2addr_b64 v[32:35], v32 offset1:1
	ds_load_2addr_b64 v[36:39], v36 offset1:1
	s_add_i32 s7, s3, 0xffffeee0
	v_mov_b32_e32 v48, s9
	v_mov_b32_e32 v40, s7
	s_add_i32 s7, s6, 0xffffefb0
	s_add_i32 s9, s3, 0xffffed30
	ds_load_2addr_b64 v[40:43], v40 offset1:1
	ds_load_2addr_b64 v[44:47], v44 offset1:1
	ds_load_2addr_b64 v[48:51], v48 offset1:1
	s_waitcnt lgkmcnt(5)
	v_fma_f64 v[26:27], -v[4:5], v[26:27], v[66:67]
	v_mov_b32_e32 v76, s8
	v_fma_f64 v[66:67], -v[14:15], v[122:123], v[68:69]
	s_add_i32 s8, s3, 0xffffe800
	v_fma_f64 v[68:69], -v[12:13], v[118:119], v[88:89]
	s_waitcnt lgkmcnt(4)
	v_fma_f64 v[34:35], -v[16:17], v[34:35], v[60:61]
	v_fma_f64 v[60:61], -v[30:31], v[110:111], v[62:63]
	v_fma_f64 v[62:63], -v[28:29], v[106:107], v[52:53]
	v_mov_b32_e32 v52, s7
	s_add_i32 s7, s3, 0xffffee08
	v_fma_f64 v[72:73], -v[18:19], v[114:115], v[128:129]
	v_fma_f64 v[74:75], -v[22:23], v[102:103], v[54:55]
	s_waitcnt lgkmcnt(3)
	v_fma_f64 v[38:39], -v[20:21], v[38:39], v[56:57]
	v_fma_f64 v[56:57], -v[10:11], v[84:85], v[58:59]
	;; [unrolled: 1-line block ×4, first 2 shown]
	v_mov_b32_e32 v70, s7
	ds_load_2addr_b64 v[52:55], v52 offset1:1
	s_add_i32 s7, s3, 0xffffe810
	v_mov_b32_e32 v80, s11
	v_mov_b32_e32 v84, s15
	s_add_i32 s15, s3, 0xffffe9b0
	s_add_i32 s11, s3, 0xffffea88
	v_fma_f64 v[24:25], -v[14:15], v[24:25], v[26:27]
	v_fma_f64 v[88:89], -v[12:13], v[120:121], v[66:67]
	;; [unrolled: 1-line block ×6, first 2 shown]
	v_mov_b32_e32 v32, s21
	v_mov_b32_e32 v60, s14
	;; [unrolled: 1-line block ×4, first 2 shown]
	s_add_i32 s14, s3, 0xffffea78
	v_fma_f64 v[118:119], -v[16:17], v[112:113], v[72:73]
	v_fma_f64 v[128:129], -v[20:21], v[100:101], v[74:75]
	;; [unrolled: 1-line block ×4, first 2 shown]
	v_mul_f64 v[26:27], v[78:79], v[58:59]
	v_fma_f64 v[124:125], -v[4:5], v[124:125], v[64:65]
	v_mov_b32_e32 v72, s23
	v_mov_b32_e32 v64, s9
	v_mov_b32_e32 v36, s19
	v_mov_b32_e32 v56, s17
	ds_load_2addr_b64 v[32:35], v32 offset1:1
	ds_load_2addr_b64 v[36:39], v36 offset1:1
	;; [unrolled: 1-line block ×7, first 2 shown]
	v_mov_b32_e32 v100, s18
	v_mov_b32_e32 v112, s24
	ds_load_2addr_b64 v[76:79], v76 offset1:1
	ds_load_2addr_b64 v[80:83], v80 offset1:1
	;; [unrolled: 1-line block ×7, first 2 shown]
	s_add_i32 s18, s3, 0xffffe8d8
	s_waitcnt lgkmcnt(15)
	v_fma_f64 v[24:25], -v[12:13], v[50:51], v[24:25]
	s_add_i32 s19, s3, 0xffffe728
	s_add_i32 s9, s3, 0xffffec28
	;; [unrolled: 1-line block ×3, first 2 shown]
	v_fma_f64 v[46:47], -v[28:29], v[46:47], v[120:121]
	s_waitcnt lgkmcnt(13)
	v_fma_f64 v[34:35], -v[18:19], v[34:35], v[88:89]
	s_waitcnt lgkmcnt(12)
	;; [unrolled: 2-line block ×6, first 2 shown]
	v_fma_f64 v[66:67], -v[10:11], v[70:71], v[128:129]
	v_fma_f64 v[42:43], -v[8:9], v[42:43], v[130:131]
	;; [unrolled: 1-line block ×3, first 2 shown]
	s_waitcnt lgkmcnt(7)
	v_fma_f64 v[70:71], -v[14:15], v[74:75], v[124:125]
	v_fma_f64 v[74:75], -v[18:19], v[48:49], v[24:25]
	v_mov_b32_e32 v48, s8
	s_add_i32 s8, s3, 0xffffec38
	v_fma_f64 v[118:119], -v[22:23], v[44:45], v[46:47]
	v_fma_f64 v[88:89], -v[16:17], v[32:33], v[34:35]
	;; [unrolled: 1-line block ×3, first 2 shown]
	v_mov_b32_e32 v32, s7
	s_add_i32 s7, s3, 0xffffeb70
	s_delay_alu instid0(SALU_CYCLE_1)
	v_mov_b32_e32 v36, s7
	s_add_i32 s7, s6, 0xffffeec8
	ds_load_2addr_b64 v[32:35], v32 offset1:1
	v_fma_f64 v[56:57], -v[28:29], v[56:57], v[50:51]
	v_fma_f64 v[58:59], -v[20:21], v[60:61], v[58:59]
	;; [unrolled: 1-line block ×5, first 2 shown]
	v_mul_f64 v[24:25], v[52:53], v[54:55]
	v_fma_f64 v[52:53], -v[12:13], v[72:73], v[70:71]
	v_mov_b32_e32 v40, s7
	ds_load_2addr_b64 v[36:39], v36 offset1:1
	ds_load_2addr_b64 v[40:43], v40 offset1:1
	s_add_i32 s7, s3, 0xffffeb60
	s_delay_alu instid0(SALU_CYCLE_1)
	v_mov_b32_e32 v44, s7
	s_add_i32 s7, s6, 0xffffede0
	ds_load_2addr_b64 v[44:47], v44 offset1:1
	ds_load_2addr_b64 v[48:51], v48 offset1:1
	s_waitcnt lgkmcnt(4)
	v_fma_f64 v[34:35], -v[16:17], v[34:35], v[74:75]
	v_fma_f64 v[66:67], -v[30:31], v[110:111], v[88:89]
	;; [unrolled: 1-line block ×3, first 2 shown]
	s_waitcnt lgkmcnt(3)
	v_fma_f64 v[38:39], -v[20:21], v[38:39], v[118:119]
	v_fma_f64 v[56:57], -v[22:23], v[102:103], v[56:57]
	;; [unrolled: 1-line block ×5, first 2 shown]
	s_waitcnt lgkmcnt(2)
	v_fma_f64 v[42:43], -v[24:25], v[42:43], v[64:65]
	v_fma_f64 v[64:65], -v[18:19], v[114:115], v[52:53]
	v_mov_b32_e32 v52, s7
	s_add_i32 s7, s6, 0xffffecf8
	s_delay_alu instid0(SALU_CYCLE_1)
	v_mov_b32_e32 v72, s7
	s_add_i32 s7, s3, 0xffffed10
	ds_load_2addr_b64 v[52:55], v52 offset1:1
	v_fma_f64 v[32:33], -v[30:31], v[32:33], v[34:35]
	v_fma_f64 v[88:89], -v[28:29], v[108:109], v[66:67]
	v_fma_f64 v[108:109], -v[22:23], v[104:105], v[68:69]
	v_fma_f64 v[114:115], -v[10:11], v[36:37], v[38:39]
	v_mov_b32_e32 v36, s18
	v_mov_b32_e32 v68, s19
	v_fma_f64 v[110:111], -v[20:21], v[100:101], v[56:57]
	v_fma_f64 v[116:117], -v[8:9], v[84:85], v[58:59]
	;; [unrolled: 1-line block ×4, first 2 shown]
	v_mov_b32_e32 v60, s8
	v_mul_f64 v[34:35], v[40:41], v[42:43]
	v_fma_f64 v[112:113], -v[16:17], v[112:113], v[64:65]
	v_mov_b32_e32 v64, s7
	v_mov_b32_e32 v40, s15
	;; [unrolled: 1-line block ×3, first 2 shown]
	ds_load_2addr_b64 v[36:39], v36 offset1:1
	ds_load_2addr_b64 v[40:43], v40 offset1:1
	;; [unrolled: 1-line block ×6, first 2 shown]
	s_add_i32 s7, s3, 0xffffe8c8
	v_mov_b32_e32 v76, s9
	v_mov_b32_e32 v100, s7
	s_add_i32 s7, s3, 0xffffe7f0
	s_add_i32 s8, s3, 0xffffe718
	s_waitcnt lgkmcnt(7)
	v_fma_f64 v[32:33], -v[28:29], v[50:51], v[32:33]
	v_mov_b32_e32 v80, s14
	v_mov_b32_e32 v84, s17
	;; [unrolled: 1-line block ×3, first 2 shown]
	ds_load_2addr_b64 v[72:75], v72 offset1:1
	ds_load_2addr_b64 v[76:79], v76 offset1:1
	;; [unrolled: 1-line block ×6, first 2 shown]
	s_add_i32 s8, s3, 0xffffe7e0
	s_add_i32 s11, s3, 0xffffe8b8
	;; [unrolled: 1-line block ×4, first 2 shown]
	s_waitcnt lgkmcnt(11)
	v_fma_f64 v[38:39], -v[22:23], v[38:39], v[88:89]
	s_waitcnt lgkmcnt(10)
	v_fma_f64 v[42:43], -v[20:21], v[42:43], v[108:109]
	v_fma_f64 v[46:47], -v[8:9], v[46:47], v[114:115]
	s_waitcnt lgkmcnt(9)
	v_fma_f64 v[50:51], -v[10:11], v[58:59], v[110:111]
	s_waitcnt lgkmcnt(8)
	;; [unrolled: 2-line block ×3, first 2 shown]
	v_fma_f64 v[62:63], -v[24:25], v[66:67], v[118:119]
	v_fma_f64 v[54:55], -v[34:35], v[54:55], v[120:121]
	s_waitcnt lgkmcnt(6)
	v_fma_f64 v[66:67], -v[30:31], v[70:71], v[112:113]
	v_fma_f64 v[70:71], -v[22:23], v[48:49], v[32:33]
	v_mov_b32_e32 v48, s8
	s_add_i32 s8, s3, 0xffffea68
	v_fma_f64 v[88:89], -v[20:21], v[36:37], v[38:39]
	v_fma_f64 v[108:109], -v[10:11], v[40:41], v[42:43]
	;; [unrolled: 1-line block ×3, first 2 shown]
	v_mov_b32_e32 v36, s7
	s_add_i32 s7, s3, 0xffffeb50
	s_delay_alu instid0(SALU_CYCLE_1)
	v_mov_b32_e32 v40, s7
	ds_load_2addr_b64 v[36:39], v36 offset1:1
	ds_load_2addr_b64 v[40:43], v40 offset1:1
	v_fma_f64 v[56:57], -v[8:9], v[56:57], v[50:51]
	v_fma_f64 v[58:59], -v[24:25], v[60:61], v[58:59]
	;; [unrolled: 1-line block ×3, first 2 shown]
	v_mul_f64 v[32:33], v[52:53], v[54:55]
	v_fma_f64 v[52:53], -v[28:29], v[68:69], v[66:67]
	s_add_i32 s7, s3, 0xffffeb40
	v_mov_b32_e32 v64, s14
	v_mov_b32_e32 v44, s7
	s_add_i32 s7, s6, 0xffffec10
	ds_load_2addr_b64 v[44:47], v44 offset1:1
	ds_load_2addr_b64 v[48:51], v48 offset1:1
	s_waitcnt lgkmcnt(3)
	v_fma_f64 v[38:39], -v[20:21], v[38:39], v[70:71]
	v_fma_f64 v[54:55], -v[10:11], v[102:103], v[88:89]
	;; [unrolled: 1-line block ×3, first 2 shown]
	s_waitcnt lgkmcnt(2)
	v_fma_f64 v[42:43], -v[24:25], v[42:43], v[110:111]
	v_fma_f64 v[56:57], -v[26:27], v[82:83], v[56:57]
	;; [unrolled: 1-line block ×9, first 2 shown]
	v_mov_b32_e32 v40, s11
	s_add_i32 s11, s3, 0xffffe6f8
	v_fma_f64 v[88:89], -v[24:25], v[80:81], v[56:57]
	v_fma_f64 v[102:103], -v[32:33], v[76:77], v[58:59]
	v_mov_b32_e32 v56, s8
	v_mul_f64 v[38:39], v[72:73], v[60:61]
	v_fma_f64 v[104:105], -v[20:21], v[104:105], v[52:53]
	v_mov_b32_e32 v52, s9
	v_mov_b32_e32 v60, s7
	ds_load_2addr_b64 v[40:43], v40 offset1:1
	ds_load_2addr_b64 v[52:55], v52 offset1:1
	;; [unrolled: 1-line block ×5, first 2 shown]
	s_add_i32 s7, s3, 0xffffea58
	s_add_i32 s8, s3, 0xffffe980
	v_mov_b32_e32 v68, s7
	s_add_i32 s7, s3, 0xffffe7d0
	s_add_i32 s9, s3, 0xffffe8a8
	v_mov_b32_e32 v72, s8
	v_mov_b32_e32 v76, s9
	;; [unrolled: 1-line block ×3, first 2 shown]
	s_waitcnt lgkmcnt(5)
	v_fma_f64 v[36:37], -v[8:9], v[50:51], v[36:37]
	ds_load_2addr_b64 v[68:71], v68 offset1:1
	ds_load_2addr_b64 v[72:75], v72 offset1:1
	;; [unrolled: 1-line block ×4, first 2 shown]
	s_add_i32 s9, s3, 0xffffe898
	s_add_i32 s8, s3, 0xffffe970
	s_add_i32 s11, s3, 0xffffe6e8
	s_waitcnt lgkmcnt(8)
	v_fma_f64 v[42:43], -v[26:27], v[42:43], v[86:87]
	s_waitcnt lgkmcnt(7)
	v_fma_f64 v[50:51], -v[24:25], v[54:55], v[84:85]
	v_fma_f64 v[46:47], -v[32:33], v[46:47], v[100:101]
	s_waitcnt lgkmcnt(6)
	v_fma_f64 v[54:55], -v[34:35], v[58:59], v[88:89]
	s_waitcnt lgkmcnt(5)
	;; [unrolled: 2-line block ×3, first 2 shown]
	v_fma_f64 v[62:63], -v[10:11], v[66:67], v[104:105]
	v_fma_f64 v[66:67], -v[26:27], v[48:49], v[36:37]
	;; [unrolled: 1-line block ×4, first 2 shown]
	v_mov_b32_e32 v40, s7
	s_add_i32 s7, s6, 0xffffeb28
	v_fma_f64 v[54:55], -v[32:33], v[56:57], v[54:55]
	v_fma_f64 v[56:57], -v[38:39], v[44:45], v[46:47]
	v_mov_b32_e32 v44, s7
	v_mul_f64 v[36:37], v[60:61], v[58:59]
	v_fma_f64 v[58:59], -v[8:9], v[64:65], v[62:63]
	ds_load_2addr_b64 v[40:43], v40 offset1:1
	ds_load_2addr_b64 v[44:47], v44 offset1:1
	s_add_i32 s7, s3, 0xffffe7c0
	s_delay_alu instid0(SALU_CYCLE_1)
	v_mov_b32_e32 v48, s7
	s_add_i32 s7, s6, 0xffffea40
	ds_load_2addr_b64 v[48:51], v48 offset1:1
	s_waitcnt lgkmcnt(2)
	v_fma_f64 v[42:43], -v[24:25], v[42:43], v[66:67]
	v_fma_f64 v[60:61], -v[34:35], v[78:79], v[84:85]
	;; [unrolled: 1-line block ×4, first 2 shown]
	s_waitcnt lgkmcnt(1)
	v_fma_f64 v[46:47], -v[36:37], v[46:47], v[56:57]
	v_fma_f64 v[56:57], -v[26:27], v[82:83], v[58:59]
	;; [unrolled: 1-line block ×5, first 2 shown]
	v_mov_b32_e32 v52, s8
	v_mov_b32_e32 v60, s11
	s_add_i32 s8, s3, 0xffffe6d8
	s_delay_alu instid0(SALU_CYCLE_1)
	v_mov_b32_e32 v72, s8
	s_add_i32 s8, s3, 0xffffe6c8
	v_fma_f64 v[82:83], -v[36:37], v[68:69], v[54:55]
	v_mul_f64 v[42:43], v[44:45], v[46:47]
	v_fma_f64 v[80:81], -v[24:25], v[80:81], v[56:57]
	v_mov_b32_e32 v44, s9
	v_mov_b32_e32 v56, s7
	ds_load_2addr_b64 v[44:47], v44 offset1:1
	ds_load_2addr_b64 v[52:55], v52 offset1:1
	;; [unrolled: 1-line block ×4, first 2 shown]
	s_add_i32 s7, s6, 0xffffe958
	s_delay_alu instid0(SALU_CYCLE_1) | instskip(SKIP_1) | instid1(SALU_CYCLE_1)
	v_mov_b32_e32 v64, s7
	s_add_i32 s7, s3, 0xffffe888
	v_mov_b32_e32 v68, s7
	s_add_i32 s7, s3, 0xffffe7b0
	ds_load_2addr_b64 v[64:67], v64 offset1:1
	ds_load_2addr_b64 v[68:71], v68 offset1:1
	;; [unrolled: 1-line block ×3, first 2 shown]
	s_waitcnt lgkmcnt(7)
	v_fma_f64 v[40:41], -v[32:33], v[50:51], v[40:41]
	s_waitcnt lgkmcnt(6)
	v_fma_f64 v[46:47], -v[38:39], v[46:47], v[76:77]
	;; [unrolled: 2-line block ×5, first 2 shown]
	v_fma_f64 v[62:63], -v[38:39], v[48:49], v[40:41]
	v_fma_f64 v[76:77], -v[36:37], v[44:45], v[46:47]
	;; [unrolled: 1-line block ×3, first 2 shown]
	v_mov_b32_e32 v44, s7
	s_add_i32 s7, s3, 0xffffe7a0
	s_addk_i32 s3, 0xe6b8
	v_mov_b32_e32 v48, s7
	s_add_i32 s7, s6, 0xffffe870
	ds_load_2addr_b64 v[44:47], v44 offset1:1
	ds_load_2addr_b64 v[48:51], v48 offset1:1
	v_mul_f64 v[40:41], v[56:57], v[54:55]
	v_fma_f64 v[54:55], -v[32:33], v[60:61], v[58:59]
	v_mov_b32_e32 v60, s3
	s_add_i32 s3, s6, 0xffffe788
	s_waitcnt lgkmcnt(1)
	v_fma_f64 v[46:47], -v[36:37], v[46:47], v[62:63]
	v_fma_f64 v[56:57], -v[42:43], v[70:71], v[76:77]
	v_fma_f64 v[52:53], -v[40:41], v[66:67], v[52:53]
	v_fma_f64 v[54:55], -v[38:39], v[74:75], v[54:55]
	s_delay_alu instid0(VALU_DEP_4) | instskip(NEXT) | instid1(VALU_DEP_4)
	v_fma_f64 v[44:45], -v[42:43], v[44:45], v[46:47]
	v_fma_f64 v[66:67], -v[40:41], v[68:69], v[56:57]
	v_mov_b32_e32 v56, s8
	v_mul_f64 v[46:47], v[64:65], v[52:53]
	v_fma_f64 v[64:65], -v[36:37], v[72:73], v[54:55]
	v_mov_b32_e32 v52, s7
	ds_load_2addr_b64 v[52:55], v52 offset1:1
	ds_load_2addr_b64 v[56:59], v56 offset1:1
	;; [unrolled: 1-line block ×3, first 2 shown]
	s_waitcnt lgkmcnt(3)
	v_fma_f64 v[44:45], -v[40:41], v[50:51], v[44:45]
	s_waitcnt lgkmcnt(2)
	v_fma_f64 v[50:51], -v[46:47], v[54:55], v[66:67]
	s_waitcnt lgkmcnt(1)
	v_fma_f64 v[54:55], -v[42:43], v[58:59], v[64:65]
	s_delay_alu instid0(VALU_DEP_3) | instskip(SKIP_2) | instid1(VALU_DEP_4)
	v_fma_f64 v[58:59], -v[46:47], v[48:49], v[44:45]
	v_mov_b32_e32 v48, s3
	s_add_i32 s3, s6, 0xffffe6a0
	v_mul_f64 v[44:45], v[52:53], v[50:51]
	ds_load_2addr_b64 v[48:51], v48 offset1:1
	v_fma_f64 v[52:53], -v[40:41], v[56:57], v[54:55]
	s_waitcnt lgkmcnt(0)
	v_fma_f64 v[50:51], -v[44:45], v[50:51], v[58:59]
	s_delay_alu instid0(VALU_DEP_2) | instskip(NEXT) | instid1(VALU_DEP_2)
	v_fma_f64 v[52:53], -v[46:47], v[62:63], v[52:53]
	v_mul_f64 v[50:51], v[48:49], v[50:51]
	s_delay_alu instid0(VALU_DEP_2) | instskip(SKIP_2) | instid1(SALU_CYCLE_1)
	v_fma_f64 v[48:49], -v[44:45], v[60:61], v[52:53]
	v_mov_b32_e32 v52, s3
	s_ashr_i32 s3, s2, 31
	s_lshl_b64 s[6:7], s[2:3], 3
	ds_load_2addr_b64 v[52:55], v52 offset1:1
	s_waitcnt lgkmcnt(0)
	v_fma_f64 v[48:49], -v[50:51], v[54:55], v[48:49]
	s_delay_alu instid0(VALU_DEP_1)
	v_mul_f64 v[48:49], v[52:53], v[48:49]
	v_add_co_u32 v52, vcc_lo, v90, s6
	v_add_co_ci_u32_e32 v53, vcc_lo, s7, v91, vcc_lo
	s_sub_i32 s6, s2, 29
	s_clause 0xe
	global_store_b64 v[94:95], v[96:97], off
	global_store_b64 v[52:53], v[98:99], off offset:-16
	global_store_b128 v[52:53], v[0:3], off offset:-32
	global_store_b128 v[52:53], v[4:7], off offset:-48
	;; [unrolled: 1-line block ×13, first 2 shown]
.LBB100_14:
	s_cmp_gt_i32 s6, -1
	s_cbranch_scc0 .LBB100_33
; %bb.15:
	s_cmp_lt_u32 s6, 23
	s_cbranch_scc1 .LBB100_20
; %bb.16:
	s_mov_b32 s7, 0
	s_delay_alu instid0(SALU_CYCLE_1)
	s_lshl_b64 s[8:9], s[6:7], 3
	s_cmp_le_i32 s16, s6
	v_add_co_u32 v44, vcc_lo, v90, s8
	v_add_co_ci_u32_e32 v45, vcc_lo, s9, v91, vcc_lo
	s_clause 0xb
	global_load_b128 v[0:3], v[44:45], off offset:-8
	global_load_b128 v[4:7], v[44:45], off offset:-24
	;; [unrolled: 1-line block ×12, first 2 shown]
	s_waitcnt vmcnt(11)
	v_mul_f64 v[34:35], v[2:3], s[4:5]
	v_mul_f64 v[32:33], v[0:1], s[4:5]
	s_waitcnt vmcnt(10)
	v_mul_f64 v[30:31], v[6:7], s[4:5]
	v_mul_f64 v[28:29], v[4:5], s[4:5]
	;; [unrolled: 3-line block ×12, first 2 shown]
	s_cbranch_scc1 .LBB100_19
; %bb.17:
	s_mul_i32 s3, s6, 0xe0
	s_lshl_b32 s7, s2, 3
	s_ashr_i32 s17, s16, 31
	s_add_i32 s3, s3, s7
	s_lshl_b64 s[8:9], s[16:17], 3
	s_addk_i32 s3, 0xebd8
	s_add_u32 s7, s12, s8
	s_addc_u32 s8, s13, s9
	s_add_u32 s7, s7, s0
	s_addc_u32 s8, s8, s1
	v_add_co_u32 v36, vcc_lo, s7, v92
	v_add_co_ci_u32_e32 v37, vcc_lo, s8, v93, vcc_lo
	s_mov_b32 s7, s16
.LBB100_18:                             ; =>This Inner Loop Header: Depth=1
	global_load_b64 v[38:39], v[36:37], off
	v_add_nc_u32_e64 v42, 0x1000, s3
	v_add_nc_u32_e64 v64, 0xc00, s3
	;; [unrolled: 1-line block ×3, first 2 shown]
	v_mov_b32_e32 v43, s3
	ds_load_2addr_b64 v[46:49], v42 offset0:104 offset1:132
	ds_load_2addr_b64 v[60:63], v42 offset0:48 offset1:76
	;; [unrolled: 1-line block ×11, first 2 shown]
	ds_load_2addr_b64 v[106:109], v43 offset1:28
	v_add_co_u32 v36, vcc_lo, v36, -8
	v_add_co_ci_u32_e32 v37, vcc_lo, -1, v37, vcc_lo
	s_add_i32 s7, s7, -1
	s_add_i32 s3, s3, -8
	s_cmp_gt_i32 s7, s6
	s_waitcnt vmcnt(0) lgkmcnt(11)
	v_fma_f64 v[34:35], -v[38:39], v[48:49], v[34:35]
	v_fma_f64 v[32:33], -v[38:39], v[46:47], v[32:33]
	s_waitcnt lgkmcnt(10)
	v_fma_f64 v[30:31], -v[38:39], v[62:63], v[30:31]
	v_fma_f64 v[28:29], -v[38:39], v[60:61], v[28:29]
	s_waitcnt lgkmcnt(9)
	;; [unrolled: 3-line block ×11, first 2 shown]
	v_fma_f64 v[52:53], -v[38:39], v[108:109], v[52:53]
	v_fma_f64 v[50:51], -v[38:39], v[106:107], v[50:51]
	s_cbranch_scc1 .LBB100_18
.LBB100_19:
	s_mul_i32 s3, s6, 0xe8
	s_delay_alu instid0(SALU_CYCLE_1)
	s_add_i32 s11, s3, 0xfffffab8
	v_mov_b32_e32 v36, s3
	s_add_i32 s7, s3, 0xffffff18
	s_add_i32 s20, s3, 0xfffff118
	;; [unrolled: 1-line block ×4, first 2 shown]
	ds_load_b64 v[42:43], v36
	v_mov_b32_e32 v36, s7
	s_add_i32 s7, s3, 0xfffffe40
	s_add_i32 s9, s3, 0xfffff9e0
	;; [unrolled: 1-line block ×4, first 2 shown]
	ds_load_2addr_b64 v[36:39], v36 offset1:1
	s_add_i32 s23, s3, 0xfffff448
	s_add_i32 s19, s3, 0xfffff1f0
	;; [unrolled: 1-line block ×9, first 2 shown]
	s_delay_alu instid0(SALU_CYCLE_1) | instskip(SKIP_3) | instid1(VALU_DEP_1)
	v_mov_b32_e32 v110, s26
	s_waitcnt lgkmcnt(1)
	v_mul_f64 v[46:47], v[42:43], v[34:35]
	s_waitcnt lgkmcnt(0)
	v_fma_f64 v[38:39], -v[46:47], v[38:39], v[32:33]
	v_mov_b32_e32 v32, s7
	s_add_i32 s7, s3, 0xfffffe30
	ds_load_b64 v[42:43], v32
	v_mov_b32_e32 v32, s7
	s_add_i32 s7, s3, 0xfffffd58
	ds_load_2addr_b64 v[32:35], v32 offset1:1
	s_waitcnt lgkmcnt(1)
	v_fma_f64 v[30:31], -v[46:47], v[42:43], v[30:31]
	v_mul_f64 v[48:49], v[36:37], v[38:39]
	v_mov_b32_e32 v36, s7
	s_add_i32 s7, s3, 0xfffffd48
	s_delay_alu instid0(SALU_CYCLE_1)
	v_mov_b32_e32 v42, s7
	s_add_i32 s7, s3, 0xfffffc80
	ds_load_2addr_b64 v[36:39], v36 offset1:1
	ds_load_2addr_b64 v[60:63], v42 offset1:1
	s_waitcnt lgkmcnt(1)
	v_fma_f64 v[38:39], -v[46:47], v[38:39], v[28:29]
	v_mov_b32_e32 v28, s7
	s_add_i32 s7, s3, 0xfffffc70
	ds_load_b64 v[42:43], v28
	v_mov_b32_e32 v28, s7
	s_add_i32 s7, s3, 0xfffffb98
	v_fma_f64 v[34:35], -v[48:49], v[34:35], v[30:31]
	ds_load_2addr_b64 v[28:31], v28 offset1:1
	s_waitcnt lgkmcnt(1)
	v_fma_f64 v[42:43], -v[46:47], v[42:43], v[2:3]
	v_fma_f64 v[36:37], -v[48:49], v[36:37], v[38:39]
	v_mul_f64 v[2:3], v[32:33], v[34:35]
	v_mov_b32_e32 v32, s7
	s_add_i32 s7, s3, 0xfffffac0
	ds_load_2addr_b64 v[32:35], v32 offset1:1
	s_waitcnt lgkmcnt(1)
	v_fma_f64 v[30:31], -v[48:49], v[30:31], v[42:43]
	s_waitcnt lgkmcnt(0)
	v_fma_f64 v[26:27], -v[46:47], v[34:35], v[26:27]
	v_fma_f64 v[34:35], -v[2:3], v[62:63], v[36:37]
	v_mov_b32_e32 v36, s7
	s_add_i32 s7, s3, 0xfffffc60
	ds_load_b64 v[36:37], v36
	v_fma_f64 v[64:65], -v[2:3], v[28:29], v[30:31]
	v_mov_b32_e32 v28, s8
	v_mov_b32_e32 v30, s7
	s_add_i32 s7, s3, 0xfffffb78
	s_add_i32 s8, s3, 0xfffffaa8
	s_waitcnt lgkmcnt(0)
	v_fma_f64 v[38:39], -v[46:47], v[36:37], v[0:1]
	v_fma_f64 v[42:43], -v[48:49], v[32:33], v[26:27]
	v_dual_mov_b32 v26, s9 :: v_dual_mov_b32 v27, s11
	ds_load_b64 v[66:67], v26
	ds_load_b64 v[68:69], v27
	ds_load_2addr_b64 v[26:29], v28 offset1:1
	ds_load_2addr_b64 v[30:33], v30 offset1:1
	s_add_i32 s9, s3, 0xfffff8d8
	s_add_i32 s11, s3, 0xfffff540
	v_mul_f64 v[0:1], v[60:61], v[34:35]
	v_mov_b32_e32 v34, s7
	s_add_i32 s7, s3, 0xfffff900
	v_mov_b32_e32 v60, s8
	s_add_i32 s8, s3, 0xfffff9d0
	ds_load_2addr_b64 v[34:37], v34 offset1:1
	ds_load_2addr_b64 v[60:63], v60 offset1:1
	s_waitcnt lgkmcnt(5)
	v_fma_f64 v[24:25], -v[46:47], v[66:67], v[24:25]
	s_waitcnt lgkmcnt(4)
	v_fma_f64 v[38:39], -v[48:49], v[68:69], v[38:39]
	;; [unrolled: 2-line block ×3, first 2 shown]
	v_mov_b32_e32 v42, s7
	s_add_i32 s7, s3, 0xfffff9c0
	s_delay_alu instid0(SALU_CYCLE_1)
	v_mov_b32_e32 v68, s7
	s_add_i32 s7, s3, 0xfffff820
	s_waitcnt lgkmcnt(2)
	v_fma_f64 v[32:33], -v[0:1], v[32:33], v[64:65]
	v_mov_b32_e32 v64, s8
	s_add_i32 s8, s3, 0xfffff8f8
	ds_load_b64 v[42:43], v42
	ds_load_2addr_b64 v[64:67], v64 offset1:1
	ds_load_2addr_b64 v[68:71], v68 offset1:1
	s_waitcnt lgkmcnt(2)
	v_fma_f64 v[42:43], -v[46:47], v[42:43], v[6:7]
	s_waitcnt lgkmcnt(1)
	v_fma_f64 v[66:67], -v[48:49], v[66:67], v[24:25]
	v_fma_f64 v[38:39], -v[2:3], v[62:63], v[38:39]
	;; [unrolled: 1-line block ×3, first 2 shown]
	v_dual_mov_b32 v24, s7 :: v_dual_mov_b32 v25, s8
	s_add_i32 s7, s3, 0xfffff8e8
	s_add_i32 s8, s3, 0xfffff810
	v_mul_f64 v[6:7], v[30:31], v[32:33]
	ds_load_b64 v[30:31], v24
	ds_load_b64 v[32:33], v25
	v_mov_b32_e32 v24, s7
	s_add_i32 s7, s3, 0xfffff740
	ds_load_2addr_b64 v[24:27], v24 offset1:1
	s_waitcnt lgkmcnt(2)
	v_fma_f64 v[22:23], -v[46:47], v[30:31], v[22:23]
	s_waitcnt lgkmcnt(1)
	v_fma_f64 v[32:33], -v[48:49], v[32:33], v[42:43]
	v_fma_f64 v[42:43], -v[2:3], v[64:65], v[66:67]
	;; [unrolled: 1-line block ×4, first 2 shown]
	v_mov_b32_e32 v28, s7
	s_add_i32 s7, s3, 0xfffffa98
	s_delay_alu instid0(SALU_CYCLE_1)
	v_dual_mov_b32 v29, s8 :: v_dual_mov_b32 v36, s7
	ds_load_b64 v[72:73], v28
	ds_load_2addr_b64 v[28:31], v29 offset1:1
	ds_load_2addr_b64 v[36:39], v36 offset1:1
	s_add_i32 s7, s3, 0xfffff800
	s_add_i32 s8, s3, 0xfffff738
	v_mov_b32_e32 v60, s7
	s_add_i32 s7, s3, 0xfffff658
	ds_load_2addr_b64 v[60:63], v60 offset1:1
	s_waitcnt lgkmcnt(4)
	v_fma_f64 v[26:27], -v[2:3], v[26:27], v[32:33]
	s_waitcnt lgkmcnt(3)
	v_fma_f64 v[72:73], -v[46:47], v[72:73], v[4:5]
	;; [unrolled: 2-line block ×3, first 2 shown]
	v_fma_f64 v[42:43], -v[0:1], v[70:71], v[42:43]
	s_waitcnt lgkmcnt(1)
	v_fma_f64 v[38:39], -v[6:7], v[38:39], v[64:65]
	v_mov_b32_e32 v30, s7
	s_add_i32 s7, s3, 0xfffff728
	s_delay_alu instid0(SALU_CYCLE_1)
	v_mov_b32_e32 v64, s7
	s_add_i32 s7, s3, 0xfffff580
	v_mul_f64 v[4:5], v[34:35], v[66:67]
	v_mov_b32_e32 v34, s8
	s_add_i32 s8, s3, 0xfffffa90
	ds_load_2addr_b64 v[30:33], v30 offset1:1
	ds_load_b64 v[34:35], v34
	ds_load_2addr_b64 v[64:67], v64 offset1:1
	s_waitcnt lgkmcnt(2)
	v_fma_f64 v[70:71], -v[46:47], v[32:33], v[20:21]
	s_waitcnt lgkmcnt(1)
	v_fma_f64 v[72:73], -v[48:49], v[34:35], v[72:73]
	v_fma_f64 v[28:29], -v[2:3], v[28:29], v[22:23]
	v_fma_f64 v[74:75], -v[0:1], v[24:25], v[26:27]
	v_fma_f64 v[42:43], -v[6:7], v[68:69], v[42:43]
	v_mov_b32_e32 v20, s7
	s_add_i32 s7, s3, 0xfffff9b0
	s_delay_alu instid0(SALU_CYCLE_1)
	v_dual_mov_b32 v21, s9 :: v_dual_mov_b32 v24, s7
	v_mov_b32_e32 v32, s8
	s_add_i32 s7, s3, 0xfffff8c8
	s_add_i32 s8, s3, 0xfffff498
	;; [unrolled: 1-line block ×3, first 2 shown]
	v_fma_f64 v[36:37], -v[4:5], v[36:37], v[38:39]
	ds_load_b64 v[38:39], v20
	ds_load_2addr_b64 v[20:23], v21 offset1:1
	ds_load_2addr_b64 v[24:27], v24 offset1:1
	ds_load_b64 v[68:69], v32
	v_mov_b32_e32 v32, s7
	s_add_i32 s7, s3, 0xfffff648
	ds_load_2addr_b64 v[32:35], v32 offset1:1
	s_waitcnt lgkmcnt(4)
	v_fma_f64 v[82:83], -v[46:47], v[38:39], v[10:11]
	v_fma_f64 v[30:31], -v[48:49], v[30:31], v[70:71]
	;; [unrolled: 1-line block ×4, first 2 shown]
	s_waitcnt lgkmcnt(3)
	v_fma_f64 v[22:23], -v[6:7], v[22:23], v[74:75]
	s_waitcnt lgkmcnt(2)
	v_fma_f64 v[42:43], -v[4:5], v[26:27], v[42:43]
	v_mov_b32_e32 v26, s8
	v_mov_b32_e32 v66, s7
	s_add_i32 s7, s3, 0xfffff638
	s_add_i32 s8, s3, 0xfffff560
	v_mov_b32_e32 v70, s7
	s_add_i32 s7, s3, 0xfffff3c0
	v_mov_b32_e32 v74, s8
	s_add_i32 s8, s3, 0xfffff9a8
	s_waitcnt lgkmcnt(1)
	v_mul_f64 v[10:11], v[68:69], v[36:37]
	v_mov_b32_e32 v36, s9
	s_add_i32 s9, s3, 0xfffff488
	ds_load_2addr_b64 v[26:29], v26 offset1:1
	ds_load_2addr_b64 v[36:39], v36 offset1:1
	;; [unrolled: 1-line block ×3, first 2 shown]
	v_mov_b32_e32 v78, s9
	s_add_i32 s9, s3, 0xfffff718
	ds_load_2addr_b64 v[70:73], v70 offset1:1
	ds_load_2addr_b64 v[74:77], v74 offset1:1
	;; [unrolled: 1-line block ×3, first 2 shown]
	s_waitcnt lgkmcnt(5)
	v_fma_f64 v[28:29], -v[46:47], v[28:29], v[18:19]
	s_waitcnt lgkmcnt(4)
	v_fma_f64 v[38:39], -v[48:49], v[38:39], v[82:83]
	;; [unrolled: 2-line block ×3, first 2 shown]
	v_fma_f64 v[64:65], -v[0:1], v[64:65], v[84:85]
	v_fma_f64 v[68:69], -v[6:7], v[60:61], v[62:63]
	;; [unrolled: 1-line block ×3, first 2 shown]
	v_mov_b32_e32 v18, s7
	s_add_i32 s7, s3, 0xfffff7f0
	s_delay_alu instid0(SALU_CYCLE_1)
	v_dual_mov_b32 v19, s9 :: v_dual_mov_b32 v22, s7
	v_mov_b32_e32 v60, s8
	ds_load_b64 v[88:89], v18
	s_add_i32 s7, s3, 0xfffff7e0
	s_add_i32 s8, s3, 0xfffff708
	;; [unrolled: 1-line block ×3, first 2 shown]
	v_fma_f64 v[42:43], -v[10:11], v[24:25], v[42:43]
	ds_load_2addr_b64 v[18:21], v19 offset1:1
	ds_load_2addr_b64 v[22:25], v22 offset1:1
	ds_load_b64 v[94:95], v60
	v_mov_b32_e32 v60, s7
	s_add_i32 s7, s3, 0xfffff2d8
	v_mov_b32_e32 v82, s8
	s_add_i32 s8, s3, 0xfffff3b0
	ds_load_2addr_b64 v[60:63], v60 offset1:1
	ds_load_2addr_b64 v[82:85], v82 offset1:1
	s_waitcnt lgkmcnt(5)
	v_fma_f64 v[88:89], -v[46:47], v[88:89], v[8:9]
	v_fma_f64 v[96:97], -v[48:49], v[26:27], v[28:29]
	;; [unrolled: 1-line block ×4, first 2 shown]
	s_waitcnt lgkmcnt(4)
	v_fma_f64 v[20:21], -v[6:7], v[20:21], v[64:65]
	s_waitcnt lgkmcnt(3)
	v_fma_f64 v[68:69], -v[4:5], v[24:25], v[68:69]
	v_fma_f64 v[34:35], -v[10:11], v[34:35], v[86:87]
	v_mov_b32_e32 v24, s7
	v_mov_b32_e32 v28, s8
	ds_load_2addr_b64 v[24:27], v24 offset1:1
	ds_load_2addr_b64 v[28:31], v28 offset1:1
	s_add_i32 s7, s3, 0xfffff3a0
	s_add_i32 s8, s3, 0xfffff618
	s_waitcnt lgkmcnt(4)
	v_mul_f64 v[8:9], v[94:95], v[42:43]
	v_mov_b32_e32 v42, s7
	s_add_i32 s7, s3, 0xfffff200
	ds_load_2addr_b64 v[64:67], v42 offset1:1
	s_waitcnt lgkmcnt(2)
	v_fma_f64 v[16:17], -v[46:47], v[26:27], v[16:17]
	s_waitcnt lgkmcnt(1)
	v_fma_f64 v[26:27], -v[48:49], v[30:31], v[88:89]
	v_fma_f64 v[30:31], -v[2:3], v[80:81], v[96:97]
	;; [unrolled: 1-line block ×7, first 2 shown]
	v_mov_b32_e32 v32, s7
	s_add_i32 s7, s3, 0xfffff8c0
	s_delay_alu instid0(SALU_CYCLE_1)
	v_mov_b32_e32 v34, s7
	s_add_i32 s7, s3, 0xfffff628
	ds_load_b64 v[32:33], v32
	ds_load_b64 v[34:35], v34
	v_fma_f64 v[80:81], -v[48:49], v[24:25], v[16:17]
	v_fma_f64 v[88:89], -v[2:3], v[28:29], v[26:27]
	v_dual_mov_b32 v17, s20 :: v_dual_mov_b32 v16, s7
	s_add_i32 s7, s3, 0xfffff1e0
	v_mov_b32_e32 v24, s15
	v_mov_b32_e32 v28, s18
	s_add_i32 s20, s3, 0xfffff530
	v_fma_f64 v[102:103], -v[0:1], v[78:79], v[30:31]
	v_fma_f64 v[104:105], -v[6:7], v[74:75], v[36:37]
	;; [unrolled: 1-line block ×3, first 2 shown]
	s_waitcnt lgkmcnt(1)
	v_fma_f64 v[42:43], -v[46:47], v[32:33], v[14:15]
	v_fma_f64 v[108:109], -v[10:11], v[84:85], v[18:19]
	v_fma_f64 v[62:63], -v[8:9], v[62:63], v[20:21]
	v_dual_mov_b32 v21, s14 :: v_dual_mov_b32 v18, s19
	v_dual_mov_b32 v20, s9 :: v_dual_mov_b32 v19, s17
	ds_load_2addr_b64 v[68:71], v17 offset1:1
	ds_load_2addr_b64 v[72:75], v18 offset1:1
	;; [unrolled: 1-line block ×6, first 2 shown]
	v_mov_b32_e32 v32, s7
	s_waitcnt lgkmcnt(6)
	v_mul_f64 v[14:15], v[34:35], v[22:23]
	s_add_i32 s7, s3, 0xfffff040
	v_mov_b32_e32 v16, s8
	v_mov_b32_e32 v20, s11
	s_add_i32 s9, s3, 0xfffff108
	s_add_i32 s8, s3, 0xfffff7d8
	v_mov_b32_e32 v36, s9
	ds_load_2addr_b64 v[16:19], v16 offset1:1
	ds_load_2addr_b64 v[20:23], v20 offset1:1
	;; [unrolled: 1-line block ×6, first 2 shown]
	s_add_i32 s9, s3, 0xfffff020
	s_add_i32 s11, s3, 0xfffff0f8
	;; [unrolled: 1-line block ×7, first 2 shown]
	s_waitcnt lgkmcnt(11)
	v_fma_f64 v[40:41], -v[46:47], v[70:71], v[40:41]
	v_fma_f64 v[66:67], -v[0:1], v[66:67], v[88:89]
	s_waitcnt lgkmcnt(9)
	v_fma_f64 v[70:71], -v[2:3], v[78:79], v[80:81]
	s_waitcnt lgkmcnt(7)
	;; [unrolled: 2-line block ×3, first 2 shown]
	v_fma_f64 v[80:81], -v[10:11], v[100:101], v[106:107]
	v_fma_f64 v[42:43], -v[48:49], v[74:75], v[42:43]
	;; [unrolled: 1-line block ×4, first 2 shown]
	v_mov_b32_e32 v96, s8
	s_add_i32 s8, s3, 0xfffff030
	v_fma_f64 v[86:87], -v[14:15], v[60:61], v[62:63]
	v_mov_b32_e32 v60, s7
	s_add_i32 s7, s3, 0xfffff6f8
	ds_load_b64 v[88:89], v60
	v_mov_b32_e32 v60, s7
	s_add_i32 s7, s3, 0xffffef58
	ds_load_2addr_b64 v[60:63], v60 offset1:1
	ds_load_b64 v[96:97], v96
	v_fma_f64 v[100:101], -v[48:49], v[68:69], v[40:41]
	v_fma_f64 v[106:107], -v[6:7], v[64:65], v[66:67]
	;; [unrolled: 1-line block ×3, first 2 shown]
	v_mov_b32_e32 v40, s7
	s_add_i32 s7, s3, 0xfffff390
	v_mov_b32_e32 v41, s8
	s_add_i32 s8, s3, 0xfffff380
	v_fma_f64 v[78:79], -v[10:11], v[94:95], v[78:79]
	v_fma_f64 v[80:81], -v[8:9], v[98:99], v[80:81]
	s_waitcnt lgkmcnt(2)
	v_fma_f64 v[88:89], -v[46:47], v[88:89], v[12:13]
	v_fma_f64 v[102:103], -v[2:3], v[72:73], v[42:43]
	;; [unrolled: 1-line block ×3, first 2 shown]
	v_mov_b32_e32 v42, s7
	s_add_i32 s7, s3, 0xfffff6f0
	s_waitcnt lgkmcnt(1)
	v_fma_f64 v[82:83], -v[14:15], v[62:63], v[82:83]
	ds_load_2addr_b64 v[62:65], v40 offset1:1
	ds_load_2addr_b64 v[66:69], v41 offset1:1
	;; [unrolled: 1-line block ×3, first 2 shown]
	v_mov_b32_e32 v40, s8
	v_mov_b32_e32 v74, s9
	ds_load_2addr_b64 v[40:43], v40 offset1:1
	ds_load_2addr_b64 v[74:77], v74 offset1:1
	s_waitcnt lgkmcnt(5)
	v_mul_f64 v[12:13], v[96:97], v[86:87]
	v_mov_b32_e32 v86, s7
	s_add_i32 s7, s3, 0xffffee80
	s_add_i32 s8, s3, 0xfffff608
	;; [unrolled: 1-line block ×3, first 2 shown]
	v_mov_b32_e32 v87, s8
	s_add_i32 s8, s3, 0xfffff0e8
	v_mov_b32_e32 v94, s9
	v_mov_b32_e32 v98, s8
	s_add_i32 s8, s3, 0xffffebd8
	s_add_i32 s9, s3, 0xffffeca0
	s_waitcnt lgkmcnt(4)
	v_fma_f64 v[64:65], -v[46:47], v[64:65], v[58:59]
	v_fma_f64 v[38:39], -v[2:3], v[38:39], v[100:101]
	s_waitcnt lgkmcnt(2)
	v_fma_f64 v[72:73], -v[4:5], v[72:73], v[106:107]
	v_fma_f64 v[30:31], -v[6:7], v[30:31], v[104:105]
	v_mov_b32_e32 v106, s18
	s_add_i32 s18, s3, 0xffffef18
	v_fma_f64 v[22:23], -v[8:9], v[22:23], v[78:79]
	v_fma_f64 v[18:19], -v[14:15], v[18:19], v[80:81]
	;; [unrolled: 1-line block ×5, first 2 shown]
	ds_load_b64 v[80:81], v86
	v_mov_b32_e32 v84, s20
	v_dual_mov_b32 v88, s24 :: v_dual_mov_b32 v85, s21
	v_mov_b32_e32 v89, s14
	s_add_i32 s14, s3, 0xfffff0d8
	s_add_i32 s21, s3, 0xffffed78
	;; [unrolled: 1-line block ×4, first 2 shown]
	v_fma_f64 v[78:79], -v[12:13], v[60:61], v[82:83]
	v_mov_b32_e32 v82, s7
	ds_load_2addr_b64 v[58:61], v87 offset1:1
	v_mov_b32_e32 v87, s23
	s_add_i32 s7, s3, 0xffffef38
	s_add_i32 s23, s3, 0xffffebc8
	ds_load_b64 v[82:83], v82
	v_mov_b32_e32 v86, s22
	v_mov_b32_e32 v102, s7
	s_add_i32 s7, s3, 0xffffecb0
	s_add_i32 s22, s3, 0xffffed68
	v_fma_f64 v[114:115], -v[48:49], v[62:63], v[64:65]
	v_fma_f64 v[118:119], -v[0:1], v[36:37], v[38:39]
	;; [unrolled: 1-line block ×4, first 2 shown]
	v_mov_b32_e32 v36, s15
	v_mov_b32_e32 v28, s17
	s_add_i32 s17, s3, 0xffffef28
	s_add_i32 s15, s3, 0xfffff0c8
	v_fma_f64 v[128:129], -v[14:15], v[20:21], v[22:23]
	v_fma_f64 v[16:17], -v[12:13], v[16:17], v[18:19]
	;; [unrolled: 1-line block ×3, first 2 shown]
	s_waitcnt lgkmcnt(0)
	v_fma_f64 v[56:57], -v[46:47], v[82:83], v[56:57]
	v_fma_f64 v[120:121], -v[6:7], v[32:33], v[34:35]
	;; [unrolled: 1-line block ×3, first 2 shown]
	v_mov_b32_e32 v20, s25
	v_mov_b32_e32 v32, s11
	;; [unrolled: 1-line block ×3, first 2 shown]
	ds_load_2addr_b64 v[20:23], v20 offset1:1
	ds_load_2addr_b64 v[24:27], v24 offset1:1
	;; [unrolled: 1-line block ×8, first 2 shown]
	v_mul_f64 v[18:19], v[80:81], v[78:79]
	ds_load_2addr_b64 v[78:81], v85 offset1:1
	ds_load_2addr_b64 v[82:85], v87 offset1:1
	;; [unrolled: 1-line block ×8, first 2 shown]
	s_add_i32 s19, s3, 0xffffee50
	s_add_i32 s11, s3, 0xfffff1a0
	s_waitcnt lgkmcnt(15)
	v_fma_f64 v[22:23], -v[46:47], v[22:23], v[54:55]
	s_waitcnt lgkmcnt(12)
	v_fma_f64 v[34:35], -v[6:7], v[34:35], v[118:119]
	v_fma_f64 v[30:31], -v[2:3], v[30:31], v[114:115]
	v_fma_f64 v[42:43], -v[8:9], v[42:43], v[124:125]
	v_fma_f64 v[54:55], -v[0:1], v[76:77], v[116:117]
	v_fma_f64 v[26:27], -v[48:49], v[26:27], v[56:57]
	s_waitcnt lgkmcnt(11)
	v_fma_f64 v[38:39], -v[4:5], v[38:39], v[120:121]
	s_waitcnt lgkmcnt(10)
	v_fma_f64 v[56:57], -v[10:11], v[64:65], v[122:123]
	;; [unrolled: 2-line block ×4, first 2 shown]
	v_fma_f64 v[16:17], -v[18:19], v[60:61], v[16:17]
	v_mov_b32_e32 v60, s27
	ds_load_b64 v[60:61], v60
	v_fma_f64 v[72:73], -v[48:49], v[20:21], v[22:23]
	v_fma_f64 v[116:117], -v[4:5], v[32:33], v[34:35]
	;; [unrolled: 1-line block ×3, first 2 shown]
	v_mov_b32_e32 v20, s7
	s_add_i32 s7, s3, 0xfffff010
	v_mov_b32_e32 v32, s8
	s_add_i32 s8, s3, 0xfffff000
	ds_load_2addr_b64 v[20:23], v20 offset1:1
	v_fma_f64 v[74:75], -v[6:7], v[74:75], v[54:55]
	s_waitcnt lgkmcnt(1)
	v_fma_f64 v[60:61], -v[46:47], v[60:61], v[52:53]
	v_fma_f64 v[76:77], -v[2:3], v[24:25], v[26:27]
	v_fma_f64 v[118:119], -v[10:11], v[36:37], v[38:39]
	v_fma_f64 v[56:57], -v[8:9], v[62:63], v[56:57]
	v_fma_f64 v[62:63], -v[14:15], v[40:41], v[42:43]
	v_fma_f64 v[64:65], -v[12:13], v[66:67], v[64:65]
	v_fma_f64 v[66:67], -v[18:19], v[70:71], v[68:69]
	v_mov_b32_e32 v24, s7
	s_add_i32 s7, s3, 0xfffff370
	ds_load_2addr_b64 v[32:35], v32 offset1:1
	v_mov_b32_e32 v28, s7
	s_add_i32 s7, s3, 0xfffff360
	ds_load_2addr_b64 v[24:27], v24 offset1:1
	v_mul_f64 v[16:17], v[58:59], v[16:17]
	v_mov_b32_e32 v36, s7
	ds_load_2addr_b64 v[28:31], v28 offset1:1
	s_add_i32 s7, s3, 0xfffff438
	v_mov_b32_e32 v40, s8
	v_mov_b32_e32 v52, s9
	ds_load_2addr_b64 v[36:39], v36 offset1:1
	ds_load_2addr_b64 v[40:43], v40 offset1:1
	;; [unrolled: 1-line block ×3, first 2 shown]
	s_add_i32 s9, s3, 0xfffff1b0
	s_add_i32 s8, s3, 0xfffff278
	v_fma_f64 v[70:71], -v[6:7], v[104:105], v[114:115]
	s_waitcnt lgkmcnt(5)
	v_fma_f64 v[34:35], -v[46:47], v[34:35], v[50:51]
	v_mov_b32_e32 v50, s7
	s_add_i32 s7, s3, 0xfffff288
	s_waitcnt lgkmcnt(4)
	v_fma_f64 v[26:27], -v[4:5], v[26:27], v[74:75]
	v_fma_f64 v[22:23], -v[48:49], v[22:23], v[60:61]
	;; [unrolled: 1-line block ×7, first 2 shown]
	s_waitcnt lgkmcnt(3)
	v_fma_f64 v[30:31], -v[12:13], v[30:31], v[62:63]
	v_fma_f64 v[62:63], -v[18:19], v[84:85], v[64:65]
	ds_load_2addr_b64 v[56:59], v50 offset1:1
	v_mov_b32_e32 v84, s15
	s_add_i32 s15, s3, 0xffffeef8
	v_fma_f64 v[64:65], -v[16:17], v[80:81], v[66:67]
	v_mov_b32_e32 v80, s7
	s_add_i32 s7, s3, 0xffffec90
	v_mov_b32_e32 v81, s11
	s_add_i32 s11, s3, 0xfffff0a8
	v_fma_f64 v[124:125], -v[48:49], v[32:33], v[34:35]
	v_mov_b32_e32 v32, s17
	s_add_i32 s17, s3, 0xffffee30
	v_fma_f64 v[112:113], -v[10:11], v[24:25], v[26:27]
	v_fma_f64 v[20:21], -v[2:3], v[20:21], v[22:23]
	;; [unrolled: 1-line block ×10, first 2 shown]
	v_mov_b32_e32 v24, s21
	v_mov_b32_e32 v60, s14
	v_mov_b32_e32 v72, s23
	v_mov_b32_e32 v28, s19
	v_mul_f64 v[22:23], v[78:79], v[64:65]
	v_mov_b32_e32 v64, s9
	ds_load_2addr_b64 v[24:27], v24 offset1:1
	ds_load_2addr_b64 v[28:31], v28 offset1:1
	;; [unrolled: 1-line block ×7, first 2 shown]
	v_mov_b32_e32 v76, s8
	v_mov_b32_e32 v94, s18
	;; [unrolled: 1-line block ×5, first 2 shown]
	ds_load_2addr_b64 v[76:79], v76 offset1:1
	ds_load_2addr_b64 v[80:83], v81 offset1:1
	;; [unrolled: 1-line block ×7, first 2 shown]
	s_add_i32 s9, s3, 0xfffff0b8
	s_add_i32 s19, s3, 0xffffed58
	;; [unrolled: 1-line block ×7, first 2 shown]
	s_waitcnt lgkmcnt(16)
	v_fma_f64 v[42:43], -v[8:9], v[42:43], v[112:113]
	s_waitcnt lgkmcnt(15)
	v_fma_f64 v[20:21], -v[0:1], v[54:55], v[20:21]
	;; [unrolled: 2-line block ×8, first 2 shown]
	v_fma_f64 v[38:39], -v[16:17], v[38:39], v[120:121]
	s_waitcnt lgkmcnt(7)
	v_fma_f64 v[66:67], -v[2:3], v[74:75], v[124:125]
	v_fma_f64 v[58:59], -v[22:23], v[58:59], v[122:123]
	;; [unrolled: 1-line block ×11, first 2 shown]
	v_mov_b32_e32 v24, s7
	s_add_i32 s7, s3, 0xffffeff0
	v_mov_b32_e32 v40, s8
	v_mov_b32_e32 v28, s7
	s_add_i32 s7, s3, 0xfffff350
	v_mul_f64 v[20:21], v[56:57], v[58:59]
	v_fma_f64 v[56:57], -v[0:1], v[72:73], v[66:67]
	v_mov_b32_e32 v32, s7
	ds_load_2addr_b64 v[24:27], v24 offset1:1
	ds_load_2addr_b64 v[28:31], v28 offset1:1
	;; [unrolled: 1-line block ×3, first 2 shown]
	s_add_i32 s7, s3, 0xffffefe0
	s_add_i32 s8, s3, 0xfffff180
	v_mov_b32_e32 v36, s7
	s_add_i32 s7, s3, 0xfffff268
	ds_load_2addr_b64 v[36:39], v36 offset1:1
	ds_load_2addr_b64 v[40:43], v40 offset1:1
	s_waitcnt lgkmcnt(4)
	v_fma_f64 v[26:27], -v[4:5], v[26:27], v[52:53]
	v_fma_f64 v[58:59], -v[10:11], v[104:105], v[70:71]
	;; [unrolled: 1-line block ×4, first 2 shown]
	s_waitcnt lgkmcnt(3)
	v_fma_f64 v[30:31], -v[12:13], v[30:31], v[110:111]
	v_fma_f64 v[68:69], -v[18:19], v[86:87], v[50:51]
	;; [unrolled: 1-line block ×4, first 2 shown]
	v_mov_b32_e32 v50, s7
	s_add_i32 s7, s3, 0xfffff190
	v_mov_b32_e32 v70, s8
	v_mov_b32_e32 v74, s11
	;; [unrolled: 1-line block ×3, first 2 shown]
	s_waitcnt lgkmcnt(2)
	v_fma_f64 v[34:35], -v[20:21], v[34:35], v[62:63]
	v_fma_f64 v[56:57], -v[6:7], v[108:109], v[56:57]
	v_mov_b32_e32 v62, s7
	ds_load_2addr_b64 v[50:53], v50 offset1:1
	s_add_i32 s7, s3, 0xffffeb98
	v_mov_b32_e32 v82, s18
	v_mov_b32_e32 v86, s20
	s_add_i32 s8, s3, 0xffffec60
	s_add_i32 s11, s3, 0xffffed38
	v_fma_f64 v[24:25], -v[10:11], v[24:25], v[26:27]
	v_fma_f64 v[100:101], -v[8:9], v[102:103], v[58:59]
	;; [unrolled: 1-line block ×8, first 2 shown]
	v_mov_b32_e32 v28, s19
	v_mov_b32_e32 v58, s9
	;; [unrolled: 1-line block ×5, first 2 shown]
	v_mul_f64 v[26:27], v[32:33], v[34:35]
	v_fma_f64 v[106:107], -v[4:5], v[106:107], v[56:57]
	v_mov_b32_e32 v32, s17
	ds_load_2addr_b64 v[28:31], v28 offset1:1
	ds_load_2addr_b64 v[32:35], v32 offset1:1
	;; [unrolled: 1-line block ×6, first 2 shown]
	s_add_i32 s7, s3, 0xffffec70
	ds_load_2addr_b64 v[70:73], v70 offset1:1
	ds_load_2addr_b64 v[74:77], v74 offset1:1
	;; [unrolled: 1-line block ×6, first 2 shown]
	s_add_i32 s9, s3, 0xffffee10
	s_add_i32 s14, s3, 0xffffeb88
	s_waitcnt lgkmcnt(13)
	v_fma_f64 v[24:25], -v[8:9], v[42:43], v[24:25]
	s_waitcnt lgkmcnt(11)
	v_fma_f64 v[30:31], -v[14:15], v[30:31], v[100:101]
	;; [unrolled: 2-line block ×4, first 2 shown]
	v_fma_f64 v[38:39], -v[16:17], v[38:39], v[104:105]
	s_waitcnt lgkmcnt(8)
	v_fma_f64 v[56:57], -v[22:23], v[60:61], v[108:109]
	s_waitcnt lgkmcnt(7)
	v_fma_f64 v[60:61], -v[20:21], v[64:65], v[110:111]
	v_fma_f64 v[52:53], -v[26:27], v[52:53], v[112:113]
	s_waitcnt lgkmcnt(6)
	v_fma_f64 v[64:65], -v[10:11], v[68:69], v[106:107]
	v_fma_f64 v[68:69], -v[14:15], v[40:41], v[24:25]
	;; [unrolled: 1-line block ×8, first 2 shown]
	v_mov_b32_e32 v28, s7
	s_add_i32 s7, s3, 0xffffefd0
	v_mov_b32_e32 v40, s8
	v_mov_b32_e32 v32, s7
	ds_load_2addr_b64 v[28:31], v28 offset1:1
	ds_load_2addr_b64 v[32:35], v32 offset1:1
	v_mul_f64 v[24:25], v[50:51], v[52:53]
	v_fma_f64 v[50:51], -v[8:9], v[66:67], v[64:65]
	s_add_i32 s7, s3, 0xffffefc0
	s_add_i32 s8, s3, 0xffffeee8
	v_mov_b32_e32 v36, s7
	s_add_i32 s7, s3, 0xfffff098
	v_mov_b32_e32 v62, s14
	ds_load_2addr_b64 v[36:39], v36 offset1:1
	ds_load_2addr_b64 v[40:43], v40 offset1:1
	s_waitcnt lgkmcnt(3)
	v_fma_f64 v[30:31], -v[12:13], v[30:31], v[68:69]
	v_fma_f64 v[52:53], -v[18:19], v[88:89], v[98:99]
	v_fma_f64 v[60:61], -v[16:17], v[84:85], v[100:101]
	v_fma_f64 v[54:55], -v[22:23], v[80:81], v[54:55]
	s_waitcnt lgkmcnt(2)
	v_fma_f64 v[34:35], -v[20:21], v[34:35], v[102:103]
	v_fma_f64 v[56:57], -v[26:27], v[76:77], v[56:57]
	;; [unrolled: 1-line block ×10, first 2 shown]
	v_mov_b32_e32 v32, s11
	v_mov_b32_e32 v54, s8
	s_add_i32 s8, s3, 0xffffee00
	s_add_i32 s11, s3, 0xffffeb78
	s_delay_alu instid0(SALU_CYCLE_1)
	v_mov_b32_e32 v78, s11
	s_add_i32 s11, s3, 0xffffeb68
	v_mul_f64 v[30:31], v[70:71], v[58:59]
	v_fma_f64 v[94:95], -v[12:13], v[94:95], v[50:51]
	v_mov_b32_e32 v50, s9
	v_mov_b32_e32 v58, s7
	ds_load_2addr_b64 v[32:35], v32 offset1:1
	ds_load_2addr_b64 v[50:53], v50 offset1:1
	ds_load_2addr_b64 v[54:57], v54 offset1:1
	ds_load_2addr_b64 v[58:61], v58 offset1:1
	ds_load_2addr_b64 v[62:65], v62 offset1:1
	s_add_i32 s7, s3, 0xffffeed8
	s_add_i32 s9, s3, 0xffffed28
	v_mov_b32_e32 v66, s7
	s_add_i32 s7, s3, 0xffffec50
	v_mov_b32_e32 v70, s8
	v_mov_b32_e32 v74, s9
	ds_load_2addr_b64 v[66:69], v66 offset1:1
	ds_load_2addr_b64 v[70:73], v70 offset1:1
	;; [unrolled: 1-line block ×4, first 2 shown]
	s_add_i32 s9, s3, 0xffffed18
	s_add_i32 s8, s3, 0xffffedf0
	s_waitcnt lgkmcnt(9)
	v_fma_f64 v[28:29], -v[16:17], v[42:43], v[28:29]
	s_waitcnt lgkmcnt(8)
	v_fma_f64 v[34:35], -v[22:23], v[34:35], v[84:85]
	;; [unrolled: 2-line block ×4, first 2 shown]
	v_fma_f64 v[38:39], -v[24:25], v[38:39], v[88:89]
	s_waitcnt lgkmcnt(5)
	v_fma_f64 v[56:57], -v[30:31], v[60:61], v[96:97]
	s_waitcnt lgkmcnt(4)
	v_fma_f64 v[60:61], -v[18:19], v[64:65], v[94:95]
	v_fma_f64 v[64:65], -v[22:23], v[40:41], v[28:29]
	;; [unrolled: 1-line block ×6, first 2 shown]
	v_mov_b32_e32 v32, s7
	s_add_i32 s7, s3, 0xffffefb0
	s_delay_alu instid0(SALU_CYCLE_1)
	v_mov_b32_e32 v36, s7
	ds_load_2addr_b64 v[32:35], v32 offset1:1
	ds_load_2addr_b64 v[36:39], v36 offset1:1
	s_add_i32 s7, s3, 0xffffec40
	v_mul_f64 v[28:29], v[58:59], v[56:57]
	v_fma_f64 v[56:57], -v[16:17], v[62:63], v[60:61]
	v_mov_b32_e32 v40, s7
	s_add_i32 s7, s3, 0xffffeec8
	ds_load_2addr_b64 v[40:43], v40 offset1:1
	s_waitcnt lgkmcnt(2)
	v_fma_f64 v[34:35], -v[20:21], v[34:35], v[64:65]
	v_fma_f64 v[58:59], -v[26:27], v[76:77], v[82:83]
	;; [unrolled: 1-line block ×4, first 2 shown]
	s_waitcnt lgkmcnt(1)
	v_fma_f64 v[38:39], -v[28:29], v[38:39], v[54:55]
	v_fma_f64 v[54:55], -v[22:23], v[80:81], v[56:57]
	;; [unrolled: 1-line block ×6, first 2 shown]
	v_mov_b32_e32 v50, s8
	v_mov_b32_e32 v58, s11
	s_add_i32 s8, s3, 0xffffed08
	s_delay_alu instid0(SALU_CYCLE_1)
	v_mov_b32_e32 v66, s8
	s_add_i32 s8, s3, 0xffffeb48
	v_mul_f64 v[34:35], v[36:37], v[38:39]
	v_fma_f64 v[78:79], -v[20:21], v[78:79], v[54:55]
	v_mov_b32_e32 v36, s9
	v_mov_b32_e32 v54, s7
	ds_load_2addr_b64 v[36:39], v36 offset1:1
	ds_load_2addr_b64 v[50:53], v50 offset1:1
	;; [unrolled: 1-line block ×4, first 2 shown]
	s_add_i32 s7, s3, 0xffffede0
	s_add_i32 s9, s3, 0xffffeb58
	v_mov_b32_e32 v62, s7
	s_add_i32 s7, s3, 0xffffec30
	v_mov_b32_e32 v70, s9
	ds_load_2addr_b64 v[62:65], v62 offset1:1
	ds_load_2addr_b64 v[66:69], v66 offset1:1
	ds_load_2addr_b64 v[70:73], v70 offset1:1
	s_waitcnt lgkmcnt(7)
	v_fma_f64 v[32:33], -v[24:25], v[42:43], v[32:33]
	s_waitcnt lgkmcnt(6)
	v_fma_f64 v[38:39], -v[30:31], v[38:39], v[74:75]
	;; [unrolled: 2-line block ×5, first 2 shown]
	v_fma_f64 v[60:61], -v[30:31], v[40:41], v[32:33]
	v_fma_f64 v[74:75], -v[28:29], v[36:37], v[38:39]
	;; [unrolled: 1-line block ×3, first 2 shown]
	v_mov_b32_e32 v36, s7
	s_add_i32 s7, s3, 0xffffec20
	s_delay_alu instid0(SALU_CYCLE_1)
	v_mov_b32_e32 v40, s7
	s_add_i32 s7, s3, 0xffffecf8
	ds_load_2addr_b64 v[36:39], v36 offset1:1
	ds_load_2addr_b64 v[40:43], v40 offset1:1
	v_mul_f64 v[32:33], v[54:55], v[52:53]
	v_fma_f64 v[52:53], -v[24:25], v[58:59], v[56:57]
	s_waitcnt lgkmcnt(1)
	v_fma_f64 v[38:39], -v[28:29], v[38:39], v[60:61]
	v_fma_f64 v[54:55], -v[34:35], v[68:69], v[74:75]
	s_delay_alu instid0(VALU_DEP_4) | instskip(NEXT) | instid1(VALU_DEP_4)
	v_fma_f64 v[50:51], -v[32:33], v[64:65], v[50:51]
	v_fma_f64 v[52:53], -v[30:31], v[72:73], v[52:53]
	s_delay_alu instid0(VALU_DEP_4) | instskip(NEXT) | instid1(VALU_DEP_4)
	v_fma_f64 v[36:37], -v[34:35], v[36:37], v[38:39]
	v_fma_f64 v[64:65], -v[32:33], v[66:67], v[54:55]
	v_mov_b32_e32 v54, s8
	v_mul_f64 v[38:39], v[62:63], v[50:51]
	v_fma_f64 v[62:63], -v[28:29], v[70:71], v[52:53]
	v_mov_b32_e32 v50, s7
	ds_load_2addr_b64 v[50:53], v50 offset1:1
	ds_load_2addr_b64 v[54:57], v54 offset1:1
	s_add_i32 s7, s3, 0xffffeb38
	s_delay_alu instid0(SALU_CYCLE_1)
	v_mov_b32_e32 v58, s7
	s_add_i32 s7, s3, 0xffffec10
	s_addk_i32 s3, 0xeb28
	ds_load_2addr_b64 v[58:61], v58 offset1:1
	s_waitcnt lgkmcnt(3)
	v_fma_f64 v[36:37], -v[32:33], v[42:43], v[36:37]
	s_waitcnt lgkmcnt(2)
	v_fma_f64 v[42:43], -v[38:39], v[52:53], v[64:65]
	;; [unrolled: 2-line block ×3, first 2 shown]
	s_delay_alu instid0(VALU_DEP_3) | instskip(SKIP_2) | instid1(SALU_CYCLE_1)
	v_fma_f64 v[56:57], -v[38:39], v[40:41], v[36:37]
	v_mov_b32_e32 v40, s7
	s_ashr_i32 s7, s6, 31
	s_lshl_b64 s[8:9], s[6:7], 3
	s_sub_i32 s6, s6, 24
	s_delay_alu instid0(VALU_DEP_4) | instskip(SKIP_4) | instid1(VALU_DEP_2)
	v_mul_f64 v[36:37], v[50:51], v[42:43]
	ds_load_2addr_b64 v[40:43], v40 offset1:1
	v_fma_f64 v[50:51], -v[32:33], v[54:55], v[52:53]
	s_waitcnt lgkmcnt(0)
	v_fma_f64 v[42:43], -v[36:37], v[42:43], v[56:57]
	v_fma_f64 v[50:51], -v[38:39], v[60:61], v[50:51]
	s_delay_alu instid0(VALU_DEP_2) | instskip(NEXT) | instid1(VALU_DEP_2)
	v_mul_f64 v[42:43], v[40:41], v[42:43]
	v_fma_f64 v[40:41], -v[36:37], v[58:59], v[50:51]
	v_mov_b32_e32 v50, s3
	ds_load_2addr_b64 v[50:53], v50 offset1:1
	s_waitcnt lgkmcnt(0)
	v_fma_f64 v[40:41], -v[42:43], v[52:53], v[40:41]
	s_delay_alu instid0(VALU_DEP_1)
	v_mul_f64 v[40:41], v[50:51], v[40:41]
	v_add_co_u32 v50, vcc_lo, v90, s8
	v_add_co_ci_u32_e32 v51, vcc_lo, s9, v91, vcc_lo
	s_clause 0xc
	global_store_b64 v[50:51], v[48:49], off offset:-8
	global_store_b128 v[50:51], v[0:3], off offset:-24
	global_store_b128 v[50:51], v[4:7], off offset:-40
	;; [unrolled: 1-line block ×10, first 2 shown]
	global_store_b64 v[44:45], v[46:47], off
	global_store_b128 v[50:51], v[40:43], off offset:-184
.LBB100_20:
	s_cmp_lt_i32 s6, 0
	s_cbranch_scc1 .LBB100_33
; %bb.21:
	s_bitcmp1_b32 s6, 0
	s_mov_b32 s8, s6
	s_cselect_b32 s3, -1, 0
	s_delay_alu instid0(SALU_CYCLE_1)
	s_and_b32 vcc_lo, exec_lo, s3
	s_cbranch_vccnz .LBB100_26
; %bb.22:
	s_mov_b32 s7, 0
	s_delay_alu instid0(SALU_CYCLE_1)
	s_lshl_b64 s[8:9], s[6:7], 3
	s_cmp_le_i32 s16, s6
	v_add_co_u32 v0, vcc_lo, v90, s8
	v_add_co_ci_u32_e32 v1, vcc_lo, s9, v91, vcc_lo
	global_load_b64 v[2:3], v[0:1], off
	s_waitcnt vmcnt(0)
	v_mul_f64 v[2:3], v[2:3], s[4:5]
	s_cbranch_scc1 .LBB100_25
; %bb.23:
	s_mul_i32 s3, s6, 0xe0
	s_lshl_b32 s7, s2, 3
	s_ashr_i32 s17, s16, 31
	s_add_i32 s3, s3, s7
	s_lshl_b64 s[8:9], s[16:17], 3
	s_add_i32 s3, s3, -8
	s_add_u32 s7, s12, s8
	s_addc_u32 s8, s13, s9
	s_add_u32 s7, s7, s0
	s_addc_u32 s8, s8, s1
	v_add_co_u32 v4, vcc_lo, s7, v92
	v_add_co_ci_u32_e32 v5, vcc_lo, s8, v93, vcc_lo
	s_mov_b32 s7, s16
.LBB100_24:                             ; =>This Inner Loop Header: Depth=1
	global_load_b64 v[6:7], v[4:5], off
	v_mov_b32_e32 v8, s3
	v_add_co_u32 v4, vcc_lo, v4, -8
	v_add_co_ci_u32_e32 v5, vcc_lo, -1, v5, vcc_lo
	ds_load_b64 v[8:9], v8
	s_add_i32 s7, s7, -1
	s_add_i32 s3, s3, -8
	s_cmp_gt_i32 s7, s6
	s_waitcnt vmcnt(0) lgkmcnt(0)
	v_fma_f64 v[2:3], -v[6:7], v[8:9], v[2:3]
	s_cbranch_scc1 .LBB100_24
.LBB100_25:
	s_mul_i32 s3, s6, 0xe8
	s_add_i32 s8, s6, -1
	v_mov_b32_e32 v4, s3
	ds_load_b64 v[4:5], v4
	s_waitcnt lgkmcnt(0)
	v_mul_f64 v[2:3], v[4:5], v[2:3]
	global_store_b64 v[0:1], v[2:3], off
.LBB100_26:
	s_cmp_eq_u32 s6, 0
	s_mov_b32 s9, 0
	s_cbranch_scc1 .LBB100_33
; %bb.27:
	s_mul_i32 s3, s8, 0xe0
	s_lshl_b32 s6, s2, 3
	s_ashr_i32 s17, s16, 31
	s_add_i32 s11, s3, s6
	s_lshl_b64 s[6:7], s[16:17], 3
	s_add_i32 s3, s11, -8
	s_add_u32 s6, s12, s6
	s_addc_u32 s7, s13, s7
	s_add_u32 s6, s6, s0
	s_addc_u32 s7, s7, s1
	v_add_co_u32 v0, vcc_lo, s6, v92
	v_add_co_ci_u32_e32 v1, vcc_lo, s7, v93, vcc_lo
	s_add_i32 s6, s11, 0xffffff18
	s_branch .LBB100_29
.LBB100_28:                             ;   in Loop: Header=BB100_29 Depth=1
	s_addk_i32 s7, 0xff18
	s_addk_i32 s3, 0xfe40
	v_mov_b32_e32 v6, s7
	s_add_i32 s7, s8, -2
	s_addk_i32 s6, 0xfe40
	s_cmp_lt_i32 s8, 2
	s_mov_b32 s8, s7
	ds_load_b64 v[6:7], v6
	s_waitcnt lgkmcnt(0)
	v_mul_f64 v[4:5], v[6:7], v[4:5]
	global_store_b64 v[2:3], v[4:5], off offset:-8
	s_cbranch_scc1 .LBB100_33
.LBB100_29:                             ; =>This Loop Header: Depth=1
                                        ;     Child Loop BB100_30 Depth 2
                                        ;     Child Loop BB100_32 Depth 2
	s_lshl_b64 s[14:15], s[8:9], 3
	s_delay_alu instid0(VALU_DEP_1)
	v_dual_mov_b32 v5, v1 :: v_dual_mov_b32 v4, v0
	v_add_co_u32 v2, vcc_lo, v90, s14
	v_add_co_ci_u32_e32 v3, vcc_lo, s15, v91, vcc_lo
	s_cmp_le_i32 s16, s8
	s_mov_b32 s7, s3
	s_mov_b32 s11, s16
	global_load_b64 v[2:3], v[2:3], off
	s_waitcnt vmcnt(0)
	v_mul_f64 v[2:3], v[2:3], s[4:5]
	s_cbranch_scc1 .LBB100_31
.LBB100_30:                             ;   Parent Loop BB100_29 Depth=1
                                        ; =>  This Inner Loop Header: Depth=2
	global_load_b64 v[6:7], v[4:5], off
	v_mov_b32_e32 v8, s7
	v_add_co_u32 v4, vcc_lo, v4, -8
	v_add_co_ci_u32_e32 v5, vcc_lo, -1, v5, vcc_lo
	ds_load_b64 v[8:9], v8
	s_add_i32 s11, s11, -1
	s_add_i32 s7, s7, -8
	s_cmp_gt_i32 s11, s8
	s_waitcnt vmcnt(0) lgkmcnt(0)
	v_fma_f64 v[2:3], -v[6:7], v[8:9], v[2:3]
	s_cbranch_scc1 .LBB100_30
.LBB100_31:                             ;   in Loop: Header=BB100_29 Depth=1
	s_add_i32 s14, s8, -1
	s_mov_b32 s15, s9
	s_mul_i32 s7, s8, 0xe8
	s_lshl_b64 s[14:15], s[14:15], 3
	v_mov_b32_e32 v6, s7
	v_add_co_u32 v4, vcc_lo, v90, s14
	v_add_co_ci_u32_e32 v5, vcc_lo, s15, v91, vcc_lo
	ds_load_b64 v[6:7], v6
	s_ashr_i32 s15, s8, 31
	s_mov_b32 s14, s8
	global_load_b64 v[4:5], v[4:5], off
	s_lshl_b64 s[14:15], s[14:15], 3
	s_cmp_lt_i32 s16, s8
	s_mov_b32 s11, s6
	s_waitcnt lgkmcnt(0)
	v_mul_f64 v[8:9], v[6:7], v[2:3]
	v_add_co_u32 v2, vcc_lo, v90, s14
	v_add_co_ci_u32_e32 v3, vcc_lo, s15, v91, vcc_lo
	v_dual_mov_b32 v7, v1 :: v_dual_mov_b32 v6, v0
	s_mov_b32 s14, s2
	global_store_b64 v[2:3], v[8:9], off
	s_waitcnt vmcnt(0)
	v_mul_f64 v[4:5], v[4:5], s[4:5]
	s_cbranch_scc1 .LBB100_28
.LBB100_32:                             ;   Parent Loop BB100_29 Depth=1
                                        ; =>  This Inner Loop Header: Depth=2
	global_load_b64 v[8:9], v[6:7], off
	v_mov_b32_e32 v10, s11
	v_add_co_u32 v6, vcc_lo, v6, -8
	v_add_co_ci_u32_e32 v7, vcc_lo, -1, v7, vcc_lo
	ds_load_b64 v[10:11], v10
	s_add_i32 s14, s14, -1
	s_add_i32 s11, s11, -8
	s_cmp_gt_i32 s14, s8
	s_waitcnt vmcnt(0) lgkmcnt(0)
	v_fma_f64 v[4:5], -v[8:9], v[10:11], v[4:5]
	s_cbranch_scc1 .LBB100_32
	s_branch .LBB100_28
.LBB100_33:
	s_mov_b32 s3, 0
.LBB100_34:
	s_delay_alu instid0(SALU_CYCLE_1)
	s_and_b32 vcc_lo, exec_lo, s3
	s_cbranch_vccz .LBB100_54
; %bb.35:
	s_cmp_gt_i32 s10, 27
	s_mov_b32 s6, 0
	s_cselect_b32 s3, -1, 0
	s_delay_alu instid0(SALU_CYCLE_1)
	s_and_b32 vcc_lo, exec_lo, s3
	s_cbranch_vccz .LBB100_37
; %bb.36:
	s_clause 0x3
	global_load_b128 v[0:3], v[90:91], off
	global_load_b128 v[26:29], v[90:91], off offset:16
	global_load_b128 v[8:11], v[90:91], off offset:32
	;; [unrolled: 1-line block ×3, first 2 shown]
	v_dual_mov_b32 v48, 0 :: v_dual_mov_b32 v89, 0x848
	s_mov_b32 s6, 28
	ds_load_b128 v[14:17], v48
	ds_load_b128 v[22:25], v48 offset:16
	s_waitcnt vmcnt(3)
	v_mul_f64 v[0:1], v[0:1], s[4:5]
	s_waitcnt lgkmcnt(1)
	s_delay_alu instid0(VALU_DEP_1)
	v_mul_f64 v[0:1], v[14:15], v[0:1]
	global_load_b128 v[12:15], v[90:91], off offset:64
	v_mul_f64 v[16:17], v[0:1], v[16:17]
	s_waitcnt lgkmcnt(0)
	v_mul_f64 v[30:31], v[0:1], v[22:23]
	v_mul_f64 v[38:39], v[0:1], v[24:25]
	s_delay_alu instid0(VALU_DEP_3)
	v_fma_f64 v[2:3], v[2:3], s[4:5], -v[16:17]
	global_load_b128 v[16:19], v[90:91], off offset:80
	ds_load_2addr_b64 v[34:37], v48 offset0:29 offset1:30
	ds_load_2addr_b64 v[20:23], v48 offset0:31 offset1:32
	s_waitcnt vmcnt(4)
	v_fma_f64 v[30:31], v[26:27], s[4:5], -v[30:31]
	v_fma_f64 v[44:45], v[28:29], s[4:5], -v[38:39]
	s_waitcnt lgkmcnt(1)
	v_mul_f64 v[2:3], v[34:35], v[2:3]
	ds_load_b128 v[24:27], v48 offset:32
	ds_load_b128 v[32:35], v48 offset:48
	s_waitcnt lgkmcnt(1)
	v_mul_f64 v[46:47], v[0:1], v[24:25]
	v_mul_f64 v[26:27], v[0:1], v[26:27]
	s_waitcnt lgkmcnt(0)
	v_mul_f64 v[32:33], v[0:1], v[32:33]
	v_mul_f64 v[65:66], v[0:1], v[34:35]
	v_fma_f64 v[24:25], -v[2:3], v[36:37], v[30:31]
	global_load_b128 v[28:31], v[90:91], off offset:96
	ds_load_b128 v[36:39], v48 offset:464
	ds_load_2addr_b64 v[40:43], v48 offset0:53 offset1:54
	v_fma_f64 v[20:21], -v[2:3], v[20:21], v[44:45]
	s_waitcnt vmcnt(4)
	v_fma_f64 v[46:47], v[8:9], s[4:5], -v[46:47]
	v_fma_f64 v[10:11], v[10:11], s[4:5], -v[26:27]
	s_waitcnt vmcnt(3)
	v_fma_f64 v[4:5], v[4:5], s[4:5], -v[32:33]
	s_waitcnt lgkmcnt(1)
	v_mul_f64 v[8:9], v[36:37], v[24:25]
	global_load_b128 v[24:27], v[90:91], off offset:112
	v_fma_f64 v[61:62], -v[2:3], v[22:23], v[46:47]
	v_fma_f64 v[63:64], -v[8:9], v[38:39], v[20:21]
	ds_load_2addr_b64 v[20:23], v48 offset0:33 offset1:34
	ds_load_b128 v[36:39], v48 offset:480
	ds_load_2addr_b64 v[44:47], v48 offset0:87 offset1:88
	ds_load_2addr_b64 v[49:52], v48 offset0:89 offset1:90
	ds_load_b128 v[53:56], v48 offset:496
	ds_load_2addr_b64 v[57:60], v48 offset0:35 offset1:36
	s_waitcnt lgkmcnt(5)
	v_fma_f64 v[20:21], -v[2:3], v[20:21], v[10:11]
	s_waitcnt lgkmcnt(4)
	v_fma_f64 v[36:37], -v[8:9], v[36:37], v[61:62]
	s_waitcnt lgkmcnt(3)
	v_mul_f64 v[10:11], v[44:45], v[63:64]
	ds_load_b128 v[32:35], v48 offset:64
	ds_load_b128 v[61:64], v48 offset:80
	v_fma_f64 v[44:45], v[6:7], s[4:5], -v[65:66]
	v_fma_f64 v[65:66], -v[2:3], v[22:23], v[4:5]
	v_fma_f64 v[67:68], -v[8:9], v[38:39], v[20:21]
	s_waitcnt lgkmcnt(1)
	v_mul_f64 v[32:33], v[0:1], v[32:33]
	v_mul_f64 v[34:35], v[0:1], v[34:35]
	s_waitcnt lgkmcnt(0)
	v_mul_f64 v[61:62], v[0:1], v[61:62]
	v_mul_f64 v[85:86], v[0:1], v[63:64]
	v_fma_f64 v[46:47], -v[10:11], v[46:47], v[36:37]
	global_load_b128 v[36:39], v[90:91], off offset:128
	ds_load_b128 v[4:7], v48 offset:928
	ds_load_b128 v[20:23], v48 offset:944
	v_fma_f64 v[49:50], -v[10:11], v[49:50], v[67:68]
	s_waitcnt vmcnt(4)
	v_fma_f64 v[12:13], v[12:13], s[4:5], -v[32:33]
	v_fma_f64 v[32:33], -v[2:3], v[57:58], v[44:45]
	v_fma_f64 v[44:45], -v[8:9], v[53:54], v[65:66]
	v_fma_f64 v[77:78], v[14:15], s[4:5], -v[34:35]
	s_waitcnt lgkmcnt(1)
	v_mul_f64 v[4:5], v[4:5], v[46:47]
	v_fma_f64 v[79:80], -v[2:3], v[59:60], v[12:13]
	v_fma_f64 v[81:82], -v[8:9], v[55:56], v[32:33]
	;; [unrolled: 1-line block ×3, first 2 shown]
	global_load_b128 v[32:35], v[90:91], off offset:144
	v_fma_f64 v[6:7], -v[4:5], v[6:7], v[49:50]
	ds_load_2addr_b64 v[12:15], v48 offset0:37 offset1:38
	ds_load_b128 v[44:47], v48 offset:512
	ds_load_2addr_b64 v[49:52], v48 offset0:91 offset1:92
	ds_load_2addr_b64 v[53:56], v48 offset0:145 offset1:146
	;; [unrolled: 1-line block ×4, first 2 shown]
	ds_load_b128 v[69:72], v48 offset:528
	ds_load_2addr_b64 v[73:76], v48 offset0:39 offset1:40
	s_waitcnt lgkmcnt(7)
	v_fma_f64 v[12:13], -v[2:3], v[12:13], v[77:78]
	s_waitcnt vmcnt(4)
	v_fma_f64 v[16:17], v[16:17], s[4:5], -v[61:62]
	s_waitcnt lgkmcnt(6)
	v_fma_f64 v[44:45], -v[8:9], v[44:45], v[79:80]
	s_waitcnt lgkmcnt(5)
	v_fma_f64 v[49:50], -v[10:11], v[49:50], v[81:82]
	v_fma_f64 v[20:21], -v[4:5], v[20:21], v[83:84]
	ds_load_b128 v[61:64], v48 offset:96
	ds_load_b128 v[77:80], v48 offset:112
	s_waitcnt lgkmcnt(6)
	v_mul_f64 v[6:7], v[53:54], v[6:7]
	s_waitcnt lgkmcnt(1)
	v_mul_f64 v[53:54], v[0:1], v[61:62]
	v_fma_f64 v[61:62], v[18:19], s[4:5], -v[85:86]
	v_mul_f64 v[63:64], v[0:1], v[63:64]
	s_waitcnt lgkmcnt(0)
	v_mul_f64 v[77:78], v[0:1], v[77:78]
	v_mul_f64 v[118:119], v[0:1], v[79:80]
	v_fma_f64 v[83:84], -v[8:9], v[46:47], v[12:13]
	v_fma_f64 v[81:82], -v[2:3], v[14:15], v[16:17]
	;; [unrolled: 1-line block ×4, first 2 shown]
	global_load_b128 v[44:47], v[90:91], off offset:160
	v_fma_f64 v[55:56], -v[6:7], v[55:56], v[20:21]
	ds_load_b128 v[12:15], v48 offset:960
	ds_load_b128 v[16:19], v48 offset:1392
	;; [unrolled: 1-line block ×3, first 2 shown]
	ds_load_2addr_b64 v[20:23], v48 offset0:165 offset1:166
	v_fma_f64 v[65:66], -v[10:11], v[65:66], v[83:84]
	s_waitcnt vmcnt(4)
	v_fma_f64 v[28:29], v[28:29], s[4:5], -v[53:54]
	v_fma_f64 v[53:54], -v[2:3], v[73:74], v[61:62]
	v_fma_f64 v[61:62], -v[8:9], v[69:70], v[81:82]
	s_waitcnt lgkmcnt(3)
	v_fma_f64 v[69:70], -v[4:5], v[12:13], v[85:86]
	v_fma_f64 v[57:58], -v[6:7], v[57:58], v[87:88]
	v_fma_f64 v[106:107], v[30:31], s[4:5], -v[63:64]
	s_waitcnt lgkmcnt(2)
	v_mul_f64 v[12:13], v[16:17], v[55:56]
	v_fma_f64 v[114:115], -v[4:5], v[14:15], v[65:66]
	v_fma_f64 v[108:109], -v[2:3], v[75:76], v[28:29]
	;; [unrolled: 1-line block ×5, first 2 shown]
	global_load_b128 v[28:31], v[90:91], off offset:176
	s_waitcnt vmcnt(4)
	v_fma_f64 v[24:25], v[24:25], s[4:5], -v[77:78]
	v_fma_f64 v[18:19], -v[12:13], v[18:19], v[57:58]
	ds_load_2addr_b64 v[14:17], v48 offset0:41 offset1:42
	ds_load_b128 v[53:56], v48 offset:544
	ds_load_2addr_b64 v[57:60], v48 offset0:95 offset1:96
	ds_load_2addr_b64 v[61:64], v48 offset0:149 offset1:150
	ds_load_b128 v[65:68], v48 offset:1408
	ds_load_2addr_b64 v[69:72], v48 offset0:203 offset1:204
	ds_load_2addr_b64 v[73:76], v48 offset0:205 offset1:206
	ds_load_b128 v[81:84], v48 offset:1424
	ds_load_2addr_b64 v[85:88], v48 offset0:151 offset1:152
	ds_load_2addr_b64 v[94:97], v48 offset0:97 offset1:98
	ds_load_b128 v[98:101], v48 offset:560
	ds_load_2addr_b64 v[102:105], v48 offset0:43 offset1:44
	s_waitcnt lgkmcnt(11)
	v_fma_f64 v[120:121], -v[2:3], v[14:15], v[106:107]
	s_waitcnt lgkmcnt(8)
	v_fma_f64 v[61:62], -v[6:7], v[61:62], v[114:115]
	v_fma_f64 v[53:54], -v[8:9], v[53:54], v[108:109]
	ds_load_b128 v[77:80], v48 offset:128
	ds_load_b128 v[106:109], v48 offset:144
	v_fma_f64 v[49:50], -v[4:5], v[49:50], v[112:113]
	s_waitcnt lgkmcnt(9)
	v_fma_f64 v[65:66], -v[12:13], v[65:66], v[116:117]
	v_fma_f64 v[57:58], -v[10:11], v[57:58], v[110:111]
	;; [unrolled: 1-line block ×3, first 2 shown]
	s_waitcnt lgkmcnt(0)
	v_mul_f64 v[106:107], v[0:1], v[106:107]
	v_mul_f64 v[14:15], v[69:70], v[18:19]
	;; [unrolled: 1-line block ×3, first 2 shown]
	v_fma_f64 v[77:78], v[26:27], s[4:5], -v[118:119]
	v_mul_f64 v[138:139], v[0:1], v[108:109]
	v_fma_f64 v[112:113], -v[8:9], v[55:56], v[120:121]
	v_fma_f64 v[61:62], -v[12:13], v[67:68], v[61:62]
	v_mul_f64 v[67:68], v[0:1], v[79:80]
	v_fma_f64 v[114:115], -v[10:11], v[59:60], v[53:54]
	v_fma_f64 v[63:64], -v[6:7], v[63:64], v[49:50]
	;; [unrolled: 1-line block ×3, first 2 shown]
	global_load_b128 v[49:52], v[90:91], off offset:192
	ds_load_b128 v[16:19], v48 offset:992
	ds_load_b128 v[24:27], v48 offset:1856
	;; [unrolled: 1-line block ×4, first 2 shown]
	v_fma_f64 v[65:66], -v[14:15], v[71:72], v[65:66]
	v_fma_f64 v[71:72], -v[8:9], v[98:99], v[110:111]
	;; [unrolled: 1-line block ×3, first 2 shown]
	s_waitcnt vmcnt(4)
	v_fma_f64 v[36:37], v[36:37], s[4:5], -v[69:70]
	v_fma_f64 v[69:70], -v[2:3], v[102:103], v[77:78]
	s_waitcnt lgkmcnt(3)
	v_fma_f64 v[79:80], -v[4:5], v[16:17], v[114:115]
	v_fma_f64 v[63:64], -v[12:13], v[81:82], v[63:64]
	v_fma_f64 v[122:123], v[38:39], s[4:5], -v[67:68]
	v_fma_f64 v[77:78], -v[10:11], v[94:95], v[112:113]
	v_fma_f64 v[85:86], -v[6:7], v[85:86], v[116:117]
	s_waitcnt lgkmcnt(2)
	v_mul_f64 v[16:17], v[24:25], v[65:66]
	v_fma_f64 v[128:129], -v[10:11], v[96:97], v[71:72]
	v_mov_b32_e32 v24, 0x828
	v_fma_f64 v[124:125], -v[2:3], v[104:105], v[36:37]
	v_fma_f64 v[126:127], -v[8:9], v[100:101], v[69:70]
	global_load_b128 v[36:39], v[90:91], off offset:208
	v_fma_f64 v[134:135], -v[14:15], v[75:76], v[63:64]
	v_fma_f64 v[130:131], -v[6:7], v[87:88], v[79:80]
	;; [unrolled: 1-line block ×4, first 2 shown]
	s_waitcnt vmcnt(4)
	v_fma_f64 v[32:33], v[32:33], s[4:5], -v[106:107]
	v_fma_f64 v[136:137], -v[16:17], v[26:27], v[61:62]
	ds_load_2addr_b64 v[61:64], v48 offset0:45 offset1:46
	ds_load_b128 v[65:68], v48 offset:576
	ds_load_2addr_b64 v[69:72], v48 offset0:99 offset1:100
	s_waitcnt lgkmcnt(3)
	v_fma_f64 v[57:58], -v[4:5], v[57:58], v[128:129]
	v_fma_f64 v[53:54], -v[16:17], v[53:54], v[134:135]
	s_waitcnt lgkmcnt(2)
	v_fma_f64 v[61:62], -v[2:3], v[61:62], v[122:123]
	s_waitcnt lgkmcnt(1)
	;; [unrolled: 2-line block ×3, first 2 shown]
	v_fma_f64 v[69:70], -v[10:11], v[69:70], v[126:127]
	v_fma_f64 v[126:127], -v[2:3], v[63:64], v[32:33]
	s_delay_alu instid0(VALU_DEP_4)
	v_fma_f64 v[128:129], -v[8:9], v[67:68], v[61:62]
	v_mov_b32_e32 v61, 0x838
	ds_load_2addr_b64 v[73:76], v48 offset0:153 offset1:154
	ds_load_b128 v[77:80], v48 offset:1440
	ds_load_2addr_b64 v[81:84], v48 offset0:207 offset1:208
	ds_load_2addr_b64 v[85:88], v24 offset1:1
	ds_load_2addr_b64 v[94:97], v48 offset0:209 offset1:210
	ds_load_b128 v[98:101], v48 offset:1456
	ds_load_2addr_b64 v[102:105], v48 offset0:155 offset1:156
	ds_load_2addr_b64 v[110:113], v48 offset0:101 offset1:102
	ds_load_b128 v[114:117], v48 offset:592
	ds_load_2addr_b64 v[118:121], v48 offset0:47 offset1:48
	ds_load_b128 v[24:27], v48 offset:6032
	ds_load_b128 v[106:109], v48 offset:160
	;; [unrolled: 1-line block ×3, first 2 shown]
	s_waitcnt lgkmcnt(12)
	v_fma_f64 v[73:74], -v[6:7], v[73:74], v[18:19]
	s_waitcnt lgkmcnt(11)
	v_fma_f64 v[77:78], -v[12:13], v[77:78], v[130:131]
	s_waitcnt lgkmcnt(10)
	v_fma_f64 v[81:82], -v[14:15], v[81:82], v[132:133]
	s_waitcnt lgkmcnt(9)
	v_mul_f64 v[18:19], v[85:86], v[136:137]
	v_fma_f64 v[130:131], -v[10:11], v[71:72], v[65:66]
	v_fma_f64 v[132:133], -v[4:5], v[59:60], v[69:70]
	v_fma_f64 v[134:135], -v[6:7], v[75:76], v[57:58]
	v_mov_b32_e32 v65, 0x9f8
	s_waitcnt lgkmcnt(1)
	v_mul_f64 v[85:86], v[0:1], v[106:107]
	v_fma_f64 v[106:107], v[34:35], s[4:5], -v[138:139]
	v_mul_f64 v[108:109], v[0:1], v[108:109]
	s_waitcnt lgkmcnt(0)
	v_mul_f64 v[122:123], v[0:1], v[122:123]
	v_mul_f64 v[150:151], v[0:1], v[124:125]
	v_fma_f64 v[110:111], -v[10:11], v[110:111], v[128:129]
	v_fma_f64 v[136:137], -v[12:13], v[79:80], v[73:74]
	;; [unrolled: 1-line block ×5, first 2 shown]
	ds_load_b128 v[32:35], v48 offset:1024
	ds_load_b128 v[53:56], v48 offset:2320
	;; [unrolled: 1-line block ×3, first 2 shown]
	ds_load_2addr_b64 v[61:64], v61 offset1:1
	v_fma_f64 v[102:103], -v[6:7], v[102:103], v[132:133]
	v_fma_f64 v[98:99], -v[12:13], v[98:99], v[134:135]
	ds_load_2addr_b64 v[65:68], v65 offset1:1
	ds_load_b128 v[69:72], v48 offset:2336
	ds_load_b128 v[73:76], v48 offset:1904
	;; [unrolled: 1-line block ×3, first 2 shown]
	s_waitcnt vmcnt(3)
	v_fma_f64 v[44:45], v[44:45], s[4:5], -v[85:86]
	v_fma_f64 v[85:86], -v[2:3], v[118:119], v[106:107]
	v_fma_f64 v[106:107], -v[8:9], v[114:115], v[126:127]
	s_waitcnt lgkmcnt(7)
	v_fma_f64 v[114:115], -v[4:5], v[32:33], v[130:131]
	v_fma_f64 v[130:131], v[46:47], s[4:5], -v[108:109]
	v_fma_f64 v[34:35], -v[4:5], v[34:35], v[110:111]
	v_fma_f64 v[94:95], -v[14:15], v[94:95], v[136:137]
	s_waitcnt lgkmcnt(5)
	v_fma_f64 v[57:58], -v[16:17], v[57:58], v[83:84]
	s_waitcnt lgkmcnt(4)
	v_fma_f64 v[61:62], -v[18:19], v[61:62], v[81:82]
	v_mul_f64 v[32:33], v[53:54], v[87:88]
	s_waitcnt vmcnt(2)
	v_fma_f64 v[28:29], v[28:29], s[4:5], -v[122:123]
	v_fma_f64 v[140:141], -v[12:13], v[100:101], v[102:103]
	v_fma_f64 v[142:143], -v[14:15], v[96:97], v[98:99]
	v_mov_b32_e32 v98, 0xa08
	v_fma_f64 v[132:133], -v[2:3], v[120:121], v[44:45]
	v_fma_f64 v[134:135], -v[8:9], v[116:117], v[85:86]
	;; [unrolled: 1-line block ×7, first 2 shown]
	ds_load_2addr_b64 v[44:47], v48 offset0:49 offset1:50
	ds_load_b128 v[53:56], v48 offset:608
	ds_load_2addr_b64 v[57:60], v48 offset0:103 offset1:104
	ds_load_2addr_b64 v[61:64], v48 offset0:157 offset1:158
	ds_load_b128 v[81:84], v48 offset:1472
	ds_load_2addr_b64 v[85:88], v48 offset0:211 offset1:212
	ds_load_2addr_b64 v[94:97], v89 offset1:1
	ds_load_2addr_b64 v[98:101], v98 offset1:1
	ds_load_2addr_b64 v[102:105], v48 offset0:213 offset1:214
	ds_load_b128 v[106:109], v48 offset:1488
	ds_load_2addr_b64 v[110:113], v48 offset0:159 offset1:160
	ds_load_2addr_b64 v[114:117], v48 offset0:105 offset1:106
	ds_load_b128 v[118:121], v48 offset:624
	ds_load_2addr_b64 v[126:129], v48 offset0:51 offset1:52
	s_waitcnt lgkmcnt(15)
	v_fma_f64 v[73:74], -v[16:17], v[73:74], v[142:143]
	v_mov_b32_e32 v89, 0xa18
	s_waitcnt lgkmcnt(14)
	v_fma_f64 v[77:78], -v[4:5], v[77:78], v[136:137]
	s_waitcnt lgkmcnt(10)
	v_fma_f64 v[61:62], -v[6:7], v[61:62], v[34:35]
	;; [unrolled: 2-line block ×3, first 2 shown]
	v_fma_f64 v[81:82], -v[12:13], v[81:82], v[138:139]
	v_fma_f64 v[44:45], -v[2:3], v[44:45], v[130:131]
	;; [unrolled: 1-line block ×4, first 2 shown]
	ds_load_b128 v[122:125], v48 offset:192
	ds_load_b128 v[130:133], v48 offset:208
	v_fma_f64 v[134:135], v[30:31], s[4:5], -v[150:151]
	v_fma_f64 v[136:137], -v[2:3], v[46:47], v[28:29]
	s_waitcnt lgkmcnt(9)
	v_fma_f64 v[94:95], -v[18:19], v[94:95], v[144:145]
	v_fma_f64 v[69:70], -v[32:33], v[69:70], v[146:147]
	v_mul_f64 v[34:35], v[65:66], v[148:149]
	s_waitcnt lgkmcnt(1)
	v_mul_f64 v[122:123], v[0:1], v[122:123]
	v_mul_f64 v[124:125], v[0:1], v[124:125]
	s_waitcnt lgkmcnt(0)
	v_mul_f64 v[130:131], v[0:1], v[130:131]
	v_fma_f64 v[144:145], -v[6:7], v[63:64], v[77:78]
	v_fma_f64 v[83:84], -v[12:13], v[83:84], v[61:62]
	;; [unrolled: 1-line block ×8, first 2 shown]
	v_mov_b32_e32 v53, 0x858
	v_fma_f64 v[118:119], -v[8:9], v[118:119], v[136:137]
	v_fma_f64 v[94:95], -v[32:33], v[71:72], v[94:95]
	v_fma_f64 v[96:97], -v[34:35], v[67:68], v[69:70]
	ds_load_b128 v[28:31], v48 offset:1056
	ds_load_b128 v[44:47], v48 offset:1920
	ds_load_2addr_b64 v[53:56], v53 offset1:1
	ds_load_b128 v[57:60], v48 offset:2352
	ds_load_b128 v[61:64], v48 offset:2784
	;; [unrolled: 1-line block ×6, first 2 shown]
	s_waitcnt vmcnt(1)
	v_fma_f64 v[49:50], v[49:50], s[4:5], -v[122:123]
	v_fma_f64 v[122:123], -v[2:3], v[126:127], v[134:135]
	v_fma_f64 v[134:135], v[51:52], s[4:5], -v[124:125]
	v_fma_f64 v[106:107], -v[12:13], v[106:107], v[144:145]
	v_fma_f64 v[83:84], -v[14:15], v[102:103], v[83:84]
	v_mov_b32_e32 v102, 0xbd8
	s_waitcnt lgkmcnt(6)
	v_fma_f64 v[53:54], -v[18:19], v[53:54], v[85:86]
	v_mov_b32_e32 v85, 0xbc8
	v_fma_f64 v[44:45], -v[16:17], v[44:45], v[81:82]
	v_fma_f64 v[114:115], -v[10:11], v[114:115], v[138:139]
	;; [unrolled: 1-line block ×4, first 2 shown]
	s_waitcnt lgkmcnt(5)
	v_fma_f64 v[57:58], -v[32:33], v[57:58], v[87:88]
	v_fma_f64 v[140:141], -v[10:11], v[116:117], v[118:119]
	;; [unrolled: 1-line block ×3, first 2 shown]
	s_waitcnt vmcnt(0)
	v_fma_f64 v[36:37], v[36:37], s[4:5], -v[130:131]
	s_waitcnt lgkmcnt(4)
	v_mul_f64 v[28:29], v[61:62], v[96:97]
	v_fma_f64 v[136:137], -v[2:3], v[128:129], v[49:50]
	v_fma_f64 v[138:139], -v[8:9], v[120:121], v[122:123]
	;; [unrolled: 1-line block ×11, first 2 shown]
	ds_load_b128 v[44:47], v48 offset:640
	ds_load_2addr_b64 v[49:52], v48 offset0:107 offset1:108
	s_waitcnt lgkmcnt(3)
	v_fma_f64 v[73:74], -v[4:5], v[73:74], v[140:141]
	v_fma_f64 v[130:131], -v[2:3], v[42:43], v[36:37]
	;; [unrolled: 1-line block ×3, first 2 shown]
	ds_load_2addr_b64 v[53:56], v48 offset0:161 offset1:162
	ds_load_b128 v[57:60], v48 offset:1504
	ds_load_2addr_b64 v[61:64], v48 offset0:215 offset1:216
	v_mov_b32_e32 v81, 0x868
	ds_load_2addr_b64 v[81:84], v81 offset1:1
	ds_load_2addr_b64 v[85:88], v85 offset1:1
	;; [unrolled: 1-line block ×3, first 2 shown]
	ds_load_b128 v[98:101], v48 offset:2800
	ds_load_2addr_b64 v[102:105], v102 offset1:1
	ds_load_b128 v[106:109], v48 offset:2816
	ds_load_2addr_b64 v[110:113], v48 offset0:217 offset1:218
	ds_load_b128 v[114:117], v48 offset:1520
	ds_load_2addr_b64 v[118:121], v48 offset0:163 offset1:164
	ds_load_2addr_b64 v[122:125], v48 offset0:109 offset1:110
	ds_load_b128 v[126:129], v48 offset:656
	s_waitcnt lgkmcnt(15)
	v_fma_f64 v[44:45], -v[8:9], v[44:45], v[136:137]
	s_waitcnt lgkmcnt(14)
	v_fma_f64 v[49:50], -v[10:11], v[49:50], v[138:139]
	v_fma_f64 v[69:70], -v[16:17], v[69:70], v[146:147]
	v_mov_b32_e32 v89, 0xd98
	s_waitcnt lgkmcnt(10)
	v_fma_f64 v[81:82], -v[18:19], v[81:82], v[148:149]
	v_fma_f64 v[65:66], -v[32:33], v[65:66], v[150:151]
	;; [unrolled: 1-line block ×5, first 2 shown]
	s_waitcnt lgkmcnt(8)
	v_fma_f64 v[94:95], -v[34:35], v[94:95], v[152:153]
	s_waitcnt lgkmcnt(7)
	v_fma_f64 v[98:99], -v[28:29], v[98:99], v[154:155]
	v_fma_f64 v[138:139], -v[6:7], v[55:56], v[73:74]
	s_waitcnt lgkmcnt(0)
	v_fma_f64 v[126:127], -v[8:9], v[126:127], v[130:131]
	v_mul_f64 v[30:31], v[85:86], v[156:157]
	v_mul_f64 v[85:86], v[0:1], v[132:133]
	v_fma_f64 v[132:133], -v[8:9], v[46:47], v[40:41]
	v_fma_f64 v[134:135], -v[10:11], v[51:52], v[44:45]
	;; [unrolled: 1-line block ×4, first 2 shown]
	v_mov_b32_e32 v44, 0x878
	v_mov_b32_e32 v69, 0xa38
	v_fma_f64 v[148:149], -v[32:33], v[67:68], v[81:82]
	v_fma_f64 v[150:151], -v[34:35], v[96:97], v[65:66]
	;; [unrolled: 1-line block ×6, first 2 shown]
	v_mov_b32_e32 v53, 0xa28
	v_mov_b32_e32 v65, 0xbe8
	v_fma_f64 v[114:115], -v[12:13], v[114:115], v[138:139]
	v_fma_f64 v[98:99], -v[30:31], v[87:88], v[98:99]
	v_fma_f64 v[152:153], v[38:39], s[4:5], -v[85:86]
	ds_load_b128 v[36:39], v48 offset:1088
	ds_load_b128 v[40:43], v48 offset:1952
	ds_load_2addr_b64 v[44:47], v44 offset1:1
	ds_load_b128 v[49:52], v48 offset:2384
	ds_load_2addr_b64 v[53:56], v53 offset1:1
	ds_load_b128 v[57:60], v48 offset:3248
	ds_load_2addr_b64 v[61:64], v48 offset0:55 offset1:111
	ds_load_2addr_b64 v[65:68], v65 offset1:1
	ds_load_2addr_b64 v[69:72], v69 offset1:1
	ds_load_b128 v[73:76], v48 offset:2400
	ds_load_b128 v[81:84], v48 offset:1968
	;; [unrolled: 1-line block ×4, first 2 shown]
	v_fma_f64 v[122:123], -v[10:11], v[122:123], v[132:133]
	v_fma_f64 v[118:119], -v[6:7], v[118:119], v[136:137]
	;; [unrolled: 1-line block ×4, first 2 shown]
	s_waitcnt lgkmcnt(11)
	v_fma_f64 v[40:41], -v[16:17], v[40:41], v[142:143]
	s_waitcnt lgkmcnt(10)
	v_fma_f64 v[44:45], -v[18:19], v[44:45], v[144:145]
	v_fma_f64 v[130:131], -v[4:5], v[36:37], v[134:135]
	s_waitcnt lgkmcnt(9)
	v_fma_f64 v[49:50], -v[32:33], v[49:50], v[146:147]
	s_waitcnt lgkmcnt(8)
	v_fma_f64 v[53:54], -v[34:35], v[53:54], v[148:149]
	v_fma_f64 v[100:101], -v[30:31], v[102:103], v[100:101]
	s_waitcnt lgkmcnt(7)
	v_mul_f64 v[36:37], v[57:58], v[98:99]
	s_waitcnt lgkmcnt(6)
	v_fma_f64 v[57:58], -v[2:3], v[61:62], v[152:153]
	v_fma_f64 v[61:62], -v[10:11], v[124:125], v[126:127]
	;; [unrolled: 1-line block ×12, first 2 shown]
	v_mov_b32_e32 v49, 0x888
	ds_load_b128 v[38:41], v48 offset:1536
	ds_load_2addr_b64 v[42:45], v48 offset0:219 offset1:220
	ds_load_2addr_b64 v[49:52], v49 offset1:1
	v_fma_f64 v[142:143], -v[36:37], v[59:60], v[100:101]
	v_fma_f64 v[128:129], -v[8:9], v[128:129], v[57:58]
	ds_load_b128 v[53:56], v48 offset:2832
	ds_load_b128 v[57:60], v48 offset:3264
	ds_load_2addr_b64 v[98:101], v89 offset1:1
	s_waitcnt lgkmcnt(7)
	v_fma_f64 v[61:62], -v[4:5], v[85:86], v[61:62]
	v_mov_b32_e32 v89, 0xa48
	v_fma_f64 v[20:21], -v[6:7], v[20:21], v[122:123]
	ds_load_b128 v[102:105], v48 offset:3280
	ds_load_b128 v[106:109], v48 offset:2848
	ds_load_2addr_b64 v[110:113], v89 offset1:1
	ds_load_2addr_b64 v[114:117], v48 offset0:221 offset1:222
	ds_load_b128 v[118:121], v48 offset:1552
	v_mov_b32_e32 v89, 0xdc8
	s_waitcnt lgkmcnt(9)
	v_fma_f64 v[42:43], -v[14:15], v[42:43], v[126:127]
	s_waitcnt lgkmcnt(8)
	v_fma_f64 v[49:50], -v[18:19], v[49:50], v[132:133]
	v_fma_f64 v[46:47], -v[32:33], v[73:74], v[46:47]
	;; [unrolled: 1-line block ×5, first 2 shown]
	s_waitcnt lgkmcnt(7)
	v_fma_f64 v[53:54], -v[28:29], v[53:54], v[136:137]
	v_fma_f64 v[65:66], -v[30:31], v[65:66], v[138:139]
	s_waitcnt lgkmcnt(6)
	v_fma_f64 v[57:58], -v[36:37], v[57:58], v[140:141]
	v_mov_b32_e32 v73, 0xdb8
	s_waitcnt lgkmcnt(5)
	v_mul_f64 v[38:39], v[98:99], v[142:143]
	v_fma_f64 v[63:64], -v[10:11], v[63:64], v[128:129]
	v_fma_f64 v[98:99], -v[6:7], v[22:23], v[61:62]
	;; [unrolled: 1-line block ×3, first 2 shown]
	v_mov_b32_e32 v40, 0x898
	v_fma_f64 v[126:127], -v[16:17], v[83:84], v[42:43]
	v_fma_f64 v[130:131], -v[32:33], v[75:76], v[49:50]
	;; [unrolled: 1-line block ×8, first 2 shown]
	v_mov_b32_e32 v53, 0xda8
	v_mov_b32_e32 v49, 0xbf8
	ds_load_b128 v[20:23], v48 offset:1984
	ds_load_2addr_b64 v[40:43], v40 offset1:1
	ds_load_b128 v[44:47], v48 offset:2416
	ds_load_2addr_b64 v[49:52], v49 offset1:1
	v_mov_b32_e32 v65, 0xf68
	v_fma_f64 v[100:101], -v[38:39], v[100:101], v[57:58]
	v_fma_f64 v[140:141], -v[4:5], v[87:88], v[63:64]
	ds_load_2addr_b64 v[53:56], v53 offset1:1
	ds_load_b128 v[57:60], v48 offset:3712
	ds_load_2addr_b64 v[61:64], v48 offset0:167 offset1:223
	s_waitcnt lgkmcnt(7)
	v_fma_f64 v[98:99], -v[12:13], v[118:119], v[98:99]
	ds_load_2addr_b64 v[65:68], v65 offset1:1
	ds_load_b128 v[69:72], v48 offset:3728
	ds_load_2addr_b64 v[73:76], v73 offset1:1
	ds_load_b128 v[81:84], v48 offset:2432
	ds_load_b128 v[85:88], v48 offset:2000
	v_fma_f64 v[114:115], -v[14:15], v[114:115], v[122:123]
	s_waitcnt lgkmcnt(10)
	v_fma_f64 v[40:41], -v[18:19], v[40:41], v[126:127]
	v_fma_f64 v[110:111], -v[34:35], v[110:111], v[130:131]
	;; [unrolled: 1-line block ×3, first 2 shown]
	s_waitcnt lgkmcnt(8)
	v_fma_f64 v[49:50], -v[30:31], v[49:50], v[134:135]
	v_fma_f64 v[118:119], -v[16:17], v[20:21], v[124:125]
	;; [unrolled: 1-line block ×4, first 2 shown]
	s_waitcnt lgkmcnt(7)
	v_fma_f64 v[53:54], -v[38:39], v[53:54], v[138:139]
	s_waitcnt lgkmcnt(6)
	v_mul_f64 v[20:21], v[57:58], v[100:101]
	s_waitcnt lgkmcnt(5)
	v_fma_f64 v[57:58], -v[6:7], v[61:62], v[140:141]
	v_fma_f64 v[61:62], -v[14:15], v[116:117], v[98:99]
	;; [unrolled: 1-line block ×4, first 2 shown]
	v_mov_b32_e32 v40, 0x8a8
	v_fma_f64 v[122:123], -v[28:29], v[108:109], v[110:111]
	v_fma_f64 v[124:125], -v[30:31], v[51:52], v[106:107]
	;; [unrolled: 1-line block ×6, first 2 shown]
	v_mov_b32_e32 v44, 0xa58
	v_mov_b32_e32 v106, 0xc18
	v_fma_f64 v[130:131], -v[20:21], v[59:60], v[53:54]
	v_fma_f64 v[120:121], -v[12:13], v[120:121], v[57:58]
	v_mov_b32_e32 v53, 0xc08
	ds_load_2addr_b64 v[40:43], v40 offset1:1
	ds_load_2addr_b64 v[44:47], v44 offset1:1
	ds_load_b128 v[49:52], v48 offset:2864
	ds_load_2addr_b64 v[53:56], v53 offset1:1
	ds_load_b128 v[57:60], v48 offset:3296
	s_waitcnt lgkmcnt(5)
	v_fma_f64 v[61:62], -v[16:17], v[85:86], v[61:62]
	ds_load_2addr_b64 v[98:101], v89 offset1:1
	ds_load_b128 v[102:105], v48 offset:3312
	ds_load_2addr_b64 v[106:109], v106 offset1:1
	ds_load_b128 v[110:113], v48 offset:2880
	v_add_nc_u32_e64 v89, 0x800, 0
	s_waitcnt lgkmcnt(8)
	v_fma_f64 v[40:41], -v[18:19], v[40:41], v[22:23]
	s_waitcnt lgkmcnt(7)
	v_fma_f64 v[44:45], -v[34:35], v[44:45], v[116:117]
	v_fma_f64 v[81:82], -v[32:33], v[81:82], v[114:115]
	s_waitcnt lgkmcnt(6)
	v_fma_f64 v[49:50], -v[28:29], v[49:50], v[118:119]
	s_waitcnt lgkmcnt(5)
	;; [unrolled: 2-line block ×3, first 2 shown]
	v_fma_f64 v[57:58], -v[36:37], v[57:58], v[124:125]
	v_fma_f64 v[73:74], -v[38:39], v[73:74], v[126:127]
	;; [unrolled: 1-line block ×3, first 2 shown]
	v_mul_f64 v[22:23], v[65:66], v[130:131]
	v_fma_f64 v[63:64], -v[14:15], v[63:64], v[120:121]
	v_fma_f64 v[85:86], -v[18:19], v[42:43], v[61:62]
	v_mov_b32_e32 v61, 0x1138
	v_fma_f64 v[83:84], -v[32:33], v[83:84], v[40:41]
	v_fma_f64 v[114:115], -v[28:29], v[51:52], v[44:45]
	;; [unrolled: 1-line block ×7, first 2 shown]
	v_mov_b32_e32 v40, 0xa68
	v_mov_b32_e32 v49, 0xf78
	;; [unrolled: 1-line block ×3, first 2 shown]
	ds_load_2addr_b64 v[40:43], v40 offset1:1
	ds_load_b128 v[44:47], v48 offset:3744
	ds_load_2addr_b64 v[49:52], v49 offset1:1
	ds_load_b128 v[53:56], v48 offset:4176
	ds_load_2addr_b64 v[57:60], v89 offset0:23 offset1:79
	v_fma_f64 v[124:125], -v[22:23], v[67:68], v[69:70]
	v_fma_f64 v[87:88], -v[16:17], v[87:88], v[63:64]
	ds_load_2addr_b64 v[61:64], v61 offset1:1
	ds_load_b128 v[65:68], v48 offset:4192
	ds_load_b128 v[69:72], v48 offset:3760
	ds_load_2addr_b64 v[73:76], v73 offset1:1
	v_fma_f64 v[77:78], -v[32:33], v[77:78], v[85:86]
	s_waitcnt lgkmcnt(8)
	v_fma_f64 v[83:84], -v[34:35], v[40:41], v[83:84]
	v_fma_f64 v[85:86], -v[30:31], v[106:107], v[114:115]
	;; [unrolled: 1-line block ×5, first 2 shown]
	s_waitcnt lgkmcnt(7)
	v_fma_f64 v[44:45], -v[20:21], v[44:45], v[120:121]
	s_waitcnt lgkmcnt(6)
	v_fma_f64 v[49:50], -v[22:23], v[49:50], v[122:123]
	s_waitcnt lgkmcnt(5)
	v_mul_f64 v[40:41], v[53:54], v[124:125]
	s_waitcnt lgkmcnt(4)
	v_fma_f64 v[53:54], -v[18:19], v[57:58], v[87:88]
	v_fma_f64 v[57:58], -v[34:35], v[42:43], v[77:78]
	v_mov_b32_e32 v77, 0x1148
	v_fma_f64 v[106:107], -v[28:29], v[112:113], v[83:84]
	v_fma_f64 v[104:105], -v[36:37], v[104:105], v[85:86]
	;; [unrolled: 1-line block ×6, first 2 shown]
	v_mov_b32_e32 v81, 0xf98
	v_fma_f64 v[102:103], -v[40:41], v[55:56], v[49:50]
	v_fma_f64 v[110:111], -v[32:33], v[79:80], v[53:54]
	v_mov_b32_e32 v49, 0xdd8
	v_mov_b32_e32 v53, 0xf88
	ds_load_b128 v[42:45], v48 offset:3328
	ds_load_2addr_b64 v[49:52], v49 offset1:1
	ds_load_2addr_b64 v[53:56], v53 offset1:1
	v_fma_f64 v[57:58], -v[28:29], v[94:95], v[57:58]
	ds_load_2addr_b64 v[77:80], v77 offset1:1
	ds_load_2addr_b64 v[81:84], v81 offset1:1
	ds_load_b128 v[85:88], v48 offset:3344
	s_waitcnt lgkmcnt(6)
	v_fma_f64 v[73:74], -v[30:31], v[73:74], v[106:107]
	v_fma_f64 v[69:70], -v[20:21], v[69:70], v[100:101]
	s_waitcnt lgkmcnt(5)
	v_fma_f64 v[94:95], -v[36:37], v[42:43], v[108:109]
	s_waitcnt lgkmcnt(4)
	;; [unrolled: 2-line block ×3, first 2 shown]
	v_fma_f64 v[46:47], -v[22:23], v[53:54], v[46:47]
	v_fma_f64 v[53:54], -v[40:41], v[65:66], v[98:99]
	v_mul_f64 v[42:43], v[61:62], v[102:103]
	v_fma_f64 v[59:60], -v[34:35], v[59:60], v[110:111]
	v_fma_f64 v[98:99], -v[30:31], v[75:76], v[57:58]
	;; [unrolled: 1-line block ×3, first 2 shown]
	v_mov_b32_e32 v44, 0xde8
	v_fma_f64 v[106:107], -v[22:23], v[55:56], v[69:70]
	v_fma_f64 v[102:103], -v[38:39], v[51:52], v[94:95]
	;; [unrolled: 1-line block ×4, first 2 shown]
	v_mov_b32_e32 v69, 0xfa8
	v_fma_f64 v[110:111], -v[42:43], v[63:64], v[53:54]
	v_fma_f64 v[112:113], -v[28:29], v[96:97], v[59:60]
	ds_load_2addr_b64 v[44:47], v44 offset1:1
	ds_load_b128 v[49:52], v48 offset:3776
	ds_load_b128 v[53:56], v48 offset:4208
	;; [unrolled: 1-line block ×3, first 2 shown]
	ds_load_2addr_b64 v[61:64], v89 offset0:135 offset1:191
	ds_load_b128 v[65:68], v48 offset:4224
	ds_load_2addr_b64 v[69:72], v69 offset1:1
	ds_load_b128 v[73:76], v48 offset:3792
	ds_load_b128 v[94:97], v48 offset:4240
	s_waitcnt lgkmcnt(9)
	v_fma_f64 v[85:86], -v[36:37], v[85:86], v[98:99]
	s_waitcnt lgkmcnt(8)
	v_fma_f64 v[98:99], -v[38:39], v[44:45], v[100:101]
	;; [unrolled: 2-line block ×3, first 2 shown]
	v_fma_f64 v[49:50], -v[20:21], v[49:50], v[102:103]
	v_fma_f64 v[81:82], -v[22:23], v[81:82], v[104:105]
	v_fma_f64 v[77:78], -v[42:43], v[77:78], v[108:109]
	s_waitcnt lgkmcnt(5)
	v_mul_f64 v[44:45], v[57:58], v[110:111]
	s_waitcnt lgkmcnt(4)
	v_fma_f64 v[57:58], -v[30:31], v[61:62], v[112:113]
	v_fma_f64 v[46:47], -v[38:39], v[46:47], v[85:86]
	v_fma_f64 v[61:62], -v[20:21], v[51:52], v[98:99]
	v_fma_f64 v[100:101], -v[42:43], v[79:80], v[53:54]
	v_fma_f64 v[85:86], -v[22:23], v[83:84], v[49:50]
	v_fma_f64 v[98:99], -v[40:41], v[55:56], v[81:82]
	v_mov_b32_e32 v49, 0x1158
	v_fma_f64 v[102:103], -v[44:45], v[59:60], v[77:78]
	v_fma_f64 v[87:88], -v[36:37], v[87:88], v[57:58]
	v_mov_b32_e32 v57, 0x1308
	ds_load_2addr_b64 v[49:52], v49 offset1:1
	ds_load_b128 v[53:56], v48 offset:4656
	ds_load_2addr_b64 v[57:60], v57 offset1:1
	v_mov_b32_e32 v77, 0x1318
	s_waitcnt lgkmcnt(4)
	v_fma_f64 v[73:74], -v[20:21], v[73:74], v[46:47]
	ds_load_2addr_b64 v[77:80], v77 offset1:1
	ds_load_b128 v[81:84], v48 offset:4672
	v_fma_f64 v[61:62], -v[22:23], v[69:70], v[61:62]
	v_fma_f64 v[65:66], -v[40:41], v[65:66], v[85:86]
	s_waitcnt lgkmcnt(4)
	v_fma_f64 v[49:50], -v[42:43], v[49:50], v[98:99]
	s_waitcnt lgkmcnt(3)
	v_fma_f64 v[53:54], -v[44:45], v[53:54], v[100:101]
	s_waitcnt lgkmcnt(2)
	v_mul_f64 v[46:47], v[57:58], v[102:103]
	v_fma_f64 v[57:58], -v[38:39], v[63:64], v[87:88]
	v_fma_f64 v[69:70], -v[22:23], v[71:72], v[73:74]
	;; [unrolled: 1-line block ×3, first 2 shown]
	v_mov_b32_e32 v61, 0x1328
	v_fma_f64 v[73:74], -v[42:43], v[51:52], v[65:66]
	v_fma_f64 v[85:86], -v[44:45], v[55:56], v[49:50]
	v_mov_b32_e32 v49, 0x1168
	v_fma_f64 v[87:88], -v[46:47], v[59:60], v[53:54]
	v_fma_f64 v[75:76], -v[20:21], v[75:76], v[57:58]
	v_add_nc_u32_e64 v57, 0xc00, 0
	ds_load_2addr_b64 v[49:52], v49 offset1:1
	ds_load_b128 v[53:56], v48 offset:5104
	ds_load_2addr_b64 v[57:60], v57 offset0:119 offset1:175
	ds_load_2addr_b64 v[61:64], v61 offset1:1
	ds_load_b128 v[65:68], v48 offset:4688
	v_fma_f64 v[69:70], -v[40:41], v[94:95], v[69:70]
	s_waitcnt lgkmcnt(4)
	v_fma_f64 v[71:72], -v[42:43], v[49:50], v[71:72]
	v_fma_f64 v[73:74], -v[44:45], v[81:82], v[73:74]
	;; [unrolled: 1-line block ×3, first 2 shown]
	s_waitcnt lgkmcnt(3)
	v_mul_f64 v[49:50], v[53:54], v[87:88]
	s_waitcnt lgkmcnt(2)
	v_fma_f64 v[53:54], -v[22:23], v[57:58], v[75:76]
	v_fma_f64 v[75:76], -v[42:43], v[51:52], v[69:70]
	;; [unrolled: 1-line block ×6, first 2 shown]
	v_mov_b32_e32 v55, 0x14d8
	ds_load_b128 v[51:54], v48 offset:5120
	ds_load_2addr_b64 v[55:58], v55 offset1:1
	ds_load_b128 v[69:72], v48 offset:5136
	s_waitcnt lgkmcnt(3)
	v_fma_f64 v[65:66], -v[44:45], v[65:66], v[75:76]
	v_fma_f64 v[61:62], -v[46:47], v[61:62], v[81:82]
	s_waitcnt lgkmcnt(2)
	v_fma_f64 v[73:74], -v[49:50], v[51:52], v[73:74]
	s_waitcnt lgkmcnt(1)
	v_mul_f64 v[51:52], v[55:56], v[77:78]
	v_fma_f64 v[55:56], -v[42:43], v[59:60], v[79:80]
	v_fma_f64 v[77:78], -v[46:47], v[63:64], v[65:66]
	v_mov_b32_e32 v65, 0x16a8
	v_fma_f64 v[79:80], -v[49:50], v[53:54], v[61:62]
	v_mov_b32_e32 v53, 0x14e8
	v_add_nc_u32_e64 v61, 0x1000, 0
	v_fma_f64 v[81:82], -v[51:52], v[57:58], v[73:74]
	v_fma_f64 v[83:84], -v[44:45], v[67:68], v[55:56]
	ds_load_2addr_b64 v[53:56], v53 offset1:1
	ds_load_b128 v[57:60], v48 offset:5568
	ds_load_2addr_b64 v[61:64], v61 offset0:103 offset1:159
	ds_load_2addr_b64 v[65:68], v65 offset1:1
	ds_load_b128 v[73:76], v48 offset:5584
	v_add_nc_u32_e64 v48, 0x1400, 0
	s_waitcnt lgkmcnt(5)
	v_fma_f64 v[69:70], -v[49:50], v[69:70], v[77:78]
	s_waitcnt lgkmcnt(4)
	v_fma_f64 v[77:78], -v[51:52], v[53:54], v[79:80]
	s_waitcnt lgkmcnt(3)
	v_mul_f64 v[53:54], v[57:58], v[81:82]
	s_waitcnt lgkmcnt(2)
	v_fma_f64 v[57:58], -v[46:47], v[61:62], v[83:84]
	s_delay_alu instid0(VALU_DEP_4) | instskip(NEXT) | instid1(VALU_DEP_3)
	v_fma_f64 v[55:56], -v[51:52], v[55:56], v[69:70]
	v_fma_f64 v[59:60], -v[53:54], v[59:60], v[77:78]
	s_delay_alu instid0(VALU_DEP_3) | instskip(SKIP_1) | instid1(VALU_DEP_3)
	v_fma_f64 v[57:58], -v[49:50], v[71:72], v[57:58]
	s_waitcnt lgkmcnt(0)
	v_fma_f64 v[61:62], -v[53:54], v[73:74], v[55:56]
	s_delay_alu instid0(VALU_DEP_3) | instskip(NEXT) | instid1(VALU_DEP_3)
	v_mul_f64 v[55:56], v[65:66], v[59:60]
	v_fma_f64 v[57:58], -v[51:52], v[63:64], v[57:58]
	s_delay_alu instid0(VALU_DEP_2) | instskip(NEXT) | instid1(VALU_DEP_2)
	v_fma_f64 v[61:62], -v[55:56], v[67:68], v[61:62]
	v_fma_f64 v[63:64], -v[53:54], v[75:76], v[57:58]
	ds_load_2addr_b64 v[57:60], v48 offset0:87 offset1:143
	s_clause 0xb
	global_store_b128 v[90:91], v[0:3], off
	global_store_b128 v[90:91], v[8:11], off offset:16
	global_store_b128 v[90:91], v[4:7], off offset:32
	;; [unrolled: 1-line block ×11, first 2 shown]
	v_mul_f64 v[24:25], v[24:25], v[61:62]
	s_waitcnt lgkmcnt(0)
	v_fma_f64 v[57:58], -v[55:56], v[57:58], v[63:64]
	s_delay_alu instid0(VALU_DEP_1) | instskip(NEXT) | instid1(VALU_DEP_1)
	v_fma_f64 v[26:27], -v[24:25], v[26:27], v[57:58]
	v_mul_f64 v[26:27], v[59:60], v[26:27]
	s_clause 0x1
	global_store_b128 v[90:91], v[53:56], off offset:192
	global_store_b128 v[90:91], v[24:27], off offset:208
.LBB100_37:
	s_cmp_lt_i32 s6, s2
	s_cbranch_scc0 .LBB100_54
; %bb.38:
	s_add_i32 s7, s6, 23
	s_delay_alu instid0(SALU_CYCLE_1)
	s_cmp_ge_u32 s7, s2
	s_cbranch_scc1 .LBB100_43
; %bb.39:
	s_lshl_b32 s8, s6, 3
	s_delay_alu instid0(SALU_CYCLE_1)
	v_add_co_u32 v20, vcc_lo, v90, s8
	v_add_co_ci_u32_e32 v21, vcc_lo, 0, v91, vcc_lo
	s_and_not1_b32 vcc_lo, exec_lo, s3
	s_mov_b32 s3, 0
	s_clause 0xb
	global_load_b128 v[0:3], v[20:21], off
	global_load_b128 v[8:11], v[20:21], off offset:16
	global_load_b128 v[12:15], v[20:21], off offset:32
	;; [unrolled: 1-line block ×11, first 2 shown]
	s_waitcnt vmcnt(11)
	v_mul_f64 v[0:1], v[0:1], s[4:5]
	v_mul_f64 v[6:7], v[2:3], s[4:5]
	s_waitcnt vmcnt(10)
	v_mul_f64 v[2:3], v[8:9], s[4:5]
	v_mul_f64 v[4:5], v[10:11], s[4:5]
	;; [unrolled: 3-line block ×12, first 2 shown]
	s_cbranch_vccnz .LBB100_42
; %bb.40:
	v_dual_mov_b32 v8, v90 :: v_dual_mov_b32 v9, v91
.LBB100_41:                             ; =>This Inner Loop Header: Depth=1
	global_load_b64 v[18:19], v[8:9], off
	v_mov_b32_e32 v102, s8
	v_add_co_u32 v8, vcc_lo, v8, 8
	v_add_co_ci_u32_e32 v9, vcc_lo, 0, v9, vcc_lo
	ds_load_b128 v[10:13], v102
	ds_load_b128 v[14:17], v102 offset:16
	ds_load_b128 v[62:65], v102 offset:32
	;; [unrolled: 1-line block ×11, first 2 shown]
	s_add_i32 s3, s3, 1
	s_addk_i32 s8, 0xe0
	s_cmp_lt_u32 s3, s6
	s_waitcnt vmcnt(0) lgkmcnt(11)
	v_fma_f64 v[0:1], -v[18:19], v[10:11], v[0:1]
	v_fma_f64 v[6:7], -v[18:19], v[12:13], v[6:7]
	s_waitcnt lgkmcnt(10)
	v_fma_f64 v[2:3], -v[18:19], v[14:15], v[2:3]
	v_fma_f64 v[4:5], -v[18:19], v[16:17], v[4:5]
	s_waitcnt lgkmcnt(9)
	v_fma_f64 v[60:61], -v[18:19], v[62:63], v[60:61]
	v_fma_f64 v[58:59], -v[18:19], v[64:65], v[58:59]
	s_waitcnt lgkmcnt(8)
	v_fma_f64 v[56:57], -v[18:19], v[66:67], v[56:57]
	v_fma_f64 v[54:55], -v[18:19], v[68:69], v[54:55]
	s_waitcnt lgkmcnt(7)
	v_fma_f64 v[52:53], -v[18:19], v[70:71], v[52:53]
	v_fma_f64 v[50:51], -v[18:19], v[72:73], v[50:51]
	s_waitcnt lgkmcnt(6)
	v_fma_f64 v[48:49], -v[18:19], v[74:75], v[48:49]
	v_fma_f64 v[46:47], -v[18:19], v[76:77], v[46:47]
	s_waitcnt lgkmcnt(5)
	v_fma_f64 v[44:45], -v[18:19], v[78:79], v[44:45]
	v_fma_f64 v[42:43], -v[18:19], v[80:81], v[42:43]
	s_waitcnt lgkmcnt(4)
	v_fma_f64 v[40:41], -v[18:19], v[82:83], v[40:41]
	v_fma_f64 v[36:37], -v[18:19], v[84:85], v[36:37]
	s_waitcnt lgkmcnt(3)
	v_fma_f64 v[38:39], -v[18:19], v[86:87], v[38:39]
	v_fma_f64 v[34:35], -v[18:19], v[88:89], v[34:35]
	s_waitcnt lgkmcnt(2)
	v_fma_f64 v[32:33], -v[18:19], v[94:95], v[32:33]
	v_fma_f64 v[30:31], -v[18:19], v[96:97], v[30:31]
	s_waitcnt lgkmcnt(1)
	v_fma_f64 v[28:29], -v[18:19], v[98:99], v[28:29]
	v_fma_f64 v[26:27], -v[18:19], v[100:101], v[26:27]
	s_waitcnt lgkmcnt(0)
	v_fma_f64 v[24:25], -v[18:19], v[102:103], v[24:25]
	v_fma_f64 v[22:23], -v[18:19], v[104:105], v[22:23]
	s_cbranch_scc1 .LBB100_41
.LBB100_42:
	s_mul_i32 s3, s6, 0xe8
	s_add_i32 s6, s6, 24
	v_mov_b32_e32 v66, s3
	v_add_nc_u32_e64 v89, 0x800, s3
	s_add_i32 s8, s3, 0x918
	s_add_i32 s9, s3, 0xae8
	ds_load_b128 v[8:11], v66
	ds_load_b128 v[12:15], v66 offset:16
	s_waitcnt lgkmcnt(1)
	v_mul_f64 v[0:1], v[8:9], v[0:1]
	s_delay_alu instid0(VALU_DEP_1)
	v_fma_f64 v[6:7], -v[0:1], v[10:11], v[6:7]
	ds_load_2addr_b64 v[16:19], v66 offset0:29 offset1:30
	ds_load_2addr_b64 v[8:11], v66 offset0:31 offset1:32
	s_waitcnt lgkmcnt(2)
	v_fma_f64 v[12:13], -v[0:1], v[12:13], v[2:3]
	v_fma_f64 v[64:65], -v[0:1], v[14:15], v[4:5]
	s_waitcnt lgkmcnt(1)
	v_mul_f64 v[2:3], v[16:17], v[6:7]
	s_delay_alu instid0(VALU_DEP_1)
	v_fma_f64 v[62:63], -v[2:3], v[18:19], v[12:13]
	ds_load_b128 v[16:19], v66 offset:32
	ds_load_b128 v[12:15], v66 offset:464
	;; [unrolled: 1-line block ×3, first 2 shown]
	ds_load_2addr_b64 v[67:70], v66 offset0:49 offset1:50
	s_waitcnt lgkmcnt(3)
	v_fma_f64 v[16:17], -v[0:1], v[16:17], v[60:61]
	v_fma_f64 v[60:61], -v[2:3], v[8:9], v[64:65]
	v_fma_f64 v[18:19], -v[0:1], v[18:19], v[58:59]
	s_waitcnt lgkmcnt(1)
	v_fma_f64 v[4:5], -v[0:1], v[4:5], v[56:57]
	v_mul_f64 v[8:9], v[12:13], v[62:63]
	v_fma_f64 v[79:80], -v[2:3], v[10:11], v[16:17]
	s_delay_alu instid0(VALU_DEP_2)
	v_fma_f64 v[81:82], -v[8:9], v[14:15], v[60:61]
	ds_load_2addr_b64 v[10:13], v66 offset0:33 offset1:34
	ds_load_b128 v[14:17], v66 offset:480
	ds_load_2addr_b64 v[58:61], v66 offset0:87 offset1:88
	ds_load_2addr_b64 v[62:65], v66 offset0:89 offset1:90
	ds_load_b128 v[71:74], v66 offset:496
	ds_load_2addr_b64 v[75:78], v66 offset0:35 offset1:36
	s_waitcnt lgkmcnt(5)
	v_fma_f64 v[18:19], -v[2:3], v[10:11], v[18:19]
	s_waitcnt lgkmcnt(4)
	v_fma_f64 v[14:15], -v[8:9], v[14:15], v[79:80]
	v_fma_f64 v[79:80], -v[2:3], v[12:13], v[4:5]
	s_waitcnt lgkmcnt(3)
	v_mul_f64 v[10:11], v[58:59], v[81:82]
	v_fma_f64 v[58:59], -v[0:1], v[6:7], v[54:55]
	v_fma_f64 v[81:82], -v[8:9], v[16:17], v[18:19]
	s_waitcnt lgkmcnt(1)
	s_delay_alu instid0(VALU_DEP_4) | instskip(NEXT) | instid1(VALU_DEP_4)
	v_fma_f64 v[71:72], -v[8:9], v[71:72], v[79:80]
	v_fma_f64 v[60:61], -v[10:11], v[60:61], v[14:15]
	ds_load_b128 v[4:7], v66 offset:64
	ds_load_b128 v[12:15], v66 offset:928
	;; [unrolled: 1-line block ×4, first 2 shown]
	s_waitcnt lgkmcnt(4)
	v_fma_f64 v[58:59], -v[2:3], v[75:76], v[58:59]
	v_fma_f64 v[62:63], -v[10:11], v[62:63], v[81:82]
	s_waitcnt lgkmcnt(3)
	v_fma_f64 v[52:53], -v[0:1], v[4:5], v[52:53]
	v_fma_f64 v[6:7], -v[0:1], v[6:7], v[50:51]
	;; [unrolled: 1-line block ×3, first 2 shown]
	s_waitcnt lgkmcnt(0)
	v_fma_f64 v[54:55], -v[0:1], v[54:55], v[48:49]
	v_fma_f64 v[56:57], -v[0:1], v[56:57], v[46:47]
	v_mul_f64 v[4:5], v[12:13], v[60:61]
	v_fma_f64 v[85:86], -v[8:9], v[73:74], v[58:59]
	v_fma_f64 v[83:84], -v[2:3], v[77:78], v[52:53]
	s_delay_alu instid0(VALU_DEP_3)
	v_fma_f64 v[94:95], -v[4:5], v[14:15], v[62:63]
	ds_load_2addr_b64 v[12:15], v66 offset0:37 offset1:38
	ds_load_b128 v[50:53], v66 offset:512
	ds_load_2addr_b64 v[58:61], v66 offset0:91 offset1:92
	ds_load_2addr_b64 v[62:65], v66 offset0:145 offset1:174
	;; [unrolled: 1-line block ×3, first 2 shown]
	ds_load_b128 v[75:78], v66 offset:528
	ds_load_2addr_b64 v[79:82], v66 offset0:39 offset1:40
	v_fma_f64 v[16:17], -v[4:5], v[16:17], v[87:88]
	s_waitcnt lgkmcnt(6)
	v_fma_f64 v[12:13], -v[2:3], v[12:13], v[6:7]
	s_waitcnt lgkmcnt(4)
	v_fma_f64 v[58:59], -v[10:11], v[58:59], v[85:86]
	v_fma_f64 v[96:97], -v[8:9], v[50:51], v[83:84]
	ds_load_b128 v[48:51], v66 offset:1168
	ds_load_b128 v[83:86], v66 offset:1184
	s_waitcnt lgkmcnt(2)
	v_fma_f64 v[79:80], -v[2:3], v[79:80], v[56:57]
	v_mul_f64 v[6:7], v[62:63], v[94:95]
	v_fma_f64 v[62:63], -v[2:3], v[14:15], v[54:55]
	v_fma_f64 v[87:88], -v[8:9], v[52:53], v[12:13]
	;; [unrolled: 1-line block ×5, first 2 shown]
	s_waitcnt lgkmcnt(1)
	v_fma_f64 v[94:95], -v[6:7], v[48:49], v[16:17]
	ds_load_b128 v[12:15], v66 offset:96
	ds_load_b128 v[16:19], v66 offset:960
	;; [unrolled: 1-line block ×4, first 2 shown]
	v_fma_f64 v[75:76], -v[8:9], v[75:76], v[62:63]
	v_fma_f64 v[71:72], -v[10:11], v[71:72], v[87:88]
	;; [unrolled: 1-line block ×3, first 2 shown]
	s_waitcnt lgkmcnt(3)
	v_fma_f64 v[44:45], -v[0:1], v[12:13], v[44:45]
	s_waitcnt lgkmcnt(2)
	v_fma_f64 v[16:17], -v[4:5], v[16:17], v[60:61]
	ds_load_2addr_b64 v[56:59], v66 offset0:175 offset1:176
	ds_load_b128 v[60:63], v66 offset:1296
	s_waitcnt lgkmcnt(2)
	v_fma_f64 v[110:111], -v[0:1], v[52:53], v[40:41]
	v_fma_f64 v[36:37], -v[0:1], v[54:55], v[36:37]
	v_mul_f64 v[12:13], v[64:65], v[94:95]
	v_fma_f64 v[64:65], -v[0:1], v[14:15], v[42:43]
	v_fma_f64 v[104:105], -v[10:11], v[73:74], v[75:76]
	;; [unrolled: 1-line block ×5, first 2 shown]
	ds_load_2addr_b64 v[14:17], v66 offset0:41 offset1:42
	ds_load_b128 v[42:45], v66 offset:544
	ds_load_2addr_b64 v[71:74], v66 offset0:95 offset1:96
	ds_load_2addr_b64 v[75:78], v66 offset0:191 offset1:203
	;; [unrolled: 1-line block ×3, first 2 shown]
	ds_load_b128 v[94:97], v66 offset:560
	ds_load_2addr_b64 v[98:101], v66 offset0:43 offset1:44
	s_waitcnt lgkmcnt(4)
	v_fma_f64 v[71:72], -v[10:11], v[71:72], v[102:103]
	v_fma_f64 v[50:51], -v[12:13], v[56:57], v[50:51]
	;; [unrolled: 1-line block ×4, first 2 shown]
	s_waitcnt lgkmcnt(0)
	v_fma_f64 v[98:99], -v[2:3], v[98:99], v[36:37]
	v_fma_f64 v[18:19], -v[6:7], v[85:86], v[18:19]
	;; [unrolled: 1-line block ×4, first 2 shown]
	v_mul_f64 v[14:15], v[77:78], v[50:51]
	v_fma_f64 v[77:78], -v[2:3], v[16:17], v[110:111]
	ds_load_b128 v[40:43], v66 offset:1200
	ds_load_2addr_b64 v[50:53], v66 offset0:177 offset1:178
	ds_load_b128 v[56:59], v66 offset:1632
	ds_load_2addr_b64 v[83:86], v66 offset0:179 offset1:180
	;; [unrolled: 2-line block ×3, first 2 shown]
	v_fma_f64 v[64:65], -v[8:9], v[44:45], v[64:65]
	v_fma_f64 v[110:111], -v[4:5], v[48:49], v[71:72]
	;; [unrolled: 1-line block ×3, first 2 shown]
	s_waitcnt lgkmcnt(5)
	v_fma_f64 v[40:41], -v[6:7], v[40:41], v[46:47]
	v_fma_f64 v[87:88], -v[10:11], v[73:74], v[87:88]
	s_waitcnt lgkmcnt(4)
	v_fma_f64 v[114:115], -v[12:13], v[50:51], v[18:19]
	s_waitcnt lgkmcnt(3)
	v_fma_f64 v[112:113], -v[14:15], v[56:57], v[112:113]
	v_fma_f64 v[94:95], -v[8:9], v[94:95], v[77:78]
	ds_load_b128 v[16:19], v66 offset:128
	ds_load_b128 v[44:47], v66 offset:992
	ds_load_2addr_b64 v[48:51], v66 offset0:232 offset1:247
	ds_load_b128 v[54:57], v66 offset:1008
	ds_load_b128 v[71:74], v66 offset:144
	v_fma_f64 v[64:65], -v[10:11], v[79:80], v[64:65]
	v_fma_f64 v[52:53], -v[12:13], v[52:53], v[40:41]
	s_waitcnt lgkmcnt(4)
	v_fma_f64 v[116:117], -v[0:1], v[16:17], v[38:39]
	s_waitcnt lgkmcnt(3)
	v_fma_f64 v[44:45], -v[4:5], v[44:45], v[87:88]
	v_fma_f64 v[87:88], -v[6:7], v[42:43], v[110:111]
	;; [unrolled: 1-line block ×4, first 2 shown]
	s_waitcnt lgkmcnt(0)
	v_fma_f64 v[73:74], -v[0:1], v[73:74], v[30:31]
	v_mul_f64 v[16:17], v[48:49], v[112:113]
	v_fma_f64 v[124:125], -v[10:11], v[81:82], v[94:95]
	ds_load_b128 v[36:39], v66 offset:1648
	ds_load_2addr_b64 v[40:43], v66 offset0:233 offset1:234
	ds_load_b128 v[77:80], v66 offset:1664
	ds_load_b128 v[110:113], v66 offset:1744
	v_fma_f64 v[64:65], -v[4:5], v[46:47], v[64:65]
	v_fma_f64 v[48:49], -v[2:3], v[100:101], v[116:117]
	;; [unrolled: 1-line block ×4, first 2 shown]
	s_waitcnt lgkmcnt(3)
	v_fma_f64 v[52:53], -v[14:15], v[36:37], v[52:53]
	ds_load_2addr_b64 v[34:37], v66 offset0:45 offset1:46
	ds_load_b128 v[44:47], v66 offset:576
	ds_load_2addr_b64 v[81:84], v66 offset0:99 offset1:100
	ds_load_2addr_b64 v[94:97], v89 offset0:5 offset1:34
	;; [unrolled: 1-line block ×3, first 2 shown]
	ds_load_b128 v[114:117], v66 offset:592
	ds_load_2addr_b64 v[118:121], v66 offset0:47 offset1:48
	s_waitcnt lgkmcnt(9)
	v_fma_f64 v[40:41], -v[16:17], v[40:41], v[58:59]
	v_fma_f64 v[58:59], -v[0:1], v[71:72], v[32:33]
	;; [unrolled: 1-line block ×3, first 2 shown]
	s_waitcnt lgkmcnt(6)
	v_fma_f64 v[71:72], -v[2:3], v[34:35], v[18:19]
	s_waitcnt lgkmcnt(4)
	v_fma_f64 v[81:82], -v[10:11], v[81:82], v[122:123]
	v_fma_f64 v[64:65], -v[6:7], v[104:105], v[64:65]
	s_waitcnt lgkmcnt(0)
	v_fma_f64 v[118:119], -v[2:3], v[118:119], v[73:74]
	v_fma_f64 v[48:49], -v[8:9], v[44:45], v[48:49]
	;; [unrolled: 1-line block ×5, first 2 shown]
	v_mul_f64 v[18:19], v[94:95], v[40:41]
	ds_load_b128 v[32:35], v66 offset:1232
	ds_load_2addr_b64 v[38:41], v66 offset0:181 offset1:182
	ds_load_2addr_b64 v[42:45], v66 offset0:235 offset1:236
	ds_load_b128 v[52:55], v66 offset:2096
	ds_load_b128 v[85:88], v66 offset:2112
	ds_load_2addr_b64 v[102:105], v66 offset0:237 offset1:238
	ds_load_2addr_b64 v[122:125], v66 offset0:183 offset1:184
	ds_load_b128 v[126:129], v66 offset:1248
	v_fma_f64 v[94:95], -v[2:3], v[36:37], v[58:59]
	v_fma_f64 v[71:72], -v[8:9], v[46:47], v[71:72]
	;; [unrolled: 1-line block ×4, first 2 shown]
	s_waitcnt lgkmcnt(7)
	v_fma_f64 v[130:131], -v[6:7], v[32:33], v[130:131]
	s_waitcnt lgkmcnt(6)
	v_fma_f64 v[64:65], -v[12:13], v[38:39], v[64:65]
	v_fma_f64 v[83:84], -v[10:11], v[83:84], v[48:49]
	v_fma_f64 v[77:78], -v[14:15], v[77:78], v[132:133]
	s_waitcnt lgkmcnt(5)
	v_fma_f64 v[42:43], -v[16:17], v[42:43], v[134:135]
	s_waitcnt lgkmcnt(4)
	v_fma_f64 v[52:53], -v[18:19], v[52:53], v[136:137]
	v_fma_f64 v[94:95], -v[8:9], v[114:115], v[94:95]
	;; [unrolled: 1-line block ×5, first 2 shown]
	v_mov_b32_e32 v40, s8
	s_add_i32 s8, s3, 0x928
	v_fma_f64 v[64:65], -v[14:15], v[79:80], v[64:65]
	v_mov_b32_e32 v71, s8
	ds_load_b128 v[30:33], v66 offset:160
	ds_load_b128 v[36:39], v66 offset:1024
	;; [unrolled: 1-line block ×4, first 2 shown]
	v_fma_f64 v[44:45], -v[16:17], v[44:45], v[77:78]
	v_fma_f64 v[77:78], -v[18:19], v[54:55], v[42:43]
	s_add_i32 s8, s3, 0x938
	s_waitcnt lgkmcnt(3)
	v_fma_f64 v[30:31], -v[0:1], v[30:31], v[28:29]
	s_waitcnt lgkmcnt(2)
	v_fma_f64 v[83:84], -v[4:5], v[36:37], v[83:84]
	v_mul_f64 v[28:29], v[96:97], v[52:53]
	ds_load_b128 v[34:37], v66 offset:1680
	ds_load_2addr_b64 v[40:43], v40 offset1:1
	v_fma_f64 v[26:27], -v[0:1], v[32:33], v[26:27]
	v_fma_f64 v[100:101], -v[10:11], v[100:101], v[94:95]
	;; [unrolled: 1-line block ×4, first 2 shown]
	ds_load_b128 v[52:55], v66 offset:1696
	ds_load_2addr_b64 v[71:74], v71 offset1:1
	s_waitcnt lgkmcnt(4)
	v_fma_f64 v[56:57], -v[0:1], v[56:57], v[24:25]
	v_fma_f64 v[58:59], -v[0:1], v[58:59], v[22:23]
	;; [unrolled: 1-line block ×3, first 2 shown]
	s_waitcnt lgkmcnt(3)
	v_fma_f64 v[34:35], -v[14:15], v[34:35], v[114:115]
	v_fma_f64 v[44:45], -v[18:19], v[85:86], v[44:45]
	;; [unrolled: 1-line block ×4, first 2 shown]
	s_waitcnt lgkmcnt(2)
	v_fma_f64 v[85:86], -v[28:29], v[40:41], v[77:78]
	ds_load_b128 v[30:33], v66 offset:608
	ds_load_2addr_b64 v[38:41], v66 offset0:103 offset1:104
	ds_load_2addr_b64 v[77:80], v89 offset0:47 offset1:63
	;; [unrolled: 1-line block ×3, first 2 shown]
	ds_load_b128 v[94:97], v66 offset:624
	v_fma_f64 v[67:68], -v[2:3], v[67:68], v[26:27]
	v_fma_f64 v[46:47], -v[4:5], v[46:47], v[100:101]
	;; [unrolled: 1-line block ×6, first 2 shown]
	s_waitcnt lgkmcnt(3)
	v_fma_f64 v[38:39], -v[10:11], v[38:39], v[116:117]
	v_fma_f64 v[138:139], -v[16:17], v[104:105], v[34:35]
	;; [unrolled: 1-line block ×5, first 2 shown]
	s_waitcnt lgkmcnt(2)
	v_mul_f64 v[30:31], v[79:80], v[85:86]
	ds_load_b128 v[24:27], v66 offset:1264
	ds_load_2addr_b64 v[34:37], v66 offset0:185 offset1:186
	ds_load_2addr_b64 v[42:45], v66 offset0:239 offset1:240
	ds_load_b128 v[85:88], v66 offset:2128
	ds_load_b128 v[98:101], v66 offset:2560
	;; [unrolled: 1-line block ×3, first 2 shown]
	ds_load_2addr_b64 v[114:117], v66 offset0:241 offset1:242
	ds_load_2addr_b64 v[118:121], v66 offset0:187 offset1:188
	ds_load_b128 v[122:125], v66 offset:1280
	ds_load_b128 v[126:129], v66 offset:2192
	v_fma_f64 v[67:68], -v[8:9], v[32:33], v[67:68]
	s_waitcnt lgkmcnt(10)
	v_fma_f64 v[94:95], -v[8:9], v[94:95], v[56:57]
	v_mov_b32_e32 v56, s9
	s_add_i32 s9, s3, 0xaf8
	s_waitcnt lgkmcnt(8)
	v_fma_f64 v[132:133], -v[12:13], v[34:35], v[132:133]
	s_waitcnt lgkmcnt(7)
	v_fma_f64 v[42:43], -v[16:17], v[42:43], v[136:137]
	v_fma_f64 v[64:65], -v[28:29], v[71:72], v[64:65]
	;; [unrolled: 1-line block ×3, first 2 shown]
	s_waitcnt lgkmcnt(6)
	v_fma_f64 v[85:86], -v[18:19], v[85:86], v[138:139]
	v_fma_f64 v[69:70], -v[10:11], v[40:41], v[130:131]
	;; [unrolled: 1-line block ×4, first 2 shown]
	s_waitcnt lgkmcnt(5)
	v_fma_f64 v[71:72], -v[30:31], v[98:99], v[140:141]
	ds_load_b128 v[22:25], v66 offset:1056
	ds_load_2addr_b64 v[32:35], v89 offset0:92 offset1:103
	ds_load_2addr_b64 v[38:41], v66 offset0:51 offset1:107
	ds_load_b128 v[46:49], v66 offset:1072
	v_fma_f64 v[81:82], -v[10:11], v[81:82], v[67:68]
	v_fma_f64 v[83:84], -v[10:11], v[83:84], v[94:95]
	;; [unrolled: 1-line block ×3, first 2 shown]
	v_mov_b32_e32 v42, s8
	s_add_i32 s8, s3, 0x948
	v_fma_f64 v[64:65], -v[30:31], v[100:101], v[64:65]
	v_fma_f64 v[26:27], -v[6:7], v[26:27], v[79:80]
	;; [unrolled: 1-line block ×3, first 2 shown]
	s_waitcnt lgkmcnt(3)
	v_fma_f64 v[98:99], -v[4:5], v[22:23], v[69:70]
	v_fma_f64 v[79:80], -v[12:13], v[36:37], v[130:131]
	;; [unrolled: 1-line block ×4, first 2 shown]
	s_waitcnt lgkmcnt(2)
	v_mul_f64 v[22:23], v[32:33], v[71:72]
	s_waitcnt lgkmcnt(1)
	v_fma_f64 v[32:33], -v[2:3], v[38:39], v[58:59]
	ds_load_b128 v[36:39], v66 offset:1712
	ds_load_2addr_b64 v[42:45], v42 offset1:1
	ds_load_b128 v[52:55], v66 offset:2576
	ds_load_2addr_b64 v[56:59], v56 offset1:1
	ds_load_b128 v[67:70], v66 offset:2592
	ds_load_b128 v[71:74], v66 offset:1728
	v_fma_f64 v[81:82], -v[4:5], v[24:25], v[81:82]
	s_waitcnt lgkmcnt(4)
	v_fma_f64 v[42:43], -v[28:29], v[42:43], v[87:88]
	s_waitcnt lgkmcnt(3)
	v_fma_f64 v[52:53], -v[30:31], v[52:53], v[85:86]
	v_fma_f64 v[94:95], -v[6:7], v[122:123], v[98:99]
	;; [unrolled: 1-line block ×6, first 2 shown]
	s_waitcnt lgkmcnt(2)
	v_fma_f64 v[56:57], -v[22:23], v[56:57], v[64:65]
	v_fma_f64 v[32:33], -v[8:9], v[96:97], v[32:33]
	ds_load_2addr_b64 v[24:27], v89 offset0:121 offset1:150
	v_fma_f64 v[64:65], -v[4:5], v[46:47], v[83:84]
	v_fma_f64 v[87:88], -v[6:7], v[124:125], v[81:82]
	;; [unrolled: 1-line block ×3, first 2 shown]
	v_mov_b32_e32 v52, s9
	s_add_i32 s9, s3, 0xb08
	v_fma_f64 v[102:103], -v[12:13], v[120:121], v[94:95]
	v_fma_f64 v[98:99], -v[14:15], v[38:39], v[98:99]
	;; [unrolled: 1-line block ×6, first 2 shown]
	s_waitcnt lgkmcnt(0)
	v_mul_f64 v[24:25], v[24:25], v[56:57]
	v_fma_f64 v[32:33], -v[10:11], v[40:41], v[32:33]
	v_mov_b32_e32 v44, s8
	ds_load_2addr_b64 v[36:39], v66 offset0:243 offset1:244
	ds_load_b128 v[40:43], v66 offset:2160
	ds_load_2addr_b64 v[44:47], v44 offset1:1
	ds_load_2addr_b64 v[52:55], v52 offset1:1
	ds_load_b128 v[56:59], v66 offset:3024
	ds_load_b128 v[79:82], v66 offset:2176
	ds_load_2addr_b64 v[83:86], v66 offset0:245 offset1:246
	ds_load_b128 v[94:97], v66 offset:2640
	v_fma_f64 v[60:61], -v[6:7], v[60:61], v[64:65]
	v_fma_f64 v[64:65], -v[12:13], v[106:107], v[87:88]
	s_add_i32 s8, s3, 0x958
	v_fma_f64 v[71:72], -v[14:15], v[71:72], v[102:103]
	s_waitcnt lgkmcnt(7)
	v_fma_f64 v[36:37], -v[16:17], v[36:37], v[98:99]
	s_waitcnt lgkmcnt(6)
	;; [unrolled: 2-line block ×3, first 2 shown]
	v_fma_f64 v[44:45], -v[28:29], v[44:45], v[104:105]
	v_fma_f64 v[67:68], -v[30:31], v[67:68], v[100:101]
	s_waitcnt lgkmcnt(4)
	v_fma_f64 v[52:53], -v[22:23], v[52:53], v[116:117]
	s_waitcnt lgkmcnt(3)
	v_fma_f64 v[56:57], -v[24:25], v[56:57], v[118:119]
	v_fma_f64 v[32:33], -v[4:5], v[48:49], v[32:33]
	;; [unrolled: 1-line block ×10, first 2 shown]
	v_mul_f64 v[36:37], v[26:27], v[56:57]
	v_fma_f64 v[26:27], -v[6:7], v[62:63], v[32:33]
	v_dual_mov_b32 v33, s9 :: v_dual_mov_b32 v32, s8
	s_add_i32 s8, s3, 0xcb8
	s_add_i32 s9, s3, 0xb18
	v_mov_b32_e32 v56, s8
	ds_load_2addr_b64 v[38:41], v32 offset1:1
	ds_load_b128 v[42:45], v66 offset:2608
	ds_load_2addr_b64 v[46:49], v33 offset1:1
	ds_load_b128 v[52:55], v66 offset:3040
	;; [unrolled: 2-line block ×3, first 2 shown]
	ds_load_b128 v[67:70], v66 offset:2624
	v_fma_f64 v[32:33], -v[14:15], v[110:111], v[87:88]
	s_waitcnt lgkmcnt(8)
	v_fma_f64 v[64:65], -v[16:17], v[83:84], v[64:65]
	s_add_i32 s8, s3, 0x968
	v_fma_f64 v[79:80], -v[18:19], v[79:80], v[71:72]
	s_waitcnt lgkmcnt(6)
	v_fma_f64 v[38:39], -v[28:29], v[38:39], v[73:74]
	s_waitcnt lgkmcnt(5)
	;; [unrolled: 2-line block ×4, first 2 shown]
	v_fma_f64 v[52:53], -v[24:25], v[52:53], v[102:103]
	ds_load_2addr_b64 v[71:74], v89 offset0:159 offset1:179
	s_waitcnt lgkmcnt(3)
	v_fma_f64 v[56:57], -v[36:37], v[56:57], v[104:105]
	v_fma_f64 v[26:27], -v[12:13], v[75:76], v[26:27]
	;; [unrolled: 1-line block ×9, first 2 shown]
	v_mov_b32_e32 v40, s8
	s_waitcnt lgkmcnt(0)
	v_mul_f64 v[38:39], v[73:74], v[56:57]
	v_fma_f64 v[26:27], -v[14:15], v[112:113], v[26:27]
	s_add_i32 s8, s3, 0xcc8
	v_mov_b32_e32 v44, s9
	v_mov_b32_e32 v52, s8
	ds_load_2addr_b64 v[40:43], v40 offset1:1
	ds_load_2addr_b64 v[44:47], v44 offset1:1
	;; [unrolled: 1-line block ×3, first 2 shown]
	ds_load_b128 v[56:59], v66 offset:3488
	ds_load_b128 v[73:76], v66 offset:3504
	s_add_i32 s8, s3, 0xb28
	v_fma_f64 v[32:33], -v[18:19], v[126:127], v[32:33]
	s_add_i32 s9, s3, 0xcd8
	s_waitcnt lgkmcnt(4)
	v_fma_f64 v[40:41], -v[28:29], v[40:41], v[64:65]
	v_fma_f64 v[64:65], -v[30:31], v[67:68], v[79:80]
	s_waitcnt lgkmcnt(3)
	v_fma_f64 v[44:45], -v[22:23], v[44:45], v[81:82]
	v_fma_f64 v[60:61], -v[24:25], v[60:61], v[48:49]
	s_waitcnt lgkmcnt(2)
	v_fma_f64 v[52:53], -v[36:37], v[52:53], v[83:84]
	s_waitcnt lgkmcnt(1)
	v_fma_f64 v[56:57], -v[38:39], v[56:57], v[85:86]
	v_fma_f64 v[26:27], -v[16:17], v[50:51], v[26:27]
	ds_load_2addr_b64 v[48:51], v89 offset0:208 offset1:215
	v_fma_f64 v[32:33], -v[28:29], v[42:43], v[32:33]
	v_mov_b32_e32 v42, s8
	s_add_i32 s8, s3, 0xe88
	v_fma_f64 v[67:68], -v[30:31], v[69:70], v[40:41]
	v_fma_f64 v[64:65], -v[22:23], v[46:47], v[64:65]
	;; [unrolled: 1-line block ×5, first 2 shown]
	v_mov_b32_e32 v52, s9
	s_add_i32 s9, s3, 0xe98
	s_waitcnt lgkmcnt(0)
	v_mul_f64 v[40:41], v[48:49], v[56:57]
	v_fma_f64 v[26:27], -v[18:19], v[128:129], v[26:27]
	v_mov_b32_e32 v56, s8
	ds_load_2addr_b64 v[42:45], v42 offset1:1
	ds_load_b128 v[46:49], v66 offset:3072
	ds_load_2addr_b64 v[52:55], v52 offset1:1
	ds_load_2addr_b64 v[56:59], v56 offset1:1
	ds_load_b128 v[60:63], v66 offset:3088
	s_add_i32 s8, s3, 0xce8
	v_fma_f64 v[32:33], -v[30:31], v[94:95], v[32:33]
	s_waitcnt lgkmcnt(4)
	v_fma_f64 v[42:43], -v[22:23], v[42:43], v[67:68]
	v_add_nc_u32_e64 v67, 0xc00, s3
	s_waitcnt lgkmcnt(3)
	v_fma_f64 v[46:47], -v[24:25], v[46:47], v[64:65]
	s_waitcnt lgkmcnt(2)
	v_fma_f64 v[52:53], -v[36:37], v[52:53], v[69:70]
	v_fma_f64 v[64:65], -v[38:39], v[73:74], v[79:80]
	ds_load_2addr_b64 v[67:70], v67 offset0:109 offset1:138
	s_waitcnt lgkmcnt(2)
	v_fma_f64 v[56:57], -v[40:41], v[56:57], v[81:82]
	v_fma_f64 v[26:27], -v[28:29], v[77:78], v[26:27]
	;; [unrolled: 1-line block ×3, first 2 shown]
	v_mov_b32_e32 v44, s8
	s_add_i32 s8, s3, 0xea8
	v_fma_f64 v[48:49], -v[24:25], v[48:49], v[42:43]
	v_fma_f64 v[85:86], -v[36:37], v[54:55], v[46:47]
	;; [unrolled: 1-line block ×4, first 2 shown]
	s_waitcnt lgkmcnt(0)
	v_mul_f64 v[42:43], v[67:68], v[56:57]
	v_fma_f64 v[26:27], -v[30:31], v[96:97], v[26:27]
	v_mov_b32_e32 v56, s9
	ds_load_2addr_b64 v[44:47], v44 offset1:1
	ds_load_b128 v[52:55], v66 offset:3520
	ds_load_2addr_b64 v[56:59], v56 offset1:1
	ds_load_b128 v[73:76], v66 offset:3952
	ds_load_b128 v[77:80], v66 offset:3968
	;; [unrolled: 1-line block ×3, first 2 shown]
	s_add_i32 s9, s3, 0x1058
	v_add_nc_u32_e64 v67, 0x1000, s3
	v_fma_f64 v[32:33], -v[24:25], v[60:61], v[32:33]
	s_waitcnt lgkmcnt(5)
	v_fma_f64 v[44:45], -v[36:37], v[44:45], v[48:49]
	s_waitcnt lgkmcnt(4)
	;; [unrolled: 2-line block ×4, first 2 shown]
	v_fma_f64 v[56:57], -v[42:43], v[73:74], v[64:65]
	v_fma_f64 v[26:27], -v[22:23], v[34:35], v[26:27]
	;; [unrolled: 1-line block ×4, first 2 shown]
	v_mov_b32_e32 v44, s8
	s_add_i32 s8, s3, 0x1068
	s_addk_i32 s3, 0x1228
	v_fma_f64 v[48:49], -v[40:41], v[58:59], v[48:49]
	v_fma_f64 v[58:59], -v[42:43], v[75:76], v[52:53]
	v_mov_b32_e32 v52, s9
	ds_load_2addr_b64 v[44:47], v44 offset1:1
	ds_load_2addr_b64 v[52:55], v52 offset1:1
	v_mul_f64 v[32:33], v[69:70], v[56:57]
	v_fma_f64 v[26:27], -v[24:25], v[62:63], v[26:27]
	s_waitcnt lgkmcnt(2)
	v_fma_f64 v[34:35], -v[38:39], v[81:82], v[34:35]
	s_waitcnt lgkmcnt(1)
	v_fma_f64 v[44:45], -v[40:41], v[44:45], v[60:61]
	v_fma_f64 v[48:49], -v[42:43], v[77:78], v[48:49]
	s_waitcnt lgkmcnt(0)
	v_fma_f64 v[52:53], -v[32:33], v[52:53], v[58:59]
	v_fma_f64 v[26:27], -v[36:37], v[71:72], v[26:27]
	ds_load_2addr_b64 v[56:59], v67 offset0:15 offset1:39
	v_fma_f64 v[62:63], -v[40:41], v[46:47], v[34:35]
	v_fma_f64 v[64:65], -v[42:43], v[79:80], v[44:45]
	;; [unrolled: 1-line block ×3, first 2 shown]
	s_waitcnt lgkmcnt(0)
	v_mul_f64 v[34:35], v[58:59], v[52:53]
	v_fma_f64 v[26:27], -v[38:39], v[83:84], v[26:27]
	v_mov_b32_e32 v52, s8
	ds_load_b128 v[44:47], v66 offset:3984
	ds_load_2addr_b64 v[52:55], v52 offset1:1
	ds_load_b128 v[58:61], v66 offset:4416
	s_waitcnt lgkmcnt(2)
	v_fma_f64 v[44:45], -v[42:43], v[44:45], v[62:63]
	s_waitcnt lgkmcnt(1)
	v_fma_f64 v[52:53], -v[32:33], v[52:53], v[64:65]
	;; [unrolled: 2-line block ×3, first 2 shown]
	v_fma_f64 v[26:27], -v[40:41], v[50:51], v[26:27]
	ds_load_2addr_b64 v[48:51], v67 offset0:68 offset1:71
	v_fma_f64 v[62:63], -v[32:33], v[54:55], v[44:45]
	v_fma_f64 v[64:65], -v[34:35], v[60:61], v[52:53]
	v_mov_b32_e32 v52, s3
	s_mul_i32 s3, s7, 0xe8
	s_waitcnt lgkmcnt(0)
	v_mul_f64 v[44:45], v[48:49], v[58:59]
	v_fma_f64 v[26:27], -v[42:43], v[46:47], v[26:27]
	ds_load_b128 v[46:49], v66 offset:4432
	ds_load_2addr_b64 v[52:55], v52 offset1:1
	ds_load_b128 v[58:61], v66 offset:4880
	s_waitcnt lgkmcnt(2)
	v_fma_f64 v[46:47], -v[34:35], v[46:47], v[62:63]
	s_waitcnt lgkmcnt(1)
	v_fma_f64 v[52:53], -v[44:45], v[52:53], v[64:65]
	v_fma_f64 v[26:27], -v[32:33], v[56:57], v[26:27]
	ds_load_2addr_b64 v[62:65], v67 offset0:97 offset1:126
	v_fma_f64 v[54:55], -v[44:45], v[54:55], v[46:47]
	s_waitcnt lgkmcnt(0)
	v_mul_f64 v[46:47], v[62:63], v[52:53]
	v_fma_f64 v[26:27], -v[34:35], v[48:49], v[26:27]
	s_delay_alu instid0(VALU_DEP_2) | instskip(NEXT) | instid1(VALU_DEP_2)
	v_fma_f64 v[48:49], -v[46:47], v[58:59], v[54:55]
	v_fma_f64 v[26:27], -v[44:45], v[50:51], v[26:27]
	ds_load_b64 v[50:51], v66 offset:5112
	v_mul_f64 v[48:49], v[64:65], v[48:49]
	v_fma_f64 v[26:27], -v[46:47], v[60:61], v[26:27]
	s_waitcnt lgkmcnt(0)
	s_delay_alu instid0(VALU_DEP_1)
	v_fma_f64 v[26:27], -v[48:49], v[50:51], v[26:27]
	v_mov_b32_e32 v50, s3
	ds_load_b64 v[50:51], v50
	s_waitcnt lgkmcnt(0)
	v_mul_f64 v[50:51], v[50:51], v[26:27]
	s_clause 0xb
	global_store_b128 v[20:21], v[0:3], off
	global_store_b128 v[20:21], v[8:11], off offset:16
	global_store_b128 v[20:21], v[4:7], off offset:32
	;; [unrolled: 1-line block ×11, first 2 shown]
.LBB100_43:
	s_cmp_ge_i32 s6, s2
	s_cbranch_scc1 .LBB100_54
; %bb.44:
	s_add_i32 s3, s6, -1
	s_lshl_b32 s8, s6, 3
	s_add_u32 s0, s12, s0
	s_addc_u32 s1, s13, s1
	v_add_co_u32 v8, vcc_lo, s0, v92
	v_add_co_ci_u32_e32 v9, vcc_lo, s1, v93, vcc_lo
	s_mov_b32 s1, 0
	s_delay_alu instid0(VALU_DEP_2) | instskip(NEXT) | instid1(VALU_DEP_2)
	v_add_co_u32 v0, vcc_lo, v8, 56
	v_add_co_ci_u32_e32 v1, vcc_lo, 0, v9, vcc_lo
	s_mov_b32 s10, s6
	s_mov_b32 s9, 0
	s_branch .LBB100_46
.LBB100_45:                             ;   in Loop: Header=BB100_46 Depth=1
	s_mul_i32 s0, s6, 0xe8
	s_add_i32 s6, s6, 1
	v_mov_b32_e32 v6, s0
	s_add_i32 s9, s9, 1
	s_add_i32 s8, s8, 8
	s_cmp_ge_i32 s6, s2
	ds_load_b64 v[6:7], v6
	s_waitcnt lgkmcnt(0)
	v_mul_f64 v[4:5], v[6:7], v[4:5]
	v_add_nc_u16 v6, s10, 1
	s_delay_alu instid0(VALU_DEP_1)
	v_readfirstlane_b32 s10, v6
	global_store_b64 v[2:3], v[4:5], off
	s_cbranch_scc1 .LBB100_54
.LBB100_46:                             ; =>This Loop Header: Depth=1
                                        ;     Child Loop BB100_49 Depth 2
                                        ;     Child Loop BB100_53 Depth 2
	s_ashr_i32 s7, s6, 31
	s_delay_alu instid0(SALU_CYCLE_1)
	s_lshl_b64 s[12:13], s[6:7], 3
	s_cmp_eq_u32 s6, 0
	v_add_co_u32 v2, vcc_lo, v90, s12
	v_add_co_ci_u32_e32 v3, vcc_lo, s13, v91, vcc_lo
	global_load_b64 v[4:5], v[2:3], off
	s_waitcnt vmcnt(0)
	v_mul_f64 v[4:5], v[4:5], s[4:5]
	s_cbranch_scc1 .LBB100_45
; %bb.47:                               ;   in Loop: Header=BB100_46 Depth=1
	s_add_i32 s0, s3, s9
	s_delay_alu instid0(SALU_CYCLE_1)
	s_cmp_lt_u32 s0, 7
	s_cbranch_scc1 .LBB100_51
; %bb.48:                               ;   in Loop: Header=BB100_46 Depth=1
	v_dual_mov_b32 v7, v1 :: v_dual_mov_b32 v6, v0
	s_and_b32 s0, s6, -8
	s_mov_b32 s7, 0
	s_mov_b32 s11, s8
	s_set_inst_prefetch_distance 0x1
	.p2align	6
.LBB100_49:                             ;   Parent Loop BB100_46 Depth=1
                                        ; =>  This Inner Loop Header: Depth=2
	s_clause 0x3
	global_load_b128 v[10:13], v[6:7], off offset:-56
	global_load_b128 v[14:17], v[6:7], off offset:-40
	;; [unrolled: 1-line block ×4, first 2 shown]
	v_mov_b32_e32 v30, s11
	v_add_co_u32 v6, vcc_lo, v6, 64
	v_add_co_ci_u32_e32 v7, vcc_lo, 0, v7, vcc_lo
	ds_load_2addr_b64 v[26:29], v30 offset1:28
	s_add_i32 s7, s7, 8
	s_addk_i32 s11, 0x700
	s_cmp_lg_u32 s0, s7
	s_waitcnt vmcnt(3) lgkmcnt(0)
	v_fma_f64 v[4:5], -v[10:11], v[26:27], v[4:5]
	s_delay_alu instid0(VALU_DEP_1) | instskip(SKIP_3) | instid1(VALU_DEP_1)
	v_fma_f64 v[4:5], -v[12:13], v[28:29], v[4:5]
	ds_load_2addr_b64 v[10:13], v30 offset0:56 offset1:84
	s_waitcnt vmcnt(2) lgkmcnt(0)
	v_fma_f64 v[4:5], -v[14:15], v[10:11], v[4:5]
	v_fma_f64 v[4:5], -v[16:17], v[12:13], v[4:5]
	ds_load_2addr_b64 v[10:13], v30 offset0:112 offset1:140
	s_waitcnt vmcnt(1) lgkmcnt(0)
	v_fma_f64 v[4:5], -v[18:19], v[10:11], v[4:5]
	s_delay_alu instid0(VALU_DEP_1) | instskip(SKIP_3) | instid1(VALU_DEP_1)
	v_fma_f64 v[4:5], -v[20:21], v[12:13], v[4:5]
	ds_load_2addr_b64 v[10:13], v30 offset0:168 offset1:196
	s_waitcnt vmcnt(0) lgkmcnt(0)
	v_fma_f64 v[4:5], -v[22:23], v[10:11], v[4:5]
	v_fma_f64 v[4:5], -v[24:25], v[12:13], v[4:5]
	s_cbranch_scc1 .LBB100_49
; %bb.50:                               ;   in Loop: Header=BB100_46 Depth=1
	s_set_inst_prefetch_distance 0x2
	s_and_b32 s7, s6, 7
	s_delay_alu instid0(SALU_CYCLE_1)
	s_cmp_eq_u32 s7, 0
	s_cbranch_scc0 .LBB100_52
	s_branch .LBB100_45
.LBB100_51:                             ;   in Loop: Header=BB100_46 Depth=1
	s_mov_b32 s0, 0
	s_and_b32 s7, s6, 7
	s_delay_alu instid0(SALU_CYCLE_1)
	s_cmp_eq_u32 s7, 0
	s_cbranch_scc1 .LBB100_45
.LBB100_52:                             ;   in Loop: Header=BB100_46 Depth=1
	s_lshl_b64 s[12:13], s[0:1], 3
	s_and_b32 s7, s10, 7
	v_add_co_u32 v6, vcc_lo, v8, s12
	v_add_co_ci_u32_e32 v7, vcc_lo, s13, v9, vcc_lo
	s_mulk_i32 s0, 0xe0
.LBB100_53:                             ;   Parent Loop BB100_46 Depth=1
                                        ; =>  This Inner Loop Header: Depth=2
	global_load_b64 v[10:11], v[6:7], off
	s_add_i32 s11, s8, s0
	v_add_co_u32 v6, vcc_lo, v6, 8
	v_mov_b32_e32 v12, s11
	v_add_co_ci_u32_e32 v7, vcc_lo, 0, v7, vcc_lo
	s_add_i32 s7, s7, -1
	s_addk_i32 s0, 0xe0
	ds_load_b64 v[12:13], v12
	s_cmp_lg_u32 s7, 0
	s_waitcnt vmcnt(0) lgkmcnt(0)
	v_fma_f64 v[4:5], -v[10:11], v[12:13], v[4:5]
	s_cbranch_scc1 .LBB100_53
	s_branch .LBB100_45
.LBB100_54:
	s_nop 0
	s_sendmsg sendmsg(MSG_DEALLOC_VGPRS)
	s_endpgm
	.section	.rodata,"a",@progbits
	.p2align	6, 0x0
	.amdhsa_kernel _ZL30rocblas_trsm_small_left_deviceILi28ELi28ELb1EddPKPKdPKPdEv13rocblas_fill_18rocblas_operation_17rocblas_diagonal_iiT3_T4_lilT5_lili
		.amdhsa_group_segment_fixed_size 6272
		.amdhsa_private_segment_fixed_size 0
		.amdhsa_kernarg_size 360
		.amdhsa_user_sgpr_count 14
		.amdhsa_user_sgpr_dispatch_ptr 0
		.amdhsa_user_sgpr_queue_ptr 0
		.amdhsa_user_sgpr_kernarg_segment_ptr 1
		.amdhsa_user_sgpr_dispatch_id 0
		.amdhsa_user_sgpr_private_segment_size 0
		.amdhsa_wavefront_size32 1
		.amdhsa_uses_dynamic_stack 0
		.amdhsa_enable_private_segment 0
		.amdhsa_system_sgpr_workgroup_id_x 1
		.amdhsa_system_sgpr_workgroup_id_y 0
		.amdhsa_system_sgpr_workgroup_id_z 1
		.amdhsa_system_sgpr_workgroup_info 0
		.amdhsa_system_vgpr_workitem_id 0
		.amdhsa_next_free_vgpr 158
		.amdhsa_next_free_sgpr 32
		.amdhsa_reserve_vcc 1
		.amdhsa_float_round_mode_32 0
		.amdhsa_float_round_mode_16_64 0
		.amdhsa_float_denorm_mode_32 3
		.amdhsa_float_denorm_mode_16_64 3
		.amdhsa_dx10_clamp 1
		.amdhsa_ieee_mode 1
		.amdhsa_fp16_overflow 0
		.amdhsa_workgroup_processor_mode 1
		.amdhsa_memory_ordered 1
		.amdhsa_forward_progress 0
		.amdhsa_shared_vgpr_count 0
		.amdhsa_exception_fp_ieee_invalid_op 0
		.amdhsa_exception_fp_denorm_src 0
		.amdhsa_exception_fp_ieee_div_zero 0
		.amdhsa_exception_fp_ieee_overflow 0
		.amdhsa_exception_fp_ieee_underflow 0
		.amdhsa_exception_fp_ieee_inexact 0
		.amdhsa_exception_int_div_zero 0
	.end_amdhsa_kernel
	.section	.text._ZL30rocblas_trsm_small_left_deviceILi28ELi28ELb1EddPKPKdPKPdEv13rocblas_fill_18rocblas_operation_17rocblas_diagonal_iiT3_T4_lilT5_lili,"axG",@progbits,_ZL30rocblas_trsm_small_left_deviceILi28ELi28ELb1EddPKPKdPKPdEv13rocblas_fill_18rocblas_operation_17rocblas_diagonal_iiT3_T4_lilT5_lili,comdat
.Lfunc_end100:
	.size	_ZL30rocblas_trsm_small_left_deviceILi28ELi28ELb1EddPKPKdPKPdEv13rocblas_fill_18rocblas_operation_17rocblas_diagonal_iiT3_T4_lilT5_lili, .Lfunc_end100-_ZL30rocblas_trsm_small_left_deviceILi28ELi28ELb1EddPKPKdPKPdEv13rocblas_fill_18rocblas_operation_17rocblas_diagonal_iiT3_T4_lilT5_lili
                                        ; -- End function
	.section	.AMDGPU.csdata,"",@progbits
; Kernel info:
; codeLenInByte = 29364
; NumSgprs: 34
; NumVgprs: 158
; ScratchSize: 0
; MemoryBound: 1
; FloatMode: 240
; IeeeMode: 1
; LDSByteSize: 6272 bytes/workgroup (compile time only)
; SGPRBlocks: 4
; VGPRBlocks: 19
; NumSGPRsForWavesPerEU: 34
; NumVGPRsForWavesPerEU: 158
; Occupancy: 5
; WaveLimiterHint : 1
; COMPUTE_PGM_RSRC2:SCRATCH_EN: 0
; COMPUTE_PGM_RSRC2:USER_SGPR: 14
; COMPUTE_PGM_RSRC2:TRAP_HANDLER: 0
; COMPUTE_PGM_RSRC2:TGID_X_EN: 1
; COMPUTE_PGM_RSRC2:TGID_Y_EN: 0
; COMPUTE_PGM_RSRC2:TGID_Z_EN: 1
; COMPUTE_PGM_RSRC2:TIDIG_COMP_CNT: 0
	.section	.text._ZL31rocblas_trsm_small_right_deviceIddPKPKdPKPdLi28EEv13rocblas_fill_18rocblas_operation_17rocblas_diagonal_iiT0_T1_lilT2_lili,"axG",@progbits,_ZL31rocblas_trsm_small_right_deviceIddPKPKdPKPdLi28EEv13rocblas_fill_18rocblas_operation_17rocblas_diagonal_iiT0_T1_lilT2_lili,comdat
	.globl	_ZL31rocblas_trsm_small_right_deviceIddPKPKdPKPdLi28EEv13rocblas_fill_18rocblas_operation_17rocblas_diagonal_iiT0_T1_lilT2_lili ; -- Begin function _ZL31rocblas_trsm_small_right_deviceIddPKPKdPKPdLi28EEv13rocblas_fill_18rocblas_operation_17rocblas_diagonal_iiT0_T1_lilT2_lili
	.p2align	8
	.type	_ZL31rocblas_trsm_small_right_deviceIddPKPKdPKPdLi28EEv13rocblas_fill_18rocblas_operation_17rocblas_diagonal_iiT0_T1_lilT2_lili,@function
_ZL31rocblas_trsm_small_right_deviceIddPKPKdPKPdLi28EEv13rocblas_fill_18rocblas_operation_17rocblas_diagonal_iiT0_T1_lilT2_lili: ; @_ZL31rocblas_trsm_small_right_deviceIddPKPKdPKPdLi28EEv13rocblas_fill_18rocblas_operation_17rocblas_diagonal_iiT0_T1_lilT2_lili
; %bb.0:
	s_load_b128 s[16:19], s[0:1], 0x40
	s_mov_b32 s12, s15
	s_mov_b32 s13, 0
	s_clause 0x1
	s_load_b32 s28, s[0:1], 0x10
	s_load_b128 s[4:7], s[0:1], 0x0
	s_lshl_b64 s[22:23], s[12:13], 3
	s_mov_b32 s12, exec_lo
	s_waitcnt lgkmcnt(0)
	s_add_u32 s2, s16, s22
	s_addc_u32 s3, s17, s23
	s_clause 0x1
	s_load_b128 s[8:11], s[0:1], 0x18
	s_load_b64 s[16:17], s[0:1], 0x28
	s_load_b64 s[2:3], s[2:3], 0x0
	s_min_i32 s29, s28, 28
	s_delay_alu instid0(SALU_CYCLE_1)
	s_add_i32 s30, s29, -1
	v_cmpx_gt_i32_e64 s29, v0
	s_cbranch_execz .LBB101_9
; %bb.1:
	s_load_b32 s20, s[0:1], 0x30
	s_waitcnt lgkmcnt(0)
	s_ashr_i32 s21, s20, 31
	s_add_u32 s10, s10, s22
	s_addc_u32 s11, s11, s23
	s_cmp_lt_u32 s30, 3
	s_load_b64 s[10:11], s[10:11], 0x0
	s_cbranch_scc1 .LBB101_4
; %bb.2:
	v_lshlrev_b32_e32 v3, 3, v0
	s_lshl_b64 s[22:23], s[16:17], 3
	s_mul_i32 s31, s20, 24
	s_waitcnt lgkmcnt(0)
	s_add_u32 s13, s10, s22
	s_addc_u32 s15, s11, s23
	v_add_co_u32 v1, s13, s13, v3
	s_delay_alu instid0(VALU_DEP_1)
	v_add_co_ci_u32_e64 v2, null, s15, 0, s13
	s_and_b32 s13, s29, -4
	s_mul_hi_i32 s15, s20, 24
	s_lshl_b64 s[22:23], s[20:21], 5
	s_lshl_b64 s[24:25], s[20:21], 4
	;; [unrolled: 1-line block ×3, first 2 shown]
	s_mov_b32 s33, 0
	.p2align	6
.LBB101_3:                              ; =>This Inner Loop Header: Depth=1
	v_add_co_u32 v4, vcc_lo, v1, s26
	v_add_co_ci_u32_e32 v5, vcc_lo, s27, v2, vcc_lo
	v_add_co_u32 v6, vcc_lo, v1, s24
	v_add_co_ci_u32_e32 v7, vcc_lo, s25, v2, vcc_lo
	;; [unrolled: 2-line block ×3, first 2 shown]
	s_clause 0x3
	global_load_b64 v[10:11], v[1:2], off
	global_load_b64 v[4:5], v[4:5], off
	;; [unrolled: 1-line block ×4, first 2 shown]
	v_add_co_u32 v1, vcc_lo, v1, s22
	v_add_co_ci_u32_e32 v2, vcc_lo, s23, v2, vcc_lo
	s_add_i32 s33, s33, 4
	s_waitcnt vmcnt(2)
	ds_store_2addr_b64 v3, v[10:11], v[4:5] offset1:28
	s_waitcnt vmcnt(0)
	ds_store_2addr_b64 v3, v[6:7], v[8:9] offset0:56 offset1:84
	v_add_nc_u32_e32 v3, 0x380, v3
	s_cmp_eq_u32 s13, s33
	s_cbranch_scc0 .LBB101_3
.LBB101_4:
	s_and_b32 s15, s29, 3
	s_delay_alu instid0(SALU_CYCLE_1)
	s_cmp_eq_u32 s15, 0
	s_cbranch_scc1 .LBB101_7
; %bb.5:
	s_mul_i32 s22, s21, s13
	s_mul_hi_u32 s23, s20, s13
	s_lshl_b64 s[16:17], s[16:17], 3
	s_add_i32 s23, s23, s22
	s_mul_i32 s22, s20, s13
	s_mulk_i32 s13, 0xe0
	s_lshl_b64 s[22:23], s[22:23], 3
	v_lshlrev_b32_e32 v1, 3, v0
	v_lshl_add_u32 v3, v0, 3, s13
	s_add_u32 s13, s22, s16
	s_addc_u32 s16, s23, s17
	s_waitcnt lgkmcnt(0)
	s_add_u32 s10, s10, s13
	s_addc_u32 s11, s11, s16
	v_add_co_u32 v1, s10, s10, v1
	s_delay_alu instid0(VALU_DEP_1)
	v_add_co_ci_u32_e64 v2, null, s11, 0, s10
	s_lshl_b64 s[10:11], s[20:21], 3
.LBB101_6:                              ; =>This Inner Loop Header: Depth=1
	global_load_b64 v[4:5], v[1:2], off
	v_add_co_u32 v1, vcc_lo, v1, s10
	v_add_co_ci_u32_e32 v2, vcc_lo, s11, v2, vcc_lo
	s_add_i32 s15, s15, -1
	s_delay_alu instid0(SALU_CYCLE_1)
	s_cmp_lg_u32 s15, 0
	s_waitcnt vmcnt(0)
	ds_store_b64 v3, v[4:5]
	v_add_nc_u32_e32 v3, 0xe0, v3
	s_cbranch_scc1 .LBB101_6
.LBB101_7:
	s_cmpk_eq_i32 s6, 0x84
	s_cbranch_scc0 .LBB101_9
; %bb.8:
	v_mul_u32_u24_e32 v2, 29, v0
	v_mov_b32_e32 v1, 0
	s_delay_alu instid0(VALU_DEP_2)
	v_dual_mov_b32 v2, 0x3ff00000 :: v_dual_lshlrev_b32 v3, 3, v2
	ds_store_b64 v3, v[1:2]
.LBB101_9:
	s_or_b32 exec_lo, exec_lo, s12
	s_clause 0x1
	s_load_b32 s6, s[0:1], 0x68
	s_load_b32 s0, s[0:1], 0x50
	s_waitcnt lgkmcnt(0)
	s_lshl_b64 s[10:11], s[18:19], 3
	s_mul_i32 s13, s14, 0xffffffe4
	s_add_u32 s1, s2, s10
	s_addc_u32 s12, s3, s11
	s_add_i32 s13, s13, s7
	s_mul_i32 s16, s14, 0xe0
	s_mul_hi_i32 s17, s14, 0xe0
	s_mov_b32 s22, 0
	s_add_i32 s6, s6, -1
	s_delay_alu instid0(SALU_CYCLE_1)
	s_cmp_ge_u32 s14, s6
	s_cselect_b32 s6, s13, 28
	s_add_u32 s18, s1, s16
	s_addc_u32 s19, s12, s17
	v_cmp_gt_i32_e32 vcc_lo, s6, v0
	s_cmp_gt_i32 s28, 0
	s_cselect_b32 s1, -1, 0
	s_delay_alu instid0(SALU_CYCLE_1) | instskip(NEXT) | instid1(SALU_CYCLE_1)
	s_and_b32 s20, vcc_lo, s1
	s_and_saveexec_b32 s21, s20
	s_cbranch_execz .LBB101_16
; %bb.10:
	s_ashr_i32 s1, s0, 31
	s_cmp_lt_u32 s28, 4
	s_cbranch_scc1 .LBB101_13
; %bb.11:
	v_lshlrev_b32_e32 v1, 3, v0
	v_lshl_add_u32 v3, v0, 3, 0x1880
	s_and_b32 s22, s28, 0x7ffffffc
	s_mul_hi_i32 s23, s0, 24
	s_mul_i32 s24, s0, 24
	v_add_co_u32 v1, s6, s18, v1
	s_delay_alu instid0(VALU_DEP_1)
	v_add_co_ci_u32_e64 v2, null, s19, 0, s6
	s_lshl_b64 s[6:7], s[0:1], 5
	s_lshl_b64 s[12:13], s[0:1], 4
	;; [unrolled: 1-line block ×3, first 2 shown]
	s_mov_b32 s25, 0
	s_set_inst_prefetch_distance 0x1
	.p2align	6
.LBB101_12:                             ; =>This Inner Loop Header: Depth=1
	v_add_co_u32 v4, vcc_lo, v1, s14
	v_add_co_ci_u32_e32 v5, vcc_lo, s15, v2, vcc_lo
	v_add_co_u32 v6, vcc_lo, v1, s12
	v_add_co_ci_u32_e32 v7, vcc_lo, s13, v2, vcc_lo
	;; [unrolled: 2-line block ×3, first 2 shown]
	s_clause 0x3
	global_load_b64 v[10:11], v[1:2], off
	global_load_b64 v[4:5], v[4:5], off
	;; [unrolled: 1-line block ×4, first 2 shown]
	v_add_co_u32 v1, vcc_lo, v1, s6
	v_add_co_ci_u32_e32 v2, vcc_lo, s7, v2, vcc_lo
	s_add_i32 s25, s25, 4
	s_delay_alu instid0(SALU_CYCLE_1)
	s_cmp_lg_u32 s22, s25
	s_waitcnt vmcnt(3)
	v_mul_f64 v[10:11], v[10:11], s[8:9]
	s_waitcnt vmcnt(2)
	v_mul_f64 v[4:5], v[4:5], s[8:9]
	;; [unrolled: 2-line block ×4, first 2 shown]
	ds_store_2addr_b64 v3, v[10:11], v[4:5] offset1:28
	ds_store_2addr_b64 v3, v[6:7], v[8:9] offset0:56 offset1:84
	v_add_nc_u32_e32 v3, 0x380, v3
	s_cbranch_scc1 .LBB101_12
.LBB101_13:
	s_set_inst_prefetch_distance 0x2
	s_and_b32 s12, s28, 3
	s_delay_alu instid0(SALU_CYCLE_1)
	s_cmp_eq_u32 s12, 0
	s_cbranch_scc1 .LBB101_16
; %bb.14:
	s_mul_hi_i32 s7, s0, s22
	s_mul_i32 s6, s0, s22
	v_lshlrev_b32_e32 v1, 3, v0
	s_lshl_b64 s[6:7], s[6:7], 3
	s_mul_i32 s13, s22, 0xe0
	s_add_u32 s6, s6, s16
	s_addc_u32 s7, s7, s17
	s_add_u32 s6, s6, s10
	s_addc_u32 s7, s7, s11
	s_add_u32 s6, s2, s6
	v_add3_u32 v3, s13, v1, 0x1880
	s_addc_u32 s7, s3, s7
	v_add_co_u32 v1, s6, s6, v1
	s_delay_alu instid0(VALU_DEP_1)
	v_add_co_ci_u32_e64 v2, null, s7, 0, s6
	s_lshl_b64 s[6:7], s[0:1], 3
.LBB101_15:                             ; =>This Inner Loop Header: Depth=1
	global_load_b64 v[4:5], v[1:2], off
	v_add_co_u32 v1, vcc_lo, v1, s6
	v_add_co_ci_u32_e32 v2, vcc_lo, s7, v2, vcc_lo
	s_add_i32 s12, s12, -1
	s_delay_alu instid0(SALU_CYCLE_1)
	s_cmp_lg_u32 s12, 0
	s_waitcnt vmcnt(0)
	v_mul_f64 v[4:5], v[4:5], s[8:9]
	ds_store_b64 v3, v[4:5]
	v_add_nc_u32_e32 v3, 0xe0, v3
	s_cbranch_scc1 .LBB101_15
.LBB101_16:
	s_or_b32 exec_lo, exec_lo, s21
	s_cmpk_eq_i32 s5, 0x6f
	s_waitcnt lgkmcnt(0)
	s_cselect_b32 s1, -1, 0
	s_cmpk_eq_i32 s4, 0x79
	; wave barrier
	buffer_gl0_inv
	s_cselect_b32 s6, -1, 0
	s_cmpk_lg_i32 s4, 0x79
	s_cselect_b32 s5, -1, 0
	s_and_b32 s6, s6, s1
	s_delay_alu instid0(SALU_CYCLE_1)
	s_and_not1_b32 vcc_lo, exec_lo, s6
	s_mov_b32 s6, -1
	s_cbranch_vccz .LBB101_80
; %bb.17:
	s_cmpk_lg_i32 s4, 0x7a
	s_cselect_b32 s4, -1, 0
	s_xor_b32 s1, s1, -1
	s_delay_alu instid0(SALU_CYCLE_1)
	s_or_b32 s4, s4, s1
	s_cmp_gt_i32 s28, 3
	s_cselect_b32 s1, -1, 0
	s_and_b32 vcc_lo, exec_lo, s4
	s_mov_b32 s4, -1
	s_cbranch_vccz .LBB101_59
; %bb.18:
	s_and_not1_b32 vcc_lo, exec_lo, s5
	s_cbranch_vccnz .LBB101_38
; %bb.19:
	s_and_not1_b32 vcc_lo, exec_lo, s1
	s_mov_b32 s6, 0
	s_cbranch_vccnz .LBB101_26
; %bb.20:
	v_lshl_add_u32 v9, v0, 3, 0x1880
	s_mov_b32 s4, 0
	s_mov_b32 s5, 0
.LBB101_21:                             ; =>This Loop Header: Depth=1
                                        ;     Child Loop BB101_23 Depth 2
	s_delay_alu instid0(SALU_CYCLE_1) | instskip(NEXT) | instid1(SALU_CYCLE_1)
	s_mul_i32 s7, s5, 28
	s_add_i32 s6, s7, 56
	v_add_lshl_u32 v11, s7, v0, 3
	v_add_lshl_u32 v10, s6, v0, 3
	s_add_i32 s6, s7, 28
	s_cmp_eq_u32 s5, 0
	v_add_lshl_u32 v12, s6, v0, 3
	s_delay_alu instid0(VALU_DEP_2)
	v_add_nc_u32_e32 v1, 0x1800, v10
	ds_load_b64 v[7:8], v11 offset:6272
	ds_load_b64 v[5:6], v12 offset:6272
	ds_load_2addr_b64 v[1:4], v1 offset0:16 offset1:44
	s_cbranch_scc1 .LBB101_24
; %bb.22:                               ;   in Loop: Header=BB101_21 Depth=1
	v_mov_b32_e32 v13, v9
	s_mov_b32 s7, 0
	s_mov_b32 s8, s4
.LBB101_23:                             ;   Parent Loop BB101_21 Depth=1
                                        ; =>  This Inner Loop Header: Depth=2
	s_delay_alu instid0(SALU_CYCLE_1)
	v_mov_b32_e32 v28, s8
	s_add_i32 s7, s7, 4
	s_addk_i32 s8, 0x380
	s_cmp_ge_u32 s7, s5
	ds_load_2addr_b64 v[14:17], v13 offset1:28
	ds_load_b128 v[18:21], v28
	ds_load_b128 v[22:25], v28 offset:16
	s_waitcnt lgkmcnt(1)
	v_fma_f64 v[18:19], -v[14:15], v[18:19], v[7:8]
	v_fma_f64 v[20:21], -v[14:15], v[20:21], v[5:6]
	s_waitcnt lgkmcnt(0)
	v_fma_f64 v[22:23], -v[14:15], v[22:23], v[1:2]
	v_fma_f64 v[14:15], -v[14:15], v[24:25], v[3:4]
	ds_load_b128 v[1:4], v28 offset:224
	ds_load_b128 v[5:8], v28 offset:240
	s_waitcnt lgkmcnt(1)
	v_fma_f64 v[18:19], -v[16:17], v[1:2], v[18:19]
	v_fma_f64 v[20:21], -v[16:17], v[3:4], v[20:21]
	s_waitcnt lgkmcnt(0)
	v_fma_f64 v[22:23], -v[16:17], v[5:6], v[22:23]
	v_fma_f64 v[24:25], -v[16:17], v[7:8], v[14:15]
	ds_load_2addr_b64 v[1:4], v13 offset0:56 offset1:84
	ds_load_b128 v[5:8], v28 offset:448
	ds_load_b128 v[14:17], v28 offset:464
	v_add_nc_u32_e32 v13, 0x380, v13
	s_waitcnt lgkmcnt(1)
	v_fma_f64 v[5:6], -v[1:2], v[5:6], v[18:19]
	v_fma_f64 v[26:27], -v[1:2], v[7:8], v[20:21]
	s_waitcnt lgkmcnt(0)
	v_fma_f64 v[22:23], -v[1:2], v[14:15], v[22:23]
	v_fma_f64 v[24:25], -v[1:2], v[16:17], v[24:25]
	ds_load_b128 v[14:17], v28 offset:672
	ds_load_b128 v[18:21], v28 offset:688
	s_waitcnt lgkmcnt(1)
	v_fma_f64 v[7:8], -v[3:4], v[14:15], v[5:6]
	v_fma_f64 v[5:6], -v[3:4], v[16:17], v[26:27]
	s_waitcnt lgkmcnt(0)
	v_fma_f64 v[1:2], -v[3:4], v[18:19], v[22:23]
	v_fma_f64 v[3:4], -v[3:4], v[20:21], v[24:25]
	s_cbranch_scc0 .LBB101_23
.LBB101_24:                             ;   in Loop: Header=BB101_21 Depth=1
	s_mul_i32 s7, s5, 0xe8
	s_delay_alu instid0(SALU_CYCLE_1)
	v_dual_mov_b32 v33, s7 :: v_dual_add_nc_u32 v12, 0x1880, v12
	s_add_i32 s6, s6, s5
	v_add_nc_u32_e32 v11, 0x1880, v11
	s_lshl_b32 s6, s6, 3
	v_add_nc_u32_e32 v10, 0x1880, v10
	ds_load_b128 v[13:16], v33
	ds_load_b128 v[17:20], v33 offset:16
	s_add_i32 s4, s4, 32
	s_waitcnt lgkmcnt(1)
	v_div_scale_f64 v[21:22], null, v[13:14], v[13:14], v[7:8]
	v_div_scale_f64 v[27:28], vcc_lo, v[7:8], v[13:14], v[7:8]
	s_delay_alu instid0(VALU_DEP_2) | instskip(SKIP_2) | instid1(VALU_DEP_1)
	v_rcp_f64_e32 v[23:24], v[21:22]
	s_waitcnt_depctr 0xfff
	v_fma_f64 v[25:26], -v[21:22], v[23:24], 1.0
	v_fma_f64 v[23:24], v[23:24], v[25:26], v[23:24]
	s_delay_alu instid0(VALU_DEP_1) | instskip(NEXT) | instid1(VALU_DEP_1)
	v_fma_f64 v[25:26], -v[21:22], v[23:24], 1.0
	v_fma_f64 v[23:24], v[23:24], v[25:26], v[23:24]
	s_delay_alu instid0(VALU_DEP_1) | instskip(NEXT) | instid1(VALU_DEP_1)
	v_mul_f64 v[25:26], v[27:28], v[23:24]
	v_fma_f64 v[21:22], -v[21:22], v[25:26], v[27:28]
	s_delay_alu instid0(VALU_DEP_1) | instskip(NEXT) | instid1(VALU_DEP_1)
	v_div_fmas_f64 v[21:22], v[21:22], v[23:24], v[25:26]
	v_div_fixup_f64 v[21:22], v[21:22], v[13:14], v[7:8]
	s_delay_alu instid0(VALU_DEP_1)
	v_fma_f64 v[23:24], -v[21:22], v[15:16], v[5:6]
	ds_load_2addr_b64 v[5:8], v33 offset0:29 offset1:30
	ds_load_b128 v[13:16], v33 offset:464
	s_waitcnt lgkmcnt(2)
	v_fma_f64 v[1:2], -v[21:22], v[17:18], v[1:2]
	v_fma_f64 v[3:4], -v[21:22], v[19:20], v[3:4]
	s_waitcnt lgkmcnt(1)
	v_div_scale_f64 v[25:26], null, v[5:6], v[5:6], v[23:24]
	v_div_scale_f64 v[31:32], vcc_lo, v[23:24], v[5:6], v[23:24]
	s_delay_alu instid0(VALU_DEP_2) | instskip(SKIP_2) | instid1(VALU_DEP_1)
	v_rcp_f64_e32 v[27:28], v[25:26]
	s_waitcnt_depctr 0xfff
	v_fma_f64 v[29:30], -v[25:26], v[27:28], 1.0
	v_fma_f64 v[27:28], v[27:28], v[29:30], v[27:28]
	s_delay_alu instid0(VALU_DEP_1) | instskip(NEXT) | instid1(VALU_DEP_1)
	v_fma_f64 v[29:30], -v[25:26], v[27:28], 1.0
	v_fma_f64 v[27:28], v[27:28], v[29:30], v[27:28]
	s_delay_alu instid0(VALU_DEP_1) | instskip(NEXT) | instid1(VALU_DEP_1)
	v_mul_f64 v[29:30], v[31:32], v[27:28]
	v_fma_f64 v[25:26], -v[25:26], v[29:30], v[31:32]
	s_delay_alu instid0(VALU_DEP_1) | instskip(NEXT) | instid1(VALU_DEP_1)
	v_div_fmas_f64 v[25:26], v[25:26], v[27:28], v[29:30]
	v_div_fixup_f64 v[5:6], v[25:26], v[5:6], v[23:24]
	s_delay_alu instid0(VALU_DEP_1) | instskip(SKIP_1) | instid1(VALU_DEP_1)
	v_fma_f64 v[1:2], -v[5:6], v[7:8], v[1:2]
	s_waitcnt lgkmcnt(0)
	v_div_scale_f64 v[7:8], null, v[13:14], v[13:14], v[1:2]
	v_div_scale_f64 v[25:26], vcc_lo, v[1:2], v[13:14], v[1:2]
	s_delay_alu instid0(VALU_DEP_2) | instskip(SKIP_2) | instid1(VALU_DEP_1)
	v_rcp_f64_e32 v[17:18], v[7:8]
	s_waitcnt_depctr 0xfff
	v_fma_f64 v[23:24], -v[7:8], v[17:18], 1.0
	v_fma_f64 v[17:18], v[17:18], v[23:24], v[17:18]
	s_delay_alu instid0(VALU_DEP_1) | instskip(NEXT) | instid1(VALU_DEP_1)
	v_fma_f64 v[23:24], -v[7:8], v[17:18], 1.0
	v_fma_f64 v[17:18], v[17:18], v[23:24], v[17:18]
	s_delay_alu instid0(VALU_DEP_1) | instskip(NEXT) | instid1(VALU_DEP_1)
	v_mul_f64 v[23:24], v[25:26], v[17:18]
	v_fma_f64 v[7:8], -v[7:8], v[23:24], v[25:26]
	s_delay_alu instid0(VALU_DEP_1)
	v_div_fmas_f64 v[7:8], v[7:8], v[17:18], v[23:24]
	v_mov_b32_e32 v17, s6
	s_add_i32 s6, s5, 4
	s_add_i32 s5, s5, 7
	ds_load_b64 v[17:18], v17 offset:24
	ds_load_b64 v[19:20], v33 offset:696
	s_cmp_ge_i32 s5, s29
	s_waitcnt lgkmcnt(1)
	v_fma_f64 v[3:4], -v[5:6], v[17:18], v[3:4]
	v_div_fixup_f64 v[1:2], v[7:8], v[13:14], v[1:2]
	s_delay_alu instid0(VALU_DEP_1) | instskip(SKIP_1) | instid1(VALU_DEP_1)
	v_fma_f64 v[3:4], -v[1:2], v[15:16], v[3:4]
	s_waitcnt lgkmcnt(0)
	v_div_scale_f64 v[7:8], null, v[19:20], v[19:20], v[3:4]
	s_delay_alu instid0(VALU_DEP_1) | instskip(SKIP_2) | instid1(VALU_DEP_1)
	v_rcp_f64_e32 v[13:14], v[7:8]
	s_waitcnt_depctr 0xfff
	v_fma_f64 v[15:16], -v[7:8], v[13:14], 1.0
	v_fma_f64 v[13:14], v[13:14], v[15:16], v[13:14]
	s_delay_alu instid0(VALU_DEP_1) | instskip(NEXT) | instid1(VALU_DEP_1)
	v_fma_f64 v[15:16], -v[7:8], v[13:14], 1.0
	v_fma_f64 v[13:14], v[13:14], v[15:16], v[13:14]
	v_div_scale_f64 v[15:16], vcc_lo, v[3:4], v[19:20], v[3:4]
	s_delay_alu instid0(VALU_DEP_1) | instskip(NEXT) | instid1(VALU_DEP_1)
	v_mul_f64 v[17:18], v[15:16], v[13:14]
	v_fma_f64 v[7:8], -v[7:8], v[17:18], v[15:16]
	s_delay_alu instid0(VALU_DEP_1) | instskip(NEXT) | instid1(VALU_DEP_1)
	v_div_fmas_f64 v[7:8], v[7:8], v[13:14], v[17:18]
	v_div_fixup_f64 v[3:4], v[7:8], v[19:20], v[3:4]
	ds_store_b64 v11, v[21:22]
	ds_store_b64 v12, v[5:6]
	ds_store_2addr_b64 v10, v[1:2], v[3:4] offset1:28
	s_cbranch_scc1 .LBB101_26
; %bb.25:                               ;   in Loop: Header=BB101_21 Depth=1
	s_mov_b32 s5, s6
	s_branch .LBB101_21
.LBB101_26:
	s_cmp_ge_i32 s6, s29
	s_cbranch_scc1 .LBB101_37
; %bb.27:
	v_lshl_add_u32 v3, v0, 3, 0x1880
	s_add_i32 s4, s6, -1
	s_lshl_b32 s5, s6, 3
	s_mov_b32 s7, 0
	s_mov_b32 s8, s6
	s_branch .LBB101_29
.LBB101_28:                             ;   in Loop: Header=BB101_29 Depth=1
	s_mul_i32 s9, s6, 0xe8
	s_delay_alu instid0(SALU_CYCLE_1)
	v_dual_mov_b32 v5, s9 :: v_dual_add_nc_u32 v4, 0x1880, v4
	s_add_i32 s6, s6, 1
	s_add_i32 s7, s7, 1
	;; [unrolled: 1-line block ×3, first 2 shown]
	s_cmp_ge_i32 s6, s29
	ds_load_b64 v[5:6], v5
	s_waitcnt lgkmcnt(0)
	v_div_scale_f64 v[7:8], null, v[5:6], v[5:6], v[1:2]
	s_delay_alu instid0(VALU_DEP_1) | instskip(SKIP_2) | instid1(VALU_DEP_1)
	v_rcp_f64_e32 v[9:10], v[7:8]
	s_waitcnt_depctr 0xfff
	v_fma_f64 v[11:12], -v[7:8], v[9:10], 1.0
	v_fma_f64 v[9:10], v[9:10], v[11:12], v[9:10]
	s_delay_alu instid0(VALU_DEP_1) | instskip(NEXT) | instid1(VALU_DEP_1)
	v_fma_f64 v[11:12], -v[7:8], v[9:10], 1.0
	v_fma_f64 v[9:10], v[9:10], v[11:12], v[9:10]
	v_div_scale_f64 v[11:12], vcc_lo, v[1:2], v[5:6], v[1:2]
	s_delay_alu instid0(VALU_DEP_1) | instskip(NEXT) | instid1(VALU_DEP_1)
	v_mul_f64 v[13:14], v[11:12], v[9:10]
	v_fma_f64 v[7:8], -v[7:8], v[13:14], v[11:12]
	s_delay_alu instid0(VALU_DEP_1) | instskip(NEXT) | instid1(VALU_DEP_1)
	v_div_fmas_f64 v[7:8], v[7:8], v[9:10], v[13:14]
	v_div_fixup_f64 v[1:2], v[7:8], v[5:6], v[1:2]
	v_add_nc_u16 v5, s8, 1
	s_delay_alu instid0(VALU_DEP_1)
	v_readfirstlane_b32 s8, v5
	ds_store_b64 v4, v[1:2]
	s_cbranch_scc1 .LBB101_37
.LBB101_29:                             ; =>This Loop Header: Depth=1
                                        ;     Child Loop BB101_32 Depth 2
                                        ;     Child Loop BB101_36 Depth 2
	s_mul_i32 s9, s6, 28
	s_cmp_eq_u32 s6, 0
	v_add_lshl_u32 v4, s9, v0, 3
	ds_load_b64 v[1:2], v4 offset:6272
	s_cbranch_scc1 .LBB101_28
; %bb.30:                               ;   in Loop: Header=BB101_29 Depth=1
	s_add_i32 s9, s4, s7
	s_delay_alu instid0(SALU_CYCLE_1)
	s_cmp_lt_u32 s9, 7
	s_cbranch_scc1 .LBB101_34
; %bb.31:                               ;   in Loop: Header=BB101_29 Depth=1
	v_mov_b32_e32 v5, v3
	s_and_b32 s9, s6, -8
	s_mov_b32 s12, 0
	s_mov_b32 s13, s5
	s_set_inst_prefetch_distance 0x1
	.p2align	6
.LBB101_32:                             ;   Parent Loop BB101_29 Depth=1
                                        ; =>  This Inner Loop Header: Depth=2
	v_mov_b32_e32 v14, s13
	s_add_i32 s12, s12, 8
	s_addk_i32 s13, 0x700
	s_cmp_eq_u32 s9, s12
	ds_load_2addr_b64 v[6:9], v5 offset1:28
	ds_load_2addr_b64 v[10:13], v14 offset1:28
	s_waitcnt lgkmcnt(0)
	v_fma_f64 v[1:2], -v[6:7], v[10:11], v[1:2]
	s_delay_alu instid0(VALU_DEP_1) | instskip(SKIP_4) | instid1(VALU_DEP_1)
	v_fma_f64 v[1:2], -v[8:9], v[12:13], v[1:2]
	ds_load_2addr_b64 v[6:9], v5 offset0:56 offset1:84
	ds_load_2addr_b64 v[10:13], v14 offset0:56 offset1:84
	s_waitcnt lgkmcnt(0)
	v_fma_f64 v[1:2], -v[6:7], v[10:11], v[1:2]
	v_fma_f64 v[1:2], -v[8:9], v[12:13], v[1:2]
	ds_load_2addr_b64 v[6:9], v5 offset0:112 offset1:140
	ds_load_2addr_b64 v[10:13], v14 offset0:112 offset1:140
	s_waitcnt lgkmcnt(0)
	v_fma_f64 v[1:2], -v[6:7], v[10:11], v[1:2]
	s_delay_alu instid0(VALU_DEP_1)
	v_fma_f64 v[1:2], -v[8:9], v[12:13], v[1:2]
	ds_load_2addr_b64 v[6:9], v5 offset0:168 offset1:196
	ds_load_2addr_b64 v[10:13], v14 offset0:168 offset1:196
	v_add_nc_u32_e32 v5, 0x700, v5
	s_waitcnt lgkmcnt(0)
	v_fma_f64 v[1:2], -v[6:7], v[10:11], v[1:2]
	s_delay_alu instid0(VALU_DEP_1)
	v_fma_f64 v[1:2], -v[8:9], v[12:13], v[1:2]
	s_cbranch_scc0 .LBB101_32
; %bb.33:                               ;   in Loop: Header=BB101_29 Depth=1
	s_set_inst_prefetch_distance 0x2
	s_and_b32 s12, s6, 7
	s_delay_alu instid0(SALU_CYCLE_1)
	s_cmp_eq_u32 s12, 0
	s_cbranch_scc0 .LBB101_35
	s_branch .LBB101_28
.LBB101_34:                             ;   in Loop: Header=BB101_29 Depth=1
	s_mov_b32 s9, 0
	s_and_b32 s12, s6, 7
	s_delay_alu instid0(SALU_CYCLE_1)
	s_cmp_eq_u32 s12, 0
	s_cbranch_scc1 .LBB101_28
.LBB101_35:                             ;   in Loop: Header=BB101_29 Depth=1
	s_and_b32 s12, s8, 7
	s_mulk_i32 s9, 0xe0
.LBB101_36:                             ;   Parent Loop BB101_29 Depth=1
                                        ; =>  This Inner Loop Header: Depth=2
	s_delay_alu instid0(SALU_CYCLE_1)
	s_add_i32 s13, s5, s9
	v_add_nc_u32_e32 v5, s9, v3
	v_mov_b32_e32 v7, s13
	s_add_i32 s12, s12, -1
	s_addk_i32 s9, 0xe0
	s_cmp_lg_u32 s12, 0
	ds_load_b64 v[5:6], v5
	ds_load_b64 v[7:8], v7
	s_waitcnt lgkmcnt(0)
	v_fma_f64 v[1:2], -v[5:6], v[7:8], v[1:2]
	s_cbranch_scc1 .LBB101_36
	s_branch .LBB101_28
.LBB101_37:
	s_mov_b32 s4, 0
.LBB101_38:
	s_delay_alu instid0(SALU_CYCLE_1)
	s_and_b32 vcc_lo, exec_lo, s4
	s_cbranch_vccz .LBB101_58
; %bb.39:
	s_and_not1_b32 vcc_lo, exec_lo, s1
	s_mov_b32 s6, s30
	s_cbranch_vccnz .LBB101_45
; %bb.40:
	v_lshlrev_b32_e32 v1, 3, v0
	s_mul_i32 s4, s29, 0xe0
	s_mov_b32 s5, s30
	s_delay_alu instid0(VALU_DEP_1) | instskip(SKIP_1) | instid1(SALU_CYCLE_1)
	v_add3_u32 v9, s4, v1, 0x1500
	s_mul_i32 s4, s29, 0xe8
	s_addk_i32 s4, 0xfc60
.LBB101_41:                             ; =>This Loop Header: Depth=1
                                        ;     Child Loop BB101_42 Depth 2
	s_mul_i32 s8, s5, 28
	s_delay_alu instid0(VALU_DEP_1)
	v_mov_b32_e32 v13, v9
	s_sub_i32 s6, s8, 56
	s_sub_i32 s7, s8, 28
	v_add_lshl_u32 v10, s6, v0, 3
	v_add_lshl_u32 v11, s8, v0, 3
	;; [unrolled: 1-line block ×3, first 2 shown]
	s_cmp_le_i32 s30, s5
	s_mov_b32 s9, s4
	v_add_nc_u32_e32 v1, 0x1400, v10
	s_mov_b32 s12, s30
	ds_load_b64 v[7:8], v11 offset:6272
	ds_load_b64 v[5:6], v12 offset:6272
	ds_load_2addr_b64 v[1:4], v1 offset0:116 offset1:144
	s_cbranch_scc1 .LBB101_43
.LBB101_42:                             ;   Parent Loop BB101_41 Depth=1
                                        ; =>  This Inner Loop Header: Depth=2
	v_mov_b32_e32 v26, s9
	s_add_i32 s12, s12, -4
	s_addk_i32 s9, 0xfc80
	s_cmp_le_i32 s12, s5
	ds_load_2addr_b64 v[14:17], v13 offset0:56 offset1:84
	ds_load_2addr_b64 v[18:21], v26 offset0:86 offset1:87
	;; [unrolled: 1-line block ×3, first 2 shown]
	s_waitcnt lgkmcnt(1)
	v_fma_f64 v[20:21], -v[16:17], v[20:21], v[7:8]
	v_fma_f64 v[18:19], -v[16:17], v[18:19], v[5:6]
	s_waitcnt lgkmcnt(0)
	v_fma_f64 v[24:25], -v[16:17], v[24:25], v[3:4]
	v_fma_f64 v[16:17], -v[16:17], v[22:23], v[1:2]
	ds_load_2addr_b64 v[1:4], v26 offset0:58 offset1:59
	ds_load_2addr_b64 v[5:8], v26 offset0:56 offset1:57
	s_waitcnt lgkmcnt(1)
	v_fma_f64 v[20:21], -v[14:15], v[3:4], v[20:21]
	v_fma_f64 v[18:19], -v[14:15], v[1:2], v[18:19]
	s_waitcnt lgkmcnt(0)
	v_fma_f64 v[22:23], -v[14:15], v[7:8], v[24:25]
	v_fma_f64 v[24:25], -v[14:15], v[5:6], v[16:17]
	ds_load_2addr_b64 v[1:4], v13 offset1:28
	ds_load_2addr_b64 v[5:8], v26 offset0:30 offset1:31
	ds_load_2addr_b64 v[14:17], v26 offset0:28 offset1:29
	v_add_nc_u32_e32 v13, 0xfffffc80, v13
	s_waitcnt lgkmcnt(1)
	v_fma_f64 v[7:8], -v[3:4], v[7:8], v[20:21]
	v_fma_f64 v[18:19], -v[3:4], v[5:6], v[18:19]
	s_waitcnt lgkmcnt(0)
	v_fma_f64 v[20:21], -v[3:4], v[16:17], v[22:23]
	v_fma_f64 v[22:23], -v[3:4], v[14:15], v[24:25]
	ds_load_2addr_b64 v[3:6], v26 offset0:2 offset1:3
	ds_load_2addr_b64 v[14:17], v26 offset1:1
	s_waitcnt lgkmcnt(1)
	v_fma_f64 v[7:8], -v[1:2], v[5:6], v[7:8]
	v_fma_f64 v[5:6], -v[1:2], v[3:4], v[18:19]
	s_waitcnt lgkmcnt(0)
	v_fma_f64 v[3:4], -v[1:2], v[16:17], v[20:21]
	v_fma_f64 v[1:2], -v[1:2], v[14:15], v[22:23]
	s_cbranch_scc0 .LBB101_42
.LBB101_43:                             ;   in Loop: Header=BB101_41 Depth=1
	s_add_i32 s9, s5, s8
	s_sub_i32 s4, s4, 32
	s_lshl_b32 s9, s9, 3
	s_delay_alu instid0(SALU_CYCLE_1) | instskip(NEXT) | instid1(SALU_CYCLE_1)
	s_add_i32 s9, s9, -8
	v_dual_mov_b32 v14, s9 :: v_dual_add_nc_u32 v11, 0x1880, v11
	s_mul_i32 s9, s5, 0xe8
	s_delay_alu instid0(SALU_CYCLE_1) | instskip(NEXT) | instid1(SALU_CYCLE_1)
	s_add_i32 s12, s9, 0xffffff18
	v_dual_mov_b32 v18, s12 :: v_dual_add_nc_u32 v13, 0x1880, v10
	ds_load_2addr_b64 v[14:17], v14 offset1:1
	s_add_i32 s12, s5, -3
	v_add_nc_u32_e32 v10, 0x17a0, v10
	s_add_i32 s8, s8, s12
	ds_load_b64 v[18:19], v18
	s_lshl_b32 s8, s8, 3
	v_add_nc_u32_e32 v12, 0x1880, v12
	s_add_i32 s7, s7, s12
	s_add_i32 s6, s6, s12
	s_lshl_b32 s7, s7, 3
	s_lshl_b32 s6, s6, 3
	s_waitcnt lgkmcnt(1)
	v_div_scale_f64 v[20:21], null, v[16:17], v[16:17], v[7:8]
	v_div_scale_f64 v[26:27], vcc_lo, v[7:8], v[16:17], v[7:8]
	s_delay_alu instid0(VALU_DEP_2) | instskip(SKIP_2) | instid1(VALU_DEP_1)
	v_rcp_f64_e32 v[22:23], v[20:21]
	s_waitcnt_depctr 0xfff
	v_fma_f64 v[24:25], -v[20:21], v[22:23], 1.0
	v_fma_f64 v[22:23], v[22:23], v[24:25], v[22:23]
	s_delay_alu instid0(VALU_DEP_1) | instskip(NEXT) | instid1(VALU_DEP_1)
	v_fma_f64 v[24:25], -v[20:21], v[22:23], 1.0
	v_fma_f64 v[22:23], v[22:23], v[24:25], v[22:23]
	s_delay_alu instid0(VALU_DEP_1) | instskip(NEXT) | instid1(VALU_DEP_1)
	v_mul_f64 v[24:25], v[26:27], v[22:23]
	v_fma_f64 v[20:21], -v[20:21], v[24:25], v[26:27]
	s_delay_alu instid0(VALU_DEP_1) | instskip(NEXT) | instid1(VALU_DEP_1)
	v_div_fmas_f64 v[20:21], v[20:21], v[22:23], v[24:25]
	v_div_fixup_f64 v[20:21], v[20:21], v[16:17], v[7:8]
	s_delay_alu instid0(VALU_DEP_1) | instskip(SKIP_1) | instid1(VALU_DEP_1)
	v_fma_f64 v[22:23], -v[20:21], v[14:15], v[5:6]
	s_waitcnt lgkmcnt(0)
	v_div_scale_f64 v[5:6], null, v[18:19], v[18:19], v[22:23]
	v_div_scale_f64 v[16:17], vcc_lo, v[22:23], v[18:19], v[22:23]
	s_delay_alu instid0(VALU_DEP_2) | instskip(SKIP_2) | instid1(VALU_DEP_1)
	v_rcp_f64_e32 v[7:8], v[5:6]
	s_waitcnt_depctr 0xfff
	v_fma_f64 v[14:15], -v[5:6], v[7:8], 1.0
	v_fma_f64 v[7:8], v[7:8], v[14:15], v[7:8]
	s_delay_alu instid0(VALU_DEP_1) | instskip(NEXT) | instid1(VALU_DEP_1)
	v_fma_f64 v[14:15], -v[5:6], v[7:8], 1.0
	v_fma_f64 v[7:8], v[7:8], v[14:15], v[7:8]
	s_delay_alu instid0(VALU_DEP_1) | instskip(NEXT) | instid1(VALU_DEP_1)
	v_mul_f64 v[14:15], v[16:17], v[7:8]
	v_fma_f64 v[5:6], -v[5:6], v[14:15], v[16:17]
	s_delay_alu instid0(VALU_DEP_1)
	v_div_fmas_f64 v[24:25], v[5:6], v[7:8], v[14:15]
	v_dual_mov_b32 v5, s8 :: v_dual_mov_b32 v14, s7
	ds_load_2addr_b64 v[5:8], v5 offset1:1
	ds_load_2addr_b64 v[14:17], v14 offset1:1
	s_waitcnt lgkmcnt(1)
	v_fma_f64 v[3:4], -v[20:21], v[7:8], v[3:4]
	v_fma_f64 v[1:2], -v[20:21], v[5:6], v[1:2]
	v_div_fixup_f64 v[7:8], v[24:25], v[18:19], v[22:23]
	s_waitcnt lgkmcnt(0)
	s_delay_alu instid0(VALU_DEP_1) | instskip(SKIP_2) | instid1(VALU_DEP_4)
	v_fma_f64 v[3:4], -v[7:8], v[16:17], v[3:4]
	v_mov_b32_e32 v16, s6
	s_add_i32 s6, s9, 0xfffffd48
	v_fma_f64 v[1:2], -v[7:8], v[14:15], v[1:2]
	v_mov_b32_e32 v22, s6
	s_add_i32 s6, s5, -4
	ds_load_2addr_b64 v[16:19], v16 offset1:1
	s_cmp_lt_i32 s5, 7
	ds_load_b64 v[22:23], v22
	s_waitcnt lgkmcnt(1)
	v_div_scale_f64 v[24:25], null, v[18:19], v[18:19], v[3:4]
	v_div_scale_f64 v[30:31], vcc_lo, v[3:4], v[18:19], v[3:4]
	s_delay_alu instid0(VALU_DEP_2) | instskip(SKIP_2) | instid1(VALU_DEP_1)
	v_rcp_f64_e32 v[26:27], v[24:25]
	s_waitcnt_depctr 0xfff
	v_fma_f64 v[28:29], -v[24:25], v[26:27], 1.0
	v_fma_f64 v[26:27], v[26:27], v[28:29], v[26:27]
	s_delay_alu instid0(VALU_DEP_1) | instskip(NEXT) | instid1(VALU_DEP_1)
	v_fma_f64 v[28:29], -v[24:25], v[26:27], 1.0
	v_fma_f64 v[26:27], v[26:27], v[28:29], v[26:27]
	s_delay_alu instid0(VALU_DEP_1) | instskip(NEXT) | instid1(VALU_DEP_1)
	v_mul_f64 v[28:29], v[30:31], v[26:27]
	v_fma_f64 v[24:25], -v[24:25], v[28:29], v[30:31]
	s_delay_alu instid0(VALU_DEP_1) | instskip(NEXT) | instid1(VALU_DEP_1)
	v_div_fmas_f64 v[5:6], v[24:25], v[26:27], v[28:29]
	v_div_fixup_f64 v[3:4], v[5:6], v[18:19], v[3:4]
	s_delay_alu instid0(VALU_DEP_1) | instskip(SKIP_1) | instid1(VALU_DEP_1)
	v_fma_f64 v[1:2], -v[3:4], v[16:17], v[1:2]
	s_waitcnt lgkmcnt(0)
	v_div_scale_f64 v[5:6], null, v[22:23], v[22:23], v[1:2]
	s_delay_alu instid0(VALU_DEP_1) | instskip(SKIP_2) | instid1(VALU_DEP_1)
	v_rcp_f64_e32 v[14:15], v[5:6]
	s_waitcnt_depctr 0xfff
	v_fma_f64 v[16:17], -v[5:6], v[14:15], 1.0
	v_fma_f64 v[14:15], v[14:15], v[16:17], v[14:15]
	s_delay_alu instid0(VALU_DEP_1) | instskip(NEXT) | instid1(VALU_DEP_1)
	v_fma_f64 v[16:17], -v[5:6], v[14:15], 1.0
	v_fma_f64 v[14:15], v[14:15], v[16:17], v[14:15]
	v_div_scale_f64 v[16:17], vcc_lo, v[1:2], v[22:23], v[1:2]
	s_delay_alu instid0(VALU_DEP_1) | instskip(NEXT) | instid1(VALU_DEP_1)
	v_mul_f64 v[18:19], v[16:17], v[14:15]
	v_fma_f64 v[5:6], -v[5:6], v[18:19], v[16:17]
	s_delay_alu instid0(VALU_DEP_1) | instskip(NEXT) | instid1(VALU_DEP_1)
	v_div_fmas_f64 v[5:6], v[5:6], v[14:15], v[18:19]
	v_div_fixup_f64 v[1:2], v[5:6], v[22:23], v[1:2]
	ds_store_b64 v11, v[20:21]
	ds_store_b64 v12, v[7:8]
	;; [unrolled: 1-line block ×4, first 2 shown]
	s_cbranch_scc1 .LBB101_45
; %bb.44:                               ;   in Loop: Header=BB101_41 Depth=1
	s_mov_b32 s5, s6
	s_branch .LBB101_41
.LBB101_45:
	s_cmp_lt_i32 s6, 0
	s_cbranch_scc1 .LBB101_58
; %bb.46:
	s_bitcmp1_b32 s6, 0
	s_cselect_b32 s4, -1, 0
	s_delay_alu instid0(SALU_CYCLE_1)
	s_and_b32 vcc_lo, exec_lo, s4
	s_mov_b32 s4, s6
	s_cbranch_vccnz .LBB101_51
; %bb.47:
	s_mul_i32 s4, s6, 28
	s_cmp_le_i32 s30, s6
	v_add_lshl_u32 v3, s4, v0, 3
	ds_load_b64 v[1:2], v3 offset:6272
	s_cbranch_scc1 .LBB101_50
; %bb.48:
	v_lshlrev_b32_e32 v4, 3, v0
	s_mul_i32 s4, s29, 0xe0
	s_lshl_b32 s5, s6, 3
	s_delay_alu instid0(SALU_CYCLE_1) | instskip(NEXT) | instid1(VALU_DEP_1)
	s_add_i32 s5, s4, s5
	v_add3_u32 v4, s4, v4, 0x17a0
	s_add_i32 s4, s5, 0xffffff20
	s_mov_b32 s5, s30
.LBB101_49:                             ; =>This Inner Loop Header: Depth=1
	v_mov_b32_e32 v7, s4
	s_add_i32 s5, s5, -1
	s_addk_i32 s4, 0xff20
	s_cmp_gt_i32 s5, s6
	ds_load_b64 v[5:6], v4
	ds_load_b64 v[7:8], v7
	v_add_nc_u32_e32 v4, 0xffffff20, v4
	s_waitcnt lgkmcnt(0)
	v_fma_f64 v[1:2], -v[5:6], v[7:8], v[1:2]
	s_cbranch_scc1 .LBB101_49
.LBB101_50:
	s_mul_i32 s4, s6, 0xe8
	s_delay_alu instid0(SALU_CYCLE_1) | instskip(SKIP_4) | instid1(VALU_DEP_1)
	v_dual_mov_b32 v4, s4 :: v_dual_add_nc_u32 v3, 0x1880, v3
	s_add_i32 s4, s6, -1
	ds_load_b64 v[4:5], v4
	s_waitcnt lgkmcnt(0)
	v_div_scale_f64 v[6:7], null, v[4:5], v[4:5], v[1:2]
	v_rcp_f64_e32 v[8:9], v[6:7]
	s_waitcnt_depctr 0xfff
	v_fma_f64 v[10:11], -v[6:7], v[8:9], 1.0
	s_delay_alu instid0(VALU_DEP_1) | instskip(NEXT) | instid1(VALU_DEP_1)
	v_fma_f64 v[8:9], v[8:9], v[10:11], v[8:9]
	v_fma_f64 v[10:11], -v[6:7], v[8:9], 1.0
	s_delay_alu instid0(VALU_DEP_1) | instskip(SKIP_1) | instid1(VALU_DEP_1)
	v_fma_f64 v[8:9], v[8:9], v[10:11], v[8:9]
	v_div_scale_f64 v[10:11], vcc_lo, v[1:2], v[4:5], v[1:2]
	v_mul_f64 v[12:13], v[10:11], v[8:9]
	s_delay_alu instid0(VALU_DEP_1) | instskip(NEXT) | instid1(VALU_DEP_1)
	v_fma_f64 v[6:7], -v[6:7], v[12:13], v[10:11]
	v_div_fmas_f64 v[6:7], v[6:7], v[8:9], v[12:13]
	s_delay_alu instid0(VALU_DEP_1)
	v_div_fixup_f64 v[1:2], v[6:7], v[4:5], v[1:2]
	ds_store_b64 v3, v[1:2]
.LBB101_51:
	s_cmp_eq_u32 s6, 0
	s_cbranch_scc1 .LBB101_58
; %bb.52:
	v_lshlrev_b32_e32 v1, 3, v0
	s_mul_i32 s5, s29, 0xe0
	s_lshl_b32 s6, s4, 3
	s_delay_alu instid0(SALU_CYCLE_1) | instskip(NEXT) | instid1(VALU_DEP_1)
	s_add_i32 s6, s5, s6
	v_add3_u32 v5, s5, v1, 0x17a0
	s_add_i32 s5, s6, 0xffffff20
	s_addk_i32 s6, 0xff18
	s_branch .LBB101_54
.LBB101_53:                             ;   in Loop: Header=BB101_54 Depth=1
	s_addk_i32 s7, 0xff18
	s_add_i32 s5, s5, -16
	v_mov_b32_e32 v1, s7
	s_add_i32 s7, s4, -2
	s_add_i32 s6, s6, -16
	s_cmp_lt_i32 s4, 2
	s_mov_b32 s4, s7
	ds_load_b64 v[1:2], v1
	s_waitcnt lgkmcnt(0)
	v_div_scale_f64 v[7:8], null, v[1:2], v[1:2], v[3:4]
	s_delay_alu instid0(VALU_DEP_1) | instskip(SKIP_2) | instid1(VALU_DEP_1)
	v_rcp_f64_e32 v[9:10], v[7:8]
	s_waitcnt_depctr 0xfff
	v_fma_f64 v[11:12], -v[7:8], v[9:10], 1.0
	v_fma_f64 v[9:10], v[9:10], v[11:12], v[9:10]
	s_delay_alu instid0(VALU_DEP_1) | instskip(NEXT) | instid1(VALU_DEP_1)
	v_fma_f64 v[11:12], -v[7:8], v[9:10], 1.0
	v_fma_f64 v[9:10], v[9:10], v[11:12], v[9:10]
	v_div_scale_f64 v[11:12], vcc_lo, v[3:4], v[1:2], v[3:4]
	s_delay_alu instid0(VALU_DEP_1) | instskip(NEXT) | instid1(VALU_DEP_1)
	v_mul_f64 v[13:14], v[11:12], v[9:10]
	v_fma_f64 v[7:8], -v[7:8], v[13:14], v[11:12]
	s_delay_alu instid0(VALU_DEP_1) | instskip(NEXT) | instid1(VALU_DEP_1)
	v_div_fmas_f64 v[7:8], v[7:8], v[9:10], v[13:14]
	v_div_fixup_f64 v[1:2], v[7:8], v[1:2], v[3:4]
	ds_store_b64 v6, v[1:2]
	s_cbranch_scc1 .LBB101_58
.LBB101_54:                             ; =>This Loop Header: Depth=1
                                        ;     Child Loop BB101_55 Depth 2
                                        ;     Child Loop BB101_57 Depth 2
	s_mul_i32 s7, s4, 28
	v_mov_b32_e32 v4, v5
	v_add_lshl_u32 v3, s7, v0, 3
	s_cmp_le_i32 s30, s4
	s_mov_b32 s7, s5
	s_mov_b32 s8, s30
	ds_load_b64 v[1:2], v3 offset:6272
	s_cbranch_scc1 .LBB101_56
.LBB101_55:                             ;   Parent Loop BB101_54 Depth=1
                                        ; =>  This Inner Loop Header: Depth=2
	v_mov_b32_e32 v8, s7
	s_add_i32 s8, s8, -1
	s_addk_i32 s7, 0xff20
	s_cmp_le_i32 s8, s4
	ds_load_b64 v[6:7], v4
	ds_load_b64 v[8:9], v8
	v_add_nc_u32_e32 v4, 0xffffff20, v4
	s_waitcnt lgkmcnt(0)
	v_fma_f64 v[1:2], -v[6:7], v[8:9], v[1:2]
	s_cbranch_scc0 .LBB101_55
.LBB101_56:                             ;   in Loop: Header=BB101_54 Depth=1
	s_mul_i32 s7, s4, 0xe8
	v_add_nc_u32_e32 v7, 0x1880, v3
	v_mov_b32_e32 v3, s7
	s_cmp_lt_i32 s30, s4
	s_mov_b32 s8, s6
	s_mov_b32 s9, s29
	v_add_nc_u32_e32 v6, 0xffffff20, v7
	ds_load_b64 v[8:9], v3
	ds_load_b64 v[3:4], v6
	s_waitcnt lgkmcnt(1)
	v_div_scale_f64 v[10:11], null, v[8:9], v[8:9], v[1:2]
	s_delay_alu instid0(VALU_DEP_1) | instskip(SKIP_2) | instid1(VALU_DEP_1)
	v_rcp_f64_e32 v[12:13], v[10:11]
	s_waitcnt_depctr 0xfff
	v_fma_f64 v[14:15], -v[10:11], v[12:13], 1.0
	v_fma_f64 v[12:13], v[12:13], v[14:15], v[12:13]
	s_delay_alu instid0(VALU_DEP_1) | instskip(NEXT) | instid1(VALU_DEP_1)
	v_fma_f64 v[14:15], -v[10:11], v[12:13], 1.0
	v_fma_f64 v[12:13], v[12:13], v[14:15], v[12:13]
	v_div_scale_f64 v[14:15], vcc_lo, v[1:2], v[8:9], v[1:2]
	s_delay_alu instid0(VALU_DEP_1) | instskip(NEXT) | instid1(VALU_DEP_1)
	v_mul_f64 v[16:17], v[14:15], v[12:13]
	v_fma_f64 v[10:11], -v[10:11], v[16:17], v[14:15]
	s_delay_alu instid0(VALU_DEP_1) | instskip(NEXT) | instid1(VALU_DEP_1)
	v_div_fmas_f64 v[10:11], v[10:11], v[12:13], v[16:17]
	v_div_fixup_f64 v[8:9], v[10:11], v[8:9], v[1:2]
	v_mov_b32_e32 v1, v5
	ds_store_b64 v7, v[8:9]
	s_cbranch_scc1 .LBB101_53
.LBB101_57:                             ;   Parent Loop BB101_54 Depth=1
                                        ; =>  This Inner Loop Header: Depth=2
	v_mov_b32_e32 v2, s8
	s_add_i32 s9, s9, -1
	s_addk_i32 s8, 0xff20
	s_cmp_gt_i32 s9, s4
	ds_load_b64 v[7:8], v1
	ds_load_b64 v[9:10], v2
	v_add_nc_u32_e32 v1, 0xffffff20, v1
	s_waitcnt lgkmcnt(0)
	v_fma_f64 v[3:4], -v[7:8], v[9:10], v[3:4]
	s_cbranch_scc1 .LBB101_57
	s_branch .LBB101_53
.LBB101_58:
	s_mov_b32 s4, 0
.LBB101_59:
	s_delay_alu instid0(SALU_CYCLE_1)
	s_and_not1_b32 vcc_lo, exec_lo, s4
	s_cbranch_vccnz .LBB101_79
; %bb.60:
	s_and_not1_b32 vcc_lo, exec_lo, s1
	s_mov_b32 s5, s30
	s_cbranch_vccnz .LBB101_66
; %bb.61:
	v_lshlrev_b32_e32 v1, 3, v0
	s_mul_i32 s1, s29, 0xe0
	s_mul_i32 s4, s29, 0xe8
	s_delay_alu instid0(VALU_DEP_1)
	v_add3_u32 v9, s1, v1, 0x1500
	s_add_i32 s1, s4, 0xfffffc60
	s_mov_b32 s4, s30
.LBB101_62:                             ; =>This Loop Header: Depth=1
                                        ;     Child Loop BB101_63 Depth 2
	s_delay_alu instid0(SALU_CYCLE_1) | instskip(NEXT) | instid1(VALU_DEP_1)
	s_mul_i32 s5, s4, 28
	v_mov_b32_e32 v14, v9
	s_sub_i32 s7, s5, 28
	v_add_lshl_u32 v10, s5, v0, 3
	s_sub_i32 s6, s5, 56
	v_add_lshl_u32 v11, s7, v0, 3
	s_addk_i32 s5, 0xffac
	v_add_lshl_u32 v12, s6, v0, 3
	v_add_lshl_u32 v13, s5, v0, 3
	ds_load_b64 v[7:8], v10 offset:6272
	ds_load_b64 v[5:6], v11 offset:6272
	;; [unrolled: 1-line block ×4, first 2 shown]
	s_cmp_le_i32 s30, s4
	s_mov_b32 s7, s1
	s_mov_b32 s8, s30
	s_cbranch_scc1 .LBB101_64
.LBB101_63:                             ;   Parent Loop BB101_62 Depth=1
                                        ; =>  This Inner Loop Header: Depth=2
	v_mov_b32_e32 v47, s7
	s_add_i32 s8, s8, -4
	s_sub_i32 s7, s7, 32
	s_cmp_le_i32 s8, s4
	ds_load_2addr_b64 v[15:18], v14 offset0:56 offset1:84
	ds_load_2addr_b64 v[19:22], v47 offset0:86 offset1:87
	;; [unrolled: 1-line block ×8, first 2 shown]
	ds_load_2addr_b64 v[47:50], v47 offset1:1
	s_waitcnt lgkmcnt(7)
	v_fma_f64 v[7:8], -v[17:18], v[21:22], v[7:8]
	s_waitcnt lgkmcnt(6)
	v_fma_f64 v[5:6], -v[17:18], v[25:26], v[5:6]
	;; [unrolled: 2-line block ×4, first 2 shown]
	s_delay_alu instid0(VALU_DEP_4) | instskip(NEXT) | instid1(VALU_DEP_4)
	v_fma_f64 v[7:8], -v[15:16], v[19:20], v[7:8]
	v_fma_f64 v[5:6], -v[15:16], v[23:24], v[5:6]
	s_delay_alu instid0(VALU_DEP_4) | instskip(NEXT) | instid1(VALU_DEP_4)
	v_fma_f64 v[17:18], -v[15:16], v[27:28], v[3:4]
	v_fma_f64 v[15:16], -v[15:16], v[31:32], v[1:2]
	ds_load_2addr_b64 v[1:4], v14 offset1:28
	v_add_nc_u32_e32 v14, 0xfffffc80, v14
	s_waitcnt lgkmcnt(0)
	v_fma_f64 v[7:8], -v[3:4], v[37:38], v[7:8]
	v_fma_f64 v[5:6], -v[3:4], v[41:42], v[5:6]
	;; [unrolled: 1-line block ×4, first 2 shown]
	s_delay_alu instid0(VALU_DEP_4) | instskip(NEXT) | instid1(VALU_DEP_4)
	v_fma_f64 v[7:8], -v[1:2], v[35:36], v[7:8]
	v_fma_f64 v[5:6], -v[1:2], v[39:40], v[5:6]
	s_delay_alu instid0(VALU_DEP_4) | instskip(NEXT) | instid1(VALU_DEP_4)
	v_fma_f64 v[3:4], -v[1:2], v[43:44], v[17:18]
	v_fma_f64 v[1:2], -v[1:2], v[47:48], v[15:16]
	s_cbranch_scc0 .LBB101_63
.LBB101_64:                             ;   in Loop: Header=BB101_62 Depth=1
	s_mul_i32 s7, s4, 0xe8
	s_delay_alu instid0(SALU_CYCLE_1)
	v_dual_mov_b32 v14, s7 :: v_dual_add_nc_u32 v11, 0x1880, v11
	s_add_i32 s8, s7, 0xffffff18
	v_add_nc_u32_e32 v13, 0x1880, v13
	s_add_i32 s6, s6, s4
	s_add_i32 s5, s4, s5
	ds_load_b64 v[18:19], v14
	v_mov_b32_e32 v14, s8
	s_lshl_b32 s6, s6, 3
	v_add_nc_u32_e32 v10, 0x1880, v10
	s_lshl_b32 s5, s5, 3
	s_addk_i32 s1, 0xfc80
	ds_load_2addr_b64 v[14:17], v14 offset1:1
	s_add_i32 s5, s5, -8
	s_waitcnt lgkmcnt(1)
	v_div_scale_f64 v[20:21], null, v[18:19], v[18:19], v[7:8]
	v_div_scale_f64 v[26:27], vcc_lo, v[7:8], v[18:19], v[7:8]
	s_delay_alu instid0(VALU_DEP_2) | instskip(SKIP_2) | instid1(VALU_DEP_1)
	v_rcp_f64_e32 v[22:23], v[20:21]
	s_waitcnt_depctr 0xfff
	v_fma_f64 v[24:25], -v[20:21], v[22:23], 1.0
	v_fma_f64 v[22:23], v[22:23], v[24:25], v[22:23]
	s_delay_alu instid0(VALU_DEP_1) | instskip(NEXT) | instid1(VALU_DEP_1)
	v_fma_f64 v[24:25], -v[20:21], v[22:23], 1.0
	v_fma_f64 v[22:23], v[22:23], v[24:25], v[22:23]
	s_delay_alu instid0(VALU_DEP_1) | instskip(NEXT) | instid1(VALU_DEP_1)
	v_mul_f64 v[24:25], v[26:27], v[22:23]
	v_fma_f64 v[20:21], -v[20:21], v[24:25], v[26:27]
	s_delay_alu instid0(VALU_DEP_1) | instskip(NEXT) | instid1(VALU_DEP_1)
	v_div_fmas_f64 v[20:21], v[20:21], v[22:23], v[24:25]
	v_div_fixup_f64 v[22:23], v[20:21], v[18:19], v[7:8]
	s_waitcnt lgkmcnt(0)
	s_delay_alu instid0(VALU_DEP_1) | instskip(NEXT) | instid1(VALU_DEP_1)
	v_fma_f64 v[16:17], -v[22:23], v[16:17], v[5:6]
	v_div_scale_f64 v[5:6], null, v[14:15], v[14:15], v[16:17]
	v_div_scale_f64 v[20:21], vcc_lo, v[16:17], v[14:15], v[16:17]
	s_delay_alu instid0(VALU_DEP_2) | instskip(SKIP_2) | instid1(VALU_DEP_1)
	v_rcp_f64_e32 v[7:8], v[5:6]
	s_waitcnt_depctr 0xfff
	v_fma_f64 v[18:19], -v[5:6], v[7:8], 1.0
	v_fma_f64 v[7:8], v[7:8], v[18:19], v[7:8]
	s_delay_alu instid0(VALU_DEP_1) | instskip(NEXT) | instid1(VALU_DEP_1)
	v_fma_f64 v[18:19], -v[5:6], v[7:8], 1.0
	v_fma_f64 v[7:8], v[7:8], v[18:19], v[7:8]
	s_delay_alu instid0(VALU_DEP_1) | instskip(NEXT) | instid1(VALU_DEP_1)
	v_mul_f64 v[18:19], v[20:21], v[7:8]
	v_fma_f64 v[5:6], -v[5:6], v[18:19], v[20:21]
	s_delay_alu instid0(VALU_DEP_1)
	v_div_fmas_f64 v[18:19], v[5:6], v[7:8], v[18:19]
	v_mov_b32_e32 v5, s6
	s_add_i32 s6, s7, 0xfffffe30
	v_add_nc_u32_e32 v12, 0x1880, v12
	ds_load_b64 v[20:21], v5
	v_mov_b32_e32 v5, s6
	ds_load_2addr_b64 v[5:8], v5 offset1:1
	s_waitcnt lgkmcnt(1)
	v_fma_f64 v[3:4], -v[22:23], v[20:21], v[3:4]
	v_div_fixup_f64 v[24:25], v[18:19], v[14:15], v[16:17]
	s_waitcnt lgkmcnt(0)
	s_delay_alu instid0(VALU_DEP_1) | instskip(NEXT) | instid1(VALU_DEP_1)
	v_fma_f64 v[3:4], -v[24:25], v[7:8], v[3:4]
	v_div_scale_f64 v[7:8], null, v[5:6], v[5:6], v[3:4]
	v_div_scale_f64 v[18:19], vcc_lo, v[3:4], v[5:6], v[3:4]
	s_delay_alu instid0(VALU_DEP_2) | instskip(SKIP_2) | instid1(VALU_DEP_1)
	v_rcp_f64_e32 v[14:15], v[7:8]
	s_waitcnt_depctr 0xfff
	v_fma_f64 v[16:17], -v[7:8], v[14:15], 1.0
	v_fma_f64 v[14:15], v[14:15], v[16:17], v[14:15]
	s_delay_alu instid0(VALU_DEP_1) | instskip(NEXT) | instid1(VALU_DEP_1)
	v_fma_f64 v[16:17], -v[7:8], v[14:15], 1.0
	v_fma_f64 v[26:27], v[14:15], v[16:17], v[14:15]
	v_mov_b32_e32 v14, s5
	s_add_i32 s5, s7, 0xfffffd48
	ds_load_2addr_b64 v[14:17], v14 offset1:1
	v_mul_f64 v[28:29], v[18:19], v[26:27]
	s_delay_alu instid0(VALU_DEP_1)
	v_fma_f64 v[7:8], -v[7:8], v[28:29], v[18:19]
	v_mov_b32_e32 v18, s5
	s_add_i32 s5, s4, -4
	s_cmp_lt_i32 s4, 7
	ds_load_2addr_b64 v[18:21], v18 offset1:1
	s_waitcnt lgkmcnt(1)
	v_fma_f64 v[1:2], -v[22:23], v[16:17], v[1:2]
	v_div_fmas_f64 v[7:8], v[7:8], v[26:27], v[28:29]
	s_delay_alu instid0(VALU_DEP_2) | instskip(NEXT) | instid1(VALU_DEP_2)
	v_fma_f64 v[1:2], -v[24:25], v[14:15], v[1:2]
	v_div_fixup_f64 v[3:4], v[7:8], v[5:6], v[3:4]
	s_waitcnt lgkmcnt(0)
	s_delay_alu instid0(VALU_DEP_1) | instskip(NEXT) | instid1(VALU_DEP_1)
	v_fma_f64 v[1:2], -v[3:4], v[20:21], v[1:2]
	v_div_scale_f64 v[5:6], null, v[18:19], v[18:19], v[1:2]
	s_delay_alu instid0(VALU_DEP_1) | instskip(SKIP_2) | instid1(VALU_DEP_1)
	v_rcp_f64_e32 v[7:8], v[5:6]
	s_waitcnt_depctr 0xfff
	v_fma_f64 v[14:15], -v[5:6], v[7:8], 1.0
	v_fma_f64 v[7:8], v[7:8], v[14:15], v[7:8]
	s_delay_alu instid0(VALU_DEP_1) | instskip(NEXT) | instid1(VALU_DEP_1)
	v_fma_f64 v[14:15], -v[5:6], v[7:8], 1.0
	v_fma_f64 v[7:8], v[7:8], v[14:15], v[7:8]
	v_div_scale_f64 v[14:15], vcc_lo, v[1:2], v[18:19], v[1:2]
	s_delay_alu instid0(VALU_DEP_1) | instskip(NEXT) | instid1(VALU_DEP_1)
	v_mul_f64 v[16:17], v[14:15], v[7:8]
	v_fma_f64 v[5:6], -v[5:6], v[16:17], v[14:15]
	s_delay_alu instid0(VALU_DEP_1) | instskip(NEXT) | instid1(VALU_DEP_1)
	v_div_fmas_f64 v[5:6], v[5:6], v[7:8], v[16:17]
	v_div_fixup_f64 v[1:2], v[5:6], v[18:19], v[1:2]
	ds_store_b64 v10, v[22:23]
	ds_store_b64 v11, v[24:25]
	;; [unrolled: 1-line block ×4, first 2 shown]
	s_cbranch_scc1 .LBB101_66
; %bb.65:                               ;   in Loop: Header=BB101_62 Depth=1
	s_mov_b32 s4, s5
	s_branch .LBB101_62
.LBB101_66:
	s_cmp_lt_i32 s5, 0
	s_cbranch_scc1 .LBB101_79
; %bb.67:
	s_bitcmp1_b32 s5, 0
	s_cselect_b32 s1, -1, 0
	s_delay_alu instid0(SALU_CYCLE_1)
	s_and_b32 vcc_lo, exec_lo, s1
	s_mov_b32 s1, s5
	s_cbranch_vccnz .LBB101_72
; %bb.68:
	s_mul_i32 s1, s5, 28
	s_cmp_le_i32 s30, s5
	v_add_lshl_u32 v3, s1, v0, 3
	ds_load_b64 v[1:2], v3 offset:6272
	s_cbranch_scc1 .LBB101_71
; %bb.69:
	v_lshlrev_b32_e32 v4, 3, v0
	s_mul_i32 s6, s29, 0xe0
	s_mul_i32 s1, s5, 0xe0
	s_lshl_b32 s4, s29, 3
	s_delay_alu instid0(SALU_CYCLE_1)
	s_add_i32 s1, s1, s4
	v_add3_u32 v4, s6, v4, 0x17a0
	s_add_i32 s1, s1, -8
	s_mov_b32 s4, s30
.LBB101_70:                             ; =>This Inner Loop Header: Depth=1
	v_mov_b32_e32 v7, s1
	s_add_i32 s4, s4, -1
	s_add_i32 s1, s1, -8
	s_cmp_gt_i32 s4, s5
	ds_load_b64 v[5:6], v4
	ds_load_b64 v[7:8], v7
	v_add_nc_u32_e32 v4, 0xffffff20, v4
	s_waitcnt lgkmcnt(0)
	v_fma_f64 v[1:2], -v[5:6], v[7:8], v[1:2]
	s_cbranch_scc1 .LBB101_70
.LBB101_71:
	s_mul_i32 s1, s5, 0xe8
	s_delay_alu instid0(SALU_CYCLE_1) | instskip(SKIP_4) | instid1(VALU_DEP_1)
	v_dual_mov_b32 v4, s1 :: v_dual_add_nc_u32 v3, 0x1880, v3
	s_add_i32 s1, s5, -1
	ds_load_b64 v[4:5], v4
	s_waitcnt lgkmcnt(0)
	v_div_scale_f64 v[6:7], null, v[4:5], v[4:5], v[1:2]
	v_rcp_f64_e32 v[8:9], v[6:7]
	s_waitcnt_depctr 0xfff
	v_fma_f64 v[10:11], -v[6:7], v[8:9], 1.0
	s_delay_alu instid0(VALU_DEP_1) | instskip(NEXT) | instid1(VALU_DEP_1)
	v_fma_f64 v[8:9], v[8:9], v[10:11], v[8:9]
	v_fma_f64 v[10:11], -v[6:7], v[8:9], 1.0
	s_delay_alu instid0(VALU_DEP_1) | instskip(SKIP_1) | instid1(VALU_DEP_1)
	v_fma_f64 v[8:9], v[8:9], v[10:11], v[8:9]
	v_div_scale_f64 v[10:11], vcc_lo, v[1:2], v[4:5], v[1:2]
	v_mul_f64 v[12:13], v[10:11], v[8:9]
	s_delay_alu instid0(VALU_DEP_1) | instskip(NEXT) | instid1(VALU_DEP_1)
	v_fma_f64 v[6:7], -v[6:7], v[12:13], v[10:11]
	v_div_fmas_f64 v[6:7], v[6:7], v[8:9], v[12:13]
	s_delay_alu instid0(VALU_DEP_1)
	v_div_fixup_f64 v[1:2], v[6:7], v[4:5], v[1:2]
	ds_store_b64 v3, v[1:2]
.LBB101_72:
	s_cmp_eq_u32 s5, 0
	s_cbranch_scc1 .LBB101_79
; %bb.73:
	v_lshlrev_b32_e32 v1, 3, v0
	s_mul_i32 s6, s29, 0xe0
	s_mul_i32 s4, s1, 0xe0
	s_lshl_b32 s5, s29, 3
	s_delay_alu instid0(SALU_CYCLE_1)
	s_add_i32 s5, s4, s5
	v_add3_u32 v5, s6, v1, 0x17a0
	s_add_i32 s4, s5, -8
	s_addk_i32 s5, 0xff18
	s_branch .LBB101_75
.LBB101_74:                             ;   in Loop: Header=BB101_75 Depth=1
	s_addk_i32 s6, 0xff18
	s_delay_alu instid0(SALU_CYCLE_1)
	v_dual_mov_b32 v2, s6 :: v_dual_add_nc_u32 v1, 0x1880, v6
	s_add_i32 s6, s1, -2
	s_addk_i32 s4, 0xfe40
	s_addk_i32 s5, 0xfe40
	s_cmp_lt_i32 s1, 2
	ds_load_b64 v[6:7], v2
	s_mov_b32 s1, s6
	s_waitcnt lgkmcnt(0)
	v_div_scale_f64 v[8:9], null, v[6:7], v[6:7], v[3:4]
	s_delay_alu instid0(VALU_DEP_1) | instskip(SKIP_2) | instid1(VALU_DEP_1)
	v_rcp_f64_e32 v[10:11], v[8:9]
	s_waitcnt_depctr 0xfff
	v_fma_f64 v[12:13], -v[8:9], v[10:11], 1.0
	v_fma_f64 v[10:11], v[10:11], v[12:13], v[10:11]
	s_delay_alu instid0(VALU_DEP_1) | instskip(NEXT) | instid1(VALU_DEP_1)
	v_fma_f64 v[12:13], -v[8:9], v[10:11], 1.0
	v_fma_f64 v[10:11], v[10:11], v[12:13], v[10:11]
	v_div_scale_f64 v[12:13], vcc_lo, v[3:4], v[6:7], v[3:4]
	s_delay_alu instid0(VALU_DEP_1) | instskip(NEXT) | instid1(VALU_DEP_1)
	v_mul_f64 v[14:15], v[12:13], v[10:11]
	v_fma_f64 v[8:9], -v[8:9], v[14:15], v[12:13]
	s_delay_alu instid0(VALU_DEP_1) | instskip(NEXT) | instid1(VALU_DEP_1)
	v_div_fmas_f64 v[8:9], v[8:9], v[10:11], v[14:15]
	v_div_fixup_f64 v[2:3], v[8:9], v[6:7], v[3:4]
	ds_store_b64 v1, v[2:3]
	s_cbranch_scc1 .LBB101_79
.LBB101_75:                             ; =>This Loop Header: Depth=1
                                        ;     Child Loop BB101_76 Depth 2
                                        ;     Child Loop BB101_78 Depth 2
	s_mul_i32 s7, s1, 28
	v_mov_b32_e32 v4, v5
	v_add_lshl_u32 v3, s7, v0, 3
	s_cmp_le_i32 s30, s1
	s_mov_b32 s6, s4
	s_mov_b32 s8, s30
	ds_load_b64 v[1:2], v3 offset:6272
	s_cbranch_scc1 .LBB101_77
.LBB101_76:                             ;   Parent Loop BB101_75 Depth=1
                                        ; =>  This Inner Loop Header: Depth=2
	v_mov_b32_e32 v8, s6
	s_add_i32 s8, s8, -1
	s_add_i32 s6, s6, -8
	s_cmp_le_i32 s8, s1
	ds_load_b64 v[6:7], v4
	ds_load_b64 v[8:9], v8
	v_add_nc_u32_e32 v4, 0xffffff20, v4
	s_waitcnt lgkmcnt(0)
	v_fma_f64 v[1:2], -v[6:7], v[8:9], v[1:2]
	s_cbranch_scc0 .LBB101_76
.LBB101_77:                             ;   in Loop: Header=BB101_75 Depth=1
	s_mul_i32 s6, s1, 0xe8
	v_add_nc_u32_e32 v7, 0x1880, v3
	v_mov_b32_e32 v3, s6
	s_sub_i32 s7, s7, 28
	s_cmp_lt_i32 s30, s1
	v_add_lshl_u32 v6, s7, v0, 3
	s_mov_b32 s7, s5
	ds_load_b64 v[8:9], v3
	s_mov_b32 s8, s29
	ds_load_b64 v[3:4], v6 offset:6272
	s_waitcnt lgkmcnt(1)
	v_div_scale_f64 v[10:11], null, v[8:9], v[8:9], v[1:2]
	s_delay_alu instid0(VALU_DEP_1) | instskip(SKIP_2) | instid1(VALU_DEP_1)
	v_rcp_f64_e32 v[12:13], v[10:11]
	s_waitcnt_depctr 0xfff
	v_fma_f64 v[14:15], -v[10:11], v[12:13], 1.0
	v_fma_f64 v[12:13], v[12:13], v[14:15], v[12:13]
	s_delay_alu instid0(VALU_DEP_1) | instskip(NEXT) | instid1(VALU_DEP_1)
	v_fma_f64 v[14:15], -v[10:11], v[12:13], 1.0
	v_fma_f64 v[12:13], v[12:13], v[14:15], v[12:13]
	v_div_scale_f64 v[14:15], vcc_lo, v[1:2], v[8:9], v[1:2]
	s_delay_alu instid0(VALU_DEP_1) | instskip(NEXT) | instid1(VALU_DEP_1)
	v_mul_f64 v[16:17], v[14:15], v[12:13]
	v_fma_f64 v[10:11], -v[10:11], v[16:17], v[14:15]
	s_delay_alu instid0(VALU_DEP_1) | instskip(NEXT) | instid1(VALU_DEP_1)
	v_div_fmas_f64 v[10:11], v[10:11], v[12:13], v[16:17]
	v_div_fixup_f64 v[8:9], v[10:11], v[8:9], v[1:2]
	v_mov_b32_e32 v1, v5
	ds_store_b64 v7, v[8:9]
	s_cbranch_scc1 .LBB101_74
.LBB101_78:                             ;   Parent Loop BB101_75 Depth=1
                                        ; =>  This Inner Loop Header: Depth=2
	v_mov_b32_e32 v2, s7
	s_add_i32 s8, s8, -1
	s_add_i32 s7, s7, -8
	s_cmp_gt_i32 s8, s1
	ds_load_b64 v[7:8], v1
	ds_load_b64 v[9:10], v2
	v_add_nc_u32_e32 v1, 0xffffff20, v1
	s_waitcnt lgkmcnt(0)
	v_fma_f64 v[3:4], -v[7:8], v[9:10], v[3:4]
	s_cbranch_scc1 .LBB101_78
	s_branch .LBB101_74
.LBB101_79:
	s_mov_b32 s6, 0
.LBB101_80:
	s_delay_alu instid0(SALU_CYCLE_1)
	s_and_not1_b32 vcc_lo, exec_lo, s6
	s_cbranch_vccnz .LBB101_99
; %bb.81:
	s_cmp_lt_i32 s28, 4
	s_mov_b32 s5, 0
	s_cbranch_scc1 .LBB101_88
; %bb.82:
	v_lshl_add_u32 v9, v0, 3, 0x1880
	s_mov_b32 s1, 0
	s_mov_b32 s4, 0
.LBB101_83:                             ; =>This Loop Header: Depth=1
                                        ;     Child Loop BB101_85 Depth 2
	s_delay_alu instid0(SALU_CYCLE_1) | instskip(NEXT) | instid1(SALU_CYCLE_1)
	s_mul_i32 s5, s4, 28
	s_add_i32 s7, s5, 28
	v_add_lshl_u32 v10, s5, v0, 3
	s_add_i32 s6, s5, 56
	v_add_lshl_u32 v11, s7, v0, 3
	s_addk_i32 s5, 0x54
	v_add_lshl_u32 v12, s6, v0, 3
	v_add_lshl_u32 v13, s5, v0, 3
	ds_load_b64 v[7:8], v10 offset:6272
	ds_load_b64 v[5:6], v11 offset:6272
	;; [unrolled: 1-line block ×4, first 2 shown]
	s_cmp_eq_u32 s4, 0
	s_cbranch_scc1 .LBB101_86
; %bb.84:                               ;   in Loop: Header=BB101_83 Depth=1
	v_mov_b32_e32 v14, v9
	s_mov_b32 s8, 0
	s_mov_b32 s9, s1
.LBB101_85:                             ;   Parent Loop BB101_83 Depth=1
                                        ; =>  This Inner Loop Header: Depth=2
	s_delay_alu instid0(SALU_CYCLE_1)
	v_mov_b32_e32 v47, s9
	s_add_i32 s8, s8, 4
	s_add_i32 s9, s9, 32
	s_cmp_ge_u32 s8, s4
	ds_load_2addr_b64 v[15:18], v14 offset1:28
	ds_load_b128 v[19:22], v47
	ds_load_b128 v[23:26], v47 offset:224
	ds_load_b128 v[27:30], v47 offset:448
	;; [unrolled: 1-line block ×7, first 2 shown]
	s_waitcnt lgkmcnt(7)
	v_fma_f64 v[7:8], -v[15:16], v[19:20], v[7:8]
	s_waitcnt lgkmcnt(6)
	v_fma_f64 v[5:6], -v[15:16], v[23:24], v[5:6]
	;; [unrolled: 2-line block ×4, first 2 shown]
	s_delay_alu instid0(VALU_DEP_4) | instskip(NEXT) | instid1(VALU_DEP_4)
	v_fma_f64 v[7:8], -v[17:18], v[21:22], v[7:8]
	v_fma_f64 v[5:6], -v[17:18], v[25:26], v[5:6]
	s_delay_alu instid0(VALU_DEP_4) | instskip(NEXT) | instid1(VALU_DEP_4)
	v_fma_f64 v[3:4], -v[17:18], v[29:30], v[3:4]
	v_fma_f64 v[1:2], -v[17:18], v[33:34], v[1:2]
	ds_load_2addr_b64 v[15:18], v14 offset0:56 offset1:84
	v_add_nc_u32_e32 v14, 0x380, v14
	s_waitcnt lgkmcnt(0)
	v_fma_f64 v[7:8], -v[15:16], v[35:36], v[7:8]
	v_fma_f64 v[5:6], -v[15:16], v[39:40], v[5:6]
	;; [unrolled: 1-line block ×4, first 2 shown]
	s_delay_alu instid0(VALU_DEP_4) | instskip(NEXT) | instid1(VALU_DEP_4)
	v_fma_f64 v[7:8], -v[17:18], v[37:38], v[7:8]
	v_fma_f64 v[5:6], -v[17:18], v[41:42], v[5:6]
	s_delay_alu instid0(VALU_DEP_4) | instskip(NEXT) | instid1(VALU_DEP_4)
	v_fma_f64 v[3:4], -v[17:18], v[45:46], v[3:4]
	v_fma_f64 v[1:2], -v[17:18], v[49:50], v[1:2]
	s_cbranch_scc0 .LBB101_85
.LBB101_86:                             ;   in Loop: Header=BB101_83 Depth=1
	s_mul_i32 s8, s4, 0xe8
	s_delay_alu instid0(SALU_CYCLE_1)
	v_dual_mov_b32 v14, s8 :: v_dual_add_nc_u32 v11, 0x1880, v11
	s_add_i32 s7, s7, s4
	s_add_i32 s6, s6, s4
	s_lshl_b32 s7, s7, 3
	v_add_nc_u32_e32 v13, 0x1880, v13
	ds_load_2addr_b64 v[14:17], v14 offset1:58
	s_lshl_b32 s6, s6, 3
	s_add_i32 s5, s5, s4
	v_add_nc_u32_e32 v10, 0x1880, v10
	s_lshl_b32 s5, s5, 3
	v_add_nc_u32_e32 v12, 0x1880, v12
	s_addk_i32 s1, 0x380
	s_waitcnt lgkmcnt(0)
	v_div_scale_f64 v[18:19], null, v[14:15], v[14:15], v[7:8]
	v_div_scale_f64 v[24:25], vcc_lo, v[7:8], v[14:15], v[7:8]
	s_delay_alu instid0(VALU_DEP_2) | instskip(SKIP_2) | instid1(VALU_DEP_1)
	v_rcp_f64_e32 v[20:21], v[18:19]
	s_waitcnt_depctr 0xfff
	v_fma_f64 v[22:23], -v[18:19], v[20:21], 1.0
	v_fma_f64 v[20:21], v[20:21], v[22:23], v[20:21]
	s_delay_alu instid0(VALU_DEP_1) | instskip(NEXT) | instid1(VALU_DEP_1)
	v_fma_f64 v[22:23], -v[18:19], v[20:21], 1.0
	v_fma_f64 v[20:21], v[20:21], v[22:23], v[20:21]
	s_delay_alu instid0(VALU_DEP_1) | instskip(NEXT) | instid1(VALU_DEP_1)
	v_mul_f64 v[22:23], v[24:25], v[20:21]
	v_fma_f64 v[18:19], -v[18:19], v[22:23], v[24:25]
	s_delay_alu instid0(VALU_DEP_1) | instskip(NEXT) | instid1(VALU_DEP_1)
	v_div_fmas_f64 v[18:19], v[18:19], v[20:21], v[22:23]
	v_div_fixup_f64 v[7:8], v[18:19], v[14:15], v[7:8]
	v_mov_b32_e32 v14, s7
	ds_load_b128 v[18:21], v14
	v_mov_b32_e32 v14, s6
	ds_load_b128 v[22:25], v14
	s_waitcnt lgkmcnt(1)
	v_fma_f64 v[5:6], -v[7:8], v[18:19], v[5:6]
	s_waitcnt lgkmcnt(0)
	v_fma_f64 v[3:4], -v[7:8], v[22:23], v[3:4]
	s_delay_alu instid0(VALU_DEP_2) | instskip(SKIP_1) | instid1(VALU_DEP_2)
	v_div_scale_f64 v[14:15], null, v[20:21], v[20:21], v[5:6]
	v_div_scale_f64 v[28:29], vcc_lo, v[5:6], v[20:21], v[5:6]
	v_rcp_f64_e32 v[18:19], v[14:15]
	s_waitcnt_depctr 0xfff
	v_fma_f64 v[26:27], -v[14:15], v[18:19], 1.0
	s_delay_alu instid0(VALU_DEP_1) | instskip(NEXT) | instid1(VALU_DEP_1)
	v_fma_f64 v[18:19], v[18:19], v[26:27], v[18:19]
	v_fma_f64 v[26:27], -v[14:15], v[18:19], 1.0
	s_delay_alu instid0(VALU_DEP_1) | instskip(NEXT) | instid1(VALU_DEP_1)
	v_fma_f64 v[18:19], v[18:19], v[26:27], v[18:19]
	v_mul_f64 v[26:27], v[28:29], v[18:19]
	s_delay_alu instid0(VALU_DEP_1) | instskip(NEXT) | instid1(VALU_DEP_1)
	v_fma_f64 v[14:15], -v[14:15], v[26:27], v[28:29]
	v_div_fmas_f64 v[14:15], v[14:15], v[18:19], v[26:27]
	s_delay_alu instid0(VALU_DEP_1) | instskip(NEXT) | instid1(VALU_DEP_1)
	v_div_fixup_f64 v[14:15], v[14:15], v[20:21], v[5:6]
	v_fma_f64 v[22:23], -v[14:15], v[24:25], v[3:4]
	s_delay_alu instid0(VALU_DEP_1) | instskip(SKIP_1) | instid1(VALU_DEP_2)
	v_div_scale_f64 v[3:4], null, v[16:17], v[16:17], v[22:23]
	v_div_scale_f64 v[20:21], vcc_lo, v[22:23], v[16:17], v[22:23]
	v_rcp_f64_e32 v[5:6], v[3:4]
	s_waitcnt_depctr 0xfff
	v_fma_f64 v[18:19], -v[3:4], v[5:6], 1.0
	s_delay_alu instid0(VALU_DEP_1) | instskip(NEXT) | instid1(VALU_DEP_1)
	v_fma_f64 v[5:6], v[5:6], v[18:19], v[5:6]
	v_fma_f64 v[18:19], -v[3:4], v[5:6], 1.0
	s_delay_alu instid0(VALU_DEP_1) | instskip(SKIP_3) | instid1(SALU_CYCLE_1)
	v_fma_f64 v[24:25], v[5:6], v[18:19], v[5:6]
	v_mov_b32_e32 v18, s5
	s_add_i32 s5, s4, 4
	s_add_i32 s4, s4, 7
	s_cmp_ge_i32 s4, s29
	s_delay_alu instid0(VALU_DEP_2) | instskip(NEXT) | instid1(VALU_DEP_1)
	v_mul_f64 v[26:27], v[20:21], v[24:25]
	v_fma_f64 v[28:29], -v[3:4], v[26:27], v[20:21]
	ds_load_b128 v[3:6], v18
	ds_load_b128 v[18:21], v18 offset:16
	s_waitcnt lgkmcnt(1)
	v_fma_f64 v[1:2], -v[7:8], v[3:4], v[1:2]
	v_div_fmas_f64 v[3:4], v[28:29], v[24:25], v[26:27]
	s_delay_alu instid0(VALU_DEP_2) | instskip(NEXT) | instid1(VALU_DEP_2)
	v_fma_f64 v[1:2], -v[14:15], v[5:6], v[1:2]
	v_div_fixup_f64 v[3:4], v[3:4], v[16:17], v[22:23]
	s_waitcnt lgkmcnt(0)
	s_delay_alu instid0(VALU_DEP_1) | instskip(NEXT) | instid1(VALU_DEP_1)
	v_fma_f64 v[1:2], -v[3:4], v[18:19], v[1:2]
	v_div_scale_f64 v[5:6], null, v[20:21], v[20:21], v[1:2]
	s_delay_alu instid0(VALU_DEP_1) | instskip(SKIP_2) | instid1(VALU_DEP_1)
	v_rcp_f64_e32 v[16:17], v[5:6]
	s_waitcnt_depctr 0xfff
	v_fma_f64 v[18:19], -v[5:6], v[16:17], 1.0
	v_fma_f64 v[16:17], v[16:17], v[18:19], v[16:17]
	s_delay_alu instid0(VALU_DEP_1) | instskip(NEXT) | instid1(VALU_DEP_1)
	v_fma_f64 v[18:19], -v[5:6], v[16:17], 1.0
	v_fma_f64 v[16:17], v[16:17], v[18:19], v[16:17]
	v_div_scale_f64 v[18:19], vcc_lo, v[1:2], v[20:21], v[1:2]
	s_delay_alu instid0(VALU_DEP_1) | instskip(NEXT) | instid1(VALU_DEP_1)
	v_mul_f64 v[22:23], v[18:19], v[16:17]
	v_fma_f64 v[5:6], -v[5:6], v[22:23], v[18:19]
	s_delay_alu instid0(VALU_DEP_1) | instskip(NEXT) | instid1(VALU_DEP_1)
	v_div_fmas_f64 v[5:6], v[5:6], v[16:17], v[22:23]
	v_div_fixup_f64 v[1:2], v[5:6], v[20:21], v[1:2]
	ds_store_b64 v10, v[7:8]
	ds_store_b64 v11, v[14:15]
	ds_store_b64 v12, v[3:4]
	ds_store_b64 v13, v[1:2]
	s_cbranch_scc1 .LBB101_88
; %bb.87:                               ;   in Loop: Header=BB101_83 Depth=1
	s_mov_b32 s4, s5
	s_branch .LBB101_83
.LBB101_88:
	s_cmp_ge_i32 s5, s29
	s_cbranch_scc1 .LBB101_99
; %bb.89:
	v_lshl_add_u32 v1, v0, 3, 0x1880
	s_add_i32 s1, s5, -1
	s_mul_i32 s4, s5, 0xe0
	s_mov_b32 s6, 0
	s_mov_b32 s7, s5
	s_branch .LBB101_91
.LBB101_90:                             ;   in Loop: Header=BB101_91 Depth=1
	s_mul_i32 s8, s5, 0xe8
	s_delay_alu instid0(SALU_CYCLE_1)
	v_dual_mov_b32 v5, s8 :: v_dual_add_nc_u32 v4, 0x1880, v6
	s_add_i32 s5, s5, 1
	s_add_i32 s6, s6, 1
	s_addk_i32 s4, 0xe0
	s_cmp_ge_i32 s5, s29
	ds_load_b64 v[5:6], v5
	s_waitcnt lgkmcnt(0)
	v_div_scale_f64 v[7:8], null, v[5:6], v[5:6], v[2:3]
	s_delay_alu instid0(VALU_DEP_1) | instskip(SKIP_2) | instid1(VALU_DEP_1)
	v_rcp_f64_e32 v[9:10], v[7:8]
	s_waitcnt_depctr 0xfff
	v_fma_f64 v[11:12], -v[7:8], v[9:10], 1.0
	v_fma_f64 v[9:10], v[9:10], v[11:12], v[9:10]
	s_delay_alu instid0(VALU_DEP_1) | instskip(NEXT) | instid1(VALU_DEP_1)
	v_fma_f64 v[11:12], -v[7:8], v[9:10], 1.0
	v_fma_f64 v[9:10], v[9:10], v[11:12], v[9:10]
	v_div_scale_f64 v[11:12], vcc_lo, v[2:3], v[5:6], v[2:3]
	s_delay_alu instid0(VALU_DEP_1) | instskip(NEXT) | instid1(VALU_DEP_1)
	v_mul_f64 v[13:14], v[11:12], v[9:10]
	v_fma_f64 v[7:8], -v[7:8], v[13:14], v[11:12]
	s_delay_alu instid0(VALU_DEP_1) | instskip(NEXT) | instid1(VALU_DEP_1)
	v_div_fmas_f64 v[7:8], v[7:8], v[9:10], v[13:14]
	v_div_fixup_f64 v[2:3], v[7:8], v[5:6], v[2:3]
	v_add_nc_u16 v5, s7, 1
	s_delay_alu instid0(VALU_DEP_1)
	v_readfirstlane_b32 s7, v5
	ds_store_b64 v4, v[2:3]
	s_cbranch_scc1 .LBB101_99
.LBB101_91:                             ; =>This Loop Header: Depth=1
                                        ;     Child Loop BB101_94 Depth 2
                                        ;     Child Loop BB101_98 Depth 2
	s_mul_i32 s8, s5, 28
	s_cmp_eq_u32 s5, 0
	v_add_lshl_u32 v6, s8, v0, 3
	ds_load_b64 v[2:3], v6 offset:6272
	s_cbranch_scc1 .LBB101_90
; %bb.92:                               ;   in Loop: Header=BB101_91 Depth=1
	s_add_i32 s8, s1, s6
	s_delay_alu instid0(SALU_CYCLE_1)
	s_cmp_lt_u32 s8, 7
	s_cbranch_scc1 .LBB101_96
; %bb.93:                               ;   in Loop: Header=BB101_91 Depth=1
	v_mov_b32_e32 v4, v1
	s_and_b32 s8, s5, -8
	s_mov_b32 s9, 0
	s_mov_b32 s12, s4
	s_set_inst_prefetch_distance 0x1
	.p2align	6
.LBB101_94:                             ;   Parent Loop BB101_91 Depth=1
                                        ; =>  This Inner Loop Header: Depth=2
	v_mov_b32_e32 v5, s12
	s_add_i32 s9, s9, 8
	s_add_i32 s12, s12, 64
	s_cmp_eq_u32 s8, s9
	ds_load_2addr_b64 v[7:10], v4 offset1:28
	ds_load_b128 v[11:14], v5
	ds_load_b128 v[15:18], v5 offset:16
	s_waitcnt lgkmcnt(1)
	v_fma_f64 v[2:3], -v[7:8], v[11:12], v[2:3]
	s_delay_alu instid0(VALU_DEP_1) | instskip(SKIP_3) | instid1(VALU_DEP_1)
	v_fma_f64 v[2:3], -v[9:10], v[13:14], v[2:3]
	ds_load_2addr_b64 v[7:10], v4 offset0:56 offset1:84
	s_waitcnt lgkmcnt(0)
	v_fma_f64 v[2:3], -v[7:8], v[15:16], v[2:3]
	v_fma_f64 v[2:3], -v[9:10], v[17:18], v[2:3]
	ds_load_2addr_b64 v[7:10], v4 offset0:112 offset1:140
	ds_load_b128 v[11:14], v5 offset:32
	ds_load_b128 v[15:18], v5 offset:48
	s_waitcnt lgkmcnt(1)
	v_fma_f64 v[2:3], -v[7:8], v[11:12], v[2:3]
	s_delay_alu instid0(VALU_DEP_1) | instskip(SKIP_4) | instid1(VALU_DEP_1)
	v_fma_f64 v[2:3], -v[9:10], v[13:14], v[2:3]
	ds_load_2addr_b64 v[7:10], v4 offset0:168 offset1:196
	v_add_nc_u32_e32 v4, 0x700, v4
	s_waitcnt lgkmcnt(0)
	v_fma_f64 v[2:3], -v[7:8], v[15:16], v[2:3]
	v_fma_f64 v[2:3], -v[9:10], v[17:18], v[2:3]
	s_cbranch_scc0 .LBB101_94
; %bb.95:                               ;   in Loop: Header=BB101_91 Depth=1
	s_set_inst_prefetch_distance 0x2
	s_and_b32 s9, s5, 7
	s_delay_alu instid0(SALU_CYCLE_1)
	s_cmp_eq_u32 s9, 0
	s_cbranch_scc0 .LBB101_97
	s_branch .LBB101_90
.LBB101_96:                             ;   in Loop: Header=BB101_91 Depth=1
	s_mov_b32 s8, 0
	s_and_b32 s9, s5, 7
	s_delay_alu instid0(SALU_CYCLE_1)
	s_cmp_eq_u32 s9, 0
	s_cbranch_scc1 .LBB101_90
.LBB101_97:                             ;   in Loop: Header=BB101_91 Depth=1
	s_waitcnt lgkmcnt(0)
	s_delay_alu instid0(VALU_DEP_1)
	v_mad_u64_u32 v[4:5], null, 0xe0, s8, v[1:2]
	s_and_b32 s9, s7, 7
	s_lshl_b32 s8, s8, 3
.LBB101_98:                             ;   Parent Loop BB101_91 Depth=1
                                        ; =>  This Inner Loop Header: Depth=2
	s_delay_alu instid0(SALU_CYCLE_1)
	s_add_i32 s12, s4, s8
	s_add_i32 s9, s9, -1
	v_mov_b32_e32 v5, s12
	s_add_i32 s8, s8, 8
	s_cmp_lg_u32 s9, 0
	ds_load_b64 v[7:8], v4
	ds_load_b64 v[9:10], v5
	v_add_nc_u32_e32 v4, 0xe0, v4
	s_waitcnt lgkmcnt(0)
	v_fma_f64 v[2:3], -v[7:8], v[9:10], v[2:3]
	s_cbranch_scc1 .LBB101_98
	s_branch .LBB101_90
.LBB101_99:
	s_and_saveexec_b32 s1, s20
	s_cbranch_execz .LBB101_106
; %bb.100:
	v_lshlrev_b32_e32 v3, 3, v0
	s_ashr_i32 s1, s0, 31
	s_cmp_lt_u32 s28, 4
	s_mov_b32 s12, 0
	s_cbranch_scc1 .LBB101_103
; %bb.101:
	v_add_co_u32 v1, s4, s18, v3
	s_delay_alu instid0(VALU_DEP_1)
	v_add_co_ci_u32_e64 v2, null, s19, 0, s4
	v_lshl_add_u32 v0, v0, 3, 0x1880
	s_and_b32 s12, s28, 0x7ffffffc
	s_mul_hi_i32 s13, s0, 24
	s_mul_i32 s14, s0, 24
	s_lshl_b64 s[4:5], s[0:1], 5
	s_lshl_b64 s[6:7], s[0:1], 4
	;; [unrolled: 1-line block ×3, first 2 shown]
	s_mov_b32 s15, 0
	.p2align	6
.LBB101_102:                            ; =>This Inner Loop Header: Depth=1
	ds_load_2addr_b64 v[4:7], v0 offset1:28
	ds_load_2addr_b64 v[8:11], v0 offset0:56 offset1:84
	v_add_co_u32 v12, vcc_lo, v1, s8
	v_add_co_ci_u32_e32 v13, vcc_lo, s9, v2, vcc_lo
	v_add_co_u32 v14, vcc_lo, v1, s6
	v_add_co_ci_u32_e32 v15, vcc_lo, s7, v2, vcc_lo
	;; [unrolled: 2-line block ×3, first 2 shown]
	v_add_nc_u32_e32 v0, 0x380, v0
	s_add_i32 s15, s15, 4
	s_delay_alu instid0(SALU_CYCLE_1)
	s_cmp_lg_u32 s12, s15
	s_waitcnt lgkmcnt(1)
	global_store_b64 v[1:2], v[4:5], off
	v_add_co_u32 v1, vcc_lo, v1, s4
	v_add_co_ci_u32_e32 v2, vcc_lo, s5, v2, vcc_lo
	global_store_b64 v[12:13], v[6:7], off
	s_waitcnt lgkmcnt(0)
	s_clause 0x1
	global_store_b64 v[14:15], v[8:9], off
	global_store_b64 v[16:17], v[10:11], off
	s_cbranch_scc1 .LBB101_102
.LBB101_103:
	s_and_b32 s4, s28, 3
	s_delay_alu instid0(SALU_CYCLE_1)
	s_cmp_eq_u32 s4, 0
	s_cbranch_scc1 .LBB101_106
; %bb.104:
	s_mul_hi_i32 s7, s0, s12
	s_mul_i32 s6, s0, s12
	s_mul_i32 s5, s12, 0xe0
	s_lshl_b64 s[6:7], s[6:7], 3
	v_add3_u32 v2, s5, v3, 0x1880
	s_add_u32 s6, s6, s16
	s_addc_u32 s7, s7, s17
	s_add_u32 s6, s6, s10
	s_addc_u32 s7, s7, s11
	;; [unrolled: 2-line block ×3, first 2 shown]
	v_add_co_u32 v0, s2, s2, v3
	s_delay_alu instid0(VALU_DEP_1)
	v_add_co_ci_u32_e64 v1, null, s3, 0, s2
	s_lshl_b64 s[0:1], s[0:1], 3
.LBB101_105:                            ; =>This Inner Loop Header: Depth=1
	ds_load_b64 v[3:4], v2
	v_add_nc_u32_e32 v2, 0xe0, v2
	s_add_i32 s4, s4, -1
	s_delay_alu instid0(SALU_CYCLE_1)
	s_cmp_lg_u32 s4, 0
	s_waitcnt lgkmcnt(0)
	global_store_b64 v[0:1], v[3:4], off
	v_add_co_u32 v0, vcc_lo, v0, s0
	v_add_co_ci_u32_e32 v1, vcc_lo, s1, v1, vcc_lo
	s_cbranch_scc1 .LBB101_105
.LBB101_106:
	s_nop 0
	s_sendmsg sendmsg(MSG_DEALLOC_VGPRS)
	s_endpgm
	.section	.rodata,"a",@progbits
	.p2align	6, 0x0
	.amdhsa_kernel _ZL31rocblas_trsm_small_right_deviceIddPKPKdPKPdLi28EEv13rocblas_fill_18rocblas_operation_17rocblas_diagonal_iiT0_T1_lilT2_lili
		.amdhsa_group_segment_fixed_size 12544
		.amdhsa_private_segment_fixed_size 0
		.amdhsa_kernarg_size 360
		.amdhsa_user_sgpr_count 14
		.amdhsa_user_sgpr_dispatch_ptr 0
		.amdhsa_user_sgpr_queue_ptr 0
		.amdhsa_user_sgpr_kernarg_segment_ptr 1
		.amdhsa_user_sgpr_dispatch_id 0
		.amdhsa_user_sgpr_private_segment_size 0
		.amdhsa_wavefront_size32 1
		.amdhsa_uses_dynamic_stack 0
		.amdhsa_enable_private_segment 0
		.amdhsa_system_sgpr_workgroup_id_x 1
		.amdhsa_system_sgpr_workgroup_id_y 0
		.amdhsa_system_sgpr_workgroup_id_z 1
		.amdhsa_system_sgpr_workgroup_info 0
		.amdhsa_system_vgpr_workitem_id 0
		.amdhsa_next_free_vgpr 51
		.amdhsa_next_free_sgpr 34
		.amdhsa_reserve_vcc 1
		.amdhsa_float_round_mode_32 0
		.amdhsa_float_round_mode_16_64 0
		.amdhsa_float_denorm_mode_32 3
		.amdhsa_float_denorm_mode_16_64 3
		.amdhsa_dx10_clamp 1
		.amdhsa_ieee_mode 1
		.amdhsa_fp16_overflow 0
		.amdhsa_workgroup_processor_mode 1
		.amdhsa_memory_ordered 1
		.amdhsa_forward_progress 0
		.amdhsa_shared_vgpr_count 0
		.amdhsa_exception_fp_ieee_invalid_op 0
		.amdhsa_exception_fp_denorm_src 0
		.amdhsa_exception_fp_ieee_div_zero 0
		.amdhsa_exception_fp_ieee_overflow 0
		.amdhsa_exception_fp_ieee_underflow 0
		.amdhsa_exception_fp_ieee_inexact 0
		.amdhsa_exception_int_div_zero 0
	.end_amdhsa_kernel
	.section	.text._ZL31rocblas_trsm_small_right_deviceIddPKPKdPKPdLi28EEv13rocblas_fill_18rocblas_operation_17rocblas_diagonal_iiT0_T1_lilT2_lili,"axG",@progbits,_ZL31rocblas_trsm_small_right_deviceIddPKPKdPKPdLi28EEv13rocblas_fill_18rocblas_operation_17rocblas_diagonal_iiT0_T1_lilT2_lili,comdat
.Lfunc_end101:
	.size	_ZL31rocblas_trsm_small_right_deviceIddPKPKdPKPdLi28EEv13rocblas_fill_18rocblas_operation_17rocblas_diagonal_iiT0_T1_lilT2_lili, .Lfunc_end101-_ZL31rocblas_trsm_small_right_deviceIddPKPKdPKPdLi28EEv13rocblas_fill_18rocblas_operation_17rocblas_diagonal_iiT0_T1_lilT2_lili
                                        ; -- End function
	.section	.AMDGPU.csdata,"",@progbits
; Kernel info:
; codeLenInByte = 9036
; NumSgprs: 36
; NumVgprs: 51
; ScratchSize: 0
; MemoryBound: 0
; FloatMode: 240
; IeeeMode: 1
; LDSByteSize: 12544 bytes/workgroup (compile time only)
; SGPRBlocks: 4
; VGPRBlocks: 6
; NumSGPRsForWavesPerEU: 36
; NumVGPRsForWavesPerEU: 51
; Occupancy: 3
; WaveLimiterHint : 0
; COMPUTE_PGM_RSRC2:SCRATCH_EN: 0
; COMPUTE_PGM_RSRC2:USER_SGPR: 14
; COMPUTE_PGM_RSRC2:TRAP_HANDLER: 0
; COMPUTE_PGM_RSRC2:TGID_X_EN: 1
; COMPUTE_PGM_RSRC2:TGID_Y_EN: 0
; COMPUTE_PGM_RSRC2:TGID_Z_EN: 1
; COMPUTE_PGM_RSRC2:TIDIG_COMP_CNT: 0
	.section	.text._ZL38rocblas_trsm_small_left_device_sharedBILi32ELi32ELb0EddPKPKdPKPdEv13rocblas_fill_18rocblas_operation_17rocblas_diagonal_iiT3_T4_lilT5_lili,"axG",@progbits,_ZL38rocblas_trsm_small_left_device_sharedBILi32ELi32ELb0EddPKPKdPKPdEv13rocblas_fill_18rocblas_operation_17rocblas_diagonal_iiT3_T4_lilT5_lili,comdat
	.globl	_ZL38rocblas_trsm_small_left_device_sharedBILi32ELi32ELb0EddPKPKdPKPdEv13rocblas_fill_18rocblas_operation_17rocblas_diagonal_iiT3_T4_lilT5_lili ; -- Begin function _ZL38rocblas_trsm_small_left_device_sharedBILi32ELi32ELb0EddPKPKdPKPdEv13rocblas_fill_18rocblas_operation_17rocblas_diagonal_iiT3_T4_lilT5_lili
	.p2align	8
	.type	_ZL38rocblas_trsm_small_left_device_sharedBILi32ELi32ELb0EddPKPKdPKPdEv13rocblas_fill_18rocblas_operation_17rocblas_diagonal_iiT3_T4_lilT5_lili,@function
_ZL38rocblas_trsm_small_left_device_sharedBILi32ELi32ELb0EddPKPKdPKPdEv13rocblas_fill_18rocblas_operation_17rocblas_diagonal_iiT3_T4_lilT5_lili: ; @_ZL38rocblas_trsm_small_left_device_sharedBILi32ELi32ELb0EddPKPKdPKPdEv13rocblas_fill_18rocblas_operation_17rocblas_diagonal_iiT3_T4_lilT5_lili
; %bb.0:
	s_load_b128 s[16:19], s[0:1], 0x40
	s_mov_b32 s12, s15
	s_mov_b32 s13, 0
	s_clause 0x1
	s_load_b128 s[4:7], s[0:1], 0x4
	s_load_b64 s[20:21], s[0:1], 0x28
	s_lshl_b64 s[22:23], s[12:13], 3
	s_mov_b32 s12, exec_lo
	s_waitcnt lgkmcnt(0)
	s_add_u32 s2, s16, s22
	s_addc_u32 s3, s17, s23
	s_load_b128 s[8:11], s[0:1], 0x18
	s_load_b64 s[2:3], s[2:3], 0x0
	s_min_i32 s28, s6, 32
	s_delay_alu instid0(SALU_CYCLE_1)
	s_add_i32 s29, s28, -1
	v_cmpx_gt_i32_e64 s28, v0
	s_cbranch_execz .LBB102_10
; %bb.1:
	s_load_b32 s16, s[0:1], 0x30
	s_waitcnt lgkmcnt(0)
	s_ashr_i32 s17, s16, 31
	s_add_u32 s10, s10, s22
	s_addc_u32 s11, s11, s23
	s_cmp_lt_u32 s29, 3
	s_load_b64 s[10:11], s[10:11], 0x0
	s_cbranch_scc1 .LBB102_4
; %bb.2:
	v_lshlrev_b32_e32 v3, 3, v0
	s_lshl_b64 s[22:23], s[20:21], 3
	s_mul_i32 s30, s16, 24
	s_waitcnt lgkmcnt(0)
	s_add_u32 s13, s10, s22
	s_addc_u32 s15, s11, s23
	v_add_co_u32 v1, s13, s13, v3
	s_delay_alu instid0(VALU_DEP_1)
	v_add_co_ci_u32_e64 v2, null, s15, 0, s13
	s_and_b32 s13, s28, -4
	s_mul_hi_i32 s15, s16, 24
	s_lshl_b64 s[22:23], s[16:17], 5
	s_lshl_b64 s[24:25], s[16:17], 4
	;; [unrolled: 1-line block ×3, first 2 shown]
	s_mov_b32 s31, 0
	.p2align	6
.LBB102_3:                              ; =>This Inner Loop Header: Depth=1
	v_add_co_u32 v4, vcc_lo, v1, s26
	v_add_co_ci_u32_e32 v5, vcc_lo, s27, v2, vcc_lo
	v_add_co_u32 v6, vcc_lo, v1, s24
	v_add_co_ci_u32_e32 v7, vcc_lo, s25, v2, vcc_lo
	;; [unrolled: 2-line block ×3, first 2 shown]
	s_clause 0x3
	global_load_b64 v[10:11], v[1:2], off
	global_load_b64 v[4:5], v[4:5], off
	;; [unrolled: 1-line block ×4, first 2 shown]
	v_add_co_u32 v1, vcc_lo, v1, s22
	v_add_co_ci_u32_e32 v2, vcc_lo, s23, v2, vcc_lo
	s_add_i32 s31, s31, 4
	s_waitcnt vmcnt(2)
	ds_store_2addr_b64 v3, v[10:11], v[4:5] offset1:32
	s_waitcnt vmcnt(0)
	ds_store_2addr_b64 v3, v[6:7], v[8:9] offset0:64 offset1:96
	v_add_nc_u32_e32 v3, 0x400, v3
	s_cmp_eq_u32 s13, s31
	s_cbranch_scc0 .LBB102_3
.LBB102_4:
	s_and_b32 s15, s28, 3
	s_delay_alu instid0(SALU_CYCLE_1)
	s_cmp_eq_u32 s15, 0
	s_cbranch_scc1 .LBB102_7
; %bb.5:
	s_mul_i32 s22, s17, s13
	s_mul_hi_u32 s23, s16, s13
	v_lshlrev_b32_e32 v1, 3, v0
	s_add_i32 s23, s23, s22
	s_mul_i32 s22, s16, s13
	s_lshl_b64 s[20:21], s[20:21], 3
	s_lshl_b64 s[22:23], s[22:23], 3
	v_lshl_or_b32 v3, s13, 8, v1
	s_add_u32 s13, s22, s20
	s_addc_u32 s20, s23, s21
	s_waitcnt lgkmcnt(0)
	s_add_u32 s10, s10, s13
	s_addc_u32 s11, s11, s20
	v_add_co_u32 v1, s10, s10, v1
	s_delay_alu instid0(VALU_DEP_1)
	v_add_co_ci_u32_e64 v2, null, s11, 0, s10
	s_lshl_b64 s[10:11], s[16:17], 3
.LBB102_6:                              ; =>This Inner Loop Header: Depth=1
	global_load_b64 v[4:5], v[1:2], off
	v_add_co_u32 v1, vcc_lo, v1, s10
	v_add_co_ci_u32_e32 v2, vcc_lo, s11, v2, vcc_lo
	s_add_i32 s15, s15, -1
	s_delay_alu instid0(SALU_CYCLE_1)
	s_cmp_lg_u32 s15, 0
	s_waitcnt vmcnt(0)
	ds_store_b64 v3, v[4:5]
	v_add_nc_u32_e32 v3, 0x100, v3
	s_cbranch_scc1 .LBB102_6
.LBB102_7:
	v_mul_u32_u24_e32 v3, 33, v0
	v_mov_b32_e32 v1, 0
	v_mov_b32_e32 v2, 0x3ff00000
	s_cmpk_lg_i32 s5, 0x84
	s_delay_alu instid0(VALU_DEP_3)
	v_lshlrev_b32_e32 v3, 3, v3
	s_cbranch_scc0 .LBB102_9
; %bb.8:
	ds_load_b64 v[1:2], v3
	s_waitcnt lgkmcnt(0)
	v_div_scale_f64 v[4:5], null, v[1:2], v[1:2], 1.0
	s_delay_alu instid0(VALU_DEP_1) | instskip(SKIP_2) | instid1(VALU_DEP_1)
	v_rcp_f64_e32 v[6:7], v[4:5]
	s_waitcnt_depctr 0xfff
	v_fma_f64 v[8:9], -v[4:5], v[6:7], 1.0
	v_fma_f64 v[6:7], v[6:7], v[8:9], v[6:7]
	s_delay_alu instid0(VALU_DEP_1) | instskip(NEXT) | instid1(VALU_DEP_1)
	v_fma_f64 v[8:9], -v[4:5], v[6:7], 1.0
	v_fma_f64 v[6:7], v[6:7], v[8:9], v[6:7]
	v_div_scale_f64 v[8:9], vcc_lo, 1.0, v[1:2], 1.0
	s_delay_alu instid0(VALU_DEP_1) | instskip(NEXT) | instid1(VALU_DEP_1)
	v_mul_f64 v[10:11], v[8:9], v[6:7]
	v_fma_f64 v[4:5], -v[4:5], v[10:11], v[8:9]
	s_delay_alu instid0(VALU_DEP_1) | instskip(NEXT) | instid1(VALU_DEP_1)
	v_div_fmas_f64 v[4:5], v[4:5], v[6:7], v[10:11]
	v_div_fixup_f64 v[1:2], v[4:5], v[1:2], 1.0
.LBB102_9:
	ds_store_b64 v3, v[1:2]
.LBB102_10:
	s_or_b32 exec_lo, exec_lo, s12
	s_clause 0x1
	s_load_b32 s5, s[0:1], 0x68
	s_load_b32 s16, s[0:1], 0x50
	s_lshl_b64 s[0:1], s[18:19], 3
	s_waitcnt lgkmcnt(0)
	s_ashr_i32 s17, s16, 31
	s_add_u32 s15, s2, s0
	s_addc_u32 s18, s3, s1
	s_lshl_b32 s10, s14, 5
	s_add_i32 s5, s5, -1
	s_sub_i32 s7, s7, s10
	s_mul_hi_i32 s13, s16, s10
	s_cmp_ge_u32 s14, s5
	s_mul_i32 s12, s16, s10
	s_cselect_b32 s14, s7, 32
	s_lshl_b64 s[12:13], s[12:13], 3
	s_ashr_i32 s11, s10, 31
	s_add_u32 s5, s15, s12
	s_addc_u32 s7, s18, s13
	v_cmp_gt_i32_e32 vcc_lo, s14, v0
	s_cmp_gt_i32 s6, 0
	s_mov_b32 s12, 0
	s_cselect_b32 s13, -1, 0
	s_delay_alu instid0(SALU_CYCLE_1) | instskip(NEXT) | instid1(SALU_CYCLE_1)
	s_and_b32 s18, vcc_lo, s13
	s_and_saveexec_b32 s19, s18
	s_cbranch_execz .LBB102_17
; %bb.11:
	s_cmp_lt_i32 s6, 8
	s_cbranch_scc1 .LBB102_14
; %bb.12:
	v_mad_i64_i32 v[1:2], null, s16, v0, 0
	v_lshl_or_b32 v3, v0, 3, 0x2000
	s_lshl_b32 s12, s28, 3
	s_mov_b64 s[14:15], 0
	s_and_b32 s13, s12, 0x1c0
	s_mov_b32 s12, 0
	s_delay_alu instid0(VALU_DEP_2) | instskip(NEXT) | instid1(VALU_DEP_1)
	v_lshlrev_b64 v[1:2], 3, v[1:2]
	v_add_co_u32 v1, vcc_lo, s5, v1
	s_delay_alu instid0(VALU_DEP_2)
	v_add_co_ci_u32_e32 v2, vcc_lo, s7, v2, vcc_lo
	s_set_inst_prefetch_distance 0x1
	.p2align	6
.LBB102_13:                             ; =>This Inner Loop Header: Depth=1
	s_delay_alu instid0(VALU_DEP_2) | instskip(NEXT) | instid1(VALU_DEP_2)
	v_add_co_u32 v16, vcc_lo, v1, s14
	v_add_co_ci_u32_e32 v17, vcc_lo, s15, v2, vcc_lo
	s_add_i32 s12, s12, 8
	s_add_u32 s14, s14, 64
	s_addc_u32 s15, s15, 0
	s_clause 0x3
	global_load_b128 v[4:7], v[16:17], off
	global_load_b128 v[8:11], v[16:17], off offset:16
	global_load_b128 v[12:15], v[16:17], off offset:32
	;; [unrolled: 1-line block ×3, first 2 shown]
	s_cmp_lg_u32 s13, s14
	s_waitcnt vmcnt(3)
	v_mul_f64 v[4:5], v[4:5], s[8:9]
	v_mul_f64 v[6:7], v[6:7], s[8:9]
	s_waitcnt vmcnt(2)
	v_mul_f64 v[8:9], v[8:9], s[8:9]
	v_mul_f64 v[10:11], v[10:11], s[8:9]
	s_waitcnt vmcnt(1)
	v_mul_f64 v[12:13], v[12:13], s[8:9]
	v_mul_f64 v[14:15], v[14:15], s[8:9]
	s_waitcnt vmcnt(0)
	v_mul_f64 v[16:17], v[16:17], s[8:9]
	v_mul_f64 v[18:19], v[18:19], s[8:9]
	ds_store_2addr_b64 v3, v[4:5], v[6:7] offset1:32
	ds_store_2addr_b64 v3, v[8:9], v[10:11] offset0:64 offset1:96
	ds_store_2addr_b64 v3, v[12:13], v[14:15] offset0:128 offset1:160
	;; [unrolled: 1-line block ×3, first 2 shown]
	v_add_nc_u32_e32 v3, 0x800, v3
	s_cbranch_scc1 .LBB102_13
.LBB102_14:
	s_set_inst_prefetch_distance 0x2
	s_and_b32 s14, s28, 7
	s_mov_b32 s13, 0
	s_cmp_eq_u32 s14, 0
	s_cbranch_scc1 .LBB102_17
; %bb.15:
	v_lshlrev_b32_e32 v3, 3, v0
	s_lshl_b64 s[20:21], s[10:11], 3
	s_lshl_b64 s[22:23], s[12:13], 3
	s_delay_alu instid0(VALU_DEP_1) | instskip(NEXT) | instid1(VALU_DEP_1)
	v_add_co_u32 v4, s13, s20, v3
	v_add_co_ci_u32_e64 v5, null, s21, 0, s13
	s_add_u32 s13, s2, s22
	s_addc_u32 s15, s3, s23
	s_add_u32 s20, s13, s0
	s_addc_u32 s21, s15, s1
	v_mul_lo_u32 v5, v5, s16
	v_mad_u64_u32 v[1:2], null, v4, s16, s[20:21]
	v_mul_lo_u32 v4, v4, s17
	v_lshl_or_b32 v3, s12, 8, v3
	s_delay_alu instid0(VALU_DEP_1) | instskip(NEXT) | instid1(VALU_DEP_3)
	v_add_nc_u32_e32 v3, 0x2000, v3
	v_add3_u32 v2, v5, v2, v4
.LBB102_16:                             ; =>This Inner Loop Header: Depth=1
	global_load_b64 v[4:5], v[1:2], off
	v_add_co_u32 v1, vcc_lo, v1, 8
	v_add_co_ci_u32_e32 v2, vcc_lo, 0, v2, vcc_lo
	s_add_i32 s14, s14, -1
	s_delay_alu instid0(SALU_CYCLE_1)
	s_cmp_lg_u32 s14, 0
	s_waitcnt vmcnt(0)
	v_mul_f64 v[4:5], v[4:5], s[8:9]
	ds_store_b64 v3, v[4:5]
	v_add_nc_u32_e32 v3, 0x100, v3
	s_cbranch_scc1 .LBB102_16
.LBB102_17:
	s_or_b32 exec_lo, exec_lo, s19
	s_cmpk_eq_i32 s4, 0x6f
	s_mov_b32 s4, -1
	s_waitcnt vmcnt(0) lgkmcnt(0)
	s_waitcnt_vscnt null, 0x0
	; wave barrier
	s_waitcnt lgkmcnt(0)
	buffer_gl0_inv
	s_cbranch_scc1 .LBB102_38
; %bb.18:
	s_cmp_gt_i32 s6, 31
	s_mov_b32 s8, 0
	s_cselect_b32 s4, -1, 0
	s_delay_alu instid0(SALU_CYCLE_1)
	s_and_b32 vcc_lo, exec_lo, s4
	s_cbranch_vccz .LBB102_20
; %bb.19:
	v_dual_mov_b32 v86, 0 :: v_dual_lshlrev_b32 v1, 3, v0
	v_add_nc_u32_e64 v163, 0x1000, 0
	s_mov_b32 s8, 32
	s_delay_alu instid0(VALU_DEP_2)
	v_add_nc_u32_e32 v85, 0x2000, v1
	v_add_nc_u32_e32 v87, 0x2800, v1
	;; [unrolled: 1-line block ×3, first 2 shown]
	ds_load_2addr_b64 v[2:5], v86 offset1:66
	ds_load_2addr_b64 v[6:9], v85 offset1:32
	ds_load_b128 v[10:13], v86 offset:256
	ds_load_b128 v[14:17], v86 offset:512
	s_waitcnt lgkmcnt(2)
	v_mul_f64 v[59:60], v[2:3], v[6:7]
	s_waitcnt lgkmcnt(1)
	s_delay_alu instid0(VALU_DEP_1)
	v_fma_f64 v[2:3], -v[59:60], v[10:11], v[8:9]
	ds_load_2addr_b64 v[6:9], v85 offset0:64 offset1:96
	s_waitcnt lgkmcnt(0)
	v_fma_f64 v[6:7], -v[59:60], v[14:15], v[6:7]
	v_mul_f64 v[61:62], v[12:13], v[2:3]
	ds_load_b128 v[10:13], v86 offset:768
	ds_load_b128 v[18:21], v86 offset:784
	s_waitcnt lgkmcnt(1)
	v_fma_f64 v[2:3], -v[59:60], v[10:11], v[8:9]
	v_fma_f64 v[10:11], -v[61:62], v[16:17], v[6:7]
	ds_load_2addr_b64 v[6:9], v85 offset0:128 offset1:160
	ds_load_b128 v[14:17], v86 offset:1024
	ds_load_b128 v[22:25], v86 offset:1040
	s_waitcnt lgkmcnt(1)
	v_fma_f64 v[6:7], -v[59:60], v[14:15], v[6:7]
	v_fma_f64 v[14:15], -v[61:62], v[12:13], v[2:3]
	v_mul_f64 v[63:64], v[4:5], v[10:11]
	ds_load_b128 v[2:5], v86 offset:1280
	ds_load_b128 v[10:13], v86 offset:1296
	s_waitcnt lgkmcnt(1)
	v_fma_f64 v[2:3], -v[59:60], v[2:3], v[8:9]
	v_fma_f64 v[26:27], -v[61:62], v[16:17], v[6:7]
	;; [unrolled: 1-line block ×3, first 2 shown]
	ds_load_b128 v[6:9], v86 offset:1536
	ds_load_2addr_b64 v[14:17], v85 offset0:192 offset1:224
	v_fma_f64 v[22:23], -v[63:64], v[22:23], v[26:27]
	s_waitcnt lgkmcnt(0)
	v_fma_f64 v[6:7], -v[59:60], v[6:7], v[14:15]
	v_fma_f64 v[14:15], -v[61:62], v[4:5], v[2:3]
	v_mul_f64 v[65:66], v[20:21], v[18:19]
	ds_load_b128 v[2:5], v86 offset:1792
	ds_load_b128 v[18:21], v86 offset:1808
	s_waitcnt lgkmcnt(1)
	v_fma_f64 v[2:3], -v[59:60], v[2:3], v[16:17]
	v_fma_f64 v[38:39], -v[61:62], v[8:9], v[6:7]
	;; [unrolled: 1-line block ×4, first 2 shown]
	ds_load_b128 v[6:9], v86 offset:2048
	ds_load_2addr_b64 v[14:17], v87 offset1:32
	ds_load_b128 v[22:25], v86 offset:1552
	ds_load_2addr_b64 v[26:29], v86 offset0:132 offset1:198
	ds_load_b128 v[30:33], v86 offset:1568
	ds_load_b128 v[34:37], v86 offset:2064
	s_waitcnt lgkmcnt(4)
	v_fma_f64 v[6:7], -v[59:60], v[6:7], v[14:15]
	v_fma_f64 v[14:15], -v[61:62], v[4:5], v[2:3]
	s_waitcnt lgkmcnt(3)
	v_fma_f64 v[22:23], -v[63:64], v[22:23], v[38:39]
	v_fma_f64 v[42:43], -v[65:66], v[12:13], v[10:11]
	s_waitcnt lgkmcnt(2)
	v_mul_f64 v[67:68], v[26:27], v[40:41]
	ds_load_b128 v[2:5], v86 offset:2304
	ds_load_b128 v[10:13], v86 offset:1312
	;; [unrolled: 1-line block ×3, first 2 shown]
	v_fma_f64 v[26:27], -v[61:62], v[8:9], v[6:7]
	s_waitcnt lgkmcnt(2)
	v_fma_f64 v[2:3], -v[59:60], v[2:3], v[16:17]
	v_fma_f64 v[18:19], -v[63:64], v[18:19], v[14:15]
	ds_load_b128 v[6:9], v86 offset:2560
	ds_load_2addr_b64 v[14:17], v87 offset0:64 offset1:96
	v_fma_f64 v[22:23], -v[65:66], v[24:25], v[22:23]
	s_waitcnt lgkmcnt(3)
	v_fma_f64 v[10:11], -v[67:68], v[10:11], v[42:43]
	s_waitcnt lgkmcnt(0)
	v_fma_f64 v[6:7], -v[59:60], v[6:7], v[14:15]
	v_fma_f64 v[26:27], -v[63:64], v[34:35], v[26:27]
	;; [unrolled: 1-line block ×5, first 2 shown]
	v_mul_f64 v[69:70], v[12:13], v[10:11]
	ds_load_b128 v[2:5], v86 offset:2816
	ds_load_b128 v[10:13], v86 offset:1824
	;; [unrolled: 1-line block ×4, first 2 shown]
	v_fma_f64 v[54:55], -v[61:62], v[8:9], v[6:7]
	v_fma_f64 v[26:27], -v[65:66], v[36:37], v[26:27]
	s_waitcnt lgkmcnt(3)
	v_fma_f64 v[2:3], -v[59:60], v[2:3], v[16:17]
	v_fma_f64 v[38:39], -v[63:64], v[38:39], v[14:15]
	s_waitcnt lgkmcnt(2)
	v_fma_f64 v[10:11], -v[67:68], v[10:11], v[34:35]
	v_fma_f64 v[56:57], -v[69:70], v[32:33], v[30:31]
	ds_load_b128 v[6:9], v86 offset:3072
	ds_load_2addr_b64 v[14:17], v87 offset0:128 offset1:160
	ds_load_b128 v[30:33], v86 offset:2576
	ds_load_b128 v[34:37], v86 offset:2080
	ds_load_b128 v[42:45], v86 offset:2096
	ds_load_b128 v[46:49], v86 offset:2592
	ds_load_b128 v[50:53], v86 offset:3088
	s_waitcnt lgkmcnt(5)
	v_fma_f64 v[6:7], -v[59:60], v[6:7], v[14:15]
	s_waitcnt lgkmcnt(4)
	v_fma_f64 v[30:31], -v[63:64], v[30:31], v[54:55]
	v_fma_f64 v[14:15], -v[61:62], v[4:5], v[2:3]
	;; [unrolled: 1-line block ×3, first 2 shown]
	s_waitcnt lgkmcnt(3)
	v_fma_f64 v[34:35], -v[67:68], v[34:35], v[26:27]
	v_fma_f64 v[73:74], -v[69:70], v[12:13], v[10:11]
	v_mul_f64 v[71:72], v[28:29], v[56:57]
	ds_load_b128 v[2:5], v86 offset:3328
	ds_load_b128 v[10:13], v86 offset:2336
	;; [unrolled: 1-line block ×4, first 2 shown]
	v_fma_f64 v[56:57], -v[61:62], v[8:9], v[6:7]
	v_fma_f64 v[30:31], -v[65:66], v[32:33], v[30:31]
	s_waitcnt lgkmcnt(3)
	v_fma_f64 v[2:3], -v[59:60], v[2:3], v[16:17]
	v_fma_f64 v[22:23], -v[63:64], v[22:23], v[14:15]
	s_waitcnt lgkmcnt(2)
	v_fma_f64 v[10:11], -v[67:68], v[10:11], v[54:55]
	v_fma_f64 v[32:33], -v[69:70], v[36:37], v[34:35]
	ds_load_b128 v[6:9], v86 offset:3584
	ds_load_2addr_b64 v[14:17], v87 offset0:192 offset1:224
	v_fma_f64 v[18:19], -v[71:72], v[18:19], v[73:74]
	s_waitcnt lgkmcnt(0)
	v_fma_f64 v[6:7], -v[59:60], v[6:7], v[14:15]
	v_fma_f64 v[34:35], -v[63:64], v[50:51], v[56:57]
	;; [unrolled: 1-line block ×7, first 2 shown]
	v_mul_f64 v[73:74], v[20:21], v[18:19]
	ds_load_b128 v[2:5], v86 offset:3840
	ds_load_b128 v[10:13], v86 offset:2848
	;; [unrolled: 1-line block ×4, first 2 shown]
	v_fma_f64 v[89:90], -v[61:62], v[8:9], v[6:7]
	v_fma_f64 v[91:92], -v[65:66], v[52:53], v[34:35]
	v_fma_f64 v[93:94], -v[69:70], v[48:49], v[30:31]
	s_waitcnt lgkmcnt(3)
	v_fma_f64 v[75:76], -v[59:60], v[2:3], v[16:17]
	v_fma_f64 v[38:39], -v[63:64], v[38:39], v[14:15]
	s_waitcnt lgkmcnt(2)
	v_fma_f64 v[10:11], -v[67:68], v[10:11], v[36:37]
	v_fma_f64 v[26:27], -v[71:72], v[26:27], v[46:47]
	v_add_nc_u32_e64 v2, 0x800, 0
	v_fma_f64 v[95:96], -v[73:74], v[44:45], v[32:33]
	ds_load_b128 v[6:9], v86 offset:4096
	ds_load_2addr_b64 v[14:17], v88 offset1:32
	ds_load_b128 v[30:33], v86 offset:3600
	ds_load_b128 v[34:37], v86 offset:3104
	;; [unrolled: 1-line block ×3, first 2 shown]
	ds_load_2addr_b64 v[46:49], v2 offset0:8 offset1:74
	ds_load_b128 v[50:53], v86 offset:2624
	ds_load_b128 v[54:57], v86 offset:3120
	;; [unrolled: 1-line block ×4, first 2 shown]
	s_waitcnt lgkmcnt(6)
	v_fma_f64 v[34:35], -v[67:68], v[34:35], v[91:92]
	s_waitcnt lgkmcnt(5)
	v_fma_f64 v[42:43], -v[71:72], v[42:43], v[93:94]
	v_fma_f64 v[97:98], -v[61:62], v[4:5], v[75:76]
	;; [unrolled: 1-line block ×7, first 2 shown]
	ds_load_b128 v[3:6], v86 offset:4352
	ds_load_b128 v[10:13], v86 offset:3360
	;; [unrolled: 1-line block ×5, first 2 shown]
	s_waitcnt lgkmcnt(9)
	v_mul_f64 v[75:76], v[46:47], v[95:96]
	s_waitcnt lgkmcnt(4)
	v_fma_f64 v[3:4], -v[59:60], v[3:4], v[16:17]
	v_fma_f64 v[34:35], -v[69:70], v[36:37], v[34:35]
	;; [unrolled: 1-line block ×6, first 2 shown]
	s_waitcnt lgkmcnt(3)
	v_fma_f64 v[32:33], -v[67:68], v[10:11], v[99:100]
	v_fma_f64 v[18:19], -v[71:72], v[18:19], v[101:102]
	ds_load_b128 v[7:10], v86 offset:4608
	ds_load_2addr_b64 v[14:17], v88 offset0:64 offset1:96
	s_waitcnt lgkmcnt(4)
	v_fma_f64 v[26:27], -v[75:76], v[26:27], v[93:94]
	v_fma_f64 v[42:43], -v[61:62], v[5:6], v[3:4]
	s_waitcnt lgkmcnt(0)
	v_fma_f64 v[7:8], -v[59:60], v[7:8], v[14:15]
	v_fma_f64 v[34:35], -v[71:72], v[54:55], v[34:35]
	;; [unrolled: 1-line block ×8, first 2 shown]
	v_mul_f64 v[77:78], v[28:29], v[26:27]
	ds_load_b128 v[3:6], v86 offset:4864
	ds_load_b128 v[11:14], v86 offset:3872
	;; [unrolled: 1-line block ×6, first 2 shown]
	v_fma_f64 v[89:90], -v[63:64], v[89:90], v[42:43]
	v_fma_f64 v[109:110], -v[61:62], v[9:10], v[7:8]
	s_waitcnt lgkmcnt(5)
	v_fma_f64 v[3:4], -v[59:60], v[3:4], v[16:17]
	v_fma_f64 v[111:112], -v[65:66], v[83:84], v[44:45]
	s_waitcnt lgkmcnt(4)
	v_fma_f64 v[11:12], -v[67:68], v[11:12], v[46:47]
	v_fma_f64 v[46:47], -v[69:70], v[79:80], v[81:82]
	;; [unrolled: 1-line block ×4, first 2 shown]
	s_waitcnt lgkmcnt(3)
	v_fma_f64 v[113:114], -v[75:76], v[18:19], v[54:55]
	v_fma_f64 v[115:116], -v[77:78], v[52:53], v[36:37]
	ds_load_b128 v[7:10], v86 offset:5120
	ds_load_2addr_b64 v[15:18], v88 offset0:128 offset1:160
	ds_load_b128 v[34:37], v86 offset:4624
	ds_load_b128 v[42:45], v86 offset:4128
	;; [unrolled: 1-line block ×9, first 2 shown]
	v_fma_f64 v[117:118], -v[65:66], v[91:92], v[89:90]
	s_waitcnt lgkmcnt(9)
	v_fma_f64 v[7:8], -v[59:60], v[7:8], v[15:16]
	s_waitcnt lgkmcnt(8)
	v_fma_f64 v[34:35], -v[63:64], v[34:35], v[109:110]
	v_fma_f64 v[15:16], -v[61:62], v[5:6], v[3:4]
	s_waitcnt lgkmcnt(7)
	v_fma_f64 v[42:43], -v[67:68], v[42:43], v[111:112]
	;; [unrolled: 3-line block ×4, first 2 shown]
	v_fma_f64 v[19:20], -v[77:78], v[20:21], v[113:114]
	v_mul_f64 v[79:80], v[48:49], v[115:116]
	ds_load_b128 v[3:6], v86 offset:5376
	ds_load_b128 v[11:14], v86 offset:4384
	;; [unrolled: 1-line block ×6, first 2 shown]
	v_fma_f64 v[113:114], -v[61:62], v[9:10], v[7:8]
	v_fma_f64 v[34:35], -v[65:66], v[36:37], v[34:35]
	s_waitcnt lgkmcnt(5)
	v_fma_f64 v[3:4], -v[59:60], v[3:4], v[17:18]
	v_fma_f64 v[30:31], -v[63:64], v[30:31], v[15:16]
	s_waitcnt lgkmcnt(4)
	v_fma_f64 v[11:12], -v[67:68], v[11:12], v[117:118]
	ds_load_b128 v[7:10], v86 offset:5632
	ds_load_2addr_b64 v[15:18], v88 offset0:192 offset1:224
	v_fma_f64 v[36:37], -v[69:70], v[44:45], v[42:43]
	v_fma_f64 v[26:27], -v[71:72], v[26:27], v[119:120]
	;; [unrolled: 1-line block ×3, first 2 shown]
	s_waitcnt lgkmcnt(5)
	v_fma_f64 v[38:39], -v[75:76], v[38:39], v[121:122]
	v_fma_f64 v[44:45], -v[77:78], v[56:57], v[54:55]
	;; [unrolled: 1-line block ×3, first 2 shown]
	s_waitcnt lgkmcnt(0)
	v_fma_f64 v[7:8], -v[59:60], v[7:8], v[15:16]
	v_fma_f64 v[50:51], -v[63:64], v[105:106], v[113:114]
	;; [unrolled: 1-line block ×11, first 2 shown]
	v_mul_f64 v[81:82], v[24:25], v[19:20]
	ds_load_b128 v[3:6], v86 offset:5888
	ds_load_b128 v[11:14], v86 offset:4896
	;; [unrolled: 1-line block ×6, first 2 shown]
	v_fma_f64 v[131:132], -v[61:62], v[9:10], v[7:8]
	v_fma_f64 v[50:51], -v[65:66], v[107:108], v[50:51]
	s_waitcnt lgkmcnt(5)
	v_fma_f64 v[129:130], -v[59:60], v[3:4], v[17:18]
	v_fma_f64 v[109:110], -v[63:64], v[109:110], v[15:16]
	s_waitcnt lgkmcnt(4)
	v_fma_f64 v[11:12], -v[67:68], v[11:12], v[52:53]
	v_fma_f64 v[52:53], -v[69:70], v[103:104], v[54:55]
	;; [unrolled: 1-line block ×4, first 2 shown]
	s_waitcnt lgkmcnt(3)
	v_fma_f64 v[19:20], -v[75:76], v[19:20], v[97:98]
	v_fma_f64 v[133:134], -v[77:78], v[95:96], v[42:43]
	;; [unrolled: 1-line block ×3, first 2 shown]
	v_add_nc_u32_e32 v89, 0x3800, v1
	v_fma_f64 v[83:84], -v[81:82], v[83:84], v[39:40]
	ds_load_b128 v[7:10], v86 offset:6144
	ds_load_2addr_b64 v[15:18], v89 offset1:32
	ds_load_b128 v[35:38], v86 offset:5648
	ds_load_b128 v[39:42], v86 offset:5152
	;; [unrolled: 1-line block ×5, first 2 shown]
	ds_load_2addr_b64 v[1:4], v2 offset0:140 offset1:206
	ds_load_b128 v[101:104], v86 offset:3680
	ds_load_b128 v[105:108], v86 offset:4176
	;; [unrolled: 1-line block ×6, first 2 shown]
	s_waitcnt lgkmcnt(12)
	v_fma_f64 v[15:16], -v[59:60], v[7:8], v[15:16]
	s_waitcnt lgkmcnt(11)
	v_fma_f64 v[35:36], -v[63:64], v[35:36], v[131:132]
	;; [unrolled: 2-line block ×3, first 2 shown]
	v_fma_f64 v[129:130], -v[61:62], v[5:6], v[129:130]
	v_fma_f64 v[109:110], -v[65:66], v[111:112], v[109:110]
	v_fma_f64 v[111:112], -v[69:70], v[13:14], v[11:12]
	s_waitcnt lgkmcnt(9)
	v_fma_f64 v[43:44], -v[71:72], v[43:44], v[52:53]
	v_fma_f64 v[131:132], -v[73:74], v[91:92], v[54:55]
	s_waitcnt lgkmcnt(8)
	v_fma_f64 v[137:138], -v[75:76], v[93:94], v[56:57]
	v_fma_f64 v[139:140], -v[77:78], v[21:22], v[19:20]
	;; [unrolled: 3-line block ×3, first 2 shown]
	ds_load_b128 v[5:8], v86 offset:6400
	ds_load_b128 v[11:14], v86 offset:5408
	;; [unrolled: 1-line block ×7, first 2 shown]
	s_waitcnt lgkmcnt(13)
	v_mul_f64 v[1:2], v[1:2], v[83:84]
	s_waitcnt lgkmcnt(6)
	v_fma_f64 v[5:6], -v[59:60], v[5:6], v[17:18]
	v_fma_f64 v[15:16], -v[61:62], v[9:10], v[15:16]
	v_fma_f64 v[17:18], -v[63:64], v[31:32], v[129:130]
	v_fma_f64 v[31:32], -v[65:66], v[37:38], v[35:36]
	s_waitcnt lgkmcnt(5)
	v_fma_f64 v[35:36], -v[67:68], v[11:12], v[109:110]
	v_fma_f64 v[37:38], -v[69:70], v[41:42], v[39:40]
	v_fma_f64 v[27:28], -v[71:72], v[27:28], v[111:112]
	v_fma_f64 v[43:44], -v[73:74], v[45:46], v[43:44]
	;; [unrolled: 5-line block ×3, first 2 shown]
	ds_load_b128 v[9:12], v86 offset:6656
	ds_load_2addr_b64 v[39:42], v89 offset0:64 offset1:96
	s_waitcnt lgkmcnt(5)
	v_fma_f64 v[90:91], -v[1:2], v[90:91], v[133:134]
	v_fma_f64 v[129:130], -v[61:62], v[7:8], v[5:6]
	s_waitcnt lgkmcnt(0)
	v_fma_f64 v[9:10], -v[59:60], v[9:10], v[39:40]
	v_fma_f64 v[15:16], -v[63:64], v[125:126], v[15:16]
	;; [unrolled: 1-line block ×12, first 2 shown]
	v_mul_f64 v[83:84], v[92:93], v[90:91]
	ds_load_b128 v[90:93], v86 offset:6912
	ds_load_b128 v[94:97], v86 offset:5920
	;; [unrolled: 1-line block ×8, first 2 shown]
	v_fma_f64 v[55:56], -v[63:64], v[55:56], v[129:130]
	v_fma_f64 v[137:138], -v[61:62], v[11:12], v[9:10]
	;; [unrolled: 1-line block ×3, first 2 shown]
	s_waitcnt lgkmcnt(7)
	v_fma_f64 v[90:91], -v[59:60], v[90:91], v[41:42]
	s_waitcnt lgkmcnt(6)
	v_fma_f64 v[94:95], -v[67:68], v[94:95], v[33:34]
	v_fma_f64 v[141:142], -v[69:70], v[123:124], v[31:32]
	;; [unrolled: 1-line block ×4, first 2 shown]
	s_waitcnt lgkmcnt(5)
	v_fma_f64 v[98:99], -v[75:76], v[98:99], v[29:30]
	v_fma_f64 v[145:146], -v[77:78], v[115:116], v[43:44]
	;; [unrolled: 1-line block ×4, first 2 shown]
	s_waitcnt lgkmcnt(4)
	v_fma_f64 v[151:152], -v[1:2], v[109:110], v[23:24]
	v_fma_f64 v[153:154], -v[83:84], v[103:104], v[105:106]
	ds_load_b128 v[102:105], v86 offset:7168
	ds_load_2addr_b64 v[106:109], v89 offset0:128 offset1:160
	ds_load_b128 v[113:116], v86 offset:6672
	ds_load_b128 v[117:120], v86 offset:6176
	ds_load_b128 v[121:124], v86 offset:5680
	ds_load_b128 v[125:128], v86 offset:5184
	ds_load_b128 v[129:132], v86 offset:4688
	ds_load_b128 v[133:136], v86 offset:4192
	ds_load_b128 v[9:12], v86 offset:4208
	ds_load_b128 v[13:16], v86 offset:4704
	ds_load_b128 v[21:24], v86 offset:5200
	ds_load_b128 v[29:32], v86 offset:5696
	ds_load_b128 v[33:36], v86 offset:6192
	ds_load_b128 v[41:44], v86 offset:6688
	ds_load_b128 v[45:48], v86 offset:7184
	v_fma_f64 v[57:58], -v[65:66], v[57:58], v[55:56]
	s_waitcnt lgkmcnt(13)
	v_fma_f64 v[102:103], -v[59:60], v[102:103], v[106:107]
	s_waitcnt lgkmcnt(12)
	;; [unrolled: 2-line block ×3, first 2 shown]
	v_fma_f64 v[117:118], -v[67:68], v[117:118], v[139:140]
	v_fma_f64 v[106:107], -v[61:62], v[92:93], v[90:91]
	;; [unrolled: 1-line block ×3, first 2 shown]
	s_waitcnt lgkmcnt(10)
	v_fma_f64 v[121:122], -v[71:72], v[121:122], v[141:142]
	v_fma_f64 v[159:160], -v[73:74], v[53:54], v[51:52]
	s_waitcnt lgkmcnt(9)
	v_fma_f64 v[125:126], -v[75:76], v[125:126], v[143:144]
	v_fma_f64 v[161:162], -v[77:78], v[100:101], v[98:99]
	;; [unrolled: 3-line block ×4, first 2 shown]
	ds_load_b128 v[49:52], v86 offset:7424
	ds_load_b128 v[53:56], v86 offset:6432
	ds_load_b128 v[90:93], v86 offset:5440
	ds_load_b128 v[94:97], v86 offset:4448
	ds_load_b128 v[98:101], v86 offset:4464
	ds_load_b128 v[110:113], v86 offset:5456
	ds_load_b128 v[137:140], v86 offset:6448
	ds_load_b128 v[141:144], v86 offset:7440
	s_waitcnt lgkmcnt(7)
	v_fma_f64 v[49:50], -v[59:60], v[49:50], v[108:109]
	v_mul_f64 v[3:4], v[3:4], v[153:154]
	s_waitcnt lgkmcnt(6)
	v_fma_f64 v[53:54], -v[67:68], v[53:54], v[57:58]
	v_fma_f64 v[149:150], -v[61:62], v[104:105], v[102:103]
	;; [unrolled: 1-line block ×5, first 2 shown]
	ds_load_b128 v[102:105], v86 offset:7680
	ds_load_2addr_b64 v[106:109], v89 offset0:192 offset1:224
	v_fma_f64 v[25:26], -v[71:72], v[25:26], v[157:158]
	v_fma_f64 v[116:117], -v[73:74], v[123:124], v[121:122]
	s_waitcnt lgkmcnt(7)
	v_fma_f64 v[90:91], -v[75:76], v[90:91], v[159:160]
	v_fma_f64 v[118:119], -v[77:78], v[127:128], v[125:126]
	;; [unrolled: 1-line block ×4, first 2 shown]
	s_waitcnt lgkmcnt(6)
	v_fma_f64 v[94:95], -v[1:2], v[94:95], v[145:146]
	v_fma_f64 v[122:123], -v[83:84], v[135:136], v[133:134]
	s_waitcnt lgkmcnt(0)
	v_fma_f64 v[102:103], -v[59:60], v[102:103], v[106:107]
	v_fma_f64 v[106:107], -v[61:62], v[51:52], v[49:50]
	;; [unrolled: 1-line block ×18, first 2 shown]
	v_mul_f64 v[5:6], v[7:8], v[5:6]
	ds_load_b128 v[7:10], v86 offset:6944
	ds_load_b128 v[17:20], v86 offset:5952
	ds_load_b128 v[25:28], v86 offset:4960
	ds_load_b128 v[37:40], v86 offset:7936
	ds_load_b128 v[49:52], v86 offset:4976
	ds_load_b128 v[53:56], v86 offset:5968
	ds_load_b128 v[90:93], v86 offset:6960
	ds_load_b128 v[94:97], v86 offset:7952
	v_fma_f64 v[147:148], -v[65:66], v[47:48], v[45:46]
	v_fma_f64 v[149:150], -v[69:70], v[43:44], v[41:42]
	;; [unrolled: 1-line block ×4, first 2 shown]
	s_waitcnt lgkmcnt(7)
	v_fma_f64 v[7:8], -v[67:68], v[7:8], v[124:125]
	s_waitcnt lgkmcnt(6)
	v_fma_f64 v[57:58], -v[75:76], v[17:18], v[57:58]
	v_fma_f64 v[155:156], -v[77:78], v[31:32], v[29:30]
	;; [unrolled: 1-line block ×4, first 2 shown]
	s_waitcnt lgkmcnt(5)
	v_fma_f64 v[25:26], -v[1:2], v[25:26], v[118:119]
	v_fma_f64 v[159:160], -v[83:84], v[15:16], v[13:14]
	v_fma_f64 v[98:99], -v[3:4], v[98:99], v[120:121]
	s_waitcnt lgkmcnt(4)
	v_fma_f64 v[37:38], -v[59:60], v[37:38], v[108:109]
	v_fma_f64 v[142:143], -v[65:66], v[143:144], v[141:142]
	;; [unrolled: 1-line block ×3, first 2 shown]
	ds_load_b128 v[11:14], v86 offset:7696
	ds_load_b128 v[15:18], v86 offset:7200
	;; [unrolled: 1-line block ×6, first 2 shown]
	ds_load_2addr_b64 v[45:48], v163 offset0:16 offset1:82
	ds_load_b128 v[102:105], v86 offset:4720
	ds_load_b128 v[106:109], v86 offset:4736
	;; [unrolled: 1-line block ×8, first 2 shown]
	s_waitcnt lgkmcnt(11)
	v_fma_f64 v[29:30], -v[75:76], v[29:30], v[153:154]
	v_fma_f64 v[57:58], -v[77:78], v[19:20], v[57:58]
	s_waitcnt lgkmcnt(10)
	v_fma_f64 v[33:34], -v[79:80], v[33:34], v[155:156]
	s_waitcnt lgkmcnt(9)
	v_fma_f64 v[41:42], -v[1:2], v[41:42], v[157:158]
	v_fma_f64 v[11:12], -v[63:64], v[11:12], v[145:146]
	;; [unrolled: 1-line block ×8, first 2 shown]
	s_waitcnt lgkmcnt(7)
	v_fma_f64 v[102:103], -v[3:4], v[102:103], v[159:160]
	v_fma_f64 v[154:155], -v[5:6], v[100:101], v[98:99]
	v_mul_f64 v[156:157], v[45:46], v[161:162]
	v_fma_f64 v[45:46], -v[61:62], v[39:40], v[37:38]
	ds_load_b128 v[7:10], v86 offset:7456
	ds_load_b128 v[19:22], v86 offset:6464
	;; [unrolled: 1-line block ×7, first 2 shown]
	s_waitcnt lgkmcnt(6)
	v_fma_f64 v[7:8], -v[67:68], v[7:8], v[142:143]
	v_fma_f64 v[11:12], -v[65:66], v[13:14], v[11:12]
	;; [unrolled: 1-line block ×5, first 2 shown]
	s_waitcnt lgkmcnt(5)
	v_fma_f64 v[19:20], -v[75:76], v[19:20], v[148:149]
	v_fma_f64 v[23:24], -v[77:78], v[31:32], v[29:30]
	v_fma_f64 v[29:30], -v[79:80], v[53:54], v[57:58]
	v_fma_f64 v[31:32], -v[81:82], v[35:36], v[33:34]
	s_waitcnt lgkmcnt(4)
	v_fma_f64 v[25:26], -v[1:2], v[25:26], v[150:151]
	v_fma_f64 v[33:34], -v[83:84], v[43:44], v[41:42]
	v_fma_f64 v[35:36], -v[3:4], v[49:50], v[152:153]
	v_fma_f64 v[41:42], -v[5:6], v[104:105], v[102:103]
	s_waitcnt lgkmcnt(3)
	v_fma_f64 v[37:38], -v[156:157], v[37:38], v[154:155]
	v_fma_f64 v[43:44], -v[63:64], v[94:95], v[45:46]
	v_fma_f64 v[49:50], -v[69:70], v[9:10], v[7:8]
	v_fma_f64 v[45:46], -v[67:68], v[134:135], v[11:12]
	v_fma_f64 v[53:54], -v[71:72], v[130:131], v[13:14]
	v_fma_f64 v[57:58], -v[73:74], v[92:93], v[15:16]
	;; [unrolled: 1-line block ×11, first 2 shown]
	v_mul_f64 v[130:131], v[39:40], v[37:38]
	v_fma_f64 v[39:40], -v[65:66], v[96:97], v[43:44]
	ds_load_b128 v[7:10], v86 offset:6976
	ds_load_b128 v[11:14], v86 offset:5984
	;; [unrolled: 1-line block ×8, first 2 shown]
	v_fma_f64 v[134:135], -v[69:70], v[136:137], v[45:46]
	s_waitcnt lgkmcnt(8)
	v_fma_f64 v[136:137], -v[71:72], v[138:139], v[49:50]
	v_fma_f64 v[132:133], -v[73:74], v[132:133], v[53:54]
	s_waitcnt lgkmcnt(7)
	v_fma_f64 v[7:8], -v[75:76], v[7:8], v[57:58]
	v_fma_f64 v[57:58], -v[77:78], v[128:129], v[90:91]
	v_fma_f64 v[110:111], -v[79:80], v[110:111], v[92:93]
	v_fma_f64 v[138:139], -v[81:82], v[124:125], v[94:95]
	s_waitcnt lgkmcnt(6)
	v_fma_f64 v[11:12], -v[1:2], v[11:12], v[55:56]
	v_fma_f64 v[142:143], -v[83:84], v[120:121], v[102:103]
	;; [unrolled: 5-line block ×3, first 2 shown]
	s_waitcnt lgkmcnt(4)
	v_fma_f64 v[19:20], -v[67:68], v[19:20], v[39:40]
	ds_load_b128 v[39:42], v86 offset:7728
	ds_load_b128 v[43:46], v86 offset:7232
	;; [unrolled: 1-line block ×12, first 2 shown]
	s_waitcnt lgkmcnt(11)
	v_fma_f64 v[39:40], -v[71:72], v[39:40], v[134:135]
	v_fma_f64 v[134:135], -v[73:74], v[140:141], v[136:137]
	s_waitcnt lgkmcnt(10)
	v_fma_f64 v[43:44], -v[75:76], v[43:44], v[132:133]
	v_fma_f64 v[132:133], -v[77:78], v[9:10], v[7:8]
	;; [unrolled: 3-line block ×6, first 2 shown]
	v_mul_f64 v[140:141], v[47:48], v[146:147]
	v_fma_f64 v[142:143], -v[69:70], v[21:22], v[19:20]
	ds_load_b128 v[7:10], v86 offset:7488
	ds_load_b128 v[11:14], v86 offset:6496
	;; [unrolled: 1-line block ×6, first 2 shown]
	v_fma_f64 v[39:40], -v[73:74], v[41:42], v[39:40]
	s_waitcnt lgkmcnt(5)
	v_fma_f64 v[7:8], -v[75:76], v[7:8], v[134:135]
	v_fma_f64 v[41:42], -v[77:78], v[45:46], v[43:44]
	v_fma_f64 v[31:32], -v[79:80], v[31:32], v[132:133]
	v_fma_f64 v[43:44], -v[81:82], v[51:52], v[57:58]
	s_waitcnt lgkmcnt(4)
	v_fma_f64 v[11:12], -v[1:2], v[11:12], v[110:111]
	v_fma_f64 v[45:46], -v[83:84], v[55:56], v[53:54]
	v_fma_f64 v[27:28], -v[3:4], v[27:28], v[112:113]
	;; [unrolled: 5-line block ×3, first 2 shown]
	v_fma_f64 v[35:36], -v[71:72], v[35:36], v[142:143]
	v_fma_f64 v[39:40], -v[75:76], v[126:127], v[39:40]
	;; [unrolled: 1-line block ×12, first 2 shown]
	v_mul_f64 v[118:119], v[25:26], v[23:24]
	v_fma_f64 v[35:36], -v[73:74], v[37:38], v[35:36]
	ds_load_b128 v[7:10], v86 offset:7008
	ds_load_b128 v[11:14], v86 offset:6016
	;; [unrolled: 1-line block ×6, first 2 shown]
	v_fma_f64 v[122:123], -v[77:78], v[128:129], v[39:40]
	s_waitcnt lgkmcnt(6)
	v_fma_f64 v[98:99], -v[79:80], v[98:99], v[55:56]
	v_fma_f64 v[124:125], -v[81:82], v[124:125], v[41:42]
	s_waitcnt lgkmcnt(5)
	v_fma_f64 v[7:8], -v[1:2], v[7:8], v[57:58]
	v_fma_f64 v[120:121], -v[83:84], v[120:121], v[43:44]
	v_fma_f64 v[47:48], -v[3:4], v[47:48], v[90:91]
	v_fma_f64 v[126:127], -v[5:6], v[116:117], v[45:46]
	s_waitcnt lgkmcnt(4)
	v_fma_f64 v[11:12], -v[156:157], v[11:12], v[92:93]
	v_fma_f64 v[128:129], -v[130:131], v[108:109], v[51:52]
	;; [unrolled: 1-line block ×4, first 2 shown]
	s_waitcnt lgkmcnt(3)
	v_fma_f64 v[15:16], -v[75:76], v[15:16], v[35:36]
	ds_load_b128 v[35:38], v86 offset:7760
	ds_load_b128 v[39:42], v86 offset:7264
	;; [unrolled: 1-line block ×5, first 2 shown]
	ds_load_2addr_b64 v[90:93], v163 offset0:148 offset1:214
	ds_load_b128 v[94:97], v86 offset:5792
	ds_load_b128 v[102:105], v86 offset:6288
	;; [unrolled: 1-line block ×5, first 2 shown]
	s_waitcnt lgkmcnt(10)
	v_fma_f64 v[35:36], -v[79:80], v[35:36], v[122:123]
	v_fma_f64 v[98:99], -v[81:82], v[100:101], v[98:99]
	s_waitcnt lgkmcnt(9)
	v_fma_f64 v[39:40], -v[1:2], v[39:40], v[124:125]
	v_fma_f64 v[100:101], -v[83:84], v[9:10], v[7:8]
	;; [unrolled: 3-line block ×5, first 2 shown]
	s_waitcnt lgkmcnt(5)
	v_mul_f64 v[90:91], v[90:91], v[132:133]
	v_fma_f64 v[126:127], -v[77:78], v[17:18], v[15:16]
	ds_load_b128 v[7:10], v86 offset:7520
	ds_load_b128 v[11:14], v86 offset:6528
	;; [unrolled: 1-line block ×5, first 2 shown]
	v_fma_f64 v[35:36], -v[81:82], v[37:38], v[35:36]
	s_waitcnt lgkmcnt(4)
	v_fma_f64 v[7:8], -v[1:2], v[7:8], v[98:99]
	v_fma_f64 v[37:38], -v[83:84], v[41:42], v[39:40]
	v_fma_f64 v[27:28], -v[3:4], v[27:28], v[100:101]
	v_fma_f64 v[39:40], -v[5:6], v[45:46], v[43:44]
	s_waitcnt lgkmcnt(3)
	v_fma_f64 v[11:12], -v[156:157], v[11:12], v[120:121]
	v_fma_f64 v[41:42], -v[130:131], v[53:54], v[51:52]
	v_fma_f64 v[23:24], -v[140:141], v[23:24], v[122:123]
	;; [unrolled: 5-line block ×3, first 2 shown]
	v_fma_f64 v[45:46], -v[83:84], v[9:10], v[7:8]
	v_fma_f64 v[37:38], -v[3:4], v[110:111], v[37:38]
	;; [unrolled: 1-line block ×8, first 2 shown]
	v_mul_f64 v[106:107], v[17:18], v[15:16]
	v_fma_f64 v[57:58], -v[81:82], v[33:34], v[31:32]
	ds_load_b128 v[7:10], v86 offset:7040
	ds_load_b128 v[11:14], v86 offset:6048
	ds_load_b128 v[15:18], v86 offset:8032
	ds_load_b128 v[23:26], v86 offset:6064
	ds_load_b128 v[27:30], v86 offset:7056
	ds_load_b128 v[31:34], v86 offset:8048
	v_fma_f64 v[110:111], -v[83:84], v[116:117], v[35:36]
	s_waitcnt lgkmcnt(6)
	v_fma_f64 v[47:48], -v[3:4], v[47:48], v[45:46]
	v_fma_f64 v[112:113], -v[5:6], v[112:113], v[37:38]
	s_waitcnt lgkmcnt(5)
	v_fma_f64 v[7:8], -v[156:157], v[7:8], v[51:52]
	v_fma_f64 v[108:109], -v[130:131], v[108:109], v[39:40]
	;; [unrolled: 1-line block ×4, first 2 shown]
	s_waitcnt lgkmcnt(4)
	v_fma_f64 v[11:12], -v[90:91], v[11:12], v[55:56]
	v_fma_f64 v[116:117], -v[106:107], v[96:97], v[43:44]
	s_waitcnt lgkmcnt(3)
	v_fma_f64 v[15:16], -v[1:2], v[15:16], v[57:58]
	ds_load_b128 v[35:38], v86 offset:7792
	ds_load_b128 v[39:42], v86 offset:7296
	;; [unrolled: 1-line block ×8, first 2 shown]
	s_waitcnt lgkmcnt(7)
	v_fma_f64 v[35:36], -v[3:4], v[35:36], v[110:111]
	v_fma_f64 v[47:48], -v[5:6], v[49:50], v[47:48]
	s_waitcnt lgkmcnt(6)
	v_fma_f64 v[39:40], -v[156:157], v[39:40], v[112:113]
	v_fma_f64 v[49:50], -v[130:131], v[9:10], v[7:8]
	;; [unrolled: 3-line block ×4, first 2 shown]
	v_mul_f64 v[92:93], v[92:93], v[116:117]
	v_fma_f64 v[112:113], -v[83:84], v[17:18], v[15:16]
	ds_load_b128 v[7:10], v86 offset:7552
	ds_load_b128 v[11:14], v86 offset:6560
	ds_load_b128 v[15:18], v86 offset:6576
	ds_load_b128 v[19:22], v86 offset:7568
	v_fma_f64 v[35:36], -v[5:6], v[37:38], v[35:36]
	s_waitcnt lgkmcnt(3)
	v_fma_f64 v[7:8], -v[156:157], v[7:8], v[47:48]
	v_fma_f64 v[37:38], -v[130:131], v[41:42], v[39:40]
	;; [unrolled: 1-line block ×4, first 2 shown]
	s_waitcnt lgkmcnt(2)
	v_fma_f64 v[11:12], -v[90:91], v[11:12], v[108:109]
	v_fma_f64 v[41:42], -v[106:107], v[53:54], v[51:52]
	;; [unrolled: 1-line block ×11, first 2 shown]
	v_mul_f64 v[94:95], v[25:26], v[23:24]
	v_fma_f64 v[31:32], -v[5:6], v[33:34], v[31:32]
	ds_load_b128 v[7:10], v86 offset:7072
	ds_load_b128 v[11:14], v86 offset:8064
	;; [unrolled: 1-line block ×4, first 2 shown]
	v_fma_f64 v[98:99], -v[130:131], v[104:105], v[35:36]
	s_waitcnt lgkmcnt(4)
	v_fma_f64 v[19:20], -v[140:141], v[19:20], v[43:44]
	v_fma_f64 v[100:101], -v[118:119], v[100:101], v[37:38]
	s_waitcnt lgkmcnt(3)
	v_fma_f64 v[7:8], -v[90:91], v[7:8], v[45:46]
	v_fma_f64 v[96:97], -v[106:107], v[96:97], v[39:40]
	;; [unrolled: 1-line block ×3, first 2 shown]
	v_add_nc_u32_e64 v104, 0x1800, 0
	v_fma_f64 v[102:103], -v[94:95], v[57:58], v[41:42]
	s_waitcnt lgkmcnt(2)
	v_fma_f64 v[11:12], -v[156:157], v[11:12], v[31:32]
	ds_load_b128 v[31:34], v86 offset:7824
	ds_load_b128 v[35:38], v86 offset:7328
	;; [unrolled: 1-line block ×3, first 2 shown]
	ds_load_2addr_b64 v[43:46], v104 offset0:24 offset1:90
	ds_load_b128 v[47:50], v86 offset:6848
	ds_load_b128 v[51:54], v86 offset:7344
	;; [unrolled: 1-line block ×3, first 2 shown]
	v_fma_f64 v[19:20], -v[118:119], v[21:22], v[19:20]
	s_waitcnt lgkmcnt(5)
	v_fma_f64 v[21:22], -v[90:91], v[35:36], v[100:101]
	v_fma_f64 v[31:32], -v[140:141], v[31:32], v[98:99]
	;; [unrolled: 1-line block ×3, first 2 shown]
	s_waitcnt lgkmcnt(4)
	v_fma_f64 v[39:40], -v[92:93], v[39:40], v[96:97]
	v_fma_f64 v[96:97], -v[94:95], v[17:18], v[15:16]
	s_waitcnt lgkmcnt(3)
	v_mul_f64 v[43:44], v[43:44], v[102:103]
	v_fma_f64 v[98:99], -v[130:131], v[13:14], v[11:12]
	ds_load_b128 v[7:10], v86 offset:7584
	ds_load_b128 v[11:14], v86 offset:6592
	ds_load_b128 v[15:18], v86 offset:7600
	s_waitcnt lgkmcnt(2)
	v_fma_f64 v[7:8], -v[90:91], v[7:8], v[19:20]
	v_fma_f64 v[19:20], -v[106:107], v[37:38], v[21:22]
	;; [unrolled: 1-line block ×5, first 2 shown]
	s_waitcnt lgkmcnt(1)
	v_fma_f64 v[11:12], -v[43:44], v[11:12], v[96:97]
	v_fma_f64 v[27:28], -v[140:141], v[27:28], v[98:99]
	;; [unrolled: 1-line block ×7, first 2 shown]
	v_mul_f64 v[47:48], v[13:14], v[11:12]
	v_fma_f64 v[27:28], -v[118:119], v[29:30], v[27:28]
	ds_load_b128 v[7:10], v86 offset:7104
	ds_load_b128 v[11:14], v86 offset:8096
	;; [unrolled: 1-line block ×4, first 2 shown]
	s_waitcnt lgkmcnt(4)
	v_fma_f64 v[15:16], -v[92:93], v[15:16], v[33:34]
	v_fma_f64 v[53:54], -v[94:95], v[53:54], v[35:36]
	;; [unrolled: 1-line block ×3, first 2 shown]
	s_waitcnt lgkmcnt(3)
	v_fma_f64 v[7:8], -v[43:44], v[7:8], v[37:38]
	v_fma_f64 v[49:50], -v[47:48], v[49:50], v[39:40]
	s_waitcnt lgkmcnt(2)
	v_fma_f64 v[11:12], -v[90:91], v[11:12], v[27:28]
	ds_load_b128 v[27:30], v86 offset:7856
	ds_load_b128 v[31:34], v86 offset:7360
	;; [unrolled: 1-line block ×4, first 2 shown]
	v_fma_f64 v[15:16], -v[94:95], v[17:18], v[15:16]
	s_waitcnt lgkmcnt(2)
	v_fma_f64 v[17:18], -v[43:44], v[31:32], v[53:54]
	v_fma_f64 v[27:28], -v[92:93], v[27:28], v[51:52]
	;; [unrolled: 1-line block ×3, first 2 shown]
	v_mul_f64 v[45:46], v[45:46], v[49:50]
	v_fma_f64 v[49:50], -v[106:107], v[13:14], v[11:12]
	ds_load_b128 v[7:10], v86 offset:7616
	ds_load_b128 v[11:14], v86 offset:7632
	s_waitcnt lgkmcnt(1)
	v_fma_f64 v[7:8], -v[43:44], v[7:8], v[15:16]
	v_fma_f64 v[27:28], -v[94:95], v[29:30], v[27:28]
	;; [unrolled: 1-line block ×5, first 2 shown]
	s_delay_alu instid0(VALU_DEP_4)
	v_fma_f64 v[23:24], -v[43:44], v[39:40], v[27:28]
	v_fma_f64 v[27:28], -v[47:48], v[9:10], v[7:8]
	;; [unrolled: 1-line block ×3, first 2 shown]
	v_mul_f64 v[31:32], v[21:22], v[17:18]
	v_fma_f64 v[19:20], -v[94:95], v[25:26], v[19:20]
	ds_load_b128 v[7:10], v86 offset:8128
	ds_load_b128 v[15:18], v86 offset:8144
	v_fma_f64 v[33:34], -v[47:48], v[41:42], v[23:24]
	s_waitcnt lgkmcnt(2)
	v_fma_f64 v[11:12], -v[45:46], v[11:12], v[27:28]
	v_fma_f64 v[35:36], -v[31:32], v[37:38], v[29:30]
	s_waitcnt lgkmcnt(1)
	v_fma_f64 v[7:8], -v[43:44], v[7:8], v[19:20]
	ds_load_b128 v[19:22], v86 offset:7888
	ds_load_2addr_b64 v[23:26], v104 offset0:156 offset1:222
	ds_load_b128 v[27:30], v86 offset:7904
	s_waitcnt lgkmcnt(2)
	v_fma_f64 v[19:20], -v[45:46], v[19:20], v[33:34]
	v_fma_f64 v[11:12], -v[31:32], v[13:14], v[11:12]
	s_waitcnt lgkmcnt(1)
	v_mul_f64 v[23:24], v[23:24], v[35:36]
	v_fma_f64 v[13:14], -v[47:48], v[9:10], v[7:8]
	ds_load_b128 v[7:10], v86 offset:7648
	v_fma_f64 v[19:20], -v[31:32], v[21:22], v[19:20]
	s_waitcnt lgkmcnt(0)
	v_fma_f64 v[7:8], -v[23:24], v[7:8], v[11:12]
	v_fma_f64 v[11:12], -v[45:46], v[15:16], v[13:14]
	s_delay_alu instid0(VALU_DEP_3) | instskip(NEXT) | instid1(VALU_DEP_3)
	v_fma_f64 v[15:16], -v[23:24], v[27:28], v[19:20]
	v_mul_f64 v[19:20], v[9:10], v[7:8]
	s_delay_alu instid0(VALU_DEP_3)
	v_fma_f64 v[17:18], -v[31:32], v[17:18], v[11:12]
	ds_load_b128 v[7:10], v86 offset:8160
	ds_load_b128 v[11:14], v86 offset:8176
	ds_store_2addr_b64 v85, v[59:60], v[61:62] offset1:32
	ds_store_2addr_b64 v85, v[63:64], v[65:66] offset0:64 offset1:96
	ds_store_2addr_b64 v85, v[67:68], v[69:70] offset0:128 offset1:160
	ds_store_2addr_b64 v85, v[71:72], v[73:74] offset0:192 offset1:224
	ds_store_2addr_b64 v87, v[75:76], v[77:78] offset1:32
	ds_store_2addr_b64 v87, v[79:80], v[81:82] offset0:64 offset1:96
	ds_store_2addr_b64 v87, v[1:2], v[83:84] offset0:128 offset1:160
	ds_store_2addr_b64 v87, v[3:4], v[5:6] offset0:192 offset1:224
	;; [unrolled: 4-line block ×3, first 2 shown]
	ds_store_2addr_b64 v89, v[43:44], v[47:48] offset1:32
	ds_store_2addr_b64 v89, v[45:46], v[31:32] offset0:64 offset1:96
	ds_store_2addr_b64 v89, v[23:24], v[19:20] offset0:128 offset1:160
	v_fma_f64 v[15:16], -v[19:20], v[29:30], v[15:16]
	s_waitcnt lgkmcnt(16)
	v_fma_f64 v[7:8], -v[23:24], v[7:8], v[17:18]
	s_delay_alu instid0(VALU_DEP_2) | instskip(NEXT) | instid1(VALU_DEP_2)
	v_mul_f64 v[15:16], v[25:26], v[15:16]
	v_fma_f64 v[7:8], -v[19:20], v[9:10], v[7:8]
	s_waitcnt lgkmcnt(15)
	s_delay_alu instid0(VALU_DEP_1) | instskip(NEXT) | instid1(VALU_DEP_1)
	v_fma_f64 v[7:8], -v[15:16], v[11:12], v[7:8]
	v_mul_f64 v[7:8], v[13:14], v[7:8]
	ds_store_2addr_b64 v89, v[15:16], v[7:8] offset0:192 offset1:224
.LBB102_20:
	s_cmp_lt_i32 s8, s28
	s_cbranch_scc0 .LBB102_37
; %bb.21:
	s_or_b32 s9, s8, 27
	s_delay_alu instid0(SALU_CYCLE_1)
	s_cmp_ge_u32 s9, s28
	s_cbranch_scc1 .LBB102_26
; %bb.22:
	v_lshlrev_b32_e32 v1, 3, v0
	s_lshl_b32 s19, s9, 5
	s_and_not1_b32 vcc_lo, exec_lo, s4
	v_or_b32_e32 v2, s19, v0
	s_delay_alu instid0(VALU_DEP_2) | instskip(NEXT) | instid1(VALU_DEP_2)
	v_lshl_or_b32 v57, s8, 8, v1
	v_lshlrev_b32_e32 v59, 3, v2
	s_delay_alu instid0(VALU_DEP_2)
	v_add_nc_u32_e32 v1, 0x2000, v57
	v_add_nc_u32_e32 v3, 0x2800, v57
	;; [unrolled: 1-line block ×3, first 2 shown]
	ds_load_2addr_b64 v[49:52], v1 offset1:32
	ds_load_2addr_b64 v[45:48], v1 offset0:64 offset1:96
	ds_load_2addr_b64 v[41:44], v1 offset0:128 offset1:160
	;; [unrolled: 1-line block ×3, first 2 shown]
	ds_load_2addr_b64 v[33:36], v3 offset1:32
	ds_load_2addr_b64 v[29:32], v3 offset0:64 offset1:96
	ds_load_2addr_b64 v[25:28], v3 offset0:128 offset1:160
	;; [unrolled: 1-line block ×3, first 2 shown]
	ds_load_2addr_b64 v[17:20], v4 offset1:32
	v_add_nc_u32_e32 v1, 0x3800, v57
	ds_load_2addr_b64 v[13:16], v4 offset0:64 offset1:96
	ds_load_2addr_b64 v[9:12], v4 offset0:128 offset1:160
	;; [unrolled: 1-line block ×3, first 2 shown]
	ds_load_2addr_b64 v[1:4], v1 offset1:32
	ds_load_b64 v[55:56], v57 offset:14848
	ds_load_b64 v[53:54], v59 offset:8192
	s_cbranch_vccnz .LBB102_25
; %bb.23:
	v_lshl_or_b32 v58, v0, 3, 0x2000
	s_lshl_b32 s4, s8, 8
	s_mov_b32 s9, 0
.LBB102_24:                             ; =>This Inner Loop Header: Depth=1
	v_mov_b32_e32 v72, s4
	v_add_nc_u32_e64 v88, 0x800, s4
	v_add_nc_u32_e64 v104, 0x1000, s4
	;; [unrolled: 1-line block ×3, first 2 shown]
	ds_load_b64 v[116:117], v58
	ds_load_2addr_b64 v[60:63], v72 offset1:32
	ds_load_2addr_b64 v[64:67], v72 offset0:64 offset1:96
	ds_load_2addr_b64 v[68:71], v72 offset0:128 offset1:160
	ds_load_2addr_b64 v[72:75], v72 offset0:192 offset1:224
	ds_load_2addr_b64 v[76:79], v88 offset1:32
	ds_load_2addr_b64 v[80:83], v88 offset0:64 offset1:96
	ds_load_2addr_b64 v[84:87], v88 offset0:128 offset1:160
	ds_load_2addr_b64 v[88:91], v88 offset0:192 offset1:224
	;; [unrolled: 4-line block ×3, first 2 shown]
	ds_load_2addr_b64 v[108:111], v112 offset1:32
	ds_load_2addr_b64 v[112:115], v112 offset0:64 offset1:96
	v_add_nc_u32_e32 v58, 0x100, v58
	s_add_i32 s9, s9, 1
	s_add_i32 s4, s4, 8
	s_cmp_lt_u32 s9, s8
	s_waitcnt lgkmcnt(13)
	v_fma_f64 v[49:50], -v[116:117], v[60:61], v[49:50]
	v_fma_f64 v[51:52], -v[116:117], v[62:63], v[51:52]
	s_waitcnt lgkmcnt(12)
	v_fma_f64 v[45:46], -v[116:117], v[64:65], v[45:46]
	v_fma_f64 v[47:48], -v[116:117], v[66:67], v[47:48]
	s_waitcnt lgkmcnt(11)
	v_fma_f64 v[41:42], -v[116:117], v[68:69], v[41:42]
	v_fma_f64 v[43:44], -v[116:117], v[70:71], v[43:44]
	s_waitcnt lgkmcnt(10)
	v_fma_f64 v[37:38], -v[116:117], v[72:73], v[37:38]
	v_fma_f64 v[39:40], -v[116:117], v[74:75], v[39:40]
	s_waitcnt lgkmcnt(9)
	v_fma_f64 v[33:34], -v[116:117], v[76:77], v[33:34]
	v_fma_f64 v[35:36], -v[116:117], v[78:79], v[35:36]
	s_waitcnt lgkmcnt(8)
	v_fma_f64 v[29:30], -v[116:117], v[80:81], v[29:30]
	v_fma_f64 v[31:32], -v[116:117], v[82:83], v[31:32]
	s_waitcnt lgkmcnt(7)
	v_fma_f64 v[25:26], -v[116:117], v[84:85], v[25:26]
	v_fma_f64 v[27:28], -v[116:117], v[86:87], v[27:28]
	s_waitcnt lgkmcnt(6)
	v_fma_f64 v[21:22], -v[116:117], v[88:89], v[21:22]
	v_fma_f64 v[23:24], -v[116:117], v[90:91], v[23:24]
	s_waitcnt lgkmcnt(5)
	v_fma_f64 v[17:18], -v[116:117], v[92:93], v[17:18]
	v_fma_f64 v[19:20], -v[116:117], v[94:95], v[19:20]
	s_waitcnt lgkmcnt(4)
	v_fma_f64 v[13:14], -v[116:117], v[96:97], v[13:14]
	v_fma_f64 v[15:16], -v[116:117], v[98:99], v[15:16]
	s_waitcnt lgkmcnt(3)
	v_fma_f64 v[9:10], -v[116:117], v[100:101], v[9:10]
	v_fma_f64 v[11:12], -v[116:117], v[102:103], v[11:12]
	s_waitcnt lgkmcnt(2)
	v_fma_f64 v[5:6], -v[116:117], v[104:105], v[5:6]
	v_fma_f64 v[7:8], -v[116:117], v[106:107], v[7:8]
	s_waitcnt lgkmcnt(1)
	v_fma_f64 v[1:2], -v[116:117], v[108:109], v[1:2]
	v_fma_f64 v[3:4], -v[116:117], v[110:111], v[3:4]
	s_waitcnt lgkmcnt(0)
	v_fma_f64 v[55:56], -v[116:117], v[112:113], v[55:56]
	v_fma_f64 v[53:54], -v[116:117], v[114:115], v[53:54]
	s_cbranch_scc1 .LBB102_24
.LBB102_25:
	s_mul_i32 s36, s8, 0x108
	s_delay_alu instid0(SALU_CYCLE_1)
	v_dual_mov_b32 v79, s36 :: v_dual_add_nc_u32 v58, 0x2000, v57
	v_add_nc_u32_e32 v57, 0x2000, v59
	s_lshl_b32 s31, s8, 5
	s_or_b32 s37, s8, 16
	s_or_b32 s4, s31, 32
	ds_load_2addr_b64 v[59:62], v79 offset1:66
	s_add_i32 s9, s4, s8
	s_or_b32 s39, s8, 18
	s_lshl_b32 s9, s9, 3
	s_or_b32 s41, s8, 20
	s_or_b32 s44, s8, 22
	;; [unrolled: 1-line block ×4, first 2 shown]
	s_add_i32 s19, s19, s8
	s_delay_alu instid0(SALU_CYCLE_1) | instskip(NEXT) | instid1(SALU_CYCLE_1)
	s_lshl_b32 s19, s19, 3
	v_mov_b32_e32 v159, s19
	s_mul_i32 s19, s37, 0x108
	s_waitcnt lgkmcnt(0)
	v_mul_f64 v[49:50], v[59:60], v[49:50]
	v_mov_b32_e32 v59, s9
	s_or_b32 s9, s31, 64
	s_delay_alu instid0(SALU_CYCLE_1) | instskip(SKIP_2) | instid1(SALU_CYCLE_1)
	s_or_b32 s12, s9, s8
	ds_load_b128 v[63:66], v59
	s_lshl_b32 s12, s12, 3
	v_mov_b32_e32 v59, s12
	s_or_b32 s12, s31, 0x60
	s_delay_alu instid0(SALU_CYCLE_1)
	s_add_i32 s13, s12, s8
	ds_load_b128 v[67:70], v59
	s_lshl_b32 s13, s13, 3
	s_waitcnt lgkmcnt(1)
	v_fma_f64 v[51:52], -v[49:50], v[63:64], v[51:52]
	s_waitcnt lgkmcnt(0)
	v_fma_f64 v[59:60], -v[49:50], v[67:68], v[45:46]
	s_delay_alu instid0(VALU_DEP_2)
	v_mul_f64 v[45:46], v[65:66], v[51:52]
	v_mov_b32_e32 v51, s13
	s_or_b32 s13, s31, 0x80
	ds_load_b128 v[63:66], v51
	ds_load_b128 v[71:74], v51 offset:16
	s_or_b32 s14, s13, s8
	s_delay_alu instid0(SALU_CYCLE_1)
	s_lshl_b32 s14, s14, 3
	s_waitcnt lgkmcnt(1)
	v_fma_f64 v[47:48], -v[49:50], v[63:64], v[47:48]
	v_fma_f64 v[51:52], -v[45:46], v[69:70], v[59:60]
	v_mov_b32_e32 v59, s14
	s_or_b32 s14, s31, 0xa0
	ds_load_b128 v[67:70], v59
	ds_load_b128 v[75:78], v59 offset:16
	s_add_i32 s15, s14, s8
	s_delay_alu instid0(SALU_CYCLE_1) | instskip(NEXT) | instid1(SALU_CYCLE_1)
	s_lshl_b32 s15, s15, 3
	v_mov_b32_e32 v91, s15
	s_or_b32 s15, s31, 0xc0
	s_delay_alu instid0(SALU_CYCLE_1) | instskip(NEXT) | instid1(SALU_CYCLE_1)
	s_or_b32 s20, s15, s8
	s_lshl_b32 s20, s20, 3
	s_delay_alu instid0(SALU_CYCLE_1) | instskip(SKIP_1) | instid1(SALU_CYCLE_1)
	v_mov_b32_e32 v83, s20
	s_or_b32 s20, s31, 0xe0
	s_add_i32 s21, s20, s8
	s_delay_alu instid0(SALU_CYCLE_1)
	s_lshl_b32 s21, s21, 3
	s_waitcnt lgkmcnt(1)
	v_fma_f64 v[67:68], -v[49:50], v[67:68], v[41:42]
	v_fma_f64 v[47:48], -v[45:46], v[65:66], v[47:48]
	v_mov_b32_e32 v95, s21
	s_or_b32 s21, s31, 0x100
	s_delay_alu instid0(SALU_CYCLE_1) | instskip(NEXT) | instid1(SALU_CYCLE_1)
	s_or_b32 s22, s21, s8
	s_lshl_b32 s22, s22, 3
	s_delay_alu instid0(SALU_CYCLE_1) | instskip(SKIP_1) | instid1(SALU_CYCLE_1)
	v_mov_b32_e32 v96, s22
	s_or_b32 s22, s31, 0x120
	s_add_i32 s23, s22, s8
	v_mul_f64 v[41:42], v[61:62], v[51:52]
	ds_load_b128 v[59:62], v91
	ds_load_b128 v[63:66], v91 offset:16
	s_lshl_b32 s23, s23, 3
	s_waitcnt lgkmcnt(1)
	v_fma_f64 v[43:44], -v[49:50], v[59:60], v[43:44]
	v_fma_f64 v[51:52], -v[45:46], v[69:70], v[67:68]
	ds_load_b128 v[67:70], v83
	v_fma_f64 v[47:48], -v[41:42], v[71:72], v[47:48]
	s_waitcnt lgkmcnt(0)
	v_fma_f64 v[67:68], -v[49:50], v[67:68], v[37:38]
	v_fma_f64 v[43:44], -v[45:46], v[61:62], v[43:44]
	;; [unrolled: 1-line block ×3, first 2 shown]
	s_delay_alu instid0(VALU_DEP_4)
	v_mul_f64 v[37:38], v[73:74], v[47:48]
	ds_load_b128 v[59:62], v95
	ds_load_b128 v[71:74], v95 offset:16
	v_fma_f64 v[47:48], -v[45:46], v[69:70], v[67:68]
	s_waitcnt lgkmcnt(1)
	v_fma_f64 v[39:40], -v[49:50], v[59:60], v[39:40]
	v_fma_f64 v[43:44], -v[41:42], v[63:64], v[43:44]
	;; [unrolled: 1-line block ×3, first 2 shown]
	ds_load_b128 v[67:70], v96
	ds_load_b128 v[75:78], v83 offset:16
	ds_load_2addr_b64 v[79:82], v79 offset0:132 offset1:198
	ds_load_b128 v[83:86], v83 offset:32
	ds_load_b128 v[87:90], v96 offset:16
	s_waitcnt lgkmcnt(4)
	v_fma_f64 v[67:68], -v[49:50], v[67:68], v[33:34]
	s_waitcnt lgkmcnt(3)
	v_fma_f64 v[47:48], -v[41:42], v[75:76], v[47:48]
	v_fma_f64 v[39:40], -v[45:46], v[61:62], v[39:40]
	;; [unrolled: 1-line block ×3, first 2 shown]
	s_waitcnt lgkmcnt(2)
	v_mul_f64 v[33:34], v[79:80], v[51:52]
	v_mov_b32_e32 v51, s23
	s_or_b32 s23, s31, 0x140
	ds_load_b128 v[59:62], v51
	ds_load_b128 v[63:66], v91 offset:32
	ds_load_b128 v[91:94], v51 offset:16
	s_or_b32 s24, s23, s8
	s_delay_alu instid0(SALU_CYCLE_1)
	s_lshl_b32 s24, s24, 3
	v_fma_f64 v[75:76], -v[45:46], v[69:70], v[67:68]
	v_fma_f64 v[47:48], -v[37:38], v[77:78], v[47:48]
	v_fma_f64 v[39:40], -v[41:42], v[71:72], v[39:40]
	s_waitcnt lgkmcnt(2)
	v_fma_f64 v[59:60], -v[49:50], v[59:60], v[35:36]
	v_mov_b32_e32 v35, s24
	s_or_b32 s24, s31, 0x160
	v_add_nc_u32_e64 v36, 0x400, s36
	s_add_i32 s25, s24, s8
	ds_load_b128 v[67:70], v35
	s_lshl_b32 s25, s25, 3
	s_waitcnt lgkmcnt(2)
	v_fma_f64 v[43:44], -v[33:34], v[63:64], v[43:44]
	s_waitcnt lgkmcnt(0)
	v_fma_f64 v[67:68], -v[49:50], v[67:68], v[29:30]
	v_fma_f64 v[75:76], -v[41:42], v[87:88], v[75:76]
	;; [unrolled: 1-line block ×4, first 2 shown]
	v_mov_b32_e32 v40, s25
	s_or_b32 s25, s31, 0x180
	v_fma_f64 v[77:78], -v[45:46], v[61:62], v[59:60]
	s_or_b32 s26, s25, s8
	s_delay_alu instid0(SALU_CYCLE_1) | instskip(NEXT) | instid1(SALU_CYCLE_1)
	s_lshl_b32 s26, s26, 3
	v_mov_b32_e32 v39, s26
	s_or_b32 s26, s31, 0x1a0
	s_delay_alu instid0(SALU_CYCLE_1) | instskip(NEXT) | instid1(SALU_CYCLE_1)
	s_add_i32 s27, s26, s8
	s_lshl_b32 s27, s27, 3
	v_mul_f64 v[29:30], v[65:66], v[43:44]
	ds_load_b128 v[59:62], v40
	ds_load_b128 v[63:66], v95 offset:32
	ds_load_b64 v[103:104], v95 offset:48
	ds_load_b128 v[71:74], v40 offset:16
	v_fma_f64 v[43:44], -v[45:46], v[69:70], v[67:68]
	s_waitcnt lgkmcnt(3)
	v_fma_f64 v[31:32], -v[49:50], v[59:60], v[31:32]
	s_waitcnt lgkmcnt(2)
	v_fma_f64 v[63:64], -v[33:34], v[63:64], v[79:80]
	v_fma_f64 v[59:60], -v[41:42], v[91:92], v[77:78]
	;; [unrolled: 1-line block ×4, first 2 shown]
	ds_load_b128 v[67:70], v39
	ds_load_b128 v[75:78], v35 offset:16
	ds_load_b128 v[83:86], v96 offset:32
	;; [unrolled: 1-line block ×5, first 2 shown]
	s_waitcnt lgkmcnt(5)
	v_fma_f64 v[67:68], -v[49:50], v[67:68], v[25:26]
	s_waitcnt lgkmcnt(4)
	v_fma_f64 v[75:76], -v[41:42], v[75:76], v[43:44]
	v_fma_f64 v[31:32], -v[45:46], v[61:62], v[31:32]
	v_mov_b32_e32 v44, s27
	v_fma_f64 v[107:108], -v[29:30], v[65:66], v[63:64]
	s_or_b32 s27, s31, 0x1c0
	s_delay_alu instid0(SALU_CYCLE_1)
	s_or_b32 s30, s27, s8
	v_fma_f64 v[105:106], -v[37:38], v[93:94], v[59:60]
	s_waitcnt lgkmcnt(3)
	v_fma_f64 v[83:84], -v[33:34], v[83:84], v[91:92]
	ds_load_b128 v[59:62], v44
	ds_load_b128 v[63:66], v51 offset:32
	s_lshl_b32 s30, s30, 3
	s_delay_alu instid0(SALU_CYCLE_1) | instskip(SKIP_1) | instid1(SALU_CYCLE_1)
	v_mov_b32_e32 v52, s30
	s_or_b32 s30, s31, 0x1e0
	s_add_i32 s33, s30, s8
	s_delay_alu instid0(SALU_CYCLE_1) | instskip(NEXT) | instid1(SALU_CYCLE_1)
	s_lshl_b32 s33, s33, 3
	v_mov_b32_e32 v43, s33
	s_lshl_b32 s33, s37, 5
	v_mul_f64 v[25:26], v[81:82], v[47:48]
	ds_load_b128 v[79:82], v51 offset:48
	ds_load_b128 v[91:94], v44 offset:16
	s_or_b32 s34, s33, s8
	s_delay_alu instid0(SALU_CYCLE_1)
	s_lshl_b32 s34, s34, 3
	s_waitcnt lgkmcnt(3)
	v_fma_f64 v[27:28], -v[49:50], v[59:60], v[27:28]
	v_fma_f64 v[47:48], -v[45:46], v[69:70], v[67:68]
	v_fma_f64 v[59:60], -v[37:38], v[77:78], v[75:76]
	v_fma_f64 v[31:32], -v[41:42], v[71:72], v[31:32]
	ds_load_b128 v[67:70], v52
	ds_load_2addr_b64 v[75:78], v36 offset0:103 offset1:136
	s_waitcnt lgkmcnt(4)
	v_fma_f64 v[63:64], -v[33:34], v[63:64], v[105:106]
	v_fma_f64 v[71:72], -v[29:30], v[85:86], v[83:84]
	;; [unrolled: 1-line block ×3, first 2 shown]
	s_waitcnt lgkmcnt(1)
	v_fma_f64 v[21:22], -v[49:50], v[67:68], v[21:22]
	v_fma_f64 v[67:68], -v[45:46], v[61:62], v[27:28]
	;; [unrolled: 1-line block ×7, first 2 shown]
	ds_load_b128 v[59:62], v43
	ds_load_b128 v[63:66], v40 offset:32
	s_waitcnt lgkmcnt(2)
	v_mul_f64 v[27:28], v[75:76], v[83:84]
	v_fma_f64 v[75:76], -v[45:46], v[69:70], v[21:22]
	ds_load_b128 v[71:74], v40 offset:48
	ds_load_b128 v[83:86], v43 offset:16
	s_waitcnt lgkmcnt(3)
	v_fma_f64 v[59:60], -v[49:50], v[59:60], v[23:24]
	v_fma_f64 v[91:92], -v[41:42], v[91:92], v[67:68]
	;; [unrolled: 1-line block ×3, first 2 shown]
	v_mov_b32_e32 v47, s34
	s_waitcnt lgkmcnt(2)
	v_fma_f64 v[31:32], -v[33:34], v[63:64], v[31:32]
	v_fma_f64 v[63:64], -v[29:30], v[97:98], v[95:96]
	s_or_b32 s34, s31, 0x220
	s_delay_alu instid0(SALU_CYCLE_1) | instskip(SKIP_2) | instid1(SALU_CYCLE_1)
	s_add_i32 s35, s34, s8
	v_fma_f64 v[79:80], -v[25:26], v[79:80], v[99:100]
	s_lshl_b32 s35, s35, 3
	v_mov_b32_e32 v48, s35
	s_lshl_b32 s35, s39, 5
	s_delay_alu instid0(SALU_CYCLE_1) | instskip(NEXT) | instid1(SALU_CYCLE_1)
	s_or_b32 s38, s35, s8
	s_lshl_b32 s38, s38, 3
	v_fma_f64 v[117:118], -v[27:28], v[89:90], v[87:88]
	ds_load_b128 v[21:24], v47
	ds_load_b128 v[67:70], v52 offset:16
	ds_load_b128 v[87:90], v39 offset:32
	ds_load_b128 v[95:98], v35 offset:48
	ds_load_b128 v[99:102], v35 offset:64
	ds_load_b128 v[103:106], v39 offset:48
	ds_load_b128 v[107:110], v52 offset:32
	ds_load_b128 v[111:114], v47 offset:16
	s_waitcnt lgkmcnt(7)
	v_fma_f64 v[17:18], -v[49:50], v[21:22], v[17:18]
	v_fma_f64 v[21:22], -v[45:46], v[61:62], v[59:60]
	s_waitcnt lgkmcnt(6)
	v_fma_f64 v[35:36], -v[41:42], v[67:68], v[75:76]
	v_fma_f64 v[67:68], -v[37:38], v[93:94], v[91:92]
	;; [unrolled: 3-line block ×4, first 2 shown]
	ds_load_b128 v[59:62], v48
	ds_load_b128 v[63:66], v44 offset:32
	ds_load_b64 v[81:82], v51 offset:64
	v_mov_b32_e32 v51, s38
	v_mul_f64 v[31:32], v[77:78], v[117:118]
	ds_load_b128 v[75:78], v44 offset:48
	s_waitcnt lgkmcnt(3)
	v_fma_f64 v[95:96], -v[49:50], v[59:60], v[19:20]
	v_add_nc_u32_e64 v60, 0x800, s36
	s_or_b32 s36, s31, 0x260
	s_delay_alu instid0(SALU_CYCLE_1) | instskip(NEXT) | instid1(SALU_CYCLE_1)
	s_add_i32 s38, s36, s8
	s_lshl_b32 s38, s38, 3
	s_delay_alu instid0(SALU_CYCLE_1) | instskip(SKIP_1) | instid1(SALU_CYCLE_1)
	v_mov_b32_e32 v59, s38
	s_lshl_b32 s38, s41, 5
	s_or_b32 s40, s38, s8
	v_fma_f64 v[115:116], -v[45:46], v[23:24], v[17:18]
	v_fma_f64 v[83:84], -v[41:42], v[83:84], v[21:22]
	;; [unrolled: 1-line block ×3, first 2 shown]
	s_waitcnt lgkmcnt(2)
	v_fma_f64 v[63:64], -v[33:34], v[63:64], v[67:68]
	v_fma_f64 v[87:88], -v[29:30], v[89:90], v[87:88]
	v_fma_f64 v[71:72], -v[25:26], v[71:72], v[91:92]
	v_fma_f64 v[89:90], -v[27:28], v[97:98], v[93:94]
	ds_load_b128 v[17:20], v51
	ds_load_2addr_b64 v[21:24], v60 offset0:41 offset1:74
	ds_load_b128 v[67:70], v51 offset:16
	s_lshl_b32 s40, s40, 3
	s_waitcnt lgkmcnt(4)
	v_fma_f64 v[79:80], -v[31:32], v[81:82], v[79:80]
	s_waitcnt lgkmcnt(2)
	v_fma_f64 v[13:14], -v[49:50], v[17:18], v[13:14]
	v_fma_f64 v[17:18], -v[45:46], v[61:62], v[95:96]
	;; [unrolled: 1-line block ×9, first 2 shown]
	s_waitcnt lgkmcnt(1)
	v_mul_f64 v[35:36], v[21:22], v[79:80]
	ds_load_b128 v[61:64], v59
	ds_load_b128 v[71:74], v48 offset:16
	ds_load_b128 v[79:82], v43 offset:32
	;; [unrolled: 1-line block ×3, first 2 shown]
	ds_load_b64 v[123:124], v40 offset:80
	ds_load_b128 v[87:90], v43 offset:48
	ds_load_b128 v[91:94], v48 offset:32
	;; [unrolled: 1-line block ×3, first 2 shown]
	v_fma_f64 v[125:126], -v[45:46], v[19:20], v[13:14]
	s_waitcnt lgkmcnt(7)
	v_fma_f64 v[21:22], -v[49:50], v[61:62], v[15:16]
	s_waitcnt lgkmcnt(6)
	v_fma_f64 v[71:72], -v[41:42], v[71:72], v[17:18]
	v_fma_f64 v[127:128], -v[37:38], v[113:114], v[111:112]
	s_waitcnt lgkmcnt(5)
	v_fma_f64 v[79:80], -v[33:34], v[79:80], v[115:116]
	v_fma_f64 v[129:130], -v[29:30], v[109:110], v[107:108]
	;; [unrolled: 1-line block ×4, first 2 shown]
	s_waitcnt lgkmcnt(4)
	v_fma_f64 v[83:84], -v[31:32], v[83:84], v[117:118]
	v_mov_b32_e32 v61, s40
	s_or_b32 s40, s31, 0x2a0
	s_delay_alu instid0(SALU_CYCLE_1) | instskip(NEXT) | instid1(SALU_CYCLE_1)
	s_add_i32 s42, s40, s8
	s_lshl_b32 s42, s42, 3
	s_delay_alu instid0(SALU_CYCLE_1) | instskip(SKIP_1) | instid1(SALU_CYCLE_1)
	v_mov_b32_e32 v62, s42
	s_lshl_b32 s42, s44, 5
	s_or_b32 s43, s42, s8
	s_delay_alu instid0(SALU_CYCLE_1)
	s_lshl_b32 s43, s43, 3
	v_fma_f64 v[131:132], -v[35:36], v[101:102], v[99:100]
	ds_load_b128 v[13:16], v61
	ds_load_b128 v[17:20], v47 offset:32
	ds_load_b128 v[99:102], v52 offset:48
	;; [unrolled: 1-line block ×7, first 2 shown]
	v_fma_f64 v[67:68], -v[41:42], v[67:68], v[125:126]
	s_waitcnt lgkmcnt(7)
	v_fma_f64 v[9:10], -v[49:50], v[13:14], v[9:10]
	v_fma_f64 v[13:14], -v[45:46], v[63:64], v[21:22]
	;; [unrolled: 1-line block ×3, first 2 shown]
	s_waitcnt lgkmcnt(6)
	v_fma_f64 v[17:18], -v[33:34], v[17:18], v[127:128]
	v_fma_f64 v[79:80], -v[29:30], v[81:82], v[79:80]
	s_waitcnt lgkmcnt(5)
	v_fma_f64 v[81:82], -v[25:26], v[99:100], v[129:130]
	v_fma_f64 v[77:78], -v[27:28], v[77:78], v[65:66]
	;; [unrolled: 3-line block ×3, first 2 shown]
	v_mul_f64 v[39:40], v[23:24], v[131:132]
	ds_load_b128 v[21:24], v62
	ds_load_b128 v[63:66], v44 offset:64
	ds_load_b128 v[71:74], v44 offset:80
	v_fma_f64 v[9:10], -v[45:46], v[15:16], v[9:10]
	v_fma_f64 v[13:14], -v[41:42], v[95:96], v[13:14]
	s_waitcnt lgkmcnt(2)
	v_fma_f64 v[11:12], -v[49:50], v[21:22], v[11:12]
	v_fma_f64 v[15:16], -v[37:38], v[69:70], v[67:68]
	v_fma_f64 v[21:22], -v[33:34], v[91:92], v[125:126]
	v_fma_f64 v[17:18], -v[29:30], v[19:20], v[17:18]
	v_fma_f64 v[19:20], -v[25:26], v[87:88], v[79:80]
	v_fma_f64 v[87:88], -v[27:28], v[101:102], v[81:82]
	s_waitcnt lgkmcnt(1)
	v_fma_f64 v[91:92], -v[31:32], v[63:64], v[77:78]
	v_fma_f64 v[95:96], -v[35:36], v[105:106], v[75:76]
	v_mov_b32_e32 v63, s43
	ds_load_b128 v[67:70], v63
	ds_load_b128 v[75:78], v51 offset:32
	ds_load_2addr_b64 v[79:82], v60 offset0:107 offset1:140
	s_or_b32 s43, s31, 0x2e0
	s_or_b32 s31, s31, 0x320
	s_add_i32 s45, s43, s8
	v_fma_f64 v[103:104], -v[39:40], v[123:124], v[83:84]
	s_lshl_b32 s45, s45, 3
	ds_load_b128 v[83:86], v51 offset:48
	ds_load_b128 v[99:102], v63 offset:16
	v_mov_b32_e32 v64, s45
	s_lshl_b32 s45, s46, 5
	s_delay_alu instid0(SALU_CYCLE_1) | instskip(NEXT) | instid1(SALU_CYCLE_1)
	s_or_b32 s47, s45, s8
	s_lshl_b32 s47, s47, 3
	s_waitcnt lgkmcnt(4)
	v_fma_f64 v[127:128], -v[49:50], v[67:68], v[5:6]
	v_fma_f64 v[119:120], -v[41:42], v[119:120], v[9:10]
	;; [unrolled: 1-line block ×4, first 2 shown]
	s_waitcnt lgkmcnt(3)
	v_fma_f64 v[75:76], -v[33:34], v[75:76], v[15:16]
	v_fma_f64 v[133:134], -v[29:30], v[93:94], v[21:22]
	v_fma_f64 v[115:116], -v[25:26], v[115:116], v[17:18]
	v_fma_f64 v[135:136], -v[27:28], v[89:90], v[19:20]
	v_fma_f64 v[111:112], -v[31:32], v[111:112], v[87:88]
	v_fma_f64 v[137:138], -v[35:36], v[65:66], v[91:92]
	v_fma_f64 v[107:108], -v[39:40], v[107:108], v[95:96]
	ds_load_b128 v[65:68], v64
	ds_load_b128 v[87:90], v62 offset:16
	ds_load_b128 v[91:94], v59 offset:32
	;; [unrolled: 1-line block ×3, first 2 shown]
	s_waitcnt lgkmcnt(6)
	v_mul_f64 v[5:6], v[79:80], v[103:104]
	ds_load_b128 v[103:106], v43 offset:64
	ds_load_b128 v[9:12], v43 offset:80
	;; [unrolled: 1-line block ×6, first 2 shown]
	s_waitcnt lgkmcnt(9)
	v_fma_f64 v[65:66], -v[49:50], v[65:66], v[7:8]
	v_mov_b32_e32 v7, s47
	s_add_i32 s47, s31, s8
	s_delay_alu instid0(SALU_CYCLE_1) | instskip(SKIP_3) | instid1(SALU_CYCLE_1)
	s_lshl_b32 s47, s47, 3
	v_fma_f64 v[79:80], -v[45:46], v[69:70], v[127:128]
	v_mov_b32_e32 v8, s47
	s_lshl_b32 s47, s48, 5
	s_or_b32 s49, s47, s8
	v_fma_f64 v[139:140], -v[37:38], v[121:122], v[119:120]
	s_waitcnt lgkmcnt(7)
	v_fma_f64 v[91:92], -v[33:34], v[91:92], v[131:132]
	v_fma_f64 v[87:88], -v[41:42], v[87:88], v[129:130]
	;; [unrolled: 1-line block ×3, first 2 shown]
	s_waitcnt lgkmcnt(6)
	v_fma_f64 v[95:96], -v[25:26], v[95:96], v[133:134]
	v_fma_f64 v[143:144], -v[27:28], v[117:118], v[115:116]
	s_waitcnt lgkmcnt(5)
	v_fma_f64 v[103:104], -v[31:32], v[103:104], v[135:136]
	v_fma_f64 v[135:136], -v[35:36], v[113:114], v[111:112]
	;; [unrolled: 1-line block ×3, first 2 shown]
	s_lshl_b32 s49, s49, 3
	s_or_b32 s8, s8, 28
	v_fma_f64 v[145:146], -v[5:6], v[109:110], v[107:108]
	ds_load_b128 v[69:72], v7
	ds_load_b128 v[75:78], v61 offset:32
	ds_load_b128 v[107:110], v47 offset:64
	;; [unrolled: 1-line block ×7, first 2 shown]
	v_fma_f64 v[147:148], -v[45:46], v[67:68], v[65:66]
	ds_load_b128 v[65:68], v8
	v_fma_f64 v[79:80], -v[41:42], v[99:100], v[79:80]
	s_waitcnt lgkmcnt(8)
	v_fma_f64 v[69:70], -v[49:50], v[69:70], v[1:2]
	s_waitcnt lgkmcnt(7)
	v_fma_f64 v[75:76], -v[33:34], v[75:76], v[139:140]
	v_fma_f64 v[87:88], -v[37:38], v[89:90], v[87:88]
	;; [unrolled: 1-line block ×5, first 2 shown]
	s_waitcnt lgkmcnt(6)
	v_fma_f64 v[93:94], -v[31:32], v[107:108], v[143:144]
	v_fma_f64 v[95:96], -v[35:36], v[105:106], v[103:104]
	s_waitcnt lgkmcnt(5)
	v_fma_f64 v[97:98], -v[39:40], v[111:112], v[135:136]
	v_fma_f64 v[73:74], -v[5:6], v[73:74], v[137:138]
	v_mul_f64 v[1:2], v[81:82], v[145:146]
	ds_load_b64 v[81:82], v44 offset:96
	s_waitcnt lgkmcnt(1)
	v_fma_f64 v[3:4], -v[49:50], v[65:66], v[3:4]
	v_mov_b32_e32 v44, s49
	v_fma_f64 v[99:100], -v[41:42], v[123:124], v[147:148]
	v_fma_f64 v[101:102], -v[37:38], v[101:102], v[79:80]
	;; [unrolled: 1-line block ×11, first 2 shown]
	s_waitcnt lgkmcnt(0)
	v_fma_f64 v[109:110], -v[1:2], v[81:82], v[73:74]
	ds_load_b128 v[69:72], v44
	ds_load_b128 v[73:76], v63 offset:32
	ds_load_b128 v[77:80], v51 offset:64
	ds_load_2addr_b64 v[81:84], v60 offset0:173 offset1:206
	v_fma_f64 v[3:4], -v[45:46], v[67:68], v[3:4]
	ds_load_b128 v[85:88], v51 offset:80
	ds_load_b128 v[89:92], v63 offset:48
	;; [unrolled: 1-line block ×3, first 2 shown]
	s_waitcnt lgkmcnt(6)
	v_fma_f64 v[55:56], -v[49:50], v[69:70], v[55:56]
	v_fma_f64 v[69:70], -v[41:42], v[131:132], v[65:66]
	;; [unrolled: 1-line block ×3, first 2 shown]
	s_waitcnt lgkmcnt(5)
	v_fma_f64 v[73:74], -v[33:34], v[73:74], v[101:102]
	v_fma_f64 v[147:148], -v[29:30], v[23:24], v[21:22]
	;; [unrolled: 1-line block ×4, first 2 shown]
	s_waitcnt lgkmcnt(4)
	v_fma_f64 v[77:78], -v[31:32], v[77:78], v[105:106]
	v_fma_f64 v[151:152], -v[35:36], v[15:16], v[13:14]
	v_fma_f64 v[119:120], -v[39:40], v[119:120], v[107:108]
	v_fma_f64 v[153:154], -v[5:6], v[11:12], v[9:10]
	v_fma_f64 v[155:156], -v[1:2], v[115:116], v[97:98]
	s_waitcnt lgkmcnt(3)
	v_mul_f64 v[157:158], v[81:82], v[109:110]
	ds_load_b128 v[9:12], v159
	ds_load_b128 v[13:16], v8 offset:16
	ds_load_b128 v[17:20], v64 offset:32
	;; [unrolled: 1-line block ×13, first 2 shown]
	s_waitcnt lgkmcnt(13)
	v_fma_f64 v[9:10], -v[49:50], v[9:10], v[53:54]
	s_waitcnt lgkmcnt(12)
	v_fma_f64 v[3:4], -v[41:42], v[13:14], v[3:4]
	v_fma_f64 v[81:82], -v[45:46], v[71:72], v[55:56]
	;; [unrolled: 1-line block ×3, first 2 shown]
	s_waitcnt lgkmcnt(11)
	v_fma_f64 v[17:18], -v[33:34], v[17:18], v[131:132]
	v_fma_f64 v[131:132], -v[29:30], v[75:76], v[73:74]
	s_waitcnt lgkmcnt(10)
	v_fma_f64 v[21:22], -v[25:26], v[21:22], v[147:148]
	v_fma_f64 v[133:134], -v[27:28], v[129:130], v[127:128]
	;; [unrolled: 3-line block ×5, first 2 shown]
	ds_load_b128 v[52:55], v7 offset:32
	ds_load_b128 v[69:72], v61 offset:64
	;; [unrolled: 1-line block ×6, first 2 shown]
	v_fma_f64 v[9:10], -v[45:46], v[11:12], v[9:10]
	v_fma_f64 v[3:4], -v[37:38], v[15:16], v[3:4]
	v_fma_f64 v[11:12], -v[41:42], v[93:94], v[81:82]
	s_waitcnt lgkmcnt(5)
	v_fma_f64 v[13:14], -v[33:34], v[52:53], v[13:14]
	v_fma_f64 v[15:16], -v[29:30], v[19:20], v[17:18]
	v_fma_f64 v[17:18], -v[25:26], v[89:90], v[131:132]
	v_fma_f64 v[19:20], -v[27:28], v[23:24], v[21:22]
	s_waitcnt lgkmcnt(4)
	v_fma_f64 v[21:22], -v[31:32], v[69:70], v[133:134]
	;; [unrolled: 5-line block ×3, first 2 shown]
	v_fma_f64 v[69:70], -v[157:158], v[103:104], v[101:102]
	v_mul_f64 v[131:132], v[83:84], v[149:150]
	v_fma_f64 v[73:74], -v[41:42], v[105:106], v[9:10]
	v_fma_f64 v[3:4], -v[33:34], v[143:144], v[3:4]
	;; [unrolled: 1-line block ×12, first 2 shown]
	ds_load_b128 v[9:12], v44 offset:32
	ds_load_b128 v[13:16], v63 offset:64
	;; [unrolled: 1-line block ×6, first 2 shown]
	v_fma_f64 v[69:70], -v[131:132], v[109:110], v[69:70]
	v_fma_f64 v[133:134], -v[37:38], v[107:108], v[73:74]
	;; [unrolled: 1-line block ×3, first 2 shown]
	s_waitcnt lgkmcnt(5)
	v_fma_f64 v[9:10], -v[33:34], v[9:10], v[81:82]
	v_fma_f64 v[127:128], -v[25:26], v[127:128], v[83:84]
	;; [unrolled: 1-line block ×3, first 2 shown]
	s_waitcnt lgkmcnt(4)
	v_fma_f64 v[13:14], -v[31:32], v[13:14], v[89:90]
	v_fma_f64 v[137:138], -v[35:36], v[137:138], v[91:92]
	;; [unrolled: 1-line block ×4, first 2 shown]
	s_waitcnt lgkmcnt(3)
	v_fma_f64 v[17:18], -v[1:2], v[17:18], v[87:88]
	v_fma_f64 v[139:140], -v[157:158], v[115:116], v[95:96]
	;; [unrolled: 1-line block ×3, first 2 shown]
	v_mul_f64 v[141:142], v[111:112], v[69:70]
	ds_load_b128 v[69:72], v159 offset:32
	ds_load_b128 v[73:76], v8 offset:48
	;; [unrolled: 1-line block ×12, first 2 shown]
	s_waitcnt lgkmcnt(11)
	v_fma_f64 v[47:48], -v[33:34], v[69:70], v[133:134]
	s_waitcnt lgkmcnt(10)
	v_fma_f64 v[3:4], -v[25:26], v[73:74], v[3:4]
	v_fma_f64 v[69:70], -v[29:30], v[11:12], v[9:10]
	;; [unrolled: 1-line block ×3, first 2 shown]
	s_waitcnt lgkmcnt(9)
	v_fma_f64 v[81:82], -v[31:32], v[81:82], v[135:136]
	v_fma_f64 v[127:128], -v[35:36], v[15:16], v[13:14]
	s_waitcnt lgkmcnt(8)
	v_fma_f64 v[85:86], -v[39:40], v[85:86], v[137:138]
	v_fma_f64 v[117:118], -v[5:6], v[119:120], v[117:118]
	;; [unrolled: 3-line block ×3, first 2 shown]
	s_waitcnt lgkmcnt(6)
	v_fma_f64 v[93:94], -v[131:132], v[93:94], v[139:140]
	v_mov_b32_e32 v17, s19
	ds_load_b128 v[9:12], v7 offset:64
	s_mul_i32 s19, s39, 0x108
	s_delay_alu instid0(SALU_CYCLE_1)
	v_mov_b32_e32 v43, s19
	s_mul_i32 s19, s41, 0x108
	v_fma_f64 v[125:126], -v[141:142], v[79:80], v[77:78]
	ds_load_b128 v[13:16], v61 offset:96
	ds_load_b64 v[129:130], v17
	ds_load_b128 v[17:20], v61 offset:112
	ds_load_b128 v[77:80], v7 offset:80
	v_fma_f64 v[47:48], -v[29:30], v[71:72], v[47:48]
	v_fma_f64 v[3:4], -v[27:28], v[75:76], v[3:4]
	;; [unrolled: 1-line block ×3, first 2 shown]
	s_waitcnt lgkmcnt(4)
	v_fma_f64 v[9:10], -v[31:32], v[9:10], v[73:74]
	v_fma_f64 v[69:70], -v[35:36], v[83:84], v[81:82]
	;; [unrolled: 1-line block ×4, first 2 shown]
	s_waitcnt lgkmcnt(3)
	v_fma_f64 v[13:14], -v[1:2], v[13:14], v[117:118]
	v_fma_f64 v[73:74], -v[157:158], v[91:92], v[89:90]
	;; [unrolled: 1-line block ×4, first 2 shown]
	s_waitcnt lgkmcnt(2)
	v_mul_f64 v[117:118], v[129:130], v[125:126]
	v_fma_f64 v[47:48], -v[25:26], v[97:98], v[47:48]
	v_fma_f64 v[3:4], -v[31:32], v[121:122], v[3:4]
	;; [unrolled: 1-line block ×10, first 2 shown]
	ds_load_b128 v[9:12], v44 offset:64
	ds_load_b128 v[13:16], v63 offset:96
	;; [unrolled: 1-line block ×3, first 2 shown]
	ds_load_b64 v[113:114], v43
	ds_load_b128 v[51:54], v63 offset:112
	ds_load_b128 v[65:68], v44 offset:80
	v_or_b32_e32 v43, s24, v0
	s_delay_alu instid0(VALU_DEP_1)
	v_lshlrev_b32_e32 v43, 3, v43
	v_fma_f64 v[75:76], -v[117:118], v[101:102], v[75:76]
	v_fma_f64 v[47:48], -v[27:28], v[99:100], v[47:48]
	;; [unrolled: 1-line block ×3, first 2 shown]
	s_waitcnt lgkmcnt(5)
	v_fma_f64 v[9:10], -v[31:32], v[9:10], v[81:82]
	v_fma_f64 v[77:78], -v[39:40], v[77:78], v[83:84]
	;; [unrolled: 1-line block ×3, first 2 shown]
	s_waitcnt lgkmcnt(4)
	v_fma_f64 v[13:14], -v[1:2], v[13:14], v[55:56]
	v_fma_f64 v[55:56], -v[157:158], v[111:112], v[71:72]
	;; [unrolled: 1-line block ×4, first 2 shown]
	s_waitcnt lgkmcnt(3)
	v_fma_f64 v[21:22], -v[117:118], v[21:22], v[87:88]
	v_mul_f64 v[121:122], v[103:104], v[75:76]
	ds_load_b128 v[69:72], v159 offset:64
	ds_load_b128 v[73:76], v8 offset:80
	;; [unrolled: 1-line block ×10, first 2 shown]
	s_waitcnt lgkmcnt(9)
	v_fma_f64 v[47:48], -v[31:32], v[69:70], v[47:48]
	s_waitcnt lgkmcnt(8)
	v_fma_f64 v[3:4], -v[39:40], v[73:74], v[3:4]
	v_fma_f64 v[59:60], -v[35:36], v[11:12], v[9:10]
	;; [unrolled: 1-line block ×3, first 2 shown]
	s_waitcnt lgkmcnt(7)
	v_fma_f64 v[73:74], -v[1:2], v[81:82], v[115:116]
	v_fma_f64 v[77:78], -v[157:158], v[15:16], v[13:14]
	s_waitcnt lgkmcnt(6)
	v_fma_f64 v[55:56], -v[131:132], v[85:86], v[55:56]
	v_fma_f64 v[79:80], -v[141:142], v[19:20], v[17:18]
	;; [unrolled: 3-line block ×3, first 2 shown]
	ds_load_b128 v[9:12], v7 offset:96
	ds_load_b128 v[13:16], v61 offset:128
	;; [unrolled: 1-line block ×4, first 2 shown]
	v_fma_f64 v[47:48], -v[35:36], v[71:72], v[47:48]
	v_fma_f64 v[3:4], -v[5:6], v[75:76], v[3:4]
	v_fma_f64 v[59:60], -v[39:40], v[65:66], v[59:60]
	s_waitcnt lgkmcnt(3)
	v_fma_f64 v[9:10], -v[1:2], v[9:10], v[69:70]
	v_fma_f64 v[65:66], -v[157:158], v[83:84], v[73:74]
	;; [unrolled: 1-line block ×4, first 2 shown]
	s_waitcnt lgkmcnt(2)
	v_fma_f64 v[13:14], -v[117:118], v[13:14], v[79:80]
	v_fma_f64 v[69:70], -v[121:122], v[91:92], v[81:82]
	v_mul_f64 v[113:114], v[113:114], v[85:86]
	v_fma_f64 v[47:48], -v[39:40], v[93:94], v[47:48]
	v_fma_f64 v[3:4], -v[1:2], v[109:110], v[3:4]
	;; [unrolled: 1-line block ×8, first 2 shown]
	ds_load_b128 v[9:12], v44 offset:96
	ds_load_b128 v[13:16], v63 offset:128
	;; [unrolled: 1-line block ×4, first 2 shown]
	v_fma_f64 v[69:70], -v[113:114], v[97:98], v[69:70]
	v_fma_f64 v[47:48], -v[5:6], v[95:96], v[47:48]
	;; [unrolled: 1-line block ×3, first 2 shown]
	s_waitcnt lgkmcnt(3)
	v_fma_f64 v[9:10], -v[1:2], v[9:10], v[59:60]
	v_fma_f64 v[21:22], -v[131:132], v[21:22], v[71:72]
	;; [unrolled: 1-line block ×3, first 2 shown]
	s_waitcnt lgkmcnt(2)
	v_fma_f64 v[13:14], -v[117:118], v[13:14], v[75:76]
	v_fma_f64 v[55:56], -v[121:122], v[103:104], v[55:56]
	;; [unrolled: 1-line block ×3, first 2 shown]
	v_mul_f64 v[99:100], v[99:100], v[69:70]
	ds_load_b128 v[69:72], v159 offset:96
	ds_load_b128 v[73:76], v8 offset:112
	;; [unrolled: 1-line block ×8, first 2 shown]
	s_waitcnt lgkmcnt(7)
	v_fma_f64 v[47:48], -v[1:2], v[69:70], v[47:48]
	s_waitcnt lgkmcnt(6)
	v_fma_f64 v[3:4], -v[131:132], v[73:74], v[3:4]
	v_fma_f64 v[69:70], -v[157:158], v[11:12], v[9:10]
	;; [unrolled: 1-line block ×3, first 2 shown]
	s_waitcnt lgkmcnt(5)
	v_fma_f64 v[23:24], -v[117:118], v[77:78], v[97:98]
	v_fma_f64 v[73:74], -v[121:122], v[15:16], v[13:14]
	s_waitcnt lgkmcnt(4)
	v_fma_f64 v[55:56], -v[113:114], v[81:82], v[55:56]
	v_mov_b32_e32 v13, s19
	s_mul_i32 s19, s44, 0x108
	v_fma_f64 v[17:18], -v[99:100], v[19:20], v[17:18]
	ds_load_b128 v[9:12], v7 offset:128
	ds_load_b64 v[19:20], v13
	ds_load_b128 v[13:16], v7 offset:144
	v_fma_f64 v[47:48], -v[157:158], v[71:72], v[47:48]
	v_fma_f64 v[3:4], -v[141:142], v[75:76], v[3:4]
	;; [unrolled: 1-line block ×3, first 2 shown]
	s_waitcnt lgkmcnt(2)
	v_fma_f64 v[9:10], -v[117:118], v[9:10], v[21:22]
	v_fma_f64 v[21:22], -v[121:122], v[79:80], v[23:24]
	;; [unrolled: 1-line block ×4, first 2 shown]
	s_waitcnt lgkmcnt(1)
	v_mul_f64 v[55:56], v[19:20], v[17:18]
	v_fma_f64 v[47:48], -v[131:132], v[85:86], v[47:48]
	v_fma_f64 v[3:4], -v[117:118], v[93:94], v[3:4]
	;; [unrolled: 1-line block ×6, first 2 shown]
	ds_load_b128 v[9:12], v44 offset:128
	ds_load_b128 v[17:20], v63 offset:160
	v_mov_b32_e32 v21, s19
	ds_load_b64 v[81:82], v21
	ds_load_b128 v[21:24], v44 offset:144
	s_mul_i32 s19, s46, 0x108
	v_fma_f64 v[51:52], -v[55:56], v[59:60], v[51:52]
	v_fma_f64 v[47:48], -v[141:142], v[87:88], v[47:48]
	;; [unrolled: 1-line block ×3, first 2 shown]
	s_waitcnt lgkmcnt(3)
	v_fma_f64 v[9:10], -v[117:118], v[9:10], v[65:66]
	v_fma_f64 v[13:14], -v[113:114], v[13:14], v[67:68]
	;; [unrolled: 1-line block ×3, first 2 shown]
	s_waitcnt lgkmcnt(2)
	v_fma_f64 v[17:18], -v[55:56], v[17:18], v[53:54]
	v_mul_f64 v[85:86], v[61:62], v[51:52]
	ds_load_b128 v[51:54], v159 offset:128
	ds_load_b128 v[59:62], v8 offset:144
	;; [unrolled: 1-line block ×6, first 2 shown]
	s_waitcnt lgkmcnt(5)
	v_fma_f64 v[47:48], -v[117:118], v[51:52], v[47:48]
	s_waitcnt lgkmcnt(4)
	v_fma_f64 v[3:4], -v[113:114], v[59:60], v[3:4]
	v_fma_f64 v[51:52], -v[121:122], v[11:12], v[9:10]
	;; [unrolled: 1-line block ×3, first 2 shown]
	s_waitcnt lgkmcnt(3)
	v_fma_f64 v[63:64], -v[55:56], v[65:66], v[83:84]
	ds_load_b128 v[9:12], v7 offset:160
	ds_load_b128 v[13:16], v7 offset:176
	v_fma_f64 v[17:18], -v[85:86], v[19:20], v[17:18]
	v_fma_f64 v[19:20], -v[121:122], v[53:54], v[47:48]
	;; [unrolled: 1-line block ×4, first 2 shown]
	s_waitcnt lgkmcnt(1)
	v_fma_f64 v[9:10], -v[55:56], v[9:10], v[59:60]
	v_fma_f64 v[47:48], -v[85:86], v[67:68], v[63:64]
	v_mul_f64 v[63:64], v[81:82], v[17:18]
	v_fma_f64 v[51:52], -v[113:114], v[69:70], v[19:20]
	v_fma_f64 v[3:4], -v[55:56], v[77:78], v[3:4]
	;; [unrolled: 1-line block ×4, first 2 shown]
	ds_load_b128 v[9:12], v44 offset:160
	ds_load_b128 v[17:20], v44 offset:176
	v_fma_f64 v[47:48], -v[63:64], v[73:74], v[47:48]
	v_fma_f64 v[65:66], -v[99:100], v[71:72], v[51:52]
	;; [unrolled: 1-line block ×3, first 2 shown]
	s_waitcnt lgkmcnt(1)
	v_fma_f64 v[67:68], -v[55:56], v[9:10], v[21:22]
	v_fma_f64 v[13:14], -v[63:64], v[13:14], v[23:24]
	ds_load_b128 v[21:24], v159 offset:160
	ds_load_b128 v[51:54], v8 offset:176
	;; [unrolled: 1-line block ×4, first 2 shown]
	v_mul_f64 v[47:48], v[75:76], v[47:48]
	s_waitcnt lgkmcnt(3)
	v_fma_f64 v[21:22], -v[55:56], v[21:22], v[65:66]
	s_waitcnt lgkmcnt(2)
	v_fma_f64 v[3:4], -v[63:64], v[51:52], v[3:4]
	v_or_b32_e32 v51, s26, v0
	v_fma_f64 v[11:12], -v[85:86], v[11:12], v[67:68]
	v_or_b32_e32 v52, s27, v0
	s_delay_alu instid0(VALU_DEP_3) | instskip(NEXT) | instid1(VALU_DEP_2)
	v_lshlrev_b32_e32 v51, 3, v51
	v_lshlrev_b32_e32 v52, 3, v52
	v_fma_f64 v[13:14], -v[47:48], v[15:16], v[13:14]
	v_mov_b32_e32 v15, s19
	s_mul_i32 s19, s48, 0x108
	ds_load_b64 v[15:16], v15
	v_fma_f64 v[21:22], -v[85:86], v[23:24], v[21:22]
	v_fma_f64 v[3:4], -v[47:48], v[53:54], v[3:4]
	v_or_b32_e32 v53, s30, v0
	v_fma_f64 v[11:12], -v[63:64], v[17:18], v[11:12]
	v_or_b32_e32 v54, s33, v0
	s_delay_alu instid0(VALU_DEP_3)
	v_lshlrev_b32_e32 v53, 3, v53
	s_waitcnt lgkmcnt(0)
	v_mul_f64 v[23:24], v[15:16], v[13:14]
	v_fma_f64 v[15:16], -v[63:64], v[59:60], v[21:22]
	v_or_b32_e32 v59, s34, v0
	v_fma_f64 v[17:18], -v[47:48], v[19:20], v[11:12]
	ds_load_b128 v[11:14], v44 offset:192
	v_fma_f64 v[3:4], -v[23:24], v[7:8], v[3:4]
	v_mov_b32_e32 v7, s19
	ds_load_b64 v[19:20], v7
	v_or_b32_e32 v44, s25, v0
	s_delay_alu instid0(VALU_DEP_1)
	v_lshlrev_b32_e32 v44, 3, v44
	v_fma_f64 v[21:22], -v[47:48], v[61:62], v[15:16]
	s_waitcnt lgkmcnt(1)
	v_fma_f64 v[11:12], -v[23:24], v[11:12], v[17:18]
	v_mul_f64 v[3:4], v[9:10], v[3:4]
	ds_load_b128 v[7:10], v159 offset:192
	ds_load_b128 v[15:18], v159 offset:208
	s_waitcnt lgkmcnt(1)
	v_fma_f64 v[7:8], -v[23:24], v[7:8], v[21:22]
	v_or_b32_e32 v21, s22, v0
	v_or_b32_e32 v22, s23, v0
	s_delay_alu instid0(VALU_DEP_2) | instskip(NEXT) | instid1(VALU_DEP_2)
	v_lshlrev_b32_e32 v21, 3, v21
	v_lshlrev_b32_e32 v22, 3, v22
	v_fma_f64 v[11:12], -v[3:4], v[13:14], v[11:12]
	v_or_b32_e32 v14, s13, v0
	v_or_b32_e32 v13, s12, v0
	s_delay_alu instid0(VALU_DEP_2) | instskip(NEXT) | instid1(VALU_DEP_2)
	v_lshlrev_b32_e32 v14, 3, v14
	v_lshlrev_b32_e32 v13, 3, v13
	v_fma_f64 v[7:8], -v[3:4], v[9:10], v[7:8]
	v_mul_f64 v[9:10], v[19:20], v[11:12]
	v_or_b32_e32 v19, s14, v0
	v_or_b32_e32 v20, s15, v0
	;; [unrolled: 1-line block ×4, first 2 shown]
	s_delay_alu instid0(VALU_DEP_4) | instskip(NEXT) | instid1(VALU_DEP_4)
	v_lshlrev_b32_e32 v19, 3, v19
	v_lshlrev_b32_e32 v20, 3, v20
	s_delay_alu instid0(VALU_DEP_4) | instskip(NEXT) | instid1(VALU_DEP_4)
	v_lshlrev_b32_e32 v12, 3, v12
	v_lshlrev_b32_e32 v11, 3, v11
	s_waitcnt lgkmcnt(0)
	v_fma_f64 v[7:8], -v[9:10], v[15:16], v[7:8]
	v_or_b32_e32 v15, s20, v0
	v_or_b32_e32 v16, s21, v0
	s_delay_alu instid0(VALU_DEP_2) | instskip(NEXT) | instid1(VALU_DEP_2)
	v_lshlrev_b32_e32 v15, 3, v15
	v_lshlrev_b32_e32 v16, 3, v16
	ds_store_b64 v58, v[49:50]
	ds_store_b64 v14, v[33:34] offset:8192
	ds_store_b64 v19, v[29:30] offset:8192
	;; [unrolled: 1-line block ×14, first 2 shown]
	v_lshlrev_b32_e32 v1, 3, v54
	v_lshlrev_b32_e32 v2, 3, v59
	v_or_b32_e32 v12, s38, v0
	v_or_b32_e32 v13, s40, v0
	;; [unrolled: 1-line block ×3, first 2 shown]
	s_delay_alu instid0(VALU_DEP_1) | instskip(SKIP_3) | instid1(VALU_DEP_2)
	v_lshlrev_b32_e32 v14, 3, v14
	v_mul_f64 v[5:6], v[17:18], v[7:8]
	v_or_b32_e32 v7, s35, v0
	v_or_b32_e32 v8, s36, v0
	v_lshlrev_b32_e32 v7, 3, v7
	s_delay_alu instid0(VALU_DEP_2)
	v_lshlrev_b32_e32 v8, 3, v8
	ds_store_b64 v1, v[117:118] offset:8192
	ds_store_b64 v2, v[121:122] offset:8192
	;; [unrolled: 1-line block ×4, first 2 shown]
	v_or_b32_e32 v7, s42, v0
	v_or_b32_e32 v8, s43, v0
	v_lshlrev_b32_e32 v1, 3, v12
	v_or_b32_e32 v12, s45, v0
	v_lshlrev_b32_e32 v2, 3, v13
	;; [unrolled: 2-line block ×3, first 2 shown]
	v_lshlrev_b32_e32 v8, 3, v8
	v_lshlrev_b32_e32 v12, 3, v12
	s_delay_alu instid0(VALU_DEP_4)
	v_lshlrev_b32_e32 v13, 3, v13
	ds_store_b64 v1, v[55:56] offset:8192
	ds_store_b64 v2, v[85:86] offset:8192
	ds_store_b64 v7, v[63:64] offset:8192
	ds_store_b64 v8, v[47:48] offset:8192
	ds_store_b64 v12, v[23:24] offset:8192
	ds_store_b64 v13, v[3:4] offset:8192
	ds_store_b64 v14, v[9:10] offset:8192
	ds_store_b64 v11, v[45:46] offset:8192
	ds_store_b64 v57, v[5:6]
.LBB102_26:
	s_cmp_ge_i32 s8, s28
	s_cbranch_scc1 .LBB102_37
; %bb.27:
	v_lshl_or_b32 v3, v0, 3, 0x2000
	v_lshlrev_b32_e32 v4, 3, v0
	s_add_i32 s4, s8, -1
	s_lshl_b32 s9, s8, 8
	s_mov_b32 s12, 0
	s_mov_b32 s13, s8
	s_branch .LBB102_29
.LBB102_28:                             ;   in Loop: Header=BB102_29 Depth=1
	s_mul_i32 s14, s8, 0x108
	s_delay_alu instid0(SALU_CYCLE_1)
	v_dual_mov_b32 v6, s14 :: v_dual_add_nc_u32 v5, 0x2000, v5
	s_add_i32 s8, s8, 1
	s_add_i32 s12, s12, 1
	s_addk_i32 s9, 0x100
	s_cmp_ge_i32 s8, s28
	ds_load_b64 v[6:7], v6
	s_waitcnt lgkmcnt(0)
	v_mul_f64 v[1:2], v[6:7], v[1:2]
	v_add_nc_u16 v6, s13, 1
	s_delay_alu instid0(VALU_DEP_1)
	v_readfirstlane_b32 s13, v6
	ds_store_b64 v5, v[1:2]
	s_cbranch_scc1 .LBB102_37
.LBB102_29:                             ; =>This Loop Header: Depth=1
                                        ;     Child Loop BB102_32 Depth 2
                                        ;     Child Loop BB102_36 Depth 2
	v_lshl_or_b32 v5, s8, 8, v4
	s_cmp_eq_u32 s8, 0
	ds_load_b64 v[1:2], v5 offset:8192
	s_cbranch_scc1 .LBB102_28
; %bb.30:                               ;   in Loop: Header=BB102_29 Depth=1
	s_add_i32 s14, s4, s12
	s_delay_alu instid0(SALU_CYCLE_1)
	s_cmp_lt_u32 s14, 7
	s_cbranch_scc1 .LBB102_34
; %bb.31:                               ;   in Loop: Header=BB102_29 Depth=1
	v_mov_b32_e32 v6, v3
	s_and_b32 s14, s8, -8
	s_mov_b32 s15, 0
	s_mov_b32 s19, s9
	s_set_inst_prefetch_distance 0x1
	.p2align	6
.LBB102_32:                             ;   Parent Loop BB102_29 Depth=1
                                        ; =>  This Inner Loop Header: Depth=2
	v_mov_b32_e32 v19, s19
	s_add_i32 s15, s15, 8
	s_add_i32 s19, s19, 64
	s_cmp_lg_u32 s14, s15
	ds_load_2addr_b64 v[7:10], v6 offset1:32
	ds_load_b128 v[11:14], v19
	ds_load_b128 v[15:18], v19 offset:16
	s_waitcnt lgkmcnt(1)
	v_fma_f64 v[1:2], -v[7:8], v[11:12], v[1:2]
	s_delay_alu instid0(VALU_DEP_1) | instskip(SKIP_3) | instid1(VALU_DEP_1)
	v_fma_f64 v[1:2], -v[9:10], v[13:14], v[1:2]
	ds_load_2addr_b64 v[7:10], v6 offset0:64 offset1:96
	s_waitcnt lgkmcnt(0)
	v_fma_f64 v[1:2], -v[7:8], v[15:16], v[1:2]
	v_fma_f64 v[1:2], -v[9:10], v[17:18], v[1:2]
	ds_load_2addr_b64 v[7:10], v6 offset0:128 offset1:160
	ds_load_b128 v[11:14], v19 offset:32
	ds_load_b128 v[15:18], v19 offset:48
	s_waitcnt lgkmcnt(1)
	v_fma_f64 v[1:2], -v[7:8], v[11:12], v[1:2]
	s_delay_alu instid0(VALU_DEP_1) | instskip(SKIP_4) | instid1(VALU_DEP_1)
	v_fma_f64 v[1:2], -v[9:10], v[13:14], v[1:2]
	ds_load_2addr_b64 v[7:10], v6 offset0:192 offset1:224
	v_add_nc_u32_e32 v6, 0x800, v6
	s_waitcnt lgkmcnt(0)
	v_fma_f64 v[1:2], -v[7:8], v[15:16], v[1:2]
	v_fma_f64 v[1:2], -v[9:10], v[17:18], v[1:2]
	s_cbranch_scc1 .LBB102_32
; %bb.33:                               ;   in Loop: Header=BB102_29 Depth=1
	s_set_inst_prefetch_distance 0x2
	s_and_b32 s15, s8, 7
	s_delay_alu instid0(SALU_CYCLE_1)
	s_cmp_eq_u32 s15, 0
	s_cbranch_scc0 .LBB102_35
	s_branch .LBB102_28
.LBB102_34:                             ;   in Loop: Header=BB102_29 Depth=1
	s_mov_b32 s14, 0
	s_and_b32 s15, s8, 7
	s_delay_alu instid0(SALU_CYCLE_1)
	s_cmp_eq_u32 s15, 0
	s_cbranch_scc1 .LBB102_28
.LBB102_35:                             ;   in Loop: Header=BB102_29 Depth=1
	v_lshl_add_u32 v6, s14, 8, v3
	s_and_b32 s15, s13, 7
	s_lshl_b32 s14, s14, 3
.LBB102_36:                             ;   Parent Loop BB102_29 Depth=1
                                        ; =>  This Inner Loop Header: Depth=2
	s_delay_alu instid0(SALU_CYCLE_1)
	s_add_i32 s19, s9, s14
	s_add_i32 s15, s15, -1
	v_mov_b32_e32 v9, s19
	s_add_i32 s14, s14, 8
	s_cmp_lg_u32 s15, 0
	ds_load_b64 v[7:8], v6
	ds_load_b64 v[9:10], v9
	v_add_nc_u32_e32 v6, 0x100, v6
	s_waitcnt lgkmcnt(0)
	v_fma_f64 v[1:2], -v[7:8], v[9:10], v[1:2]
	s_cbranch_scc1 .LBB102_36
	s_branch .LBB102_28
.LBB102_37:
	s_mov_b32 s4, 0
.LBB102_38:
	s_delay_alu instid0(SALU_CYCLE_1)
	s_and_b32 vcc_lo, exec_lo, s4
	s_cbranch_vccz .LBB102_60
; %bb.39:
	s_cmp_gt_i32 s6, 31
	s_mov_b32 s4, s29
	s_cbranch_scc0 .LBB102_41
; %bb.40:
	s_lshl_b32 s14, s29, 5
	s_add_i32 s4, s28, -2
	v_or_b32_e32 v1, s14, v0
	s_add_i32 s8, s4, s14
	s_lshl_b32 s15, s28, 5
	s_lshl_b32 s8, s8, 3
	s_add_i32 s13, s28, -4
	v_dual_mov_b32 v2, s8 :: v_dual_lshlrev_b32 v49, 3, v1
	s_sub_i32 s8, s15, 64
	s_add_i32 s12, s15, 0xffffffa0
	ds_load_2addr_b64 v[1:4], v2 offset1:1
	ds_load_b64 v[5:6], v49 offset:8192
	s_mul_i32 s19, s29, 0x108
	s_lshl_b32 s4, s4, 5
	s_add_i32 s9, s19, 0xfffffef8
	s_add_i32 s21, s28, -6
	s_add_i32 s20, s13, s12
	s_add_i32 s23, s21, s12
	s_lshl_b32 s20, s20, 3
	s_add_i32 s49, s28, -10
	v_mov_b32_e32 v13, s20
	s_add_i32 s20, s28, -8
	s_lshl_b32 s23, s23, 3
	s_add_i32 s22, s20, s14
	s_add_i32 s27, s49, s4
	s_lshl_b32 s22, s22, 3
	s_lshl_b32 s27, s27, 3
	s_add_i32 s56, s28, -12
	s_add_i32 s48, s15, 0xfffffee0
	s_add_i32 s31, s56, s14
	;; [unrolled: 1-line block ×3, first 2 shown]
	s_waitcnt lgkmcnt(0)
	v_mul_f64 v[15:16], v[3:4], v[5:6]
	v_or_b32_e32 v3, s8, v0
	s_add_i32 s8, s13, s14
	s_lshl_b32 s31, s31, 3
	s_lshl_b32 s8, s8, 3
	;; [unrolled: 1-line block ×3, first 2 shown]
	v_lshlrev_b32_e32 v3, 3, v3
	s_add_i32 s73, s19, 0xfffff9d0
	s_add_i32 s26, s15, 0xfffffec0
	;; [unrolled: 1-line block ×4, first 2 shown]
	ds_load_b64 v[3:4], v3 offset:8192
	s_add_i32 s75, s19, 0xfffff7c0
	v_mov_b32_e32 v39, s30
	v_or_b32_e32 v41, s34, v0
	s_add_i32 s46, s15, 0xfffffea0
	s_add_i32 s33, s49, s12
	;; [unrolled: 1-line block ×3, first 2 shown]
	s_lshl_b32 s33, s33, 3
	s_add_i32 s51, s28, -16
	s_add_i32 s53, s56, s4
	s_add_i32 s59, s51, s14
	;; [unrolled: 1-line block ×3, first 2 shown]
	s_lshl_b32 s59, s59, 3
	s_lshl_b32 s53, s53, 3
	v_or_b32_e32 v76, s43, v0
	s_add_i32 s57, s15, 0xfffffe40
	s_add_i32 s52, s28, -14
	s_sub_i32 s50, s28, 18
	s_sub_i32 s47, s28, 20
	;; [unrolled: 1-line block ×6, first 2 shown]
	s_add_i32 s77, s52, s14
	s_add_i32 s60, s50, s14
	;; [unrolled: 1-line block ×4, first 2 shown]
	s_waitcnt lgkmcnt(0)
	v_fma_f64 v[5:6], -v[15:16], v[1:2], v[3:4]
	v_or_b32_e32 v1, s12, v0
	v_mov_b32_e32 v2, s8
	s_add_i32 s8, s15, 0xffffff80
	v_mov_b32_e32 v9, s9
	s_add_i32 s9, s21, s14
	v_lshlrev_b32_e32 v50, 3, v1
	s_lshl_b32 s9, s9, 3
	ds_load_2addr_b64 v[1:4], v2 offset1:1
	ds_load_b64 v[7:8], v50 offset:8192
	ds_load_b64 v[9:10], v9
	s_add_i32 s81, s40, s14
	s_add_i32 s80, s37, s14
	;; [unrolled: 1-line block ×4, first 2 shown]
	s_lshl_b32 s78, s78, 3
	s_lshl_b32 s81, s81, 3
	;; [unrolled: 1-line block ×3, first 2 shown]
	s_add_i32 s64, s15, 0xfffffe00
	s_add_i32 s42, s15, 0xfffffde0
	v_or_b32_e32 v84, s64, v0
	s_add_i32 s64, s52, s4
	s_add_i32 s65, s15, 0xfffffdc0
	;; [unrolled: 1-line block ×8, first 2 shown]
	s_waitcnt lgkmcnt(1)
	v_fma_f64 v[7:8], -v[15:16], v[3:4], v[7:8]
	v_or_b32_e32 v3, s8, v0
	s_add_i32 s8, s13, s4
	s_lshl_b32 s13, s13, 5
	s_lshl_b32 s8, s8, 3
	s_add_i32 s35, s49, s13
	v_dual_mov_b32 v4, s8 :: v_dual_lshlrev_b32 v3, 3, v3
	s_add_i32 s8, s15, 0xffffff60
	s_waitcnt lgkmcnt(0)
	v_mul_f64 v[17:18], v[9:10], v[5:6]
	ds_load_b64 v[9:10], v3 offset:8192
	ds_load_2addr_b64 v[3:6], v4 offset1:1
	s_add_i32 s30, s20, s8
	s_lshl_b32 s35, s35, 3
	s_lshl_b32 s30, s30, 3
	s_add_i32 s36, s15, 0xfffffce0
	s_add_i32 s69, s15, 0xfffffcc0
	;; [unrolled: 1-line block ×6, first 2 shown]
	s_lshl_b32 s80, s80, 3
	s_delay_alu instid0(SALU_CYCLE_1)
	v_dual_mov_b32 v77, s74 :: v_dual_mov_b32 v114, s80
	s_add_i32 s84, s52, s13
	s_add_i32 s85, s51, s4
	;; [unrolled: 1-line block ×3, first 2 shown]
	v_mov_b32_e32 v104, s81
	v_mov_b32_e32 v96, s78
	;; [unrolled: 1-line block ×3, first 2 shown]
	s_waitcnt lgkmcnt(1)
	v_fma_f64 v[1:2], -v[15:16], v[1:2], v[9:10]
	s_waitcnt lgkmcnt(0)
	v_fma_f64 v[9:10], -v[17:18], v[5:6], v[7:8]
	v_or_b32_e32 v5, s8, v0
	v_mov_b32_e32 v6, s9
	s_add_i32 s9, s15, 0xffffff40
	s_delay_alu instid0(VALU_DEP_2)
	v_lshlrev_b32_e32 v51, 3, v5
	ds_load_2addr_b64 v[5:8], v6 offset1:1
	ds_load_b64 v[11:12], v51 offset:8192
	ds_load_2addr_b64 v[23:26], v13 offset1:1
	v_fma_f64 v[1:2], -v[17:18], v[3:4], v[1:2]
	v_or_b32_e32 v3, s9, v0
	s_add_i32 s9, s21, s4
	s_delay_alu instid0(SALU_CYCLE_1) | instskip(NEXT) | instid1(VALU_DEP_1)
	s_lshl_b32 s9, s9, 3
	v_lshlrev_b32_e32 v3, 3, v3
	s_waitcnt lgkmcnt(1)
	v_fma_f64 v[7:8], -v[15:16], v[7:8], v[11:12]
	s_waitcnt lgkmcnt(0)
	v_mul_f64 v[19:20], v[25:26], v[9:10]
	v_mov_b32_e32 v9, s9
	ds_load_b64 v[3:4], v3 offset:8192
	ds_load_2addr_b64 v[9:12], v9 offset1:1
	s_add_i32 s9, s15, 0xffffff20
	s_waitcnt lgkmcnt(1)
	v_fma_f64 v[21:22], -v[15:16], v[5:6], v[3:4]
	s_waitcnt lgkmcnt(0)
	v_fma_f64 v[13:14], -v[17:18], v[11:12], v[7:8]
	v_fma_f64 v[11:12], -v[19:20], v[23:24], v[1:2]
	v_or_b32_e32 v1, s9, v0
	v_mov_b32_e32 v2, s22
	s_add_i32 s22, s19, 0xfffffce8
	s_lshl_b32 s19, s56, 5
	s_delay_alu instid0(VALU_DEP_2)
	v_dual_mov_b32 v25, s22 :: v_dual_lshlrev_b32 v52, 3, v1
	v_mov_b32_e32 v1, s23
	ds_load_2addr_b64 v[5:8], v2 offset1:1
	ds_load_b64 v[23:24], v52 offset:8192
	ds_load_2addr_b64 v[1:4], v1 offset1:1
	ds_load_b64 v[27:28], v25
	s_add_i32 s22, s15, 0xffffff00
	s_add_i32 s23, s20, s4
	s_delay_alu instid0(SALU_CYCLE_1)
	s_lshl_b32 s23, s23, 3
	s_waitcnt lgkmcnt(2)
	v_fma_f64 v[25:26], -v[15:16], v[7:8], v[23:24]
	v_fma_f64 v[23:24], -v[17:18], v[9:10], v[21:22]
	s_waitcnt lgkmcnt(1)
	v_fma_f64 v[3:4], -v[19:20], v[3:4], v[13:14]
	v_or_b32_e32 v7, s22, v0
	s_add_i32 s22, s21, s13
	v_mov_b32_e32 v8, s23
	s_lshl_b32 s22, s22, 3
	s_add_i32 s23, s21, s8
	v_lshlrev_b32_e32 v7, 3, v7
	v_mov_b32_e32 v9, s22
	s_waitcnt lgkmcnt(0)
	v_mul_f64 v[21:22], v[27:28], v[11:12]
	ds_load_b64 v[27:28], v7 offset:8192
	ds_load_2addr_b64 v[11:14], v8 offset1:1
	ds_load_2addr_b64 v[7:10], v9 offset1:1
	s_add_i32 s22, s49, s14
	s_delay_alu instid0(SALU_CYCLE_1)
	s_lshl_b32 s22, s22, 3
	s_waitcnt lgkmcnt(2)
	v_fma_f64 v[5:6], -v[15:16], v[5:6], v[27:28]
	s_waitcnt lgkmcnt(1)
	v_fma_f64 v[13:14], -v[17:18], v[13:14], v[25:26]
	v_fma_f64 v[31:32], -v[19:20], v[1:2], v[23:24]
	v_or_b32_e32 v1, s48, v0
	v_mov_b32_e32 v2, s22
	s_lshl_b32 s22, s23, 3
	v_mov_b32_e32 v23, s24
	v_mov_b32_e32 v27, s22
	v_lshlrev_b32_e32 v53, 3, v1
	s_sub_i32 s24, s28, 30
	s_sub_i32 s22, s28, 32
	s_waitcnt lgkmcnt(0)
	v_fma_f64 v[9:10], -v[21:22], v[9:10], v[3:4]
	ds_load_2addr_b64 v[1:4], v2 offset1:1
	ds_load_b64 v[33:34], v53 offset:8192
	ds_load_2addr_b64 v[23:26], v23 offset1:1
	ds_load_2addr_b64 v[27:30], v27 offset1:1
	s_add_i32 s63, s24, s14
	s_add_i32 s62, s22, s14
	;; [unrolled: 1-line block ×3, first 2 shown]
	s_mul_i32 s23, s28, 0x108
	s_lshl_b32 s14, s14, 3
	s_add_i32 s55, s23, 0xfffff190
	s_add_i32 s58, s23, 0xfffff3a0
	;; [unrolled: 1-line block ×3, first 2 shown]
	s_waitcnt lgkmcnt(2)
	v_fma_f64 v[33:34], -v[15:16], v[3:4], v[33:34]
	v_or_b32_e32 v3, s26, v0
	v_mov_b32_e32 v4, s27
	v_fma_f64 v[35:36], -v[17:18], v[11:12], v[5:6]
	s_add_i32 s26, s20, s13
	s_add_i32 s27, s15, 0xfffffca0
	v_lshlrev_b32_e32 v3, 3, v3
	s_lshl_b32 s26, s26, 3
	s_waitcnt lgkmcnt(1)
	v_fma_f64 v[25:26], -v[19:20], v[25:26], v[13:14]
	v_fma_f64 v[7:8], -v[21:22], v[7:8], v[31:32]
	s_waitcnt lgkmcnt(0)
	v_mul_f64 v[9:10], v[29:30], v[9:10]
	ds_load_b64 v[29:30], v3 offset:8192
	ds_load_2addr_b64 v[3:6], v4 offset1:1
	s_waitcnt lgkmcnt(1)
	v_fma_f64 v[1:2], -v[15:16], v[1:2], v[29:30]
	s_waitcnt lgkmcnt(0)
	v_fma_f64 v[31:32], -v[17:18], v[5:6], v[33:34]
	v_mov_b32_e32 v6, s31
	s_lshl_b32 s31, s21, 5
	s_lshl_b32 s21, s20, 5
	s_add_i32 s34, s20, s31
	s_add_i32 s20, s20, s9
	v_or_b32_e32 v5, s46, v0
	s_lshl_b32 s20, s20, 3
	v_mov_b32_e32 v11, s26
	v_fma_f64 v[33:34], -v[19:20], v[23:24], v[35:36]
	s_delay_alu instid0(VALU_DEP_3)
	v_dual_mov_b32 v23, s33 :: v_dual_lshlrev_b32 v54, 3, v5
	s_add_i32 s82, s49, s21
	ds_load_2addr_b64 v[11:14], v11 offset1:1
	s_lshl_b32 s82, s82, 3
	s_add_i32 s26, s15, 0xfffffc60
	s_add_i32 s33, s15, 0xfffffc20
	v_fma_f64 v[35:36], -v[9:10], v[27:28], v[7:8]
	ds_load_2addr_b64 v[5:8], v6 offset1:1
	ds_load_b64 v[37:38], v54 offset:8192
	v_mov_b32_e32 v27, s30
	s_lshl_b32 s15, s49, 5
	s_add_i32 s83, s56, s31
	s_lshl_b32 s30, s52, 5
	s_lshl_b32 s83, s83, 3
	s_waitcnt lgkmcnt(2)
	v_fma_f64 v[13:14], -v[21:22], v[13:14], v[25:26]
	ds_load_2addr_b64 v[23:26], v23 offset1:1
	ds_load_2addr_b64 v[27:30], v27 offset1:1
	ds_load_b64 v[39:40], v39
	s_waitcnt lgkmcnt(3)
	v_fma_f64 v[7:8], -v[15:16], v[7:8], v[37:38]
	v_fma_f64 v[37:38], -v[17:18], v[3:4], v[1:2]
	v_lshlrev_b32_e32 v1, 3, v41
	v_or_b32_e32 v41, s42, v0
	s_waitcnt lgkmcnt(2)
	v_fma_f64 v[25:26], -v[19:20], v[25:26], v[31:32]
	v_fma_f64 v[31:32], -v[21:22], v[11:12], v[33:34]
	v_mov_b32_e32 v33, s35
	s_waitcnt lgkmcnt(0)
	v_mul_f64 v[11:12], v[39:40], v[35:36]
	v_or_b32_e32 v40, s57, v0
	s_add_i32 s57, s49, s8
	v_or_b32_e32 v36, s65, v0
	ds_load_2addr_b64 v[42:45], v33 offset1:1
	s_lshl_b32 s57, s57, 3
	v_lshlrev_b32_e32 v40, 3, v40
	v_or_b32_e32 v39, s68, v0
	s_add_i32 s68, s56, s21
	s_add_i32 s65, s56, s48
	v_or_b32_e32 v35, s69, v0
	s_add_i32 s69, s52, s8
	s_lshl_b32 s35, s50, 5
	v_lshlrev_b32_e32 v106, 3, v39
	v_fma_f64 v[13:14], -v[9:10], v[29:30], v[13:14]
	ds_load_b64 v[29:30], v1 offset:8192
	v_mov_b32_e32 v1, s53
	s_lshl_b32 s53, s34, 3
	s_lshl_b32 s34, s51, 5
	v_mov_b32_e32 v34, s53
	v_fma_f64 v[23:24], -v[19:20], v[23:24], v[37:38]
	ds_load_2addr_b64 v[1:4], v1 offset1:1
	v_or_b32_e32 v38, s67, v0
	s_add_i32 s67, s56, s9
	ds_load_2addr_b64 v[56:59], v34 offset1:1
	v_or_b32_e32 v33, s45, v0
	v_or_b32_e32 v37, s38, v0
	v_or_b32_e32 v34, s36, v0
	s_add_i32 s53, s23, 0xffffed70
	s_delay_alu instid0(VALU_DEP_3) | instskip(SKIP_2) | instid1(SALU_CYCLE_1)
	v_lshlrev_b32_e32 v55, 3, v33
	v_or_b32_e32 v33, s71, v0
	s_add_i32 s71, s49, s9
	s_lshl_b32 s71, s71, 3
	s_waitcnt lgkmcnt(3)
	v_fma_f64 v[62:63], -v[21:22], v[44:45], v[25:26]
	v_mov_b32_e32 v25, s57
	s_waitcnt lgkmcnt(2)
	v_fma_f64 v[29:30], -v[15:16], v[5:6], v[29:30]
	v_fma_f64 v[64:65], -v[9:10], v[27:28], v[31:32]
	v_mov_b32_e32 v26, s73
	s_add_i32 s57, s56, s13
	ds_load_2addr_b64 v[44:47], v25 offset1:1
	s_waitcnt lgkmcnt(2)
	v_fma_f64 v[7:8], -v[17:18], v[3:4], v[7:8]
	v_mov_b32_e32 v3, s14
	s_lshl_b32 s14, s77, 3
	ds_load_b64 v[66:67], v26
	v_mov_b32_e32 v27, s14
	s_lshl_b32 s57, s57, 3
	ds_load_2addr_b64 v[3:6], v3 offset1:1
	s_add_i32 s14, s49, s31
	s_lshl_b32 s77, s61, 3
	s_lshl_b32 s14, s14, 3
	s_waitcnt lgkmcnt(3)
	v_fma_f64 v[13:14], -v[11:12], v[58:59], v[13:14]
	ds_load_2addr_b64 v[58:61], v27 offset1:1
	ds_load_b64 v[68:69], v55 offset:8192
	v_or_b32_e32 v32, s66, v0
	s_add_i32 s66, s52, s9
	v_mov_b32_e32 v94, s77
	s_lshl_b32 s66, s66, 3
	v_fma_f64 v[23:24], -v[21:22], v[42:43], v[23:24]
	v_mov_b32_e32 v42, s20
	s_add_i32 s20, s56, s46
	v_mov_b32_e32 v120, s66
	v_or_b32_e32 v31, s41, v0
	v_or_b32_e32 v28, s39, v0
	;; [unrolled: 1-line block ×3, first 2 shown]
	s_add_i32 s70, s52, s31
	s_add_i32 s73, s51, s13
	v_or_b32_e32 v26, s27, v0
	v_or_b32_e32 v25, s26, v0
	s_add_i32 s61, s47, s4
	s_lshl_b32 s20, s20, 3
	s_lshl_b32 s61, s61, 3
	s_add_i32 s66, s47, s21
	s_waitcnt lgkmcnt(4)
	v_fma_f64 v[46:47], -v[9:10], v[46:47], v[62:63]
	s_waitcnt lgkmcnt(0)
	v_fma_f64 v[72:73], -v[15:16], v[60:61], v[68:69]
	v_fma_f64 v[1:2], -v[17:18], v[1:2], v[29:30]
	;; [unrolled: 1-line block ×3, first 2 shown]
	ds_load_b64 v[64:65], v40 offset:8192
	v_or_b32_e32 v30, s72, v0
	s_add_i32 s72, s51, s8
	v_fma_f64 v[70:71], -v[19:20], v[5:6], v[7:8]
	v_mov_b32_e32 v5, s57
	s_add_i32 s57, s56, s15
	v_or_b32_e32 v29, s33, v0
	s_lshl_b32 s57, s57, 3
	s_lshl_b32 s66, s66, 3
	ds_load_2addr_b64 v[5:8], v5 offset1:1
	v_mov_b32_e32 v40, s14
	s_lshl_b32 s14, s64, 3
	ds_load_2addr_b64 v[60:63], v40 offset1:1
	ds_load_b64 v[74:75], v42
	v_mul_f64 v[13:14], v[66:67], v[13:14]
	v_mov_b32_e32 v43, s14
	s_add_i32 s14, s56, s8
	s_add_i32 s56, s52, s12
	s_waitcnt lgkmcnt(3)
	v_fma_f64 v[58:59], -v[15:16], v[58:59], v[64:65]
	s_lshl_b32 s14, s14, 3
	ds_load_2addr_b64 v[66:69], v43 offset1:1
	s_lshl_b32 s56, s56, 3
	v_dual_mov_b32 v43, s14 :: v_dual_mov_b32 v64, s59
	s_add_i32 s64, s49, s48
	v_mov_b32_e32 v40, s76
	s_lshl_b32 s76, s60, 3
	v_mov_b32_e32 v42, s75
	s_add_i32 s59, s51, s31
	s_add_i32 s75, s50, s4
	s_lshl_b32 s59, s59, 3
	s_add_i32 s60, s50, s13
	s_add_i32 s49, s52, s48
	s_lshl_b32 s60, s60, 3
	v_fma_f64 v[1:2], -v[19:20], v[3:4], v[1:2]
	s_lshl_b32 s49, s49, 3
	s_add_i32 s14, s52, s15
	s_delay_alu instid0(SALU_CYCLE_1)
	s_lshl_b32 s14, s14, 3
	s_waitcnt lgkmcnt(3)
	v_fma_f64 v[3:4], -v[21:22], v[7:8], v[70:71]
	v_fma_f64 v[7:8], -v[9:10], v[44:45], v[23:24]
	s_waitcnt lgkmcnt(2)
	v_fma_f64 v[23:24], -v[11:12], v[62:63], v[46:47]
	s_waitcnt lgkmcnt(0)
	v_fma_f64 v[62:63], -v[17:18], v[68:69], v[72:73]
	ds_load_2addr_b64 v[43:46], v43 offset1:1
	v_fma_f64 v[47:48], -v[13:14], v[74:75], v[56:57]
	v_dual_mov_b32 v56, s71 :: v_dual_mov_b32 v57, s56
	ds_load_2addr_b64 v[68:71], v56 offset1:1
	ds_load_b64 v[80:81], v77
	ds_load_2addr_b64 v[72:75], v57 offset1:1
	v_lshlrev_b32_e32 v56, 3, v76
	ds_load_2addr_b64 v[76:79], v64 offset1:1
	v_fma_f64 v[57:58], -v[17:18], v[66:67], v[58:59]
	s_add_i32 s71, s51, s12
	s_add_i32 s56, s44, s4
	ds_load_b64 v[66:67], v56 offset:8192
	s_lshl_b32 s77, s71, 3
	s_lshl_b32 s71, s64, 3
	;; [unrolled: 1-line block ×5, first 2 shown]
	v_mov_b32_e32 v119, s64
	v_fma_f64 v[82:83], -v[21:22], v[5:6], v[1:2]
	v_dual_mov_b32 v2, s82 :: v_dual_lshlrev_b32 v1, 3, v84
	s_lshl_b32 s82, s85, 3
	v_mov_b32_e32 v121, s65
	s_waitcnt lgkmcnt(5)
	v_fma_f64 v[86:87], -v[9:10], v[45:46], v[3:4]
	v_fma_f64 v[88:89], -v[11:12], v[60:61], v[7:8]
	ds_load_b64 v[84:85], v1 offset:8192
	s_waitcnt lgkmcnt(5)
	v_fma_f64 v[70:71], -v[13:14], v[70:71], v[23:24]
	s_waitcnt lgkmcnt(3)
	v_fma_f64 v[62:63], -v[19:20], v[74:75], v[62:63]
	v_mov_b32_e32 v1, s83
	s_lshl_b32 s83, s84, 3
	v_mov_b32_e32 v59, s82
	v_mov_b32_e32 v45, s83
	s_waitcnt lgkmcnt(1)
	v_fma_f64 v[66:67], -v[15:16], v[78:79], v[66:67]
	s_lshl_b32 s82, s63, 3
	s_lshl_b32 s63, s62, 3
	;; [unrolled: 1-line block ×3, first 2 shown]
	v_mul_f64 v[23:24], v[80:81], v[47:48]
	ds_load_2addr_b64 v[45:48], v45 offset1:1
	s_lshl_b32 s67, s68, 3
	s_lshl_b32 s68, s70, 3
	;; [unrolled: 1-line block ×3, first 2 shown]
	v_mov_b32_e32 v117, s82
	v_dual_mov_b32 v65, s58 :: v_dual_mov_b32 v118, s63
	s_add_i32 s58, s52, s21
	s_waitcnt lgkmcnt(1)
	v_fma_f64 v[74:75], -v[15:16], v[76:77], v[84:85]
	v_fma_f64 v[72:73], -v[19:20], v[72:73], v[57:58]
	ds_load_2addr_b64 v[58:61], v59 offset1:1
	v_mov_b32_e32 v84, s76
	s_lshl_b32 s76, s69, 3
	s_lshl_b32 s69, s73, 3
	;; [unrolled: 1-line block ×3, first 2 shown]
	v_mov_b32_e32 v102, s69
	s_add_i32 s64, s44, s12
	s_add_i32 s63, s51, s45
	s_lshl_b32 s64, s64, 3
	v_fma_f64 v[76:77], -v[9:10], v[43:44], v[82:83]
	v_dual_mov_b32 v43, s62 :: v_dual_mov_b32 v44, s76
	s_lshl_b32 s62, s74, 3
	v_lshlrev_b32_e32 v57, 3, v41
	ds_load_b64 v[82:83], v42
	v_fma_f64 v[78:79], -v[13:14], v[68:69], v[88:89]
	v_mov_b32_e32 v88, s71
	ds_load_2addr_b64 v[5:8], v1 offset1:1
	ds_load_2addr_b64 v[1:4], v2 offset1:1
	s_lshl_b32 s63, s63, 3
	s_add_i32 s65, s50, s19
	s_add_i32 s69, s47, s19
	s_lshl_b32 s65, s65, 3
	s_waitcnt lgkmcnt(3)
	v_fma_f64 v[80:81], -v[17:18], v[60:61], v[66:67]
	s_lshl_b32 s69, s69, 3
	v_fma_f64 v[74:75], -v[17:18], v[58:59], v[74:75]
	s_waitcnt lgkmcnt(1)
	v_fma_f64 v[7:8], -v[11:12], v[7:8], v[86:87]
	s_waitcnt lgkmcnt(0)
	v_fma_f64 v[3:4], -v[23:24], v[3:4], v[70:71]
	v_fma_f64 v[70:71], -v[21:22], v[47:48], v[62:63]
	ds_load_2addr_b64 v[61:64], v43 offset1:1
	ds_load_2addr_b64 v[41:44], v44 offset1:1
	;; [unrolled: 1-line block ×3, first 2 shown]
	ds_load_b64 v[59:60], v57 offset:8192
	v_mov_b32_e32 v47, s77
	v_fma_f64 v[84:85], -v[21:22], v[45:46], v[72:73]
	v_lshlrev_b32_e32 v58, 3, v31
	v_fma_f64 v[86:87], -v[11:12], v[5:6], v[76:77]
	v_dual_mov_b32 v36, s67 :: v_dual_lshlrev_b32 v5, 3, v36
	v_dual_mov_b32 v76, s68 :: v_dual_mov_b32 v77, s70
	s_add_i32 s67, s47, s15
	s_add_i32 s70, s25, s12
	s_lshl_b32 s67, s67, 3
	s_add_i32 s68, s47, s46
	ds_load_b64 v[72:73], v5 offset:8192
	s_waitcnt lgkmcnt(4)
	v_fma_f64 v[7:8], -v[13:14], v[63:64], v[7:8]
	v_fma_f64 v[63:64], -v[23:24], v[1:2], v[78:79]
	s_waitcnt lgkmcnt(3)
	v_fma_f64 v[90:91], -v[9:10], v[43:44], v[70:71]
	v_lshlrev_b32_e32 v70, 3, v32
	s_waitcnt lgkmcnt(1)
	v_fma_f64 v[31:32], -v[15:16], v[68:69], v[59:60]
	v_lshlrev_b32_e32 v59, 3, v28
	v_lshlrev_b32_e32 v28, 3, v38
	ds_load_2addr_b64 v[45:48], v47 offset1:1
	v_mul_f64 v[5:6], v[82:83], v[3:4]
	v_lshlrev_b32_e32 v60, 3, v37
	v_fma_f64 v[100:101], -v[9:10], v[41:42], v[84:85]
	s_waitcnt lgkmcnt(0)
	v_fma_f64 v[92:93], -v[19:20], v[47:48], v[80:81]
	ds_load_2addr_b64 v[1:4], v94 offset1:1
	ds_load_b64 v[43:44], v58 offset:8192
	ds_load_b64 v[47:48], v70 offset:8192
	v_fma_f64 v[94:95], -v[15:16], v[66:67], v[72:73]
	ds_load_2addr_b64 v[66:69], v36 offset1:1
	ds_load_b64 v[88:89], v88
	ds_load_2addr_b64 v[36:39], v96 offset1:1
	v_fma_f64 v[96:97], -v[19:20], v[45:46], v[74:75]
	ds_load_2addr_b64 v[70:73], v76 offset1:1
	ds_load_b64 v[45:46], v59 offset:8192
	ds_load_b64 v[98:99], v28 offset:8192
	ds_load_2addr_b64 v[74:77], v77 offset1:1
	ds_load_2addr_b64 v[78:81], v102 offset1:1
	v_fma_f64 v[102:103], -v[13:14], v[61:62], v[86:87]
	v_lshlrev_b32_e32 v61, 3, v34
	ds_load_2addr_b64 v[82:85], v104 offset1:1
	ds_load_b64 v[104:105], v60 offset:8192
	ds_load_b64 v[106:107], v106 offset:8192
	ds_load_b64 v[108:109], v40
	v_lshlrev_b32_e32 v62, 3, v26
	v_mov_b32_e32 v28, s62
	s_add_i32 s62, s51, s19
	s_delay_alu instid0(SALU_CYCLE_1)
	s_lshl_b32 s62, s62, 3
	s_waitcnt lgkmcnt(13)
	v_fma_f64 v[43:44], -v[15:16], v[3:4], v[43:44]
	s_waitcnt lgkmcnt(11)
	v_fma_f64 v[110:111], -v[23:24], v[68:69], v[7:8]
	;; [unrolled: 2-line block ×3, first 2 shown]
	ds_load_2addr_b64 v[86:89], v114 offset1:1
	ds_load_b64 v[7:8], v61 offset:8192
	s_waitcnt lgkmcnt(10)
	v_fma_f64 v[114:115], -v[11:12], v[72:73], v[90:91]
	v_fma_f64 v[41:42], -v[15:16], v[1:2], v[47:48]
	v_lshlrev_b32_e32 v1, 3, v35
	s_waitcnt lgkmcnt(8)
	v_fma_f64 v[47:48], -v[15:16], v[36:37], v[98:99]
	s_waitcnt lgkmcnt(7)
	v_fma_f64 v[31:32], -v[17:18], v[76:77], v[31:32]
	v_fma_f64 v[45:46], -v[15:16], v[38:39], v[45:46]
	s_waitcnt lgkmcnt(4)
	v_fma_f64 v[37:38], -v[15:16], v[84:85], v[104:105]
	ds_load_b64 v[34:35], v1 offset:8192
	v_lshlrev_b32_e32 v64, 3, v29
	v_fma_f64 v[100:101], -v[11:12], v[70:71], v[100:101]
	v_lshlrev_b32_e32 v63, 3, v25
	v_lshlrev_b32_e32 v25, 3, v33
	s_waitcnt lgkmcnt(4)
	v_fma_f64 v[39:40], -v[15:16], v[82:83], v[106:107]
	v_lshlrev_b32_e32 v106, 3, v30
	v_fma_f64 v[98:99], -v[21:22], v[80:81], v[92:93]
	ds_load_2addr_b64 v[90:93], v116 offset1:1
	v_lshlrev_b32_e32 v1, 3, v27
	ds_load_b64 v[84:85], v62 offset:8192
	ds_load_b64 v[104:105], v1 offset:8192
	ds_load_2addr_b64 v[1:4], v119 offset1:1
	ds_load_2addr_b64 v[27:30], v28 offset1:1
	v_fma_f64 v[94:95], -v[17:18], v[74:75], v[94:95]
	ds_load_2addr_b64 v[72:75], v120 offset1:1
	ds_load_2addr_b64 v[68:71], v121 offset1:1
	v_fma_f64 v[96:97], -v[21:22], v[78:79], v[96:97]
	s_waitcnt lgkmcnt(7)
	v_fma_f64 v[35:36], -v[15:16], v[86:87], v[34:35]
	ds_load_2addr_b64 v[76:79], v117 offset1:1
	ds_load_b64 v[86:87], v63 offset:8192
	v_fma_f64 v[7:8], -v[15:16], v[88:89], v[7:8]
	v_fma_f64 v[88:89], -v[23:24], v[66:67], v[102:103]
	ds_load_b64 v[66:67], v25 offset:8192
	ds_load_2addr_b64 v[80:83], v118 offset1:1
	s_waitcnt lgkmcnt(9)
	v_fma_f64 v[25:26], -v[15:16], v[92:93], v[84:85]
	s_waitcnt lgkmcnt(8)
	v_fma_f64 v[33:34], -v[15:16], v[90:91], v[104:105]
	;; [unrolled: 2-line block ×3, first 2 shown]
	v_mul_f64 v[3:4], v[108:109], v[112:113]
	ds_load_b64 v[90:91], v64 offset:8192
	s_waitcnt lgkmcnt(6)
	v_fma_f64 v[104:105], -v[13:14], v[74:75], v[114:115]
	v_mov_b32_e32 v108, s59
	s_add_i32 s59, s47, s12
	v_mov_b32_e32 v112, s55
	s_lshl_b32 s59, s59, 3
	s_add_i32 s55, s50, s8
	v_mov_b32_e32 v114, s54
	s_lshl_b32 s55, s55, 3
	s_waitcnt lgkmcnt(5)
	v_fma_f64 v[98:99], -v[9:10], v[70:71], v[98:99]
	v_mov_b32_e32 v71, s58
	ds_load_b64 v[102:103], v106 offset:8192
	v_mov_b32_e32 v70, s57
	v_fma_f64 v[106:107], -v[19:20], v[29:30], v[31:32]
	s_waitcnt lgkmcnt(4)
	v_fma_f64 v[29:30], -v[15:16], v[78:79], v[86:87]
	s_waitcnt lgkmcnt(3)
	v_fma_f64 v[31:32], -v[15:16], v[76:77], v[66:67]
	ds_load_2addr_b64 v[74:77], v70 offset1:1
	ds_load_2addr_b64 v[84:87], v71 offset1:1
	v_dual_mov_b32 v66, s60 :: v_dual_mov_b32 v67, s61
	v_fma_f64 v[94:95], -v[19:20], v[27:28], v[94:95]
	s_waitcnt lgkmcnt(3)
	v_fma_f64 v[27:28], -v[15:16], v[82:83], v[90:91]
	v_fma_f64 v[82:83], -v[9:10], v[68:69], v[96:97]
	v_fma_f64 v[96:97], -v[13:14], v[72:73], v[100:101]
	ds_load_2addr_b64 v[70:73], v108 offset1:1
	v_mov_b32_e32 v90, s56
	v_fma_f64 v[1:2], -v[5:6], v[1:2], v[88:89]
	s_add_i32 s57, s52, s46
	s_add_i32 s56, s52, s19
	;; [unrolled: 1-line block ×3, first 2 shown]
	ds_load_2addr_b64 v[88:91], v90 offset1:1
	s_waitcnt lgkmcnt(4)
	v_fma_f64 v[102:103], -v[15:16], v[80:81], v[102:103]
	ds_load_2addr_b64 v[78:81], v66 offset1:1
	ds_load_2addr_b64 v[66:69], v67 offset1:1
	s_add_i32 s52, s51, s9
	s_add_i32 s58, s51, s21
	s_lshl_b32 s52, s52, 3
	s_waitcnt lgkmcnt(5)
	v_fma_f64 v[92:93], -v[3:4], v[76:77], v[92:93]
	v_mov_b32_e32 v76, s52
	s_waitcnt lgkmcnt(4)
	v_fma_f64 v[86:87], -v[23:24], v[86:87], v[104:105]
	s_add_i32 s52, s47, s13
	s_lshl_b32 s58, s58, 3
	s_lshl_b32 s52, s52, 3
	s_add_i32 s54, s47, s8
	s_lshl_b32 s57, s57, 3
	s_lshl_b32 s54, s54, 3
	s_lshl_b32 s56, s56, 3
	s_waitcnt lgkmcnt(3)
	v_fma_f64 v[98:99], -v[11:12], v[72:73], v[98:99]
	v_mov_b32_e32 v72, s55
	s_add_i32 s61, s51, s46
	s_add_i32 s55, s51, s30
	v_mov_b32_e32 v115, s53
	s_waitcnt lgkmcnt(1)
	v_fma_f64 v[104:105], -v[21:22], v[80:81], v[106:107]
	s_waitcnt lgkmcnt(0)
	v_fma_f64 v[100:101], -v[17:18], v[68:69], v[43:44]
	v_dual_mov_b32 v43, s20 :: v_dual_mov_b32 v68, s49
	v_fma_f64 v[106:107], -v[17:18], v[66:67], v[41:42]
	v_mov_b32_e32 v66, s59
	s_add_i32 s49, s40, s4
	ds_load_2addr_b64 v[41:44], v43 offset1:1
	v_fma_f64 v[90:91], -v[17:18], v[90:91], v[45:46]
	v_fma_f64 v[88:89], -v[17:18], v[88:89], v[47:48]
	ds_load_2addr_b64 v[45:48], v68 offset1:1
	ds_load_2addr_b64 v[66:69], v66 offset1:1
	s_lshl_b32 s49, s49, 3
	v_fma_f64 v[94:95], -v[21:22], v[78:79], v[94:95]
	v_mov_b32_e32 v80, s49
	v_fma_f64 v[108:109], -v[11:12], v[70:71], v[82:83]
	ds_load_2addr_b64 v[70:73], v72 offset1:1
	v_fma_f64 v[84:85], -v[23:24], v[84:85], v[96:97]
	v_fma_f64 v[96:97], -v[3:4], v[74:75], v[1:2]
	ds_load_2addr_b64 v[76:79], v76 offset1:1
	s_add_i32 s49, s50, s31
	s_add_i32 s20, s51, s48
	s_lshl_b32 s49, s49, 3
	s_lshl_b32 s20, s20, 3
	s_add_i32 s59, s51, s15
	s_lshl_b32 s53, s60, 3
	s_lshl_b32 s55, s55, 3
	s_add_i32 s60, s47, s45
	s_waitcnt lgkmcnt(4)
	v_mul_f64 v[1:2], v[43:44], v[92:93]
	v_mov_b32_e32 v43, s14
	ds_load_2addr_b64 v[80:83], v80 offset1:1
	s_waitcnt lgkmcnt(4)
	v_fma_f64 v[47:48], -v[5:6], v[47:48], v[86:87]
	v_mov_b32_e32 v44, s58
	s_add_i32 s58, s44, s13
	s_add_i32 s14, s37, s4
	s_lshl_b32 s58, s58, 3
	s_lshl_b32 s14, s14, 3
	;; [unrolled: 1-line block ×3, first 2 shown]
	s_waitcnt lgkmcnt(2)
	v_fma_f64 v[92:93], -v[9:10], v[72:73], v[104:105]
	v_fma_f64 v[86:87], -v[19:20], v[68:69], v[100:101]
	v_mov_b32_e32 v72, s52
	s_add_i32 s52, s51, s43
	v_fma_f64 v[100:101], -v[19:20], v[66:67], v[106:107]
	v_mov_b32_e32 v66, s49
	s_add_i32 s49, s50, s9
	s_add_i32 s51, s50, s48
	s_lshl_b32 s49, s49, 3
	s_lshl_b32 s51, s51, 3
	;; [unrolled: 1-line block ×3, first 2 shown]
	s_waitcnt lgkmcnt(0)
	v_fma_f64 v[82:83], -v[17:18], v[82:83], v[37:38]
	v_fma_f64 v[104:105], -v[17:18], v[80:81], v[39:40]
	ds_load_2addr_b64 v[37:40], v43 offset1:1
	v_fma_f64 v[98:99], -v[13:14], v[78:79], v[98:99]
	v_mov_b32_e32 v78, s64
	v_fma_f64 v[94:95], -v[9:10], v[70:71], v[94:95]
	ds_load_2addr_b64 v[66:69], v66 offset1:1
	ds_load_2addr_b64 v[70:73], v72 offset1:1
	v_fma_f64 v[106:107], -v[13:14], v[76:77], v[108:109]
	v_fma_f64 v[84:85], -v[5:6], v[45:46], v[84:85]
	ds_load_b64 v[108:109], v65
	s_add_i32 s64, s50, s46
	s_delay_alu instid0(SALU_CYCLE_1)
	s_lshl_b32 s64, s64, 3
	v_fma_f64 v[96:97], -v[1:2], v[41:42], v[96:97]
	s_waitcnt lgkmcnt(3)
	v_fma_f64 v[47:48], -v[3:4], v[39:40], v[47:48]
	v_mov_b32_e32 v39, s57
	ds_load_2addr_b64 v[74:77], v44 offset1:1
	ds_load_2addr_b64 v[43:46], v78 offset1:1
	s_lshl_b32 s57, s59, 3
	s_waitcnt lgkmcnt(4)
	v_fma_f64 v[92:93], -v[11:12], v[68:69], v[92:93]
	s_waitcnt lgkmcnt(3)
	v_fma_f64 v[86:87], -v[21:22], v[72:73], v[86:87]
	ds_load_2addr_b64 v[39:42], v39 offset1:1
	v_mov_b32_e32 v69, s20
	v_fma_f64 v[100:101], -v[21:22], v[70:71], v[100:101]
	s_add_i32 s59, s50, s30
	s_add_i32 s20, s50, s15
	s_lshl_b32 s59, s59, 3
	s_lshl_b32 s20, s20, 3
	s_waitcnt lgkmcnt(2)
	v_fma_f64 v[98:99], -v[23:24], v[76:77], v[98:99]
	s_waitcnt lgkmcnt(1)
	v_fma_f64 v[88:89], -v[19:20], v[43:44], v[88:89]
	v_mov_b32_e32 v43, s54
	v_fma_f64 v[90:91], -v[19:20], v[45:46], v[90:91]
	v_fma_f64 v[84:85], -v[3:4], v[37:38], v[84:85]
	s_add_i32 s54, s40, s12
	ds_load_2addr_b64 v[43:46], v43 offset1:1
	v_mov_b32_e32 v78, s14
	s_add_i32 s14, s50, s21
	s_lshl_b32 s54, s54, 3
	s_lshl_b32 s14, s14, 3
	v_mov_b32_e32 v68, s49
	ds_load_2addr_b64 v[78:81], v78 offset1:1
	s_add_i32 s49, s25, s4
	s_delay_alu instid0(SALU_CYCLE_1) | instskip(SKIP_4) | instid1(SALU_CYCLE_1)
	s_lshl_b32 s49, s49, 3
	s_waitcnt lgkmcnt(1)
	v_fma_f64 v[86:87], -v[9:10], v[45:46], v[86:87]
	v_mov_b32_e32 v45, s14
	s_add_i32 s14, s44, s8
	s_lshl_b32 s14, s14, 3
	s_waitcnt lgkmcnt(0)
	v_fma_f64 v[80:81], -v[17:18], v[80:81], v[7:8]
	v_mov_b32_e32 v7, s58
	v_fma_f64 v[110:111], -v[17:18], v[78:79], v[35:36]
	v_fma_f64 v[77:78], -v[11:12], v[66:67], v[94:95]
	ds_load_2addr_b64 v[65:68], v68 offset1:1
	ds_load_2addr_b64 v[69:72], v69 offset1:1
	v_fma_f64 v[94:95], -v[23:24], v[74:75], v[106:107]
	ds_load_2addr_b64 v[73:76], v7 offset1:1
	v_mov_b32_e32 v7, s49
	v_fma_f64 v[106:107], -v[1:2], v[41:42], v[47:48]
	s_add_i32 s49, s47, s31
	v_mov_b32_e32 v41, s56
	s_lshl_b32 s49, s49, 3
	ds_load_2addr_b64 v[35:38], v7 offset1:1
	v_mul_f64 v[7:8], v[108:109], v[96:97]
	v_fma_f64 v[84:85], -v[1:2], v[39:40], v[84:85]
	s_lshl_b32 s56, s61, 3
	s_add_i32 s61, s47, s48
	s_add_i32 s58, s50, s45
	s_lshl_b32 s61, s61, 3
	s_lshl_b32 s58, s58, 3
	s_waitcnt lgkmcnt(3)
	v_fma_f64 v[92:93], -v[13:14], v[67:68], v[92:93]
	v_dual_mov_b32 v67, s57 :: v_dual_mov_b32 v68, s49
	s_waitcnt lgkmcnt(1)
	v_fma_f64 v[73:74], -v[21:22], v[73:74], v[88:89]
	v_fma_f64 v[88:89], -v[9:10], v[43:44], v[100:101]
	;; [unrolled: 1-line block ×3, first 2 shown]
	ds_load_2addr_b64 v[41:44], v41 offset1:1
	ds_load_2addr_b64 v[45:48], v45 offset1:1
	v_fma_f64 v[75:76], -v[21:22], v[75:76], v[90:91]
	s_add_i32 s49, s24, s4
	s_waitcnt lgkmcnt(2)
	v_fma_f64 v[98:99], -v[17:18], v[35:36], v[33:34]
	ds_load_2addr_b64 v[33:36], v68 offset1:1
	v_fma_f64 v[90:91], -v[17:18], v[37:38], v[25:26]
	v_mov_b32_e32 v37, s54
	s_add_i32 s54, s50, s34
	s_add_i32 s57, s50, s43
	s_lshl_b32 s54, s54, 3
	s_lshl_b32 s57, s57, 3
	s_add_i32 s50, s50, s42
	v_fma_f64 v[25:26], -v[13:14], v[65:66], v[77:78]
	ds_load_2addr_b64 v[65:68], v67 offset1:1
	v_fma_f64 v[77:78], -v[5:6], v[69:70], v[94:95]
	s_lshl_b32 s50, s50, 3
	s_waitcnt lgkmcnt(3)
	v_fma_f64 v[94:95], -v[7:8], v[43:44], v[106:107]
	v_mov_b32_e32 v44, s51
	s_waitcnt lgkmcnt(1)
	v_fma_f64 v[86:87], -v[11:12], v[35:36], v[86:87]
	v_mov_b32_e32 v35, s53
	ds_load_2addr_b64 v[69:72], v37 offset1:1
	v_mov_b32_e32 v43, s56
	v_fma_f64 v[84:85], -v[7:8], v[41:42], v[84:85]
	s_add_i32 s53, s47, s43
	s_add_i32 s56, s47, s30
	s_lshl_b32 s53, s53, 3
	v_fma_f64 v[47:48], -v[23:24], v[47:48], v[92:93]
	s_lshl_b32 s56, s56, 3
	s_add_i32 s51, s47, s34
	v_fma_f64 v[88:89], -v[11:12], v[33:34], v[88:89]
	ds_load_2addr_b64 v[33:36], v35 offset1:1
	v_mov_b32_e32 v37, s14
	s_add_i32 s14, s47, s9
	s_lshl_b32 s51, s51, 3
	s_lshl_b32 s14, s14, 3
	ds_load_2addr_b64 v[37:40], v37 offset1:1
	s_waitcnt lgkmcnt(3)
	v_fma_f64 v[92:93], -v[3:4], v[67:68], v[96:97]
	v_mov_b32_e32 v67, s14
	s_waitcnt lgkmcnt(2)
	v_fma_f64 v[96:97], -v[19:20], v[69:70], v[104:105]
	s_lshl_b32 s14, s49, 3
	v_fma_f64 v[82:83], -v[19:20], v[71:72], v[82:83]
	s_add_i32 s49, s47, s42
	v_fma_f64 v[106:107], -v[23:24], v[45:46], v[25:26]
	v_mov_b32_e32 v25, s14
	s_add_i32 s14, s40, s13
	v_fma_f64 v[65:66], -v[3:4], v[65:66], v[77:78]
	s_lshl_b32 s14, s14, 3
	s_lshl_b32 s49, s49, 3
	s_waitcnt lgkmcnt(0)
	v_fma_f64 v[100:101], -v[9:10], v[39:40], v[75:76]
	v_fma_f64 v[104:105], -v[9:10], v[37:38], v[73:74]
	ds_load_2addr_b64 v[37:40], v67 offset1:1
	ds_load_2addr_b64 v[67:70], v44 offset1:1
	;; [unrolled: 1-line block ×4, first 2 shown]
	v_mov_b32_e32 v25, s14
	s_add_i32 s14, s44, s31
	s_delay_alu instid0(SALU_CYCLE_1)
	s_lshl_b32 s14, s14, 3
	ds_load_2addr_b64 v[75:78], v25 offset1:1
	v_mul_f64 v[25:26], v[35:36], v[94:95]
	v_dual_mov_b32 v35, s20 :: v_dual_mov_b32 v36, s66
	s_add_i32 s20, s22, s4
	s_add_i32 s66, s40, s8
	s_lshl_b32 s20, s20, 3
	s_lshl_b32 s66, s66, 3
	s_waitcnt lgkmcnt(4)
	v_fma_f64 v[86:87], -v[13:14], v[39:40], v[86:87]
	s_waitcnt lgkmcnt(3)
	v_fma_f64 v[94:95], -v[5:6], v[69:70], v[47:48]
	;; [unrolled: 2-line block ×3, first 2 shown]
	v_mov_b32_e32 v39, s62
	s_waitcnt lgkmcnt(1)
	v_fma_f64 v[73:74], -v[17:18], v[73:74], v[29:30]
	v_fma_f64 v[108:109], -v[17:18], v[71:72], v[31:32]
	;; [unrolled: 1-line block ×3, first 2 shown]
	ds_load_2addr_b64 v[29:32], v35 offset1:1
	ds_load_2addr_b64 v[35:38], v36 offset1:1
	;; [unrolled: 1-line block ×3, first 2 shown]
	v_mov_b32_e32 v45, s14
	s_waitcnt lgkmcnt(3)
	v_fma_f64 v[77:78], -v[21:22], v[77:78], v[82:83]
	v_fma_f64 v[82:83], -v[5:6], v[67:68], v[106:107]
	v_fma_f64 v[75:76], -v[21:22], v[75:76], v[96:97]
	v_fma_f64 v[96:97], -v[1:2], v[43:44], v[65:66]
	ds_load_2addr_b64 v[45:48], v45 offset1:1
	v_mov_b32_e32 v67, s20
	s_add_i32 s14, s37, s12
	ds_load_b64 v[106:107], v112
	s_lshl_b32 s14, s14, 3
	s_add_i32 s62, s44, s9
	v_mov_b32_e32 v43, s14
	ds_load_2addr_b64 v[65:68], v67 offset1:1
	s_add_i32 s20, s47, s35
	s_add_i32 s14, s47, s41
	s_lshl_b32 s20, s20, 3
	ds_load_2addr_b64 v[69:72], v43 offset1:1
	s_lshl_b32 s14, s14, 3
	v_fma_f64 v[84:85], -v[25:26], v[33:34], v[84:85]
	s_waitcnt lgkmcnt(3)
	v_fma_f64 v[104:105], -v[11:12], v[45:46], v[104:105]
	v_fma_f64 v[100:101], -v[11:12], v[47:48], v[100:101]
	;; [unrolled: 1-line block ×4, first 2 shown]
	v_mov_b32_e32 v31, s61
	v_mov_b32_e32 v37, s64
	s_waitcnt lgkmcnt(1)
	v_fma_f64 v[112:113], -v[17:18], v[67:68], v[27:28]
	v_mov_b32_e32 v27, s66
	v_fma_f64 v[88:89], -v[23:24], v[35:36], v[88:89]
	ds_load_2addr_b64 v[31:34], v31 offset1:1
	v_fma_f64 v[92:93], -v[7:8], v[41:42], v[92:93]
	v_mov_b32_e32 v41, s63
	ds_load_2addr_b64 v[35:38], v37 offset1:1
	ds_load_2addr_b64 v[41:44], v41 offset1:1
	s_lshl_b32 s61, s62, 3
	s_waitcnt lgkmcnt(3)
	v_fma_f64 v[79:80], -v[19:20], v[71:72], v[80:81]
	v_mov_b32_e32 v28, s61
	s_lshl_b32 s62, s70, 3
	v_fma_f64 v[81:82], -v[3:4], v[29:30], v[82:83]
	ds_load_2addr_b64 v[45:48], v27 offset1:1
	v_fma_f64 v[102:103], -v[17:18], v[65:66], v[102:103]
	ds_load_2addr_b64 v[65:68], v28 offset1:1
	v_mov_b32_e32 v27, s62
	v_fma_f64 v[110:111], -v[19:20], v[69:70], v[110:111]
	v_fma_f64 v[96:97], -v[7:8], v[39:40], v[96:97]
	s_add_i32 s66, s37, s13
	v_mov_b32_e32 v29, s55
	ds_load_2addr_b64 v[69:72], v27 offset1:1
	v_mul_f64 v[27:28], v[106:107], v[84:85]
	s_lshl_b32 s66, s66, 3
	s_add_i32 s61, s44, s21
	v_mov_b32_e32 v30, s66
	s_add_i32 s62, s40, s31
	s_lshl_b32 s61, s61, 3
	s_lshl_b32 s62, s62, 3
	s_add_i32 s55, s24, s12
	s_add_i32 s63, s44, s48
	s_lshl_b32 s55, s55, 3
	s_waitcnt lgkmcnt(5)
	v_fma_f64 v[86:87], -v[5:6], v[33:34], v[86:87]
	s_waitcnt lgkmcnt(4)
	v_fma_f64 v[94:95], -v[1:2], v[37:38], v[94:95]
	v_mov_b32_e32 v33, s65
	s_waitcnt lgkmcnt(2)
	v_fma_f64 v[47:48], -v[9:10], v[47:48], v[77:78]
	v_fma_f64 v[75:76], -v[9:10], v[45:46], v[75:76]
	s_waitcnt lgkmcnt(1)
	v_fma_f64 v[83:84], -v[13:14], v[65:66], v[104:105]
	v_fma_f64 v[77:78], -v[13:14], v[67:68], v[100:101]
	;; [unrolled: 1-line block ×4, first 2 shown]
	ds_load_2addr_b64 v[37:40], v30 offset1:1
	ds_load_2addr_b64 v[43:46], v33 offset1:1
	;; [unrolled: 1-line block ×3, first 2 shown]
	v_mov_b32_e32 v34, s67
	s_waitcnt lgkmcnt(3)
	v_fma_f64 v[98:99], -v[19:20], v[69:70], v[98:99]
	v_mov_b32_e32 v33, s62
	v_mov_b32_e32 v69, s61
	;; [unrolled: 1-line block ×3, first 2 shown]
	ds_load_2addr_b64 v[65:68], v34 offset1:1
	v_fma_f64 v[90:91], -v[19:20], v[71:72], v[90:91]
	v_fma_f64 v[81:82], -v[1:2], v[35:36], v[81:82]
	ds_load_2addr_b64 v[69:72], v69 offset1:1
	ds_load_2addr_b64 v[33:36], v33 offset1:1
	s_add_i32 s55, s40, s9
	s_add_i32 s61, s37, s8
	s_lshl_b32 s67, s68, 3
	v_fma_f64 v[96:97], -v[25:26], v[41:42], v[96:97]
	s_lshl_b32 s61, s61, 3
	s_lshl_b32 s55, s55, 3
	v_mov_b32_e32 v41, s67
	s_waitcnt lgkmcnt(5)
	v_fma_f64 v[79:80], -v[21:22], v[39:40], v[79:80]
	v_fma_f64 v[100:101], -v[21:22], v[37:38], v[110:111]
	ds_load_2addr_b64 v[37:40], v85 offset1:1
	s_add_i32 s67, s25, s13
	s_add_i32 s64, s44, s15
	s_lshl_b32 s67, s67, 3
	s_lshl_b32 s64, s64, 3
	s_add_i32 s12, s22, s12
	s_add_i32 s65, s44, s46
	s_lshl_b32 s12, s12, 3
	s_waitcnt lgkmcnt(3)
	v_fma_f64 v[85:86], -v[3:4], v[67:68], v[86:87]
	v_fma_f64 v[94:95], -v[7:8], v[45:46], v[94:95]
	s_add_i32 s68, s40, s48
	s_waitcnt lgkmcnt(1)
	v_fma_f64 v[104:105], -v[11:12], v[35:36], v[47:48]
	v_mov_b32_e32 v35, s52
	v_fma_f64 v[75:76], -v[11:12], v[33:34], v[75:76]
	v_fma_f64 v[83:84], -v[23:24], v[69:70], v[83:84]
	v_mov_b32_e32 v69, s55
	v_fma_f64 v[92:93], -v[27:28], v[31:32], v[92:93]
	v_mov_b32_e32 v31, s58
	v_fma_f64 v[77:78], -v[23:24], v[71:72], v[77:78]
	ds_load_2addr_b64 v[45:48], v41 offset1:1
	ds_load_2addr_b64 v[69:72], v69 offset1:1
	s_waitcnt lgkmcnt(2)
	v_fma_f64 v[106:107], -v[19:20], v[39:40], v[73:74]
	ds_load_2addr_b64 v[31:34], v31 offset1:1
	v_mov_b32_e32 v39, s61
	v_fma_f64 v[108:109], -v[19:20], v[37:38], v[108:109]
	ds_load_2addr_b64 v[35:38], v35 offset1:1
	s_lshl_b32 s52, s63, 3
	v_fma_f64 v[73:74], -v[3:4], v[65:66], v[88:89]
	ds_load_2addr_b64 v[39:42], v39 offset1:1
	v_mov_b32_e32 v67, s52
	v_fma_f64 v[81:82], -v[7:8], v[43:44], v[81:82]
	s_add_i32 s63, s40, s21
	v_fma_f64 v[87:88], -v[27:28], v[29:30], v[96:97]
	s_lshl_b32 s63, s63, 3
	ds_load_2addr_b64 v[65:68], v67 offset1:1
	s_add_i32 s66, s44, s19
	s_add_i32 s62, s44, s45
	;; [unrolled: 1-line block ×6, first 2 shown]
	s_waitcnt lgkmcnt(5)
	v_fma_f64 v[85:86], -v[1:2], v[47:48], v[85:86]
	s_waitcnt lgkmcnt(3)
	v_fma_f64 v[94:95], -v[25:26], v[33:34], v[94:95]
	v_dual_mov_b32 v33, s67 :: v_dual_mov_b32 v34, s59
	s_add_i32 s59, s37, s31
	s_waitcnt lgkmcnt(1)
	v_fma_f64 v[79:80], -v[9:10], v[41:42], v[79:80]
	s_lshl_b32 s59, s59, 3
	v_fma_f64 v[71:72], -v[13:14], v[71:72], v[104:105]
	v_mul_f64 v[29:30], v[37:38], v[92:93]
	v_fma_f64 v[92:93], -v[9:10], v[39:40], v[100:101]
	ds_load_2addr_b64 v[37:40], v33 offset1:1
	s_waitcnt lgkmcnt(1)
	v_fma_f64 v[77:78], -v[5:6], v[67:68], v[77:78]
	v_fma_f64 v[83:84], -v[5:6], v[65:66], v[83:84]
	ds_load_2addr_b64 v[65:68], v34 offset1:1
	v_dual_mov_b32 v33, s69 :: v_dual_mov_b32 v34, s59
	v_fma_f64 v[75:76], -v[13:14], v[69:70], v[75:76]
	v_mov_b32_e32 v69, s63
	s_add_i32 s63, s25, s8
	ds_load_2addr_b64 v[41:44], v33 offset1:1
	v_fma_f64 v[96:97], -v[1:2], v[45:46], v[73:74]
	s_lshl_b32 s63, s63, 3
	v_fma_f64 v[81:82], -v[25:26], v[31:32], v[81:82]
	s_add_i32 s67, s40, s15
	s_add_i32 s59, s40, s46
	s_waitcnt lgkmcnt(2)
	v_fma_f64 v[89:90], -v[21:22], v[39:40], v[90:91]
	v_fma_f64 v[98:99], -v[21:22], v[37:38], v[98:99]
	ds_load_2addr_b64 v[37:40], v34 offset1:1
	v_mov_b32_e32 v33, s64
	s_lshl_b32 s64, s65, 3
	s_lshl_b32 s65, s68, 3
	ds_load_2addr_b64 v[45:48], v33 offset1:1
	s_waitcnt lgkmcnt(2)
	v_fma_f64 v[85:86], -v[7:8], v[43:44], v[85:86]
	v_fma_f64 v[94:95], -v[27:28], v[67:68], v[94:95]
	v_mov_b32_e32 v43, s57
	s_add_i32 s57, s40, s19
	s_delay_alu instid0(SALU_CYCLE_1)
	s_lshl_b32 s57, s57, 3
	v_fma_f64 v[87:88], -v[29:30], v[35:36], v[87:88]
	v_mov_b32_e32 v35, s60
	s_add_i32 s60, s40, s45
	s_waitcnt lgkmcnt(1)
	v_fma_f64 v[91:92], -v[11:12], v[37:38], v[92:93]
	ds_load_2addr_b64 v[35:38], v35 offset1:1
	ds_load_2addr_b64 v[31:34], v69 offset1:1
	v_mov_b32_e32 v69, s12
	v_fma_f64 v[79:80], -v[11:12], v[39:40], v[79:80]
	v_mov_b32_e32 v39, s63
	s_waitcnt lgkmcnt(2)
	v_fma_f64 v[47:48], -v[3:4], v[47:48], v[77:78]
	s_add_i32 s12, s37, s9
	ds_load_2addr_b64 v[67:70], v69 offset1:1
	s_lshl_b32 s12, s12, 3
	v_mov_b32_e32 v40, s64
	v_fma_f64 v[83:84], -v[3:4], v[45:46], v[83:84]
	v_fma_f64 v[96:97], -v[7:8], v[41:42], v[96:97]
	;; [unrolled: 1-line block ×3, first 2 shown]
	s_add_i32 s63, s37, s21
	s_add_i32 s64, s24, s8
	s_lshl_b32 s63, s63, 3
	s_lshl_b32 s64, s64, 3
	s_add_i32 s8, s22, s8
	s_delay_alu instid0(SALU_CYCLE_1)
	s_lshl_b32 s8, s8, 3
	s_waitcnt lgkmcnt(1)
	v_fma_f64 v[33:34], -v[23:24], v[33:34], v[71:72]
	v_fma_f64 v[100:101], -v[23:24], v[31:32], v[75:76]
	ds_load_2addr_b64 v[71:74], v43 offset1:1
	ds_load_b64 v[31:32], v114
	v_mov_b32_e32 v43, s12
	s_add_i32 s12, s24, s13
	v_mov_b32_e32 v75, s65
	s_waitcnt lgkmcnt(2)
	v_fma_f64 v[104:105], -v[19:20], v[69:70], v[112:113]
	v_fma_f64 v[102:103], -v[19:20], v[67:68], v[102:103]
	ds_load_2addr_b64 v[67:70], v39 offset1:1
	ds_load_2addr_b64 v[43:46], v43 offset1:1
	;; [unrolled: 1-line block ×4, first 2 shown]
	s_lshl_b32 s12, s12, 3
	v_fma_f64 v[85:86], -v[25:26], v[37:38], v[85:86]
	v_dual_mov_b32 v37, s12 :: v_dual_mov_b32 v38, s54
	s_add_i32 s12, s25, s31
	s_lshl_b32 s54, s66, 3
	s_lshl_b32 s12, s12, 3
	s_waitcnt lgkmcnt(5)
	v_fma_f64 v[73:74], -v[29:30], v[73:74], v[94:95]
	s_waitcnt lgkmcnt(4)
	v_mul_f64 v[31:32], v[31:32], v[87:88]
	s_waitcnt lgkmcnt(3)
	v_fma_f64 v[87:88], -v[9:10], v[69:70], v[89:90]
	v_fma_f64 v[89:90], -v[9:10], v[67:68], v[98:99]
	ds_load_2addr_b64 v[65:68], v37 offset1:1
	s_waitcnt lgkmcnt(2)
	v_fma_f64 v[93:94], -v[1:2], v[41:42], v[47:48]
	v_fma_f64 v[79:80], -v[13:14], v[45:46], v[79:80]
	ds_load_2addr_b64 v[45:48], v38 offset1:1
	v_mov_b32_e32 v37, s56
	v_fma_f64 v[91:92], -v[13:14], v[43:44], v[91:92]
	v_mov_b32_e32 v69, s12
	v_fma_f64 v[83:84], -v[1:2], v[39:40], v[83:84]
	s_waitcnt lgkmcnt(2)
	v_fma_f64 v[77:78], -v[5:6], v[77:78], v[33:34]
	ds_load_2addr_b64 v[41:44], v37 offset1:1
	v_fma_f64 v[98:99], -v[5:6], v[75:76], v[100:101]
	v_dual_mov_b32 v33, s54 :: v_dual_mov_b32 v34, s63
	v_fma_f64 v[95:96], -v[25:26], v[35:36], v[96:97]
	v_fma_f64 v[81:82], -v[29:30], v[71:72], v[81:82]
	s_lshl_b32 s56, s67, 3
	s_add_i32 s63, s37, s15
	s_add_i32 s54, s40, s30
	;; [unrolled: 1-line block ×3, first 2 shown]
	s_lshl_b32 s54, s54, 3
	s_waitcnt lgkmcnt(2)
	v_fma_f64 v[100:101], -v[21:22], v[67:68], v[106:107]
	v_fma_f64 v[106:107], -v[21:22], v[65:66], v[108:109]
	ds_load_2addr_b64 v[65:68], v69 offset1:1
	ds_load_2addr_b64 v[37:40], v33 offset1:1
	v_mov_b32_e32 v69, s56
	s_add_i32 s56, s37, s48
	v_mov_b32_e32 v108, s64
	s_lshl_b32 s56, s56, 3
	s_add_i32 s64, s22, s13
	s_waitcnt lgkmcnt(2)
	v_fma_f64 v[85:86], -v[27:28], v[43:44], v[85:86]
	v_mov_b32_e32 v43, s50
	v_fma_f64 v[47:48], -v[31:32], v[47:48], v[73:74]
	v_mov_b32_e32 v44, s53
	s_lshl_b32 s53, s62, 3
	s_add_i32 s62, s25, s9
	ds_load_2addr_b64 v[69:72], v69 offset1:1
	s_add_i32 s50, s37, s46
	ds_load_2addr_b64 v[73:76], v44 offset1:1
	s_lshl_b32 s12, s12, 3
	s_waitcnt lgkmcnt(3)
	v_fma_f64 v[87:88], -v[11:12], v[67:68], v[87:88]
	v_fma_f64 v[89:90], -v[11:12], v[65:66], v[89:90]
	ds_load_2addr_b64 v[65:68], v43 offset1:1
	ds_load_2addr_b64 v[33:36], v34 offset1:1
	s_waitcnt lgkmcnt(4)
	v_fma_f64 v[93:94], -v[7:8], v[39:40], v[93:94]
	v_fma_f64 v[83:84], -v[7:8], v[37:38], v[83:84]
	;; [unrolled: 1-line block ×4, first 2 shown]
	s_waitcnt lgkmcnt(0)
	v_fma_f64 v[91:92], -v[23:24], v[33:34], v[91:92]
	v_mov_b32_e32 v33, s53
	s_lshl_b32 s53, s62, 3
	v_fma_f64 v[79:80], -v[23:24], v[35:36], v[79:80]
	v_mov_b32_e32 v34, s53
	s_add_i32 s62, s24, s31
	ds_load_2addr_b64 v[35:38], v33 offset1:1
	s_lshl_b32 s62, s62, 3
	s_lshl_b32 s53, s59, 3
	ds_load_2addr_b64 v[39:42], v34 offset1:1
	v_mov_b32_e32 v33, s56
	v_fma_f64 v[75:76], -v[29:30], v[75:76], v[85:86]
	s_add_i32 s56, s25, s21
	s_add_i32 s59, s25, s48
	ds_load_2addr_b64 v[43:46], v33 offset1:1
	s_waitcnt lgkmcnt(2)
	v_fma_f64 v[93:94], -v[25:26], v[37:38], v[93:94]
	v_mov_b32_e32 v37, s51
	s_lshl_b32 s51, s61, 3
	s_waitcnt lgkmcnt(1)
	v_fma_f64 v[89:90], -v[13:14], v[39:40], v[89:90]
	v_fma_f64 v[87:88], -v[13:14], v[41:42], v[87:88]
	s_lshl_b32 s61, s63, 3
	ds_load_2addr_b64 v[37:40], v37 offset1:1
	v_mul_f64 v[33:34], v[67:68], v[47:48]
	v_mov_b32_e32 v47, s62
	v_fma_f64 v[35:36], -v[25:26], v[35:36], v[83:84]
	v_fma_f64 v[83:84], -v[29:30], v[73:74], v[95:96]
	s_waitcnt lgkmcnt(1)
	v_fma_f64 v[91:92], -v[5:6], v[43:44], v[91:92]
	ds_load_2addr_b64 v[41:44], v47 offset1:1
	v_fma_f64 v[77:78], -v[3:4], v[71:72], v[77:78]
	v_fma_f64 v[97:98], -v[3:4], v[69:70], v[98:99]
	ds_load_2addr_b64 v[69:72], v108 offset1:1
	v_mov_b32_e32 v108, s53
	v_fma_f64 v[79:80], -v[5:6], v[45:46], v[79:80]
	v_mov_b32_e32 v45, s51
	s_lshl_b32 s51, s56, 3
	s_lshl_b32 s56, s64, 3
	s_add_i32 s53, s37, s19
	ds_load_2addr_b64 v[45:48], v45 offset1:1
	s_lshl_b32 s53, s53, 3
	s_waitcnt lgkmcnt(3)
	v_fma_f64 v[95:96], -v[31:32], v[39:40], v[75:76]
	s_waitcnt lgkmcnt(1)
	v_fma_f64 v[85:86], -v[9:10], v[71:72], v[100:101]
	v_fma_f64 v[99:100], -v[9:10], v[69:70], v[106:107]
	ds_load_2addr_b64 v[67:70], v108 offset1:1
	v_mov_b32_e32 v101, s57
	v_mov_b32_e32 v71, s56
	s_add_i32 s56, s24, s9
	s_lshl_b32 s57, s58, 3
	s_lshl_b32 s56, s56, 3
	s_lshl_b32 s58, s60, 3
	ds_load_2addr_b64 v[71:74], v71 offset1:1
	v_fma_f64 v[81:82], -v[33:34], v[65:66], v[81:82]
	s_add_i32 s9, s22, s9
	v_fma_f64 v[83:84], -v[31:32], v[37:38], v[83:84]
	s_lshl_b32 s9, s9, 3
	s_waitcnt lgkmcnt(1)
	v_fma_f64 v[106:107], -v[1:2], v[69:70], v[77:78]
	v_mov_b32_e32 v69, s51
	v_fma_f64 v[97:98], -v[1:2], v[67:68], v[97:98]
	v_mov_b32_e32 v77, s61
	s_add_i32 s51, s25, s15
	ds_load_2addr_b64 v[67:70], v69 offset1:1
	s_waitcnt lgkmcnt(1)
	v_fma_f64 v[104:105], -v[21:22], v[73:74], v[104:105]
	ds_load_2addr_b64 v[75:78], v77 offset1:1
	v_fma_f64 v[85:86], -v[11:12], v[43:44], v[85:86]
	v_fma_f64 v[99:100], -v[11:12], v[41:42], v[99:100]
	ds_load_2addr_b64 v[39:42], v101 offset1:1
	v_mov_b32_e32 v43, s49
	s_lshl_b32 s49, s50, 3
	s_lshl_b32 s50, s59, 3
	s_waitcnt lgkmcnt(2)
	v_fma_f64 v[87:88], -v[23:24], v[69:70], v[87:88]
	v_fma_f64 v[89:90], -v[23:24], v[67:68], v[89:90]
	ds_load_2addr_b64 v[65:68], v43 offset1:1
	v_fma_f64 v[93:94], -v[27:28], v[47:48], v[93:94]
	ds_load_b64 v[69:70], v115
	s_waitcnt lgkmcnt(3)
	v_fma_f64 v[108:109], -v[3:4], v[77:78], v[79:80]
	v_mov_b32_e32 v43, s56
	v_mov_b32_e32 v47, s57
	v_fma_f64 v[91:92], -v[3:4], v[75:76], v[91:92]
	v_dual_mov_b32 v78, s49 :: v_dual_mov_b32 v77, s58
	v_fma_f64 v[110:111], -v[27:28], v[45:46], v[35:36]
	s_waitcnt lgkmcnt(2)
	v_fma_f64 v[106:107], -v[7:8], v[41:42], v[106:107]
	ds_load_2addr_b64 v[41:44], v43 offset1:1
	ds_load_2addr_b64 v[73:76], v47 offset1:1
	v_fma_f64 v[97:98], -v[7:8], v[39:40], v[97:98]
	v_mov_b32_e32 v39, s8
	v_mov_b32_e32 v47, s50
	ds_load_2addr_b64 v[37:40], v39 offset1:1
	ds_load_2addr_b64 v[45:48], v47 offset1:1
	s_waitcnt lgkmcnt(5)
	v_fma_f64 v[95:96], -v[33:34], v[67:68], v[95:96]
	s_add_i32 s8, s24, s21
	s_waitcnt lgkmcnt(4)
	v_mul_f64 v[35:36], v[69:70], v[81:82]
	v_fma_f64 v[81:82], -v[21:22], v[71:72], v[102:103]
	ds_load_2addr_b64 v[67:70], v78 offset1:1
	ds_load_2addr_b64 v[77:80], v77 offset1:1
	s_lshl_b32 s8, s8, 3
	s_add_i32 s49, s22, s31
	v_fma_f64 v[83:84], -v[33:34], v[65:66], v[83:84]
	s_add_i32 s50, s37, s45
	s_waitcnt lgkmcnt(5)
	v_fma_f64 v[99:100], -v[13:14], v[41:42], v[99:100]
	v_mov_b32_e32 v41, s20
	v_fma_f64 v[85:86], -v[13:14], v[43:44], v[85:86]
	s_lshl_b32 s20, s55, 3
	ds_load_2addr_b64 v[41:44], v41 offset1:1
	s_waitcnt lgkmcnt(4)
	v_fma_f64 v[101:102], -v[9:10], v[39:40], v[104:105]
	v_fma_f64 v[93:94], -v[29:30], v[75:76], v[93:94]
	s_waitcnt lgkmcnt(3)
	v_fma_f64 v[87:88], -v[5:6], v[47:48], v[87:88]
	v_dual_mov_b32 v39, s20 :: v_dual_mov_b32 v40, s8
	s_waitcnt lgkmcnt(2)
	v_fma_f64 v[103:104], -v[1:2], v[69:70], v[108:109]
	s_lshl_b32 s8, s51, 3
	s_lshl_b32 s20, s49, 3
	v_fma_f64 v[89:90], -v[5:6], v[45:46], v[89:90]
	v_fma_f64 v[91:92], -v[1:2], v[67:68], v[91:92]
	s_waitcnt lgkmcnt(1)
	v_fma_f64 v[105:106], -v[25:26], v[79:80], v[106:107]
	ds_load_2addr_b64 v[45:48], v39 offset1:1
	ds_load_2addr_b64 v[67:70], v40 offset1:1
	v_dual_mov_b32 v39, s20 :: v_dual_mov_b32 v40, s8
	v_dual_mov_b32 v80, s53 :: v_dual_mov_b32 v79, s54
	v_fma_f64 v[97:98], -v[25:26], v[77:78], v[97:98]
	v_fma_f64 v[107:108], -v[29:30], v[73:74], v[110:111]
	ds_load_2addr_b64 v[71:74], v39 offset1:1
	ds_load_2addr_b64 v[75:78], v40 offset1:1
	s_add_i32 s8, s25, s46
	s_add_i32 s20, s24, s48
	s_waitcnt lgkmcnt(4)
	v_fma_f64 v[95:96], -v[35:36], v[43:44], v[95:96]
	v_fma_f64 v[109:110], -v[9:10], v[37:38], v[81:82]
	ds_load_2addr_b64 v[37:40], v80 offset1:1
	ds_load_2addr_b64 v[79:82], v79 offset1:1
	v_mov_b32_e32 v43, s14
	s_lshl_b32 s49, s52, 3
	s_lshl_b32 s14, s50, 3
	s_lshl_b32 s8, s8, 3
	s_lshl_b32 s20, s20, 3
	s_add_i32 s50, s22, s21
	s_add_i32 s48, s22, s48
	s_waitcnt lgkmcnt(4)
	v_fma_f64 v[85:86], -v[23:24], v[69:70], v[85:86]
	v_mov_b32_e32 v69, s14
	s_add_i32 s14, s37, s30
	s_lshl_b32 s48, s48, 3
	s_lshl_b32 s14, s14, 3
	v_fma_f64 v[47:48], -v[31:32], v[47:48], v[93:94]
	v_fma_f64 v[93:94], -v[23:24], v[67:68], v[99:100]
	ds_load_2addr_b64 v[65:68], v43 offset1:1
	s_waitcnt lgkmcnt(4)
	v_fma_f64 v[99:100], -v[11:12], v[73:74], v[101:102]
	s_waitcnt lgkmcnt(3)
	v_fma_f64 v[87:88], -v[3:4], v[77:78], v[87:88]
	;; [unrolled: 2-line block ×3, first 2 shown]
	v_mov_b32_e32 v43, s49
	v_fma_f64 v[89:90], -v[3:4], v[75:76], v[89:90]
	v_mov_b32_e32 v39, s9
	s_waitcnt lgkmcnt(1)
	v_fma_f64 v[103:104], -v[27:28], v[81:82], v[105:106]
	v_mov_b32_e32 v40, s20
	v_fma_f64 v[91:92], -v[7:8], v[37:38], v[91:92]
	v_mov_b32_e32 v37, s8
	v_mov_b32_e32 v81, s12
	ds_load_2addr_b64 v[73:76], v43 offset1:1
	v_fma_f64 v[97:98], -v[27:28], v[79:80], v[97:98]
	ds_load_2addr_b64 v[77:80], v39 offset1:1
	v_fma_f64 v[105:106], -v[31:32], v[45:46], v[107:108]
	;; [unrolled: 2-line block ×3, first 2 shown]
	ds_load_2addr_b64 v[39:42], v37 offset1:1
	s_add_i32 s9, s44, s35
	s_waitcnt lgkmcnt(4)
	v_mul_f64 v[37:38], v[67:68], v[95:96]
	ds_load_2addr_b64 v[67:70], v69 offset1:1
	ds_load_2addr_b64 v[81:84], v81 offset1:1
	v_fma_f64 v[95:96], -v[11:12], v[71:72], v[109:110]
	s_add_i32 s12, s40, s34
	s_add_i32 s20, s25, s19
	;; [unrolled: 1-line block ×3, first 2 shown]
	s_lshl_b32 s9, s9, 3
	s_lshl_b32 s12, s12, 3
	;; [unrolled: 1-line block ×4, first 2 shown]
	s_add_i32 s8, s23, 0xffffeb60
	s_waitcnt lgkmcnt(5)
	v_fma_f64 v[47:48], -v[33:34], v[75:76], v[47:48]
	s_waitcnt lgkmcnt(3)
	v_fma_f64 v[93:94], -v[5:6], v[43:44], v[93:94]
	v_mov_b32_e32 v43, s9
	v_fma_f64 v[75:76], -v[13:14], v[79:80], v[99:100]
	v_fma_f64 v[99:100], -v[5:6], v[45:46], v[85:86]
	s_waitcnt lgkmcnt(2)
	v_fma_f64 v[87:88], -v[1:2], v[41:42], v[87:88]
	s_waitcnt lgkmcnt(1)
	v_fma_f64 v[101:102], -v[25:26], v[69:70], v[101:102]
	s_lshl_b32 s9, s50, 3
	v_mov_b32_e32 v44, s12
	s_waitcnt lgkmcnt(0)
	v_fma_f64 v[103:104], -v[29:30], v[83:84], v[103:104]
	v_fma_f64 v[89:90], -v[1:2], v[39:40], v[89:90]
	v_mov_b32_e32 v79, s20
	v_mov_b32_e32 v69, s49
	;; [unrolled: 1-line block ×4, first 2 shown]
	ds_load_2addr_b64 v[39:42], v43 offset1:1
	v_fma_f64 v[91:92], -v[25:26], v[67:68], v[91:92]
	ds_load_2addr_b64 v[67:70], v69 offset1:1
	ds_load_2addr_b64 v[43:46], v44 offset1:1
	v_fma_f64 v[97:98], -v[29:30], v[81:82], v[97:98]
	v_fma_f64 v[105:106], -v[33:34], v[73:74], v[105:106]
	ds_load_2addr_b64 v[71:74], v71 offset1:1
	ds_load_2addr_b64 v[79:82], v79 offset1:1
	;; [unrolled: 1-line block ×3, first 2 shown]
	v_fma_f64 v[107:108], -v[37:38], v[65:66], v[107:108]
	v_fma_f64 v[95:96], -v[13:14], v[77:78], v[95:96]
	v_mov_b32_e32 v65, s8
	s_add_i32 s8, s44, s41
	s_add_i32 s9, s40, s42
	;; [unrolled: 1-line block ×4, first 2 shown]
	s_lshl_b32 s8, s8, 3
	s_add_i32 s14, s25, s45
	s_lshl_b32 s9, s9, 3
	s_lshl_b32 s12, s12, 3
	;; [unrolled: 1-line block ×3, first 2 shown]
	v_mov_b32_e32 v77, s12
	ds_load_b64 v[111:112], v65
	s_add_i32 s12, s40, s35
	s_waitcnt lgkmcnt(6)
	v_fma_f64 v[109:110], -v[35:36], v[41:42], v[47:48]
	v_mov_b32_e32 v41, s8
	s_lshl_b32 s8, s20, 3
	s_waitcnt lgkmcnt(3)
	v_fma_f64 v[113:114], -v[23:24], v[73:74], v[75:76]
	v_fma_f64 v[69:70], -v[3:4], v[69:70], v[99:100]
	s_waitcnt lgkmcnt(2)
	v_fma_f64 v[87:88], -v[7:8], v[81:82], v[87:88]
	s_waitcnt lgkmcnt(1)
	v_fma_f64 v[85:86], -v[27:28], v[85:86], v[101:102]
	v_mov_b32_e32 v42, s48
	v_fma_f64 v[93:94], -v[3:4], v[67:68], v[93:94]
	v_fma_f64 v[99:100], -v[31:32], v[45:46], v[103:104]
	v_mov_b32_e32 v73, s8
	v_fma_f64 v[89:90], -v[7:8], v[79:80], v[89:90]
	v_dual_mov_b32 v81, s9 :: v_dual_mov_b32 v74, s14
	ds_load_2addr_b64 v[45:48], v41 offset1:1
	ds_load_2addr_b64 v[65:68], v42 offset1:1
	v_fma_f64 v[91:92], -v[27:28], v[83:84], v[91:92]
	s_lshl_b32 s8, s47, 5
	s_add_i32 s47, s24, s19
	v_fma_f64 v[97:98], -v[31:32], v[43:44], v[97:98]
	ds_load_2addr_b64 v[41:44], v73 offset1:1
	ds_load_2addr_b64 v[73:76], v74 offset1:1
	v_fma_f64 v[101:102], -v[35:36], v[39:40], v[105:106]
	ds_load_2addr_b64 v[77:80], v77 offset1:1
	ds_load_2addr_b64 v[81:84], v81 offset1:1
	s_waitcnt lgkmcnt(6)
	v_mul_f64 v[39:40], v[111:112], v[107:108]
	v_fma_f64 v[95:96], -v[23:24], v[71:72], v[95:96]
	s_add_i32 s9, s44, s8
	s_add_i32 s48, s22, s15
	s_lshl_b32 s9, s9, 3
	s_add_i32 s14, s37, s34
	s_add_i32 s20, s25, s30
	s_lshl_b32 s14, s14, 3
	s_lshl_b32 s20, s20, 3
	;; [unrolled: 1-line block ×3, first 2 shown]
	s_add_i32 s46, s22, s46
	s_waitcnt lgkmcnt(5)
	v_fma_f64 v[103:104], -v[37:38], v[47:48], v[109:110]
	v_mov_b32_e32 v47, s9
	s_lshl_b32 s9, s47, 3
	s_waitcnt lgkmcnt(4)
	v_fma_f64 v[105:106], -v[5:6], v[67:68], v[113:114]
	s_waitcnt lgkmcnt(3)
	v_fma_f64 v[107:108], -v[1:2], v[43:44], v[69:70]
	;; [unrolled: 2-line block ×4, first 2 shown]
	s_lshl_b32 s47, s48, 3
	v_fma_f64 v[93:94], -v[1:2], v[41:42], v[93:94]
	s_waitcnt lgkmcnt(0)
	v_fma_f64 v[83:84], -v[33:34], v[83:84], v[99:100]
	v_mov_b32_e32 v71, s47
	ds_load_2addr_b64 v[41:44], v47 offset1:1
	v_mov_b32_e32 v48, s14
	v_fma_f64 v[89:90], -v[25:26], v[73:74], v[89:90]
	v_mov_b32_e32 v75, s9
	ds_load_2addr_b64 v[71:74], v71 offset1:1
	v_mov_b32_e32 v47, s20
	v_mov_b32_e32 v79, s12
	v_fma_f64 v[91:92], -v[29:30], v[77:78], v[91:92]
	v_fma_f64 v[97:98], -v[33:34], v[81:82], v[97:98]
	ds_load_2addr_b64 v[75:78], v75 offset1:1
	ds_load_2addr_b64 v[67:70], v47 offset1:1
	v_fma_f64 v[99:100], -v[37:38], v[45:46], v[101:102]
	ds_load_2addr_b64 v[45:48], v48 offset1:1
	ds_load_2addr_b64 v[79:82], v79 offset1:1
	s_add_i32 s9, s44, s39
	v_fma_f64 v[95:96], -v[5:6], v[65:66], v[95:96]
	s_lshl_b32 s9, s9, 3
	s_add_i32 s14, s37, s42
	s_add_i32 s20, s25, s43
	;; [unrolled: 1-line block ×4, first 2 shown]
	s_lshl_b32 s14, s14, 3
	s_lshl_b32 s20, s20, 3
	;; [unrolled: 1-line block ×3, first 2 shown]
	s_add_i32 s45, s22, s45
	s_delay_alu instid0(SALU_CYCLE_1)
	s_lshl_b32 s45, s45, 3
	s_waitcnt lgkmcnt(5)
	v_fma_f64 v[101:102], -v[39:40], v[43:44], v[103:104]
	v_mov_b32_e32 v43, s9
	s_lshl_b32 s9, s46, 3
	s_waitcnt lgkmcnt(4)
	v_fma_f64 v[103:104], -v[3:4], v[73:74], v[105:106]
	s_waitcnt lgkmcnt(3)
	v_fma_f64 v[105:106], -v[7:8], v[77:78], v[107:108]
	;; [unrolled: 2-line block ×4, first 2 shown]
	v_mov_b32_e32 v44, s9
	s_lshl_b32 s46, s47, 3
	s_waitcnt lgkmcnt(0)
	v_fma_f64 v[107:108], -v[35:36], v[81:82], v[83:84]
	v_fma_f64 v[93:94], -v[7:8], v[75:76], v[93:94]
	ds_load_2addr_b64 v[73:76], v43 offset1:1
	v_mov_b32_e32 v77, s20
	v_mov_b32_e32 v81, s14
	v_fma_f64 v[89:90], -v[27:28], v[67:68], v[89:90]
	ds_load_2addr_b64 v[65:68], v44 offset1:1
	v_mov_b32_e32 v43, s46
	v_mov_b32_e32 v85, s12
	v_fma_f64 v[91:92], -v[31:32], v[45:46], v[91:92]
	v_fma_f64 v[97:98], -v[35:36], v[79:80], v[97:98]
	ds_load_2addr_b64 v[77:80], v77 offset1:1
	ds_load_2addr_b64 v[43:46], v43 offset1:1
	;; [unrolled: 1-line block ×4, first 2 shown]
	v_fma_f64 v[99:100], -v[39:40], v[41:42], v[99:100]
	s_add_i32 s12, s37, s35
	v_fma_f64 v[71:72], -v[3:4], v[71:72], v[95:96]
	s_add_i32 s14, s25, s34
	s_add_i32 s20, s24, s30
	;; [unrolled: 1-line block ×4, first 2 shown]
	s_lshl_b32 s12, s12, 3
	s_lshl_b32 s14, s14, 3
	;; [unrolled: 1-line block ×5, first 2 shown]
	s_waitcnt lgkmcnt(5)
	v_mul_f64 v[41:42], v[75:76], v[101:102]
	v_mov_b32_e32 v75, s20
	s_add_i32 s20, s24, s43
	s_waitcnt lgkmcnt(4)
	v_fma_f64 v[101:102], -v[1:2], v[67:68], v[103:104]
	s_waitcnt lgkmcnt(2)
	v_fma_f64 v[103:104], -v[25:26], v[45:46], v[105:106]
	v_fma_f64 v[105:106], -v[29:30], v[79:80], v[69:70]
	s_waitcnt lgkmcnt(1)
	v_fma_f64 v[47:48], -v[33:34], v[83:84], v[47:48]
	v_mov_b32_e32 v45, s14
	v_mov_b32_e32 v79, s12
	s_waitcnt lgkmcnt(0)
	v_fma_f64 v[87:88], -v[37:38], v[87:88], v[107:108]
	v_mov_b32_e32 v67, s46
	v_mov_b32_e32 v83, s9
	v_fma_f64 v[93:94], -v[25:26], v[43:44], v[93:94]
	ds_load_2addr_b64 v[43:46], v45 offset1:1
	v_fma_f64 v[89:90], -v[29:30], v[77:78], v[89:90]
	ds_load_2addr_b64 v[67:70], v67 offset1:1
	ds_load_2addr_b64 v[75:78], v75 offset1:1
	s_add_i32 s9, s23, 0xffffe950
	v_fma_f64 v[91:92], -v[33:34], v[81:82], v[91:92]
	v_fma_f64 v[95:96], -v[37:38], v[85:86], v[97:98]
	ds_load_2addr_b64 v[79:82], v79 offset1:1
	ds_load_2addr_b64 v[83:86], v83 offset1:1
	v_mov_b32_e32 v107, s9
	s_add_i32 s9, s40, s39
	s_add_i32 s12, s37, s41
	;; [unrolled: 1-line block ×3, first 2 shown]
	v_fma_f64 v[65:66], -v[1:2], v[65:66], v[71:72]
	s_lshl_b32 s9, s9, 3
	s_lshl_b32 s12, s12, 3
	;; [unrolled: 1-line block ×4, first 2 shown]
	s_add_i32 s43, s22, s43
	s_delay_alu instid0(SALU_CYCLE_1)
	s_lshl_b32 s43, s43, 3
	v_fma_f64 v[97:98], -v[41:42], v[73:74], v[99:100]
	v_mov_b32_e32 v73, s14
	s_add_i32 s14, s37, s8
	s_waitcnt lgkmcnt(3)
	v_fma_f64 v[99:100], -v[7:8], v[69:70], v[101:102]
	s_waitcnt lgkmcnt(2)
	v_fma_f64 v[101:102], -v[27:28], v[77:78], v[103:104]
	v_fma_f64 v[103:104], -v[31:32], v[45:46], v[105:106]
	s_waitcnt lgkmcnt(1)
	v_fma_f64 v[105:106], -v[35:36], v[81:82], v[47:48]
	v_mov_b32_e32 v45, s45
	v_mov_b32_e32 v77, s12
	s_waitcnt lgkmcnt(0)
	v_fma_f64 v[85:86], -v[39:40], v[85:86], v[87:88]
	v_mov_b32_e32 v81, s9
	v_mov_b32_e32 v69, s20
	v_fma_f64 v[87:88], -v[27:28], v[75:76], v[93:94]
	ds_load_2addr_b64 v[45:48], v45 offset1:1
	ds_load_2addr_b64 v[69:72], v69 offset1:1
	v_fma_f64 v[89:90], -v[31:32], v[43:44], v[89:90]
	ds_load_2addr_b64 v[73:76], v73 offset1:1
	v_fma_f64 v[91:92], -v[35:36], v[79:80], v[91:92]
	;; [unrolled: 2-line block ×3, first 2 shown]
	ds_load_2addr_b64 v[81:84], v81 offset1:1
	ds_load_b64 v[43:44], v107
	s_lshl_b32 s9, s44, 5
	s_add_i32 s20, s25, s35
	s_add_i32 s44, s24, s34
	;; [unrolled: 1-line block ×4, first 2 shown]
	s_lshl_b32 s14, s14, 3
	s_lshl_b32 s20, s20, 3
	;; [unrolled: 1-line block ×5, first 2 shown]
	s_waitcnt lgkmcnt(5)
	v_fma_f64 v[47:48], -v[25:26], v[47:48], v[99:100]
	s_waitcnt lgkmcnt(4)
	v_fma_f64 v[95:96], -v[29:30], v[71:72], v[101:102]
	;; [unrolled: 2-line block ×4, first 2 shown]
	s_waitcnt lgkmcnt(0)
	v_mul_f64 v[43:44], v[43:44], v[97:98]
	v_fma_f64 v[97:98], -v[7:8], v[67:68], v[65:66]
	v_fma_f64 v[103:104], -v[41:42], v[83:84], v[85:86]
	v_mov_b32_e32 v65, s20
	v_mov_b32_e32 v71, s45
	;; [unrolled: 1-line block ×5, first 2 shown]
	ds_load_2addr_b64 v[65:68], v65 offset1:1
	v_fma_f64 v[87:88], -v[29:30], v[69:70], v[87:88]
	ds_load_2addr_b64 v[69:72], v71 offset1:1
	v_fma_f64 v[89:90], -v[33:34], v[73:74], v[89:90]
	;; [unrolled: 2-line block ×3, first 2 shown]
	ds_load_2addr_b64 v[77:80], v79 offset1:1
	ds_load_2addr_b64 v[83:86], v83 offset1:1
	v_fma_f64 v[93:94], -v[41:42], v[81:82], v[93:94]
	s_add_i32 s14, s37, s39
	s_add_i32 s20, s25, s41
	;; [unrolled: 1-line block ×4, first 2 shown]
	s_lshl_b32 s44, s44, 3
	s_lshl_b32 s20, s20, 3
	;; [unrolled: 1-line block ×4, first 2 shown]
	s_waitcnt lgkmcnt(3)
	v_fma_f64 v[105:106], -v[27:28], v[71:72], v[47:48]
	s_waitcnt lgkmcnt(2)
	v_fma_f64 v[95:96], -v[31:32], v[75:76], v[95:96]
	v_fma_f64 v[99:100], -v[35:36], v[67:68], v[99:100]
	s_waitcnt lgkmcnt(1)
	v_fma_f64 v[101:102], -v[39:40], v[79:80], v[101:102]
	v_mov_b32_e32 v67, s44
	v_fma_f64 v[97:98], -v[25:26], v[45:46], v[97:98]
	s_waitcnt lgkmcnt(0)
	v_fma_f64 v[85:86], -v[43:44], v[85:86], v[103:104]
	v_dual_mov_b32 v45, s43 :: v_dual_mov_b32 v68, s20
	v_mov_b32_e32 v75, s14
	v_mov_b32_e32 v79, s12
	s_add_i32 s14, s25, s8
	ds_load_2addr_b64 v[45:48], v45 offset1:1
	v_fma_f64 v[87:88], -v[31:32], v[73:74], v[87:88]
	ds_load_2addr_b64 v[71:74], v67 offset1:1
	v_fma_f64 v[89:90], -v[35:36], v[65:66], v[89:90]
	;; [unrolled: 2-line block ×3, first 2 shown]
	ds_load_2addr_b64 v[75:78], v75 offset1:1
	ds_load_2addr_b64 v[79:82], v79 offset1:1
	v_fma_f64 v[93:94], -v[43:44], v[83:84], v[93:94]
	s_add_i32 s20, s24, s35
	s_add_i32 s43, s22, s34
	;; [unrolled: 1-line block ×3, first 2 shown]
	s_lshl_b32 s20, s20, 3
	s_lshl_b32 s43, s43, 3
	;; [unrolled: 1-line block ×4, first 2 shown]
	s_waitcnt lgkmcnt(4)
	v_fma_f64 v[47:48], -v[29:30], v[47:48], v[105:106]
	s_waitcnt lgkmcnt(3)
	v_fma_f64 v[95:96], -v[33:34], v[73:74], v[95:96]
	;; [unrolled: 2-line block ×4, first 2 shown]
	v_mov_b32_e32 v67, s20
	v_fma_f64 v[97:98], -v[27:28], v[69:70], v[97:98]
	s_waitcnt lgkmcnt(0)
	v_mul_f64 v[101:102], v[81:82], v[85:86]
	v_mov_b32_e32 v73, s43
	v_mov_b32_e32 v81, s14
	;; [unrolled: 1-line block ×3, first 2 shown]
	ds_load_2addr_b64 v[67:70], v67 offset1:1
	s_add_i32 s12, s23, 0xffffe740
	s_add_i32 s14, s25, s39
	v_fma_f64 v[103:104], -v[33:34], v[71:72], v[87:88]
	ds_load_2addr_b64 v[71:74], v73 offset1:1
	v_fma_f64 v[89:90], -v[37:38], v[65:66], v[89:90]
	ds_load_2addr_b64 v[81:84], v81 offset1:1
	ds_load_2addr_b64 v[85:88], v85 offset1:1
	v_fma_f64 v[91:92], -v[41:42], v[75:76], v[91:92]
	v_mov_b32_e32 v107, s12
	s_add_i32 s12, s37, s38
	s_add_i32 s20, s22, s42
	;; [unrolled: 1-line block ×3, first 2 shown]
	s_lshl_b32 s20, s20, 3
	s_lshl_b32 s14, s14, 3
	;; [unrolled: 1-line block ×4, first 2 shown]
	s_delay_alu instid0(SALU_CYCLE_1) | instskip(SKIP_1) | instid1(SALU_CYCLE_1)
	v_dual_mov_b32 v66, s14 :: v_dual_mov_b32 v65, s42
	s_add_i32 s42, s22, s35
	s_lshl_b32 s42, s42, 3
	s_waitcnt lgkmcnt(2)
	v_fma_f64 v[105:106], -v[31:32], v[73:74], v[47:48]
	v_fma_f64 v[69:70], -v[35:36], v[69:70], v[95:96]
	s_waitcnt lgkmcnt(1)
	v_fma_f64 v[83:84], -v[39:40], v[83:84], v[99:100]
	s_waitcnt lgkmcnt(0)
	v_fma_f64 v[87:88], -v[43:44], v[87:88], v[77:78]
	v_mov_b32_e32 v77, s12
	v_fma_f64 v[95:96], -v[29:30], v[45:46], v[97:98]
	v_fma_f64 v[93:94], -v[101:102], v[79:80], v[93:94]
	v_mov_b32_e32 v45, s20
	ds_load_2addr_b64 v[45:48], v45 offset1:1
	ds_load_2addr_b64 v[73:76], v65 offset1:1
	v_fma_f64 v[97:98], -v[35:36], v[67:68], v[103:104]
	ds_load_2addr_b64 v[65:68], v66 offset1:1
	v_fma_f64 v[89:90], -v[39:40], v[81:82], v[89:90]
	ds_load_2addr_b64 v[77:80], v77 offset1:1
	ds_load_b64 v[81:82], v107
	v_fma_f64 v[91:92], -v[43:44], v[85:86], v[91:92]
	s_lshl_b32 s12, s40, 5
	s_add_i32 s20, s25, s9
	s_add_i32 s14, s37, s12
	;; [unrolled: 1-line block ×3, first 2 shown]
	s_lshl_b32 s20, s20, 3
	s_lshl_b32 s40, s40, 3
	;; [unrolled: 1-line block ×3, first 2 shown]
	s_waitcnt lgkmcnt(4)
	v_fma_f64 v[47:48], -v[33:34], v[47:48], v[105:106]
	s_waitcnt lgkmcnt(3)
	v_fma_f64 v[75:76], -v[37:38], v[75:76], v[69:70]
	;; [unrolled: 2-line block ×4, first 2 shown]
	v_mov_b32_e32 v67, s42
	v_fma_f64 v[95:96], -v[31:32], v[71:72], v[95:96]
	s_waitcnt lgkmcnt(0)
	v_mul_f64 v[93:94], v[81:82], v[93:94]
	v_dual_mov_b32 v72, s20 :: v_dual_mov_b32 v71, s40
	v_mov_b32_e32 v83, s14
	ds_load_2addr_b64 v[67:70], v67 offset1:1
	ds_load_2addr_b64 v[79:82], v71 offset1:1
	v_fma_f64 v[97:98], -v[37:38], v[73:74], v[97:98]
	ds_load_2addr_b64 v[71:74], v72 offset1:1
	ds_load_2addr_b64 v[83:86], v83 offset1:1
	v_fma_f64 v[65:66], -v[41:42], v[65:66], v[89:90]
	s_add_i32 s20, s25, s38
	v_fma_f64 v[91:92], -v[101:102], v[77:78], v[91:92]
	s_add_i32 s40, s22, s41
	s_add_i32 s14, s37, s36
	;; [unrolled: 1-line block ×3, first 2 shown]
	s_lshl_b32 s40, s40, 3
	s_lshl_b32 s20, s20, 3
	;; [unrolled: 1-line block ×4, first 2 shown]
	v_mov_b32_e32 v77, s20
	s_add_i32 s20, s22, s8
	s_add_i32 s39, s22, s39
	s_lshl_b32 s20, s20, 3
	s_lshl_b32 s39, s39, 3
	s_waitcnt lgkmcnt(3)
	v_fma_f64 v[69:70], -v[35:36], v[69:70], v[47:48]
	s_waitcnt lgkmcnt(2)
	v_fma_f64 v[81:82], -v[39:40], v[81:82], v[75:76]
	;; [unrolled: 2-line block ×3, first 2 shown]
	v_mov_b32_e32 v73, s41
	v_fma_f64 v[95:96], -v[33:34], v[45:46], v[95:96]
	s_waitcnt lgkmcnt(0)
	v_fma_f64 v[99:100], -v[93:94], v[85:86], v[87:88]
	v_mov_b32_e32 v45, s40
	v_mov_b32_e32 v85, s14
	ds_load_2addr_b64 v[45:48], v45 offset1:1
	ds_load_2addr_b64 v[73:76], v73 offset1:1
	v_fma_f64 v[97:98], -v[39:40], v[79:80], v[97:98]
	ds_load_2addr_b64 v[77:80], v77 offset1:1
	ds_load_2addr_b64 v[85:88], v85 offset1:1
	v_fma_f64 v[103:104], -v[43:44], v[71:72], v[65:66]
	s_add_i32 s40, s24, s9
	v_fma_f64 v[83:84], -v[93:94], v[83:84], v[91:92]
	s_add_i32 s14, s25, s12
	s_lshl_b32 s40, s40, 3
	v_mov_b32_e32 v65, s20
	s_lshl_b32 s14, s14, 3
	s_add_i32 s20, s25, s36
	s_delay_alu instid0(SALU_CYCLE_1)
	s_lshl_b32 s20, s20, 3
	s_waitcnt lgkmcnt(3)
	v_fma_f64 v[47:48], -v[37:38], v[47:48], v[69:70]
	s_waitcnt lgkmcnt(2)
	v_fma_f64 v[75:76], -v[41:42], v[75:76], v[81:82]
	;; [unrolled: 2-line block ×3, first 2 shown]
	v_mov_b32_e32 v69, s40
	v_mov_b32_e32 v79, s14
	v_fma_f64 v[91:92], -v[35:36], v[67:68], v[95:96]
	s_waitcnt lgkmcnt(0)
	v_mul_f64 v[87:88], v[87:88], v[99:100]
	ds_load_2addr_b64 v[65:68], v65 offset1:1
	ds_load_2addr_b64 v[69:72], v69 offset1:1
	;; [unrolled: 1-line block ×3, first 2 shown]
	s_add_i32 s40, s24, s38
	s_add_i32 s14, s23, 0xffffe530
	s_lshl_b32 s40, s40, 3
	v_fma_f64 v[95:96], -v[41:42], v[73:74], v[97:98]
	v_fma_f64 v[99:100], -v[101:102], v[77:78], v[103:104]
	s_waitcnt lgkmcnt(2)
	v_fma_f64 v[67:68], -v[39:40], v[67:68], v[47:48]
	s_waitcnt lgkmcnt(1)
	;; [unrolled: 2-line block ×3, first 2 shown]
	v_fma_f64 v[81:82], -v[93:94], v[81:82], v[89:90]
	v_mov_b32_e32 v71, s40
	v_mov_b32_e32 v75, s20
	v_mov_b32_e32 v89, s14
	v_fma_f64 v[83:84], -v[87:88], v[85:86], v[83:84]
	v_fma_f64 v[85:86], -v[37:38], v[45:46], v[91:92]
	v_mov_b32_e32 v45, s39
	ds_load_2addr_b64 v[45:48], v45 offset1:1
	ds_load_2addr_b64 v[71:74], v71 offset1:1
	;; [unrolled: 1-line block ×3, first 2 shown]
	ds_load_b64 v[89:90], v89
	v_fma_f64 v[69:70], -v[43:44], v[69:70], v[95:96]
	v_fma_f64 v[91:92], -v[93:94], v[79:80], v[99:100]
	s_lshl_b32 s14, s37, 5
	s_add_i32 s37, s22, s9
	s_add_i32 s39, s24, s12
	;; [unrolled: 1-line block ×3, first 2 shown]
	s_lshl_b32 s37, s37, 3
	s_lshl_b32 s39, s39, 3
	;; [unrolled: 1-line block ×3, first 2 shown]
	s_waitcnt lgkmcnt(3)
	v_fma_f64 v[47:48], -v[41:42], v[47:48], v[67:68]
	s_waitcnt lgkmcnt(2)
	v_fma_f64 v[73:74], -v[101:102], v[73:74], v[97:98]
	;; [unrolled: 2-line block ×3, first 2 shown]
	v_mov_b32_e32 v77, s39
	v_mov_b32_e32 v81, s20
	s_add_i32 s20, s25, s27
	s_waitcnt lgkmcnt(0)
	v_mul_f64 v[89:90], v[89:90], v[83:84]
	v_fma_f64 v[85:86], -v[39:40], v[65:66], v[85:86]
	v_mov_b32_e32 v65, s37
	ds_load_2addr_b64 v[65:68], v65 offset1:1
	ds_load_2addr_b64 v[77:80], v77 offset1:1
	ds_load_2addr_b64 v[81:84], v81 offset1:1
	v_fma_f64 v[99:100], -v[101:102], v[71:72], v[69:70]
	v_fma_f64 v[75:76], -v[87:88], v[75:76], v[91:92]
	s_add_i32 s37, s22, s38
	s_add_i32 s38, s24, s36
	s_lshl_b32 s37, s37, 3
	s_lshl_b32 s38, s38, 3
	s_lshl_b32 s20, s20, 3
	s_delay_alu instid0(SALU_CYCLE_1) | instskip(SKIP_1) | instid1(SALU_CYCLE_1)
	v_mov_b32_e32 v71, s20
	s_add_i32 s20, s22, s12
	s_lshl_b32 s20, s20, 3
	s_waitcnt lgkmcnt(2)
	v_fma_f64 v[97:98], -v[43:44], v[67:68], v[47:48]
	s_waitcnt lgkmcnt(1)
	v_fma_f64 v[79:80], -v[93:94], v[79:80], v[73:74]
	v_mov_b32_e32 v67, s38
	s_waitcnt lgkmcnt(0)
	v_fma_f64 v[83:84], -v[89:90], v[83:84], v[95:96]
	v_fma_f64 v[85:86], -v[41:42], v[45:46], v[85:86]
	v_mov_b32_e32 v45, s37
	ds_load_2addr_b64 v[45:48], v45 offset1:1
	ds_load_2addr_b64 v[67:70], v67 offset1:1
	ds_load_2addr_b64 v[71:74], v71 offset1:1
	v_fma_f64 v[91:92], -v[93:94], v[77:78], v[99:100]
	v_fma_f64 v[81:82], -v[89:90], v[81:82], v[75:76]
	s_add_i32 s37, s24, s14
	s_delay_alu instid0(SALU_CYCLE_1) | instskip(NEXT) | instid1(SALU_CYCLE_1)
	s_lshl_b32 s37, s37, 3
	v_mov_b32_e32 v77, s37
	s_waitcnt lgkmcnt(2)
	v_fma_f64 v[47:48], -v[101:102], v[47:48], v[97:98]
	s_waitcnt lgkmcnt(1)
	v_fma_f64 v[69:70], -v[87:88], v[69:70], v[79:80]
	s_waitcnt lgkmcnt(0)
	v_mul_f64 v[83:84], v[73:74], v[83:84]
	v_fma_f64 v[65:66], -v[43:44], v[65:66], v[85:86]
	v_mov_b32_e32 v73, s20
	ds_load_2addr_b64 v[73:76], v73 offset1:1
	ds_load_2addr_b64 v[77:80], v77 offset1:1
	v_fma_f64 v[85:86], -v[87:88], v[67:68], v[91:92]
	s_add_i32 s20, s22, s36
	s_add_i32 s36, s24, s27
	s_lshl_b32 s20, s20, 3
	s_lshl_b32 s36, s36, 3
	s_waitcnt lgkmcnt(1)
	v_fma_f64 v[75:76], -v[93:94], v[75:76], v[47:48]
	s_waitcnt lgkmcnt(0)
	v_fma_f64 v[69:70], -v[89:90], v[79:80], v[69:70]
	v_fma_f64 v[71:72], -v[83:84], v[71:72], v[81:82]
	;; [unrolled: 1-line block ×3, first 2 shown]
	v_mov_b32_e32 v45, s20
	s_add_i32 s20, s23, 0xffffe320
	v_mov_b32_e32 v65, s36
	v_mov_b32_e32 v81, s20
	ds_load_2addr_b64 v[45:48], v45 offset1:1
	ds_load_2addr_b64 v[65:68], v65 offset1:1
	ds_load_b64 v[81:82], v81
	s_lshl_b32 s20, s25, 5
	s_add_i32 s25, s22, s14
	s_add_i32 s36, s24, s20
	s_lshl_b32 s25, s25, 3
	s_lshl_b32 s36, s36, 3
	s_waitcnt lgkmcnt(2)
	v_fma_f64 v[47:48], -v[87:88], v[47:48], v[75:76]
	v_fma_f64 v[75:76], -v[89:90], v[77:78], v[85:86]
	s_waitcnt lgkmcnt(1)
	v_fma_f64 v[77:78], -v[83:84], v[67:68], v[69:70]
	v_mov_b32_e32 v67, s25
	s_add_i32 s25, s22, s27
	s_add_i32 s27, s24, s26
	s_waitcnt lgkmcnt(0)
	v_mul_f64 v[81:82], v[81:82], v[71:72]
	v_fma_f64 v[79:80], -v[93:94], v[73:74], v[79:80]
	v_mov_b32_e32 v71, s36
	ds_load_2addr_b64 v[67:70], v67 offset1:1
	ds_load_2addr_b64 v[71:74], v71 offset1:1
	s_lshl_b32 s25, s25, 3
	s_lshl_b32 s27, s27, 3
	;; [unrolled: 1-line block ×3, first 2 shown]
	s_waitcnt lgkmcnt(1)
	v_fma_f64 v[69:70], -v[89:90], v[69:70], v[47:48]
	v_fma_f64 v[65:66], -v[83:84], v[65:66], v[75:76]
	s_waitcnt lgkmcnt(0)
	v_fma_f64 v[77:78], -v[81:82], v[73:74], v[77:78]
	v_fma_f64 v[79:80], -v[87:88], v[45:46], v[79:80]
	v_mov_b32_e32 v45, s25
	v_mov_b32_e32 v73, s27
	ds_load_2addr_b64 v[45:48], v45 offset1:1
	ds_load_2addr_b64 v[73:76], v73 offset1:1
	s_add_i32 s25, s22, s20
	s_delay_alu instid0(SALU_CYCLE_1)
	s_lshl_b32 s25, s25, 3
	s_waitcnt lgkmcnt(1)
	v_fma_f64 v[47:48], -v[83:84], v[47:48], v[69:70]
	v_fma_f64 v[69:70], -v[81:82], v[71:72], v[65:66]
	v_mov_b32_e32 v65, s25
	s_add_i32 s25, s22, s26
	s_add_i32 s26, s23, 0xffffe110
	s_lshl_b32 s25, s25, 3
	s_waitcnt lgkmcnt(0)
	v_mul_f64 v[71:72], v[75:76], v[77:78]
	v_fma_f64 v[75:76], -v[89:90], v[67:68], v[79:80]
	ds_load_2addr_b64 v[65:68], v65 offset1:1
	s_addk_i32 s23, 0xdf00
	s_waitcnt lgkmcnt(0)
	v_fma_f64 v[67:68], -v[81:82], v[67:68], v[47:48]
	v_fma_f64 v[69:70], -v[71:72], v[73:74], v[69:70]
	;; [unrolled: 1-line block ×3, first 2 shown]
	v_mov_b32_e32 v45, s25
	v_mov_b32_e32 v75, s26
	ds_load_2addr_b64 v[45:48], v45 offset1:1
	ds_load_b64 v[75:76], v75
	s_add_i32 s25, s22, s24
	s_delay_alu instid0(SALU_CYCLE_1)
	s_lshl_b32 s25, s25, 3
	s_waitcnt lgkmcnt(1)
	v_fma_f64 v[47:48], -v[71:72], v[47:48], v[67:68]
	s_waitcnt lgkmcnt(0)
	v_mul_f64 v[69:70], v[75:76], v[69:70]
	v_fma_f64 v[73:74], -v[81:82], v[65:66], v[73:74]
	v_mov_b32_e32 v65, s25
	s_add_i32 s25, s22, s33
	s_delay_alu instid0(SALU_CYCLE_1)
	s_lshl_b32 s25, s25, 3
	ds_load_2addr_b64 v[65:68], v65 offset1:1
	s_waitcnt lgkmcnt(0)
	v_fma_f64 v[67:68], -v[69:70], v[67:68], v[47:48]
	v_fma_f64 v[73:74], -v[71:72], v[45:46], v[73:74]
	v_mov_b32_e32 v45, s25
	ds_load_2addr_b64 v[45:48], v45 offset1:1
	s_waitcnt lgkmcnt(0)
	v_mul_f64 v[47:48], v[47:48], v[67:68]
	v_fma_f64 v[65:66], -v[69:70], v[65:66], v[73:74]
	v_or_b32_e32 v67, s4, v0
	v_or_b32_e32 v68, s13, v0
	;; [unrolled: 1-line block ×4, first 2 shown]
	s_sub_i32 s4, s28, 33
	v_lshlrev_b32_e32 v67, 3, v67
	v_lshlrev_b32_e32 v68, 3, v68
	;; [unrolled: 1-line block ×3, first 2 shown]
	v_fma_f64 v[45:46], -v[47:48], v[45:46], v[65:66]
	v_mov_b32_e32 v65, s23
	ds_load_b64 v[65:66], v65
	ds_store_b64 v49, v[15:16] offset:8192
	ds_store_b64 v50, v[19:20] offset:8192
	;; [unrolled: 1-line block ×4, first 2 shown]
	v_lshlrev_b32_e32 v9, 3, v74
	ds_store_b64 v67, v[17:18] offset:8192
	ds_store_b64 v68, v[21:22] offset:8192
	;; [unrolled: 1-line block ×8, first 2 shown]
	v_or_b32_e32 v10, s15, v0
	v_or_b32_e32 v13, s19, v0
	;; [unrolled: 1-line block ×5, first 2 shown]
	v_lshlrev_b32_e32 v9, 3, v10
	v_lshlrev_b32_e32 v10, 3, v13
	;; [unrolled: 1-line block ×4, first 2 shown]
	v_or_b32_e32 v12, s8, v0
	v_or_b32_e32 v13, s9, v0
	ds_store_b64 v9, v[3:4] offset:8192
	ds_store_b64 v10, v[7:8] offset:8192
	;; [unrolled: 1-line block ×4, first 2 shown]
	v_lshlrev_b32_e32 v3, 3, v6
	v_or_b32_e32 v6, s12, v0
	v_lshlrev_b32_e32 v4, 3, v12
	v_lshlrev_b32_e32 v5, 3, v13
	v_or_b32_e32 v7, s14, v0
	v_or_b32_e32 v8, s20, v0
	v_lshlrev_b32_e32 v6, 3, v6
	v_or_b32_e32 v9, s24, v0
	ds_store_b64 v57, v[33:34] offset:8192
	ds_store_b64 v58, v[37:38] offset:8192
	;; [unrolled: 1-line block ×8, first 2 shown]
	v_lshlrev_b32_e32 v6, 3, v0
	v_lshlrev_b32_e32 v3, 3, v7
	;; [unrolled: 1-line block ×4, first 2 shown]
	s_waitcnt lgkmcnt(24)
	v_mul_f64 v[1:2], v[65:66], v[45:46]
	v_lshl_or_b32 v6, s22, 8, v6
	ds_store_b64 v61, v[87:88] offset:8192
	ds_store_b64 v62, v[83:84] offset:8192
	;; [unrolled: 1-line block ×8, first 2 shown]
.LBB102_41:
	s_cmp_gt_i32 s4, -1
	s_cbranch_scc0 .LBB102_60
; %bb.42:
	s_cmp_lt_u32 s4, 27
	s_cbranch_scc1 .LBB102_47
; %bb.43:
	s_lshl_b32 s8, s4, 5
	s_cmp_le_i32 s29, s4
	v_or_b32_e32 v1, s8, v0
	s_delay_alu instid0(VALU_DEP_1) | instskip(NEXT) | instid1(VALU_DEP_1)
	v_lshlrev_b32_e32 v57, 3, v1
	v_add_nc_u32_e32 v1, 0x1c00, v57
	v_add_nc_u32_e32 v2, 0x1800, v57
	;; [unrolled: 1-line block ×7, first 2 shown]
	ds_load_2addr_b64 v[53:56], v1 offset0:96 offset1:128
	ds_load_2addr_b64 v[49:52], v2 offset0:160 offset1:192
	;; [unrolled: 1-line block ×14, first 2 shown]
	s_cbranch_scc1 .LBB102_46
; %bb.44:
	s_lshl_b32 s9, s28, 8
	s_lshl_b32 s12, s4, 3
	v_lshl_or_b32 v58, v0, 3, s9
	s_add_i32 s9, s9, s12
	s_mov_b32 s12, s29
	s_addk_i32 s9, 0xfe28
	s_delay_alu instid0(VALU_DEP_1)
	v_add_nc_u32_e32 v58, 0x1f00, v58
.LBB102_45:                             ; =>This Inner Loop Header: Depth=1
	v_mov_b32_e32 v111, s9
	s_add_i32 s12, s12, -1
	s_addk_i32 s9, 0xff00
	s_cmp_gt_i32 s12, s4
	ds_load_b64 v[115:116], v58
	ds_load_2addr_b64 v[59:62], v111 offset0:26 offset1:27
	ds_load_2addr_b64 v[63:66], v111 offset0:24 offset1:25
	;; [unrolled: 1-line block ×13, first 2 shown]
	ds_load_2addr_b64 v[111:114], v111 offset1:1
	v_add_nc_u32_e32 v58, 0xffffff00, v58
	s_waitcnt lgkmcnt(13)
	v_fma_f64 v[55:56], -v[115:116], v[61:62], v[55:56]
	v_fma_f64 v[53:54], -v[115:116], v[59:60], v[53:54]
	s_waitcnt lgkmcnt(12)
	v_fma_f64 v[51:52], -v[115:116], v[65:66], v[51:52]
	v_fma_f64 v[49:50], -v[115:116], v[63:64], v[49:50]
	;; [unrolled: 3-line block ×14, first 2 shown]
	s_cbranch_scc1 .LBB102_45
.LBB102_46:
	s_add_i32 s12, s4, -1
	v_add_nc_u32_e32 v89, 0x2000, v57
	s_add_i32 s9, s12, s8
	s_add_i32 s14, s4, -3
	s_lshl_b32 s9, s9, 3
	s_lshl_b32 s12, s12, 5
	v_mov_b32_e32 v57, s9
	s_mul_i32 s9, s4, 0x108
	s_add_i32 s19, s4, -5
	s_add_i32 s13, s9, 0xfffffef8
	s_add_i32 s15, s19, s8
	ds_load_2addr_b64 v[57:60], v57 offset1:1
	v_mov_b32_e32 v61, s13
	s_add_i32 s13, s14, s8
	s_lshl_b32 s15, s15, 3
	s_lshl_b32 s13, s13, 3
	s_add_i32 s21, s4, -7
	ds_load_b64 v[61:62], v61
	s_add_i32 s30, s4, -9
	s_add_i32 s33, s4, -11
	s_add_i32 s22, s30, s8
	s_add_i32 s34, s4, -13
	s_lshl_b32 s22, s22, 3
	s_add_i32 s26, s4, -15
	s_add_i32 s35, s9, 0xfffff7c0
	s_add_i32 s27, s26, s8
	s_sub_i32 s31, s4, 19
	s_lshl_b32 s27, s27, 3
	s_add_i32 s41, s9, 0xfffff6b8
	s_add_i32 s50, s31, s8
	s_add_i32 s53, s31, s12
	s_waitcnt lgkmcnt(1)
	v_mul_f64 v[73:74], v[59:60], v[55:56]
	s_lshl_b32 s50, s50, 3
	s_add_i32 s44, s9, 0xfffff4a8
	s_delay_alu instid0(VALU_DEP_1) | instskip(SKIP_2) | instid1(SALU_CYCLE_1)
	v_fma_f64 v[63:64], -v[73:74], v[57:58], v[53:54]
	v_mov_b32_e32 v53, s13
	s_add_i32 s13, s14, s12
	s_lshl_b32 s13, s13, 3
	ds_load_2addr_b64 v[53:56], v53 offset1:1
	v_mov_b32_e32 v57, s13
	s_sub_i32 s13, s8, 64
	s_delay_alu instid0(SALU_CYCLE_1)
	s_add_i32 s20, s14, s13
	s_lshl_b32 s14, s14, 5
	ds_load_2addr_b64 v[57:60], v57 offset1:1
	s_lshl_b32 s20, s20, 3
	s_add_i32 s23, s21, s13
	s_add_i32 s25, s34, s13
	s_lshl_b32 s23, s23, 3
	s_lshl_b32 s25, s25, 3
	s_add_i32 s38, s26, s13
	s_add_i32 s57, s31, s13
	s_lshl_b32 s38, s38, 3
	s_lshl_b32 s57, s57, 3
	s_add_i32 s61, s31, s14
	s_waitcnt lgkmcnt(1)
	v_fma_f64 v[51:52], -v[73:74], v[55:56], v[51:52]
	v_mul_f64 v[75:76], v[61:62], v[63:64]
	v_fma_f64 v[63:64], -v[73:74], v[53:54], v[49:50]
	v_mov_b32_e32 v49, s15
	v_mov_b32_e32 v53, s20
	s_add_i32 s15, s19, s12
	s_add_i32 s20, s9, 0xfffffce8
	s_lshl_b32 s15, s15, 3
	s_waitcnt lgkmcnt(0)
	s_delay_alu instid0(VALU_DEP_4)
	v_fma_f64 v[65:66], -v[75:76], v[59:60], v[51:52]
	ds_load_2addr_b64 v[49:52], v49 offset1:1
	ds_load_2addr_b64 v[53:56], v53 offset1:1
	v_dual_mov_b32 v59, s20 :: v_dual_mov_b32 v60, s15
	s_add_i32 s15, s21, s8
	ds_load_b64 v[67:68], v59
	ds_load_2addr_b64 v[59:62], v60 offset1:1
	s_add_i32 s20, s19, s13
	s_lshl_b32 s15, s15, 3
	s_lshl_b32 s20, s20, 3
	s_waitcnt lgkmcnt(3)
	v_fma_f64 v[47:48], -v[73:74], v[51:52], v[47:48]
	v_fma_f64 v[51:52], -v[75:76], v[57:58], v[63:64]
	;; [unrolled: 1-line block ×3, first 2 shown]
	v_mov_b32_e32 v45, s15
	v_mov_b32_e32 v49, s20
	s_add_i32 s15, s19, s14
	s_add_i32 s20, s21, s12
	s_lshl_b32 s15, s15, 3
	s_lshl_b32 s20, s20, 3
	s_waitcnt lgkmcnt(2)
	v_mul_f64 v[77:78], v[55:56], v[65:66]
	s_waitcnt lgkmcnt(0)
	v_fma_f64 v[65:66], -v[75:76], v[61:62], v[47:48]
	v_mov_b32_e32 v61, s20
	s_delay_alu instid0(VALU_DEP_3)
	v_fma_f64 v[69:70], -v[77:78], v[53:54], v[51:52]
	ds_load_2addr_b64 v[45:48], v45 offset1:1
	ds_load_2addr_b64 v[49:52], v49 offset1:1
	v_mov_b32_e32 v53, s15
	s_add_i32 s15, s8, 0xffffff80
	ds_load_2addr_b64 v[53:56], v53 offset1:1
	ds_load_2addr_b64 v[61:64], v61 offset1:1
	s_add_i32 s20, s19, s15
	s_lshl_b32 s19, s19, 5
	s_lshl_b32 s20, s20, 3
	s_add_i32 s24, s33, s15
	s_add_i32 s37, s34, s15
	s_lshl_b32 s24, s24, 3
	s_lshl_b32 s37, s37, 3
	s_add_i32 s51, s26, s19
	s_add_i32 s65, s31, s19
	s_waitcnt lgkmcnt(3)
	v_fma_f64 v[43:44], -v[73:74], v[47:48], v[43:44]
	v_fma_f64 v[47:48], -v[75:76], v[59:60], v[57:58]
	s_waitcnt lgkmcnt(2)
	v_fma_f64 v[51:52], -v[77:78], v[51:52], v[65:66]
	v_fma_f64 v[59:60], -v[73:74], v[45:46], v[41:42]
	v_mov_b32_e32 v41, s22
	v_mov_b32_e32 v45, s23
	s_add_i32 s22, s30, s12
	s_add_i32 s23, s30, s13
	s_lshl_b32 s22, s22, 3
	s_lshl_b32 s23, s23, 3
	v_mul_f64 v[79:80], v[67:68], v[69:70]
	s_waitcnt lgkmcnt(0)
	v_fma_f64 v[67:68], -v[75:76], v[63:64], v[43:44]
	v_fma_f64 v[69:70], -v[77:78], v[49:50], v[47:48]
	v_mov_b32_e32 v49, s20
	s_add_i32 s20, s9, 0xfffffad8
	v_mov_b32_e32 v63, s22
	s_add_i32 s22, s33, s8
	s_delay_alu instid0(SALU_CYCLE_1)
	s_lshl_b32 s22, s22, 3
	v_fma_f64 v[71:72], -v[79:80], v[55:56], v[51:52]
	ds_load_2addr_b64 v[41:44], v41 offset1:1
	ds_load_2addr_b64 v[45:48], v45 offset1:1
	;; [unrolled: 1-line block ×3, first 2 shown]
	v_mov_b32_e32 v55, s20
	s_add_i32 s20, s21, s14
	s_delay_alu instid0(SALU_CYCLE_1) | instskip(NEXT) | instid1(SALU_CYCLE_1)
	s_lshl_b32 s20, s20, 3
	v_mov_b32_e32 v56, s20
	ds_load_b64 v[83:84], v55
	ds_load_2addr_b64 v[55:58], v56 offset1:1
	ds_load_2addr_b64 v[63:66], v63 offset1:1
	s_add_i32 s20, s21, s15
	s_delay_alu instid0(SALU_CYCLE_1)
	s_lshl_b32 s20, s20, 3
	s_waitcnt lgkmcnt(5)
	v_fma_f64 v[39:40], -v[73:74], v[43:44], v[39:40]
	v_fma_f64 v[43:44], -v[75:76], v[61:62], v[59:60]
	s_waitcnt lgkmcnt(4)
	v_fma_f64 v[47:48], -v[77:78], v[47:48], v[67:68]
	v_fma_f64 v[53:54], -v[79:80], v[53:54], v[69:70]
	;; [unrolled: 1-line block ×3, first 2 shown]
	v_mov_b32_e32 v37, s22
	v_mov_b32_e32 v41, s23
	s_add_i32 s22, s30, s14
	s_add_i32 s23, s33, s12
	s_lshl_b32 s22, s22, 3
	s_lshl_b32 s23, s23, 3
	s_waitcnt lgkmcnt(3)
	v_mul_f64 v[81:82], v[51:52], v[71:72]
	s_waitcnt lgkmcnt(0)
	v_fma_f64 v[69:70], -v[75:76], v[65:66], v[39:40]
	v_fma_f64 v[71:72], -v[77:78], v[45:46], v[43:44]
	;; [unrolled: 1-line block ×3, first 2 shown]
	v_mov_b32_e32 v45, s20
	ds_load_2addr_b64 v[37:40], v37 offset1:1
	ds_load_2addr_b64 v[41:44], v41 offset1:1
	s_add_i32 s20, s21, s19
	v_mov_b32_e32 v57, s22
	s_lshl_b32 s20, s20, 3
	ds_load_2addr_b64 v[45:48], v45 offset1:1
	v_mov_b32_e32 v65, s23
	s_add_i32 s22, s34, s8
	s_add_i32 s23, s33, s13
	s_lshl_b32 s22, s22, 3
	s_lshl_b32 s23, s23, 3
	v_fma_f64 v[53:54], -v[81:82], v[49:50], v[53:54]
	v_mov_b32_e32 v49, s20
	s_add_i32 s20, s30, s15
	ds_load_2addr_b64 v[49:52], v49 offset1:1
	ds_load_2addr_b64 v[57:60], v57 offset1:1
	;; [unrolled: 1-line block ×3, first 2 shown]
	s_waitcnt lgkmcnt(5)
	v_fma_f64 v[35:36], -v[73:74], v[39:40], v[35:36]
	v_fma_f64 v[39:40], -v[75:76], v[63:64], v[61:62]
	;; [unrolled: 1-line block ×3, first 2 shown]
	v_mov_b32_e32 v33, s22
	s_add_i32 s22, s9, 0xfffff9d0
	s_lshl_b32 s20, s20, 3
	v_mov_b32_e32 v37, s23
	s_add_i32 s23, s34, s12
	s_delay_alu instid0(SALU_CYCLE_1)
	s_lshl_b32 s23, s23, 3
	s_waitcnt lgkmcnt(4)
	v_fma_f64 v[43:44], -v[77:78], v[43:44], v[69:70]
	v_fma_f64 v[55:56], -v[79:80], v[55:56], v[71:72]
	s_waitcnt lgkmcnt(3)
	v_fma_f64 v[47:48], -v[81:82], v[47:48], v[85:86]
	v_mov_b32_e32 v85, s23
	v_mul_f64 v[83:84], v[83:84], v[53:54]
	s_waitcnt lgkmcnt(0)
	v_fma_f64 v[63:64], -v[75:76], v[67:68], v[35:36]
	v_fma_f64 v[67:68], -v[77:78], v[41:42], v[39:40]
	ds_load_2addr_b64 v[33:36], v33 offset1:1
	v_mov_b32_e32 v41, s20
	s_add_i32 s20, s30, s19
	s_delay_alu instid0(SALU_CYCLE_1)
	s_lshl_b32 s20, s20, 3
	v_fma_f64 v[59:60], -v[79:80], v[59:60], v[43:44]
	v_fma_f64 v[55:56], -v[81:82], v[45:46], v[55:56]
	v_mov_b32_e32 v45, s22
	ds_load_2addr_b64 v[37:40], v37 offset1:1
	ds_load_2addr_b64 v[41:44], v41 offset1:1
	s_add_i32 s22, s33, s14
	s_delay_alu instid0(SALU_CYCLE_1)
	s_lshl_b32 s22, s22, 3
	ds_load_b64 v[71:72], v45
	v_mov_b32_e32 v45, s20
	s_add_i32 s20, s8, 0xffffff40
	s_waitcnt lgkmcnt(3)
	v_fma_f64 v[31:32], -v[73:74], v[35:36], v[31:32]
	v_fma_f64 v[35:36], -v[75:76], v[65:66], v[61:62]
	;; [unrolled: 1-line block ×3, first 2 shown]
	s_add_i32 s23, s30, s20
	v_mov_b32_e32 v29, s27
	v_mov_b32_e32 v33, s25
	s_add_i32 s27, s33, s19
	s_add_i32 s25, s34, s14
	;; [unrolled: 1-line block ×3, first 2 shown]
	v_fma_f64 v[69:70], -v[83:84], v[51:52], v[47:48]
	v_mov_b32_e32 v51, s22
	s_add_i32 s22, s21, s20
	s_lshl_b32 s21, s21, 5
	ds_load_2addr_b64 v[45:48], v45 offset1:1
	ds_load_2addr_b64 v[51:54], v51 offset1:1
	;; [unrolled: 1-line block ×3, first 2 shown]
	s_lshl_b32 s22, s22, 3
	s_waitcnt lgkmcnt(5)
	v_fma_f64 v[39:40], -v[77:78], v[39:40], v[63:64]
	v_fma_f64 v[57:58], -v[79:80], v[57:58], v[67:68]
	s_lshl_b32 s25, s25, 3
	s_add_i32 s45, s34, s20
	v_mov_b32_e32 v65, s25
	s_add_i32 s59, s26, s21
	s_add_i32 s25, s8, 0xfffffe40
	s_waitcnt lgkmcnt(4)
	v_fma_f64 v[43:44], -v[81:82], v[43:44], v[59:60]
	v_fma_f64 v[49:50], -v[83:84], v[49:50], v[55:56]
	v_mov_b32_e32 v55, s22
	s_add_i32 s22, s9, 0xfffff8c8
	s_delay_alu instid0(SALU_CYCLE_1)
	v_mov_b32_e32 v59, s22
	s_lshl_b32 s22, s23, 3
	ds_load_b64 v[55:56], v55
	s_add_i32 s23, s30, s21
	s_waitcnt lgkmcnt(1)
	v_fma_f64 v[92:93], -v[75:76], v[92:93], v[31:32]
	v_fma_f64 v[94:95], -v[77:78], v[37:38], v[35:36]
	v_mov_b32_e32 v37, s24
	ds_load_2addr_b64 v[29:32], v29 offset1:1
	ds_load_2addr_b64 v[33:36], v33 offset1:1
	s_lshl_b32 s23, s23, 3
	s_lshl_b32 s24, s27, 3
	s_sub_i32 s27, s4, 17
	v_mov_b32_e32 v61, s24
	v_mul_f64 v[85:86], v[71:72], v[69:70]
	s_add_i32 s39, s27, s8
	s_add_i32 s24, s8, 0xffffff00
	s_lshl_b32 s39, s39, 3
	s_add_i32 s40, s30, s24
	s_add_i32 s42, s33, s24
	s_lshl_b32 s40, s40, 3
	v_fma_f64 v[53:54], -v[79:80], v[53:54], v[39:40]
	v_fma_f64 v[96:97], -v[81:82], v[41:42], v[57:58]
	ds_load_2addr_b64 v[37:40], v37 offset1:1
	v_mov_b32_e32 v41, s22
	s_add_i32 s22, s26, s12
	v_mov_b32_e32 v57, s23
	s_lshl_b32 s22, s22, 3
	s_waitcnt lgkmcnt(2)
	v_fma_f64 v[27:28], -v[73:74], v[31:32], v[27:28]
	v_fma_f64 v[31:32], -v[75:76], v[90:91], v[87:88]
	v_mov_b32_e32 v69, s22
	v_fma_f64 v[90:91], -v[73:74], v[29:30], v[25:26]
	v_mov_b32_e32 v25, s39
	;; [unrolled: 2-line block ×3, first 2 shown]
	s_add_i32 s39, s34, s19
	s_add_i32 s38, s26, s14
	;; [unrolled: 1-line block ×3, first 2 shown]
	s_lshl_b32 s38, s38, 3
	s_lshl_b32 s46, s46, 3
	s_add_i32 s23, s8, 0xfffffec0
	s_lshl_b32 s30, s30, 5
	s_add_i32 s43, s33, s23
	s_waitcnt lgkmcnt(1)
	v_fma_f64 v[35:36], -v[77:78], v[35:36], v[92:93]
	v_fma_f64 v[51:52], -v[79:80], v[51:52], v[94:95]
	s_add_i32 s52, s27, s14
	s_add_i32 s48, s34, s24
	;; [unrolled: 1-line block ×3, first 2 shown]
	s_lshl_b32 s43, s43, 3
	s_lshl_b32 s54, s54, 3
	s_add_i32 s60, s27, s19
	s_add_i32 s49, s34, s23
	v_fma_f64 v[49:50], -v[85:86], v[55:56], v[49:50]
	ds_load_2addr_b64 v[41:44], v41 offset1:1
	ds_load_b64 v[55:56], v59
	ds_load_2addr_b64 v[57:60], v57 offset1:1
	ds_load_2addr_b64 v[61:64], v61 offset1:1
	;; [unrolled: 1-line block ×4, first 2 shown]
	s_add_i32 s55, s27, s20
	s_lshl_b32 s49, s49, 3
	s_lshl_b32 s55, s55, 3
	s_add_i32 s22, s8, 0xfffffe80
	s_waitcnt lgkmcnt(6)
	v_fma_f64 v[39:40], -v[81:82], v[39:40], v[53:54]
	v_fma_f64 v[45:46], -v[83:84], v[45:46], v[96:97]
	s_add_i32 s47, s34, s22
	s_add_i32 s63, s26, s30
	;; [unrolled: 1-line block ×4, first 2 shown]
	s_lshl_b32 s47, s47, 3
	v_fma_f64 v[94:95], -v[77:78], v[33:34], v[31:32]
	s_waitcnt lgkmcnt(5)
	v_fma_f64 v[43:44], -v[85:86], v[43:44], v[47:48]
	v_mov_b32_e32 v47, s35
	s_waitcnt lgkmcnt(0)
	v_fma_f64 v[92:93], -v[75:76], v[71:72], v[27:28]
	s_lshl_b32 s35, s36, 3
	v_mov_b32_e32 v27, s37
	s_add_i32 s36, s33, s21
	ds_load_b64 v[106:107], v47
	s_lshl_b32 s36, s36, 3
	s_lshl_b32 s37, s39, 3
	v_fma_f64 v[96:97], -v[79:80], v[67:68], v[35:36]
	v_fma_f64 v[98:99], -v[81:82], v[37:38], v[51:52]
	ds_load_2addr_b64 v[29:32], v27 offset1:1
	v_fma_f64 v[67:68], -v[75:76], v[69:70], v[90:91]
	s_lshl_b32 s39, s33, 5
	s_add_i32 s33, s33, s30
	ds_load_2addr_b64 v[33:36], v26 offset1:1
	s_lshl_b32 s33, s33, 3
	v_mul_f64 v[87:88], v[55:56], v[49:50]
	v_mov_b32_e32 v49, s38
	s_sub_i32 s38, s4, 27
	v_fma_f64 v[100:101], -v[83:84], v[63:64], v[39:40]
	v_fma_f64 v[102:103], -v[85:86], v[41:42], v[45:46]
	ds_load_2addr_b64 v[37:40], v25 offset1:1
	v_mov_b32_e32 v25, s35
	s_add_i32 s35, s27, s12
	v_mov_b32_e32 v41, s36
	s_lshl_b32 s35, s35, 3
	v_mov_b32_e32 v45, s37
	ds_load_2addr_b64 v[25:28], v25 offset1:1
	v_mov_b32_e32 v53, s35
	s_sub_i32 s35, s4, 21
	s_sub_i32 s36, s4, 23
	s_add_i32 s58, s35, s8
	s_add_i32 s62, s35, s12
	s_lshl_b32 s58, s58, 3
	s_waitcnt lgkmcnt(2)
	v_fma_f64 v[63:64], -v[77:78], v[35:36], v[92:93]
	s_add_i32 s66, s35, s14
	s_add_i32 s67, s36, s12
	s_sub_i32 s37, s4, 25
	s_sub_i32 s4, s4, 28
	s_waitcnt lgkmcnt(1)
	v_fma_f64 v[71:72], -v[73:74], v[39:40], v[23:24]
	v_fma_f64 v[39:40], -v[81:82], v[31:32], v[96:97]
	;; [unrolled: 1-line block ×5, first 2 shown]
	v_mov_b32_e32 v61, s41
	s_lshl_b32 s41, s42, 3
	s_lshl_b32 s42, s45, 3
	s_add_i32 s45, s34, s21
	v_fma_f64 v[104:105], -v[87:88], v[59:60], v[43:44]
	v_fma_f64 v[59:60], -v[79:80], v[65:66], v[94:95]
	ds_load_2addr_b64 v[41:44], v41 offset1:1
	ds_load_2addr_b64 v[45:48], v45 offset1:1
	;; [unrolled: 1-line block ×4, first 2 shown]
	v_mov_b32_e32 v37, s42
	s_lshl_b32 s42, s52, 3
	s_add_i32 s52, s26, s24
	v_mov_b32_e32 v90, s42
	s_waitcnt lgkmcnt(4)
	v_fma_f64 v[31:32], -v[85:86], v[27:28], v[100:101]
	v_fma_f64 v[27:28], -v[87:88], v[57:58], v[102:103]
	v_mov_b32_e32 v57, s40
	s_add_i32 s40, s26, s15
	s_lshl_b32 s52, s52, 3
	s_lshl_b32 s40, s40, 3
	s_add_i32 s42, s27, s22
	ds_load_b64 v[57:58], v57
	v_mov_b32_e32 v33, s40
	s_lshl_b32 s40, s45, 3
	s_lshl_b32 s45, s53, 3
	s_add_i32 s53, s26, s23
	v_mov_b32_e32 v94, s45
	s_add_i32 s45, s26, s22
	s_waitcnt lgkmcnt(2)
	v_fma_f64 v[51:52], -v[79:80], v[51:52], v[63:64]
	v_mov_b32_e32 v63, s40
	s_lshl_b32 s45, s45, 3
	s_add_i32 s40, s26, s25
	s_waitcnt lgkmcnt(1)
	v_fma_f64 v[71:72], -v[75:76], v[55:56], v[71:72]
	v_fma_f64 v[47:48], -v[83:84], v[47:48], v[39:40]
	;; [unrolled: 1-line block ×3, first 2 shown]
	v_mov_b32_e32 v55, s41
	v_mov_b32_e32 v25, s50
	ds_load_2addr_b64 v[33:36], v33 offset1:1
	ds_load_2addr_b64 v[37:40], v37 offset1:1
	v_fma_f64 v[21:22], -v[75:76], v[53:54], v[21:22]
	v_fma_f64 v[49:50], -v[79:80], v[49:50], v[98:99]
	v_mul_f64 v[23:24], v[106:107], v[104:105]
	v_fma_f64 v[100:101], -v[81:82], v[29:30], v[59:60]
	v_mov_b32_e32 v29, s46
	s_lshl_b32 s41, s51, 3
	v_mov_b32_e32 v59, s33
	v_mov_b32_e32 v67, s41
	s_add_i32 s51, s26, s20
	v_fma_f64 v[43:44], -v[87:88], v[43:44], v[31:32]
	s_lshl_b32 s51, s51, 3
	s_lshl_b32 s33, s34, 5
	s_add_i32 s50, s9, 0xfffff298
	s_add_i32 s46, s27, s23
	;; [unrolled: 1-line block ×3, first 2 shown]
	s_lshl_b32 s46, s46, 3
	ds_load_2addr_b64 v[29:32], v29 offset1:1
	s_waitcnt lgkmcnt(2)
	v_fma_f64 v[35:36], -v[81:82], v[35:36], v[51:52]
	v_mov_b32_e32 v51, s44
	s_lshl_b32 s44, s48, 3
	s_add_i32 s48, s34, s30
	s_add_i32 s34, s34, s39
	s_delay_alu instid0(SALU_CYCLE_1)
	s_lshl_b32 s34, s34, 3
	s_waitcnt lgkmcnt(1)
	v_fma_f64 v[39:40], -v[85:86], v[39:40], v[47:48]
	v_fma_f64 v[41:42], -v[87:88], v[41:42], v[102:103]
	v_mov_b32_e32 v47, s43
	s_lshl_b32 s43, s48, 3
	s_lshl_b32 s48, s60, 3
	s_add_i32 s60, s36, s8
	s_waitcnt lgkmcnt(0)
	v_fma_f64 v[31:32], -v[77:78], v[31:32], v[71:72]
	v_fma_f64 v[21:22], -v[77:78], v[29:30], v[21:22]
	;; [unrolled: 1-line block ×3, first 2 shown]
	ds_load_2addr_b64 v[25:28], v25 offset1:1
	ds_load_2addr_b64 v[55:58], v55 offset1:1
	ds_load_b64 v[106:107], v61
	v_fma_f64 v[45:46], -v[83:84], v[45:46], v[100:101]
	ds_load_2addr_b64 v[59:62], v59 offset1:1
	ds_load_2addr_b64 v[63:66], v63 offset1:1
	;; [unrolled: 1-line block ×5, first 2 shown]
	v_mov_b32_e32 v29, s57
	s_add_i32 s57, s35, s13
	s_lshl_b32 s60, s60, 3
	s_lshl_b32 s57, s57, 3
	s_waitcnt lgkmcnt(7)
	v_fma_f64 v[27:28], -v[73:74], v[27:28], v[19:20]
	s_waitcnt lgkmcnt(6)
	v_fma_f64 v[43:44], -v[23:24], v[57:58], v[43:44]
	v_fma_f64 v[17:18], -v[73:74], v[25:26], v[17:18]
	v_mov_b32_e32 v25, s58
	s_add_i32 s58, s35, s15
	s_delay_alu instid0(SALU_CYCLE_1)
	s_lshl_b32 s58, s58, 3
	s_waitcnt lgkmcnt(3)
	v_fma_f64 v[65:66], -v[87:88], v[65:66], v[39:40]
	v_fma_f64 v[110:111], -v[23:24], v[55:56], v[41:42]
	v_mov_b32_e32 v41, s44
	s_lshl_b32 s44, s59, 3
	s_add_i32 s59, s35, s20
	v_mov_b32_e32 v53, s44
	s_add_i32 s44, s35, s24
	s_waitcnt lgkmcnt(1)
	v_fma_f64 v[92:93], -v[79:80], v[92:93], v[31:32]
	v_mul_f64 v[19:20], v[106:107], v[104:105]
	v_fma_f64 v[104:105], -v[81:82], v[33:34], v[49:50]
	v_fma_f64 v[106:107], -v[83:84], v[69:70], v[35:36]
	;; [unrolled: 1-line block ×3, first 2 shown]
	v_mov_b32_e32 v37, s51
	v_mov_b32_e32 v33, s54
	ds_load_2addr_b64 v[29:32], v29 offset1:1
	v_fma_f64 v[21:22], -v[79:80], v[90:91], v[21:22]
	v_mov_b32_e32 v49, s43
	ds_load_2addr_b64 v[37:40], v37 offset1:1
	ds_load_2addr_b64 v[33:36], v33 offset1:1
	s_lshl_b32 s51, s61, 3
	s_lshl_b32 s54, s62, 3
	s_delay_alu instid0(SALU_CYCLE_1)
	v_dual_mov_b32 v69, s48 :: v_dual_mov_b32 v100, s54
	s_add_i32 s48, s31, s15
	s_add_i32 s61, s36, s13
	s_lshl_b32 s48, s48, 3
	s_lshl_b32 s61, s61, 3
	s_add_i32 s54, s31, s24
	s_add_i32 s62, s36, s15
	s_waitcnt lgkmcnt(3)
	v_fma_f64 v[57:58], -v[75:76], v[96:97], v[27:28]
	ds_load_2addr_b64 v[25:28], v25 offset1:1
	v_fma_f64 v[17:18], -v[75:76], v[94:95], v[17:18]
	v_mov_b32_e32 v96, s51
	s_add_i32 s51, s31, s20
	s_add_i32 s43, s31, s23
	s_lshl_b32 s51, s51, 3
	ds_load_2addr_b64 v[45:48], v47 offset1:1
	s_waitcnt lgkmcnt(2)
	v_fma_f64 v[35:36], -v[81:82], v[35:36], v[92:93]
	v_fma_f64 v[61:62], -v[19:20], v[61:62], v[43:44]
	ds_load_2addr_b64 v[41:44], v41 offset1:1
	v_fma_f64 v[39:40], -v[85:86], v[39:40], v[106:107]
	v_fma_f64 v[63:64], -v[87:88], v[63:64], v[108:109]
	s_waitcnt lgkmcnt(2)
	v_fma_f64 v[27:28], -v[73:74], v[27:28], v[15:16]
	v_fma_f64 v[59:60], -v[19:20], v[59:60], v[110:111]
	ds_load_b64 v[112:113], v51
	ds_load_2addr_b64 v[49:52], v49 offset1:1
	ds_load_2addr_b64 v[53:56], v53 offset1:1
	;; [unrolled: 1-line block ×5, first 2 shown]
	v_fma_f64 v[13:14], -v[73:74], v[25:26], v[13:14]
	v_fma_f64 v[21:22], -v[81:82], v[33:34], v[21:22]
	v_mov_b32_e32 v25, s60
	v_mov_b32_e32 v33, s48
	s_lshl_b32 s48, s65, 3
	s_add_i32 s60, s35, s19
	v_mov_b32_e32 v90, s48
	s_add_i32 s48, s37, s8
	s_delay_alu instid0(SALU_CYCLE_1)
	s_lshl_b32 s48, s48, 3
	v_fma_f64 v[31:32], -v[77:78], v[31:32], v[57:58]
	v_fma_f64 v[57:58], -v[83:84], v[67:68], v[104:105]
	s_waitcnt lgkmcnt(6)
	v_fma_f64 v[43:44], -v[23:24], v[43:44], v[65:66]
	v_fma_f64 v[17:18], -v[77:78], v[29:30], v[17:18]
	v_mov_b32_e32 v29, s57
	s_lshl_b32 s57, s67, 3
	s_delay_alu instid0(SALU_CYCLE_1)
	v_mov_b32_e32 v106, s57
	s_add_i32 s57, s31, s21
	s_waitcnt lgkmcnt(2)
	v_fma_f64 v[71:72], -v[83:84], v[71:72], v[35:36]
	v_mul_f64 v[15:16], v[47:48], v[61:62]
	v_mov_b32_e32 v47, s49
	v_fma_f64 v[110:111], -v[87:88], v[55:56], v[39:40]
	v_fma_f64 v[114:115], -v[23:24], v[41:42], v[63:64]
	s_waitcnt lgkmcnt(0)
	v_fma_f64 v[67:68], -v[75:76], v[102:103], v[27:28]
	v_mov_b32_e32 v48, s52
	ds_load_2addr_b64 v[25:28], v25 offset1:1
	ds_load_2addr_b64 v[33:36], v33 offset1:1
	v_fma_f64 v[13:14], -v[75:76], v[100:101], v[13:14]
	v_fma_f64 v[21:22], -v[83:84], v[69:70], v[21:22]
	s_lshl_b32 s49, s63, 3
	s_lshl_b32 s52, s64, 3
	v_mov_b32_e32 v55, s34
	v_mov_b32_e32 v63, s52
	v_dual_mov_b32 v69, s51 :: v_dual_mov_b32 v70, s58
	s_add_i32 s63, s36, s14
	s_add_i32 s64, s37, s12
	s_lshl_b32 s51, s57, 3
	s_add_i32 s52, s38, s8
	s_add_i32 s57, s37, s14
	v_fma_f64 v[94:95], -v[79:80], v[98:99], v[31:32]
	v_fma_f64 v[98:99], -v[85:86], v[37:38], v[57:58]
	;; [unrolled: 1-line block ×3, first 2 shown]
	v_mov_b32_e32 v37, s55
	ds_load_2addr_b64 v[29:32], v29 offset1:1
	ds_load_2addr_b64 v[41:44], v48 offset1:1
	s_waitcnt lgkmcnt(3)
	v_fma_f64 v[27:28], -v[73:74], v[27:28], v[11:12]
	v_fma_f64 v[17:18], -v[79:80], v[96:97], v[17:18]
	ds_load_2addr_b64 v[37:40], v37 offset1:1
	s_lshl_b32 s55, s66, 3
	v_fma_f64 v[9:10], -v[73:74], v[25:26], v[9:10]
	v_mov_b32_e32 v102, s55
	s_lshl_b32 s55, s56, 3
	v_mov_b32_e32 v25, s48
	s_add_i32 s56, s27, s30
	s_lshl_b32 s48, s60, 3
	s_lshl_b32 s52, s52, 3
	v_fma_f64 v[116:117], -v[15:16], v[45:46], v[59:60]
	ds_load_2addr_b64 v[45:48], v47 offset1:1
	v_mov_b32_e32 v59, s49
	v_fma_f64 v[49:50], -v[19:20], v[49:50], v[114:115]
	ds_load_2addr_b64 v[55:58], v55 offset1:1
	ds_load_2addr_b64 v[59:62], v59 offset1:1
	;; [unrolled: 1-line block ×6, first 2 shown]
	s_waitcnt lgkmcnt(9)
	v_fma_f64 v[31:32], -v[77:78], v[31:32], v[67:68]
	s_waitcnt lgkmcnt(8)
	v_fma_f64 v[43:44], -v[23:24], v[43:44], v[110:111]
	v_fma_f64 v[13:14], -v[77:78], v[29:30], v[13:14]
	v_mov_b32_e32 v67, s50
	s_lshl_b32 s50, s53, 3
	v_dual_mov_b32 v68, s55 :: v_dual_mov_b32 v29, s61
	s_add_i32 s53, s26, s39
	s_lshl_b32 s55, s64, 3
	v_mov_b32_e32 v96, s48
	s_add_i32 s49, s37, s13
	s_add_i32 s48, s27, s39
	s_lshl_b32 s49, s49, 3
	s_waitcnt lgkmcnt(7)
	v_fma_f64 v[39:40], -v[85:86], v[39:40], v[71:72]
	v_fma_f64 v[35:36], -v[81:82], v[35:36], v[94:95]
	;; [unrolled: 1-line block ×3, first 2 shown]
	s_waitcnt lgkmcnt(6)
	v_fma_f64 v[47:48], -v[15:16], v[47:48], v[51:52]
	v_fma_f64 v[21:22], -v[85:86], v[37:38], v[21:22]
	v_dual_mov_b32 v52, s50 :: v_dual_mov_b32 v51, s47
	s_waitcnt lgkmcnt(0)
	v_fma_f64 v[100:101], -v[75:76], v[108:109], v[27:28]
	v_fma_f64 v[17:18], -v[81:82], v[33:34], v[17:18]
	ds_load_2addr_b64 v[25:28], v25 offset1:1
	s_lshl_b32 s47, s53, 3
	s_lshl_b32 s50, s56, 3
	;; [unrolled: 1-line block ×3, first 2 shown]
	s_delay_alu instid0(SALU_CYCLE_1)
	v_dual_mov_b32 v71, s50 :: v_dual_mov_b32 v108, s53
	v_fma_f64 v[9:10], -v[75:76], v[106:107], v[9:10]
	s_lshl_b32 s50, s54, 3
	s_lshl_b32 s53, s59, 3
	v_mul_f64 v[11:12], v[112:113], v[116:117]
	v_mov_b32_e32 v112, s55
	s_lshl_b32 s55, s62, 3
	v_fma_f64 v[120:121], -v[15:16], v[45:46], v[49:50]
	s_add_i32 s54, s35, s21
	s_add_i32 s56, s36, s19
	;; [unrolled: 1-line block ×3, first 2 shown]
	v_fma_f64 v[104:105], -v[79:80], v[104:105], v[31:32]
	ds_load_2addr_b64 v[29:32], v29 offset1:1
	v_fma_f64 v[61:62], -v[19:20], v[61:62], v[43:44]
	v_fma_f64 v[13:14], -v[79:80], v[102:103], v[13:14]
	s_waitcnt lgkmcnt(1)
	v_fma_f64 v[27:28], -v[73:74], v[27:28], v[7:8]
	v_fma_f64 v[5:6], -v[73:74], v[25:26], v[5:6]
	s_add_i32 s34, s36, s20
	v_fma_f64 v[118:119], -v[87:88], v[65:66], v[39:40]
	v_fma_f64 v[116:117], -v[83:84], v[92:93], v[35:36]
	;; [unrolled: 1-line block ×3, first 2 shown]
	ds_load_2addr_b64 v[33:36], v70 offset1:1
	ds_load_2addr_b64 v[37:40], v69 offset1:1
	;; [unrolled: 1-line block ×3, first 2 shown]
	v_dual_mov_b32 v65, s47 :: v_dual_mov_b32 v92, s51
	s_waitcnt lgkmcnt(3)
	v_fma_f64 v[31:32], -v[77:78], v[31:32], v[100:101]
	v_fma_f64 v[17:18], -v[83:84], v[90:91], v[17:18]
	;; [unrolled: 1-line block ×3, first 2 shown]
	s_add_i32 s47, s26, s33
	s_add_i32 s51, s31, s30
	s_lshl_b32 s26, s26, 5
	v_fma_f64 v[9:10], -v[77:78], v[29:30], v[9:10]
	v_mov_b32_e32 v29, s49
	s_lshl_b32 s49, s57, 3
	v_fma_f64 v[57:58], -v[11:12], v[57:58], v[47:48]
	ds_load_2addr_b64 v[45:48], v52 offset1:1
	ds_load_2addr_b64 v[49:52], v51 offset1:1
	ds_load_b64 v[122:123], v67
	ds_load_2addr_b64 v[65:68], v65 offset1:1
	ds_load_2addr_b64 v[69:72], v71 offset1:1
	;; [unrolled: 1-line block ×6, first 2 shown]
	v_fma_f64 v[55:56], -v[11:12], v[55:56], v[120:121]
	s_waitcnt lgkmcnt(11)
	v_fma_f64 v[35:36], -v[81:82], v[35:36], v[104:105]
	v_fma_f64 v[13:14], -v[81:82], v[33:34], v[13:14]
	s_waitcnt lgkmcnt(9)
	v_fma_f64 v[43:44], -v[23:24], v[43:44], v[118:119]
	v_fma_f64 v[39:40], -v[85:86], v[39:40], v[116:117]
	;; [unrolled: 1-line block ×3, first 2 shown]
	s_waitcnt lgkmcnt(8)
	v_fma_f64 v[47:48], -v[15:16], v[47:48], v[61:62]
	s_waitcnt lgkmcnt(0)
	v_fma_f64 v[90:91], -v[75:76], v[114:115], v[27:28]
	v_dual_mov_b32 v59, s55 :: v_dual_mov_b32 v60, s52
	v_mov_b32_e32 v114, s49
	v_fma_f64 v[106:107], -v[79:80], v[110:111], v[31:32]
	v_fma_f64 v[17:18], -v[85:86], v[37:38], v[17:18]
	;; [unrolled: 1-line block ×3, first 2 shown]
	ds_load_2addr_b64 v[25:28], v60 offset1:1
	ds_load_2addr_b64 v[29:32], v29 offset1:1
	v_fma_f64 v[5:6], -v[75:76], v[112:113], v[5:6]
	s_lshl_b32 s52, s44, 3
	v_fma_f64 v[9:10], -v[79:80], v[108:109], v[9:10]
	s_add_i32 s49, s27, s33
	v_mul_f64 v[7:8], v[51:52], v[57:58]
	v_dual_mov_b32 v52, s46 :: v_dual_mov_b32 v57, s50
	v_dual_mov_b32 v58, s53 :: v_dual_mov_b32 v51, s45
	s_lshl_b32 s45, s47, 3
	s_lshl_b32 s46, s48, 3
	v_fma_f64 v[110:111], -v[83:84], v[98:99], v[35:36]
	ds_load_2addr_b64 v[33:36], v59 offset1:1
	s_lshl_b32 s47, s51, 3
	s_lshl_b32 s48, s54, 3
	;; [unrolled: 1-line block ×4, first 2 shown]
	v_dual_mov_b32 v60, s46 :: v_dual_mov_b32 v61, s47
	v_mov_b32_e32 v98, s48
	v_mov_b32_e32 v102, s50
	;; [unrolled: 1-line block ×3, first 2 shown]
	s_waitcnt lgkmcnt(2)
	v_fma_f64 v[27:28], -v[73:74], v[27:28], v[3:4]
	v_fma_f64 v[13:14], -v[83:84], v[96:97], v[13:14]
	;; [unrolled: 1-line block ×6, first 2 shown]
	ds_load_2addr_b64 v[45:48], v52 offset1:1
	ds_load_2addr_b64 v[37:40], v58 offset1:1
	;; [unrolled: 1-line block ×3, first 2 shown]
	v_mov_b32_e32 v53, s45
	s_waitcnt lgkmcnt(4)
	v_fma_f64 v[31:32], -v[77:78], v[31:32], v[90:91]
	s_waitcnt lgkmcnt(3)
	v_fma_f64 v[35:36], -v[81:82], v[35:36], v[106:107]
	v_fma_f64 v[17:18], -v[87:88], v[92:93], v[17:18]
	;; [unrolled: 1-line block ×3, first 2 shown]
	s_add_i32 s45, s37, s15
	v_fma_f64 v[5:6], -v[77:78], v[29:30], v[5:6]
	s_add_i32 s46, s38, s13
	v_fma_f64 v[9:10], -v[81:82], v[33:34], v[9:10]
	s_lshl_b32 s47, s40, 3
	s_lshl_b32 s48, s42, 3
	v_fma_f64 v[126:127], -v[7:8], v[49:50], v[55:56]
	ds_load_2addr_b64 v[49:52], v51 offset1:1
	ds_load_2addr_b64 v[53:56], v53 offset1:1
	;; [unrolled: 1-line block ×8, first 2 shown]
	s_lshl_b32 s50, s43, 3
	s_lshl_b32 s54, s34, 3
	;; [unrolled: 1-line block ×4, first 2 shown]
	v_mov_b32_e32 v69, s48
	s_waitcnt lgkmcnt(9)
	v_fma_f64 v[39:40], -v[85:86], v[39:40], v[110:111]
	v_mov_b32_e32 v70, s50
	v_dual_mov_b32 v90, s52 :: v_dual_mov_b32 v91, s54
	v_mov_b32_e32 v92, s46
	s_add_i32 s51, s31, s39
	s_add_i32 s53, s35, s30
	;; [unrolled: 1-line block ×4, first 2 shown]
	s_lshl_b32 s43, s49, 3
	s_lshl_b32 s44, s51, 3
	s_lshl_b32 s45, s53, 3
	v_fma_f64 v[13:14], -v[85:86], v[37:38], v[13:14]
	v_fma_f64 v[47:48], -v[15:16], v[47:48], v[71:72]
	s_waitcnt lgkmcnt(8)
	v_fma_f64 v[43:44], -v[23:24], v[43:44], v[94:95]
	v_fma_f64 v[65:66], -v[11:12], v[65:66], v[124:125]
	s_waitcnt lgkmcnt(7)
	v_fma_f64 v[51:52], -v[7:8], v[51:52], v[67:68]
	s_waitcnt lgkmcnt(0)
	v_fma_f64 v[71:72], -v[75:76], v[120:121], v[27:28]
	v_fma_f64 v[124:125], -v[73:74], v[25:26], v[1:2]
	v_mov_b32_e32 v1, s40
	ds_load_2addr_b64 v[25:28], v92 offset1:1
	v_fma_f64 v[112:113], -v[79:80], v[116:117], v[31:32]
	v_fma_f64 v[116:117], -v[83:84], v[104:105], v[35:36]
	ds_load_2addr_b64 v[33:36], v91 offset1:1
	v_fma_f64 v[17:18], -v[23:24], v[41:42], v[17:18]
	v_fma_f64 v[21:22], -v[15:16], v[45:46], v[21:22]
	ds_load_2addr_b64 v[29:32], v1 offset1:1
	v_mov_b32_e32 v67, s41
	s_add_i32 s41, s37, s19
	v_mov_b32_e32 v68, s47
	s_lshl_b32 s34, s34, 3
	v_mul_f64 v[3:4], v[122:123], v[126:127]
	s_lshl_b32 s40, s41, 3
	s_lshl_b32 s41, s42, 3
	v_dual_mov_b32 v2, s43 :: v_dual_mov_b32 v91, s45
	v_mov_b32_e32 v94, s34
	v_mov_b32_e32 v104, s40
	v_fma_f64 v[100:101], -v[87:88], v[100:101], v[39:40]
	ds_load_2addr_b64 v[37:40], v90 offset1:1
	v_mov_b32_e32 v108, s41
	v_fma_f64 v[5:6], -v[79:80], v[114:115], v[5:6]
	v_fma_f64 v[9:10], -v[83:84], v[102:103], v[9:10]
	s_add_i32 s34, s27, s25
	s_add_i32 s40, s31, s22
	;; [unrolled: 1-line block ×5, first 2 shown]
	s_lshl_b32 s34, s34, 3
	s_lshl_b32 s40, s40, 3
	v_fma_f64 v[13:14], -v[87:88], v[98:99], v[13:14]
	v_fma_f64 v[59:60], -v[11:12], v[59:60], v[47:48]
	;; [unrolled: 1-line block ×3, first 2 shown]
	ds_load_2addr_b64 v[41:44], v70 offset1:1
	v_fma_f64 v[122:123], -v[7:8], v[49:50], v[65:66]
	ds_load_2addr_b64 v[45:48], v69 offset1:1
	v_mov_b32_e32 v1, s44
	s_waitcnt lgkmcnt(5)
	v_fma_f64 v[27:28], -v[77:78], v[27:28], v[71:72]
	s_add_i32 s44, s38, s15
	s_waitcnt lgkmcnt(3)
	v_fma_f64 v[31:32], -v[81:82], v[31:32], v[112:113]
	v_fma_f64 v[35:36], -v[85:86], v[35:36], v[116:117]
	s_lshl_b32 s41, s41, 3
	v_fma_f64 v[17:18], -v[19:20], v[61:62], v[17:18]
	v_fma_f64 v[21:22], -v[11:12], v[57:58], v[21:22]
	s_lshl_b32 s42, s42, 3
	s_lshl_b32 s43, s43, 3
	;; [unrolled: 1-line block ×3, first 2 shown]
	v_mov_b32_e32 v57, s41
	s_add_i32 s45, s27, s26
	v_fma_f64 v[55:56], -v[3:4], v[55:56], v[51:52]
	ds_load_2addr_b64 v[49:52], v68 offset1:1
	ds_load_b64 v[126:127], v67
	ds_load_2addr_b64 v[63:66], v2 offset1:1
	ds_load_2addr_b64 v[67:70], v1 offset1:1
	;; [unrolled: 1-line block ×6, first 2 shown]
	s_add_i32 s46, s31, s33
	s_add_i32 s47, s35, s39
	;; [unrolled: 1-line block ×5, first 2 shown]
	s_waitcnt lgkmcnt(10)
	v_fma_f64 v[39:40], -v[23:24], v[39:40], v[100:101]
	s_lshl_b32 s41, s47, 3
	s_add_i32 s47, s35, s33
	v_fma_f64 v[5:6], -v[81:82], v[29:30], v[5:6]
	v_fma_f64 v[9:10], -v[85:86], v[33:34], v[9:10]
	v_mov_b32_e32 v29, s43
	v_mov_b32_e32 v33, s42
	s_lshl_b32 s42, s48, 3
	s_lshl_b32 s43, s49, 3
	s_add_i32 s48, s36, s39
	s_add_i32 s49, s37, s30
	v_fma_f64 v[13:14], -v[23:24], v[37:38], v[13:14]
	s_waitcnt lgkmcnt(8)
	v_fma_f64 v[47:48], -v[7:8], v[47:48], v[59:60]
	v_fma_f64 v[43:44], -v[15:16], v[43:44], v[120:121]
	;; [unrolled: 1-line block ×3, first 2 shown]
	s_waitcnt lgkmcnt(0)
	v_fma_f64 v[61:62], -v[79:80], v[110:111], v[27:28]
	v_fma_f64 v[106:107], -v[83:84], v[106:107], v[31:32]
	;; [unrolled: 1-line block ×3, first 2 shown]
	ds_load_2addr_b64 v[33:36], v33 offset1:1
	v_fma_f64 v[17:18], -v[15:16], v[41:42], v[17:18]
	v_fma_f64 v[21:22], -v[7:8], v[45:46], v[21:22]
	v_mov_b32_e32 v96, s43
	s_add_i32 s43, s35, s22
	ds_load_2addr_b64 v[29:32], v29 offset1:1
	s_lshl_b32 s43, s43, 3
	v_mul_f64 v[1:2], v[51:52], v[55:56]
	v_fma_f64 v[51:52], -v[75:76], v[118:119], v[124:125]
	v_dual_mov_b32 v55, s34 :: v_dual_mov_b32 v56, s40
	s_lshl_b32 s34, s45, 3
	s_lshl_b32 s40, s46, 3
	s_add_i32 s45, s37, s24
	v_fma_f64 v[92:93], -v[19:20], v[92:93], v[39:40]
	ds_load_2addr_b64 v[37:40], v57 offset1:1
	s_add_i32 s46, s38, s20
	v_fma_f64 v[5:6], -v[83:84], v[104:105], v[5:6]
	v_fma_f64 v[9:10], -v[87:88], v[94:95], v[9:10]
	s_lshl_b32 s45, s45, 3
	s_lshl_b32 s46, s46, 3
	v_fma_f64 v[13:14], -v[19:20], v[90:91], v[13:14]
	v_fma_f64 v[65:66], -v[3:4], v[65:66], v[47:48]
	;; [unrolled: 1-line block ×3, first 2 shown]
	ds_load_2addr_b64 v[41:44], v56 offset1:1
	ds_load_2addr_b64 v[45:48], v55 offset1:1
	v_mov_b32_e32 v57, s41
	v_mov_b32_e32 v69, s42
	s_add_i32 s41, s9, 0xffffee78
	s_add_i32 s42, s31, s25
	s_waitcnt lgkmcnt(3)
	v_fma_f64 v[31:32], -v[85:86], v[31:32], v[106:107]
	v_fma_f64 v[35:36], -v[23:24], v[35:36], v[110:111]
	;; [unrolled: 1-line block ×4, first 2 shown]
	v_mov_b32_e32 v63, s41
	s_lshl_b32 s41, s42, 3
	s_add_i32 s42, s31, s26
	v_fma_f64 v[114:115], -v[1:2], v[49:50], v[53:54]
	v_fma_f64 v[116:117], -v[77:78], v[25:26], v[51:52]
	v_mov_b32_e32 v25, s44
	v_mov_b32_e32 v49, s34
	;; [unrolled: 1-line block ×3, first 2 shown]
	s_lshl_b32 s44, s50, 3
	s_add_i32 s34, s8, 0xfffffe00
	ds_load_2addr_b64 v[25:28], v25 offset1:1
	s_waitcnt lgkmcnt(3)
	v_fma_f64 v[39:40], -v[15:16], v[39:40], v[92:93]
	v_mov_b32_e32 v100, s44
	ds_load_2addr_b64 v[49:52], v49 offset1:1
	ds_load_2addr_b64 v[53:56], v53 offset1:1
	;; [unrolled: 1-line block ×6, first 2 shown]
	v_fma_f64 v[5:6], -v[85:86], v[29:30], v[5:6]
	v_fma_f64 v[9:10], -v[23:24], v[33:34], v[9:10]
	s_add_i32 s40, s27, s34
	s_add_i32 s44, s36, s23
	s_lshl_b32 s40, s40, 3
	s_lshl_b32 s44, s44, 3
	v_dual_mov_b32 v64, s40 :: v_dual_mov_b32 v29, s45
	v_fma_f64 v[13:14], -v[15:16], v[37:38], v[13:14]
	s_waitcnt lgkmcnt(7)
	v_fma_f64 v[47:48], -v[1:2], v[47:48], v[65:66]
	v_fma_f64 v[43:44], -v[7:8], v[43:44], v[112:113]
	v_mov_b32_e32 v65, s41
	v_mov_b32_e32 v37, s43
	;; [unrolled: 1-line block ×3, first 2 shown]
	s_lshl_b32 s40, s42, 3
	s_add_i32 s50, s38, s21
	s_waitcnt lgkmcnt(6)
	v_fma_f64 v[27:28], -v[81:82], v[27:28], v[61:62]
	s_lshl_b32 s41, s47, 3
	s_waitcnt lgkmcnt(2)
	v_fma_f64 v[71:72], -v[19:20], v[71:72], v[35:36]
	ds_load_2addr_b64 v[33:36], v33 offset1:1
	v_fma_f64 v[17:18], -v[7:8], v[41:42], v[17:18]
	v_fma_f64 v[21:22], -v[1:2], v[45:46], v[21:22]
	s_lshl_b32 s42, s48, 3
	s_lshl_b32 s43, s49, 3
	;; [unrolled: 1-line block ×3, first 2 shown]
	v_mov_b32_e32 v90, s42
	v_mov_b32_e32 v106, s44
	v_mul_f64 v[110:111], v[126:127], v[114:115]
	v_fma_f64 v[61:62], -v[79:80], v[108:109], v[116:117]
	s_add_i32 s42, s36, s22
	s_add_i32 s44, s38, s24
	s_lshl_b32 s42, s42, 3
	s_lshl_b32 s44, s44, 3
	;; [unrolled: 1-line block ×3, first 2 shown]
	s_add_i32 s47, s36, s33
	s_add_i32 s45, s31, s27
	;; [unrolled: 1-line block ×4, first 2 shown]
	s_waitcnt lgkmcnt(2)
	v_fma_f64 v[94:95], -v[87:88], v[98:99], v[31:32]
	v_fma_f64 v[98:99], -v[11:12], v[59:60], v[39:40]
	ds_load_2addr_b64 v[37:40], v37 offset1:1
	v_fma_f64 v[5:6], -v[87:88], v[96:97], v[5:6]
	v_fma_f64 v[9:10], -v[19:20], v[69:70], v[9:10]
	v_mov_b32_e32 v59, s40
	s_add_i32 s40, s31, s34
	ds_load_2addr_b64 v[29:32], v29 offset1:1
	v_fma_f64 v[13:14], -v[11:12], v[57:58], v[13:14]
	s_lshl_b32 s40, s40, 3
	v_fma_f64 v[55:56], -v[3:4], v[55:56], v[43:44]
	ds_load_2addr_b64 v[41:44], v65 offset1:1
	s_waitcnt lgkmcnt(4)
	v_fma_f64 v[67:68], -v[83:84], v[102:103], v[27:28]
	v_mov_b32_e32 v102, s43
	s_waitcnt lgkmcnt(3)
	v_fma_f64 v[35:36], -v[15:16], v[35:36], v[71:72]
	s_add_i32 s43, s37, s23
	v_fma_f64 v[17:18], -v[3:4], v[53:54], v[17:18]
	s_lshl_b32 s43, s43, 3
	v_fma_f64 v[51:52], -v[110:111], v[51:52], v[47:48]
	ds_load_2addr_b64 v[45:48], v64 offset1:1
	v_fma_f64 v[112:113], -v[81:82], v[25:26], v[61:62]
	v_mov_b32_e32 v25, s46
	v_fma_f64 v[21:22], -v[110:111], v[49:50], v[21:22]
	v_mov_b32_e32 v65, s41
	s_add_i32 s41, s35, s25
	s_add_i32 s46, s35, s26
	ds_load_2addr_b64 v[25:28], v25 offset1:1
	ds_load_b64 v[114:115], v63
	ds_load_2addr_b64 v[59:62], v59 offset1:1
	ds_load_2addr_b64 v[63:66], v65 offset1:1
	;; [unrolled: 1-line block ×5, first 2 shown]
	s_lshl_b32 s41, s41, 3
	s_waitcnt lgkmcnt(9)
	v_fma_f64 v[31:32], -v[23:24], v[31:32], v[94:95]
	v_fma_f64 v[39:40], -v[7:8], v[39:40], v[98:99]
	;; [unrolled: 1-line block ×4, first 2 shown]
	v_mov_b32_e32 v29, s43
	v_mov_b32_e32 v33, s42
	s_lshl_b32 s42, s47, 3
	v_fma_f64 v[13:14], -v[7:8], v[37:38], v[13:14]
	v_mov_b32_e32 v37, s41
	s_waitcnt lgkmcnt(8)
	v_fma_f64 v[43:44], -v[1:2], v[43:44], v[55:56]
	s_lshl_b32 s41, s46, 3
	s_lshl_b32 s43, s48, 3
	v_mov_b32_e32 v49, s41
	v_mov_b32_e32 v53, s42
	s_add_i32 s42, s9, 0xffffec68
	s_add_i32 s46, s38, s23
	s_waitcnt lgkmcnt(6)
	v_fma_f64 v[27:28], -v[85:86], v[27:28], v[67:68]
	s_waitcnt lgkmcnt(2)
	v_fma_f64 v[92:93], -v[11:12], v[92:93], v[35:36]
	ds_load_2addr_b64 v[33:36], v33 offset1:1
	v_fma_f64 v[17:18], -v[1:2], v[41:42], v[17:18]
	v_mov_b32_e32 v41, s40
	s_lshl_b32 s40, s45, 3
	s_add_i32 s45, s37, s22
	s_lshl_b32 s46, s46, 3
	s_lshl_b32 s45, s45, 3
	s_add_i32 s47, s36, s26
	v_mul_f64 v[98:99], v[47:48], v[51:52]
	v_fma_f64 v[47:48], -v[83:84], v[100:101], v[112:113]
	s_waitcnt lgkmcnt(2)
	v_fma_f64 v[94:95], -v[19:20], v[104:105], v[31:32]
	v_fma_f64 v[96:97], -v[3:4], v[65:66], v[39:40]
	ds_load_2addr_b64 v[37:40], v37 offset1:1
	v_fma_f64 v[5:6], -v[19:20], v[102:103], v[5:6]
	v_fma_f64 v[9:10], -v[11:12], v[90:91], v[9:10]
	v_mov_b32_e32 v65, s43
	s_add_i32 s43, s35, s34
	ds_load_2addr_b64 v[29:32], v29 offset1:1
	v_fma_f64 v[13:14], -v[3:4], v[63:64], v[13:14]
	v_fma_f64 v[61:62], -v[110:111], v[61:62], v[43:44]
	ds_load_2addr_b64 v[41:44], v41 offset1:1
	s_waitcnt lgkmcnt(4)
	v_fma_f64 v[57:58], -v[87:88], v[108:109], v[27:28]
	s_waitcnt lgkmcnt(3)
	v_fma_f64 v[35:36], -v[7:8], v[35:36], v[92:93]
	v_fma_f64 v[17:18], -v[110:111], v[59:60], v[17:18]
	v_mov_b32_e32 v59, s42
	s_lshl_b32 s42, s43, 3
	s_add_i32 s43, s35, s27
	v_fma_f64 v[21:22], -v[98:99], v[45:46], v[21:22]
	v_mov_b32_e32 v45, s40
	v_fma_f64 v[100:101], -v[85:86], v[25:26], v[47:48]
	v_mov_b32_e32 v25, s44
	s_lshl_b32 s44, s49, 3
	s_add_i32 s40, s8, 0xfffffdc0
	v_mov_b32_e32 v69, s44
	s_add_i32 s41, s31, s40
	ds_load_2addr_b64 v[25:28], v25 offset1:1
	ds_load_2addr_b64 v[45:48], v45 offset1:1
	;; [unrolled: 1-line block ×6, first 2 shown]
	s_add_i32 s44, s36, s25
	s_lshl_b32 s41, s41, 3
	s_lshl_b32 s44, s44, 3
	;; [unrolled: 1-line block ×3, first 2 shown]
	s_waitcnt lgkmcnt(7)
	v_fma_f64 v[31:32], -v[15:16], v[31:32], v[94:95]
	v_fma_f64 v[39:40], -v[1:2], v[39:40], v[96:97]
	;; [unrolled: 1-line block ×4, first 2 shown]
	v_mov_b32_e32 v29, s45
	v_fma_f64 v[13:14], -v[1:2], v[37:38], v[13:14]
	v_mov_b32_e32 v33, s44
	s_waitcnt lgkmcnt(6)
	v_fma_f64 v[43:44], -v[98:99], v[43:44], v[61:62]
	v_mov_b32_e32 v37, s42
	s_add_i32 s45, s38, s39
	s_lshl_b32 s42, s47, 3
	s_lshl_b32 s44, s45, 3
	v_mov_b32_e32 v60, s42
	s_add_i32 s42, s36, s34
	s_waitcnt lgkmcnt(5)
	v_fma_f64 v[27:28], -v[23:24], v[27:28], v[57:58]
	v_mov_b32_e32 v94, s44
	s_add_i32 s44, s38, s22
	v_fma_f64 v[17:18], -v[98:99], v[41:42], v[17:18]
	v_mov_b32_e32 v41, s41
	s_lshl_b32 s41, s43, 3
	s_lshl_b32 s44, s44, 3
	;; [unrolled: 1-line block ×3, first 2 shown]
	s_add_i32 s45, s35, s31
	v_mul_f64 v[21:22], v[114:115], v[21:22]
	v_fma_f64 v[57:58], -v[87:88], v[106:107], v[100:101]
	s_waitcnt lgkmcnt(1)
	v_fma_f64 v[67:68], -v[11:12], v[67:68], v[31:32]
	v_fma_f64 v[51:52], -v[110:111], v[51:52], v[39:40]
	ds_load_2addr_b64 v[37:40], v37 offset1:1
	v_fma_f64 v[5:6], -v[11:12], v[65:66], v[5:6]
	v_fma_f64 v[9:10], -v[3:4], v[53:54], v[9:10]
	v_fma_f64 v[13:14], -v[110:111], v[49:50], v[13:14]
	ds_load_2addr_b64 v[29:32], v29 offset1:1
	s_waitcnt lgkmcnt(2)
	v_fma_f64 v[63:64], -v[19:20], v[71:72], v[27:28]
	v_fma_f64 v[71:72], -v[3:4], v[55:56], v[35:36]
	ds_load_2addr_b64 v[33:36], v33 offset1:1
	v_mov_b32_e32 v55, s41
	s_add_i32 s41, s35, s40
	s_delay_alu instid0(SALU_CYCLE_1)
	s_lshl_b32 s41, s41, 3
	v_fma_f64 v[47:48], -v[21:22], v[47:48], v[43:44]
	ds_load_2addr_b64 v[41:44], v41 offset1:1
	v_fma_f64 v[100:101], -v[23:24], v[25:26], v[57:58]
	v_mov_b32_e32 v25, s46
	v_fma_f64 v[17:18], -v[21:22], v[45:46], v[17:18]
	s_add_i32 s46, s37, s33
	s_delay_alu instid0(SALU_CYCLE_1)
	s_lshl_b32 s43, s46, 3
	ds_load_2addr_b64 v[25:28], v25 offset1:1
	v_mov_b32_e32 v90, s43
	ds_load_b64 v[102:103], v59
	ds_load_2addr_b64 v[55:58], v55 offset1:1
	ds_load_2addr_b64 v[59:62], v60 offset1:1
	ds_load_2addr_b64 v[90:93], v90 offset1:1
	ds_load_2addr_b64 v[94:97], v94 offset1:1
	s_add_i32 s43, s37, s25
	s_add_i32 s46, s37, s34
	s_lshl_b32 s43, s43, 3
	s_lshl_b32 s46, s46, 3
	s_waitcnt lgkmcnt(8)
	v_fma_f64 v[31:32], -v[7:8], v[31:32], v[67:68]
	v_fma_f64 v[39:40], -v[98:99], v[39:40], v[51:52]
	;; [unrolled: 1-line block ×3, first 2 shown]
	s_waitcnt lgkmcnt(7)
	v_fma_f64 v[9:10], -v[1:2], v[33:34], v[9:10]
	v_fma_f64 v[13:14], -v[98:99], v[37:38], v[13:14]
	v_mov_b32_e32 v29, s43
	v_mov_b32_e32 v33, s42
	;; [unrolled: 1-line block ×3, first 2 shown]
	s_add_i32 s43, s36, s27
	s_add_i32 s41, s37, s26
	;; [unrolled: 1-line block ×3, first 2 shown]
	s_lshl_b32 s43, s43, 3
	s_waitcnt lgkmcnt(5)
	v_fma_f64 v[27:28], -v[15:16], v[27:28], v[63:64]
	v_fma_f64 v[35:36], -v[1:2], v[35:36], v[71:72]
	s_lshl_b32 s41, s41, 3
	s_lshl_b32 s42, s42, 3
	v_mov_b32_e32 v45, s43
	v_mov_b32_e32 v49, s41
	s_add_i32 s41, s8, 0xfffffd80
	s_add_i32 s43, s9, 0xffffea58
	v_mul_f64 v[67:68], v[43:44], v[47:48]
	v_fma_f64 v[43:44], -v[19:20], v[69:70], v[100:101]
	s_waitcnt lgkmcnt(1)
	v_fma_f64 v[65:66], -v[3:4], v[92:93], v[31:32]
	v_fma_f64 v[57:58], -v[21:22], v[57:58], v[39:40]
	ds_load_2addr_b64 v[37:40], v37 offset1:1
	v_fma_f64 v[5:6], -v[3:4], v[90:91], v[5:6]
	v_fma_f64 v[9:10], -v[110:111], v[59:60], v[9:10]
	;; [unrolled: 1-line block ×3, first 2 shown]
	ds_load_2addr_b64 v[29:32], v29 offset1:1
	s_waitcnt lgkmcnt(2)
	v_fma_f64 v[53:54], -v[11:12], v[96:97], v[27:28]
	v_fma_f64 v[69:70], -v[110:111], v[61:62], v[35:36]
	ds_load_2addr_b64 v[33:36], v33 offset1:1
	v_mov_b32_e32 v61, s42
	s_add_i32 s42, s35, s41
	s_lshl_b32 s35, s35, 5
	s_lshl_b32 s42, s42, 3
	v_fma_f64 v[17:18], -v[67:68], v[41:42], v[17:18]
	v_fma_f64 v[71:72], -v[15:16], v[25:26], v[43:44]
	v_mov_b32_e32 v25, s44
	s_lshl_b32 s44, s45, 3
	s_add_i32 s45, s38, s25
	v_mov_b32_e32 v41, s44
	s_add_i32 s44, s36, s40
	ds_load_2addr_b64 v[25:28], v25 offset1:1
	ds_load_2addr_b64 v[41:44], v41 offset1:1
	;; [unrolled: 1-line block ×5, first 2 shown]
	s_lshl_b32 s45, s45, 3
	s_lshl_b32 s44, s44, 3
	s_waitcnt lgkmcnt(6)
	v_fma_f64 v[31:32], -v[1:2], v[31:32], v[65:66]
	v_fma_f64 v[39:40], -v[67:68], v[39:40], v[57:58]
	;; [unrolled: 1-line block ×3, first 2 shown]
	s_waitcnt lgkmcnt(5)
	v_fma_f64 v[9:10], -v[98:99], v[33:34], v[9:10]
	v_fma_f64 v[13:14], -v[67:68], v[37:38], v[13:14]
	v_mov_b32_e32 v29, s46
	v_mov_b32_e32 v33, s44
	;; [unrolled: 1-line block ×3, first 2 shown]
	s_add_i32 s42, s36, s31
	s_add_i32 s44, s38, s26
	s_lshl_b32 s42, s42, 3
	s_waitcnt lgkmcnt(4)
	v_fma_f64 v[27:28], -v[7:8], v[27:28], v[53:54]
	v_fma_f64 v[35:36], -v[98:99], v[35:36], v[69:70]
	s_lshl_b32 s44, s44, 3
	v_mul_f64 v[17:18], v[102:103], v[17:18]
	v_fma_f64 v[53:54], -v[11:12], v[94:95], v[71:72]
	s_waitcnt lgkmcnt(1)
	v_fma_f64 v[69:70], -v[110:111], v[51:52], v[31:32]
	v_mov_b32_e32 v51, s43
	s_add_i32 s43, s37, s27
	v_fma_f64 v[5:6], -v[110:111], v[49:50], v[5:6]
	v_fma_f64 v[9:10], -v[21:22], v[45:46], v[9:10]
	v_mov_b32_e32 v52, s42
	s_add_i32 s42, s36, s41
	s_lshl_b32 s43, s43, 3
	s_lshl_b32 s42, s42, 3
	v_mov_b32_e32 v55, s43
	s_add_i32 s43, s38, s34
	ds_load_2addr_b64 v[29:32], v29 offset1:1
	s_waitcnt lgkmcnt(1)
	v_fma_f64 v[59:60], -v[3:4], v[63:64], v[27:28]
	v_fma_f64 v[47:48], -v[21:22], v[47:48], v[35:36]
	ds_load_2addr_b64 v[33:36], v33 offset1:1
	v_mov_b32_e32 v63, s44
	s_add_i32 s44, s37, s40
	s_lshl_b32 s43, s43, 3
	s_lshl_b32 s44, s44, 3
	v_fma_f64 v[43:44], -v[17:18], v[43:44], v[39:40]
	ds_load_2addr_b64 v[37:40], v37 offset1:1
	v_fma_f64 v[71:72], -v[7:8], v[25:26], v[53:54]
	v_mov_b32_e32 v25, s45
	v_fma_f64 v[13:14], -v[17:18], v[41:42], v[13:14]
	s_add_i32 s45, s37, s41
	s_delay_alu instid0(SALU_CYCLE_1)
	s_lshl_b32 s45, s45, 3
	ds_load_2addr_b64 v[25:28], v25 offset1:1
	ds_load_b64 v[90:91], v51
	ds_load_2addr_b64 v[51:54], v52 offset1:1
	ds_load_2addr_b64 v[55:58], v55 offset1:1
	;; [unrolled: 1-line block ×3, first 2 shown]
	s_waitcnt lgkmcnt(7)
	v_fma_f64 v[31:32], -v[98:99], v[31:32], v[69:70]
	v_fma_f64 v[5:6], -v[98:99], v[29:30], v[5:6]
	s_waitcnt lgkmcnt(6)
	v_fma_f64 v[9:10], -v[67:68], v[33:34], v[9:10]
	v_mov_b32_e32 v33, s42
	v_mov_b32_e32 v29, s44
	s_add_i32 s42, s36, s35
	s_add_i32 s44, s38, s27
	s_lshl_b32 s42, s42, 3
	s_lshl_b32 s44, s44, 3
	s_waitcnt lgkmcnt(4)
	v_fma_f64 v[27:28], -v[1:2], v[27:28], v[59:60]
	v_fma_f64 v[35:36], -v[67:68], v[35:36], v[47:48]
	v_mov_b32_e32 v45, s44
	s_add_i32 s44, s38, s40
	s_delay_alu instid0(SALU_CYCLE_1)
	s_lshl_b32 s44, s44, 3
	v_mul_f64 v[59:60], v[39:40], v[43:44]
	v_fma_f64 v[39:40], -v[3:4], v[61:62], v[71:72]
	s_waitcnt lgkmcnt(1)
	v_fma_f64 v[57:58], -v[21:22], v[57:58], v[31:32]
	v_fma_f64 v[5:6], -v[21:22], v[55:56], v[5:6]
	;; [unrolled: 1-line block ×3, first 2 shown]
	s_waitcnt lgkmcnt(0)
	v_fma_f64 v[49:50], -v[110:111], v[65:66], v[27:28]
	v_fma_f64 v[53:54], -v[17:18], v[53:54], v[35:36]
	;; [unrolled: 1-line block ×3, first 2 shown]
	v_mov_b32_e32 v37, s42
	v_fma_f64 v[61:62], -v[1:2], v[25:26], v[39:40]
	v_mov_b32_e32 v25, s43
	s_add_i32 s43, s37, s31
	ds_load_2addr_b64 v[25:28], v25 offset1:1
	ds_load_2addr_b64 v[29:32], v29 offset1:1
	;; [unrolled: 1-line block ×3, first 2 shown]
	s_lshl_b32 s43, s43, 3
	s_add_i32 s42, s8, 0xfffffd40
	v_mov_b32_e32 v41, s43
	ds_load_2addr_b64 v[37:40], v37 offset1:1
	ds_load_2addr_b64 v[41:44], v41 offset1:1
	ds_load_2addr_b64 v[45:48], v45 offset1:1
	s_add_i32 s43, s36, s42
	s_lshl_b32 s36, s36, 5
	s_lshl_b32 s43, s43, 3
	s_waitcnt lgkmcnt(5)
	v_fma_f64 v[27:28], -v[98:99], v[27:28], v[49:50]
	s_waitcnt lgkmcnt(4)
	v_fma_f64 v[31:32], -v[67:68], v[31:32], v[57:58]
	;; [unrolled: 2-line block ×3, first 2 shown]
	v_fma_f64 v[5:6], -v[67:68], v[29:30], v[5:6]
	v_fma_f64 v[9:10], -v[59:60], v[33:34], v[9:10]
	v_mov_b32_e32 v29, s45
	v_mov_b32_e32 v33, s43
	s_add_i32 s43, s9, 0xffffe848
	v_mul_f64 v[13:14], v[90:91], v[13:14]
	v_fma_f64 v[49:50], -v[110:111], v[63:64], v[61:62]
	s_waitcnt lgkmcnt(0)
	v_fma_f64 v[55:56], -v[21:22], v[47:48], v[27:28]
	v_fma_f64 v[43:44], -v[17:18], v[43:44], v[31:32]
	v_mov_b32_e32 v47, s43
	v_fma_f64 v[5:6], -v[17:18], v[41:42], v[5:6]
	s_add_i32 s43, s37, s35
	s_delay_alu instid0(SALU_CYCLE_1) | instskip(NEXT) | instid1(SALU_CYCLE_1)
	s_lshl_b32 s43, s43, 3
	v_mov_b32_e32 v48, s43
	s_add_i32 s43, s38, s41
	v_fma_f64 v[39:40], -v[13:14], v[39:40], v[35:36]
	v_fma_f64 v[9:10], -v[13:14], v[37:38], v[9:10]
	;; [unrolled: 1-line block ×3, first 2 shown]
	v_mov_b32_e32 v25, s44
	s_add_i32 s44, s38, s31
	ds_load_2addr_b64 v[25:28], v25 offset1:1
	ds_load_2addr_b64 v[29:32], v29 offset1:1
	;; [unrolled: 1-line block ×3, first 2 shown]
	s_lshl_b32 s44, s44, 3
	s_lshl_b32 s43, s43, 3
	v_mov_b32_e32 v51, s44
	ds_load_b64 v[61:62], v47
	ds_load_2addr_b64 v[47:50], v48 offset1:1
	ds_load_2addr_b64 v[51:54], v51 offset1:1
	s_add_i32 s44, s37, s42
	s_delay_alu instid0(SALU_CYCLE_1)
	s_lshl_b32 s44, s44, 3
	s_waitcnt lgkmcnt(5)
	v_fma_f64 v[27:28], -v[67:68], v[27:28], v[55:56]
	s_waitcnt lgkmcnt(4)
	v_fma_f64 v[31:32], -v[59:60], v[31:32], v[43:44]
	v_fma_f64 v[5:6], -v[59:60], v[29:30], v[5:6]
	v_mov_b32_e32 v29, s44
	s_add_i32 s44, s38, s35
	s_delay_alu instid0(SALU_CYCLE_1) | instskip(NEXT) | instid1(SALU_CYCLE_1)
	s_lshl_b32 s44, s44, 3
	v_mov_b32_e32 v37, s44
	s_waitcnt lgkmcnt(3)
	v_mul_f64 v[43:44], v[35:36], v[39:40]
	s_add_i32 s44, s38, s42
	v_fma_f64 v[35:36], -v[21:22], v[45:46], v[57:58]
	s_lshl_b32 s44, s44, 3
	s_waitcnt lgkmcnt(0)
	v_fma_f64 v[41:42], -v[17:18], v[53:54], v[27:28]
	v_fma_f64 v[45:46], -v[13:14], v[49:50], v[31:32]
	v_fma_f64 v[5:6], -v[13:14], v[47:48], v[5:6]
	v_fma_f64 v[9:10], -v[43:44], v[33:34], v[9:10]
	v_fma_f64 v[49:50], -v[67:68], v[25:26], v[35:36]
	v_mov_b32_e32 v25, s43
	s_add_i32 s43, s37, s36
	ds_load_2addr_b64 v[25:28], v25 offset1:1
	ds_load_2addr_b64 v[29:32], v29 offset1:1
	s_lshl_b32 s43, s43, 3
	s_delay_alu instid0(SALU_CYCLE_1)
	v_mov_b32_e32 v33, s43
	ds_load_2addr_b64 v[33:36], v33 offset1:1
	ds_load_2addr_b64 v[37:40], v37 offset1:1
	s_add_i32 s43, s8, 0xfffffd00
	s_addk_i32 s8, 0xfcc0
	s_add_i32 s45, s37, s43
	s_lshl_b32 s37, s37, 5
	s_lshl_b32 s45, s45, 3
	s_waitcnt lgkmcnt(3)
	v_fma_f64 v[27:28], -v[59:60], v[27:28], v[41:42]
	s_waitcnt lgkmcnt(2)
	v_fma_f64 v[31:32], -v[43:44], v[31:32], v[45:46]
	v_fma_f64 v[5:6], -v[43:44], v[29:30], v[5:6]
	v_mov_b32_e32 v29, s45
	s_add_i32 s45, s9, 0xffffe638
	s_addk_i32 s9, 0xe428
	v_mul_f64 v[9:10], v[61:62], v[9:10]
	v_fma_f64 v[41:42], -v[17:18], v[51:52], v[49:50]
	s_waitcnt lgkmcnt(0)
	v_fma_f64 v[45:46], -v[13:14], v[39:40], v[27:28]
	v_mov_b32_e32 v39, s45
	s_delay_alu instid0(VALU_DEP_4)
	v_fma_f64 v[35:36], -v[9:10], v[35:36], v[31:32]
	v_fma_f64 v[5:6], -v[9:10], v[33:34], v[5:6]
	v_fma_f64 v[47:48], -v[59:60], v[25:26], v[41:42]
	v_mov_b32_e32 v25, s44
	s_add_i32 s44, s38, s36
	ds_load_2addr_b64 v[25:28], v25 offset1:1
	ds_load_2addr_b64 v[29:32], v29 offset1:1
	s_lshl_b32 s44, s44, 3
	s_delay_alu instid0(SALU_CYCLE_1)
	v_mov_b32_e32 v40, s44
	ds_load_b64 v[49:50], v39
	ds_load_2addr_b64 v[39:42], v40 offset1:1
	s_add_i32 s44, s38, s43
	ds_store_b64 v89, v[73:74]
	s_lshl_b32 s44, s44, 3
	s_waitcnt lgkmcnt(4)
	v_fma_f64 v[27:28], -v[43:44], v[27:28], v[45:46]
	s_waitcnt lgkmcnt(3)
	v_mul_f64 v[33:34], v[31:32], v[35:36]
	v_fma_f64 v[31:32], -v[13:14], v[37:38], v[47:48]
	s_waitcnt lgkmcnt(1)
	s_delay_alu instid0(VALU_DEP_3) | instskip(NEXT) | instid1(VALU_DEP_3)
	v_fma_f64 v[35:36], -v[9:10], v[41:42], v[27:28]
	v_fma_f64 v[5:6], -v[33:34], v[29:30], v[5:6]
	s_delay_alu instid0(VALU_DEP_3) | instskip(SKIP_2) | instid1(SALU_CYCLE_1)
	v_fma_f64 v[37:38], -v[43:44], v[25:26], v[31:32]
	v_mov_b32_e32 v25, s44
	s_add_i32 s44, s38, s37
	s_lshl_b32 s44, s44, 3
	ds_load_2addr_b64 v[25:28], v25 offset1:1
	v_mov_b32_e32 v29, s44
	s_add_i32 s44, s38, s8
	s_delay_alu instid0(SALU_CYCLE_1)
	s_lshl_b32 s44, s44, 3
	ds_load_2addr_b64 v[29:32], v29 offset1:1
	s_waitcnt lgkmcnt(1)
	v_fma_f64 v[27:28], -v[33:34], v[27:28], v[35:36]
	v_mul_f64 v[5:6], v[49:50], v[5:6]
	v_fma_f64 v[35:36], -v[9:10], v[39:40], v[37:38]
	v_mov_b32_e32 v37, s9
	v_or_b32_e32 v39, s21, v0
	v_or_b32_e32 v40, s24, v0
	ds_load_b64 v[37:38], v37
	s_waitcnt lgkmcnt(1)
	v_fma_f64 v[31:32], -v[5:6], v[31:32], v[27:28]
	v_fma_f64 v[35:36], -v[33:34], v[25:26], v[35:36]
	v_mov_b32_e32 v25, s44
	ds_load_2addr_b64 v[25:28], v25 offset1:1
	s_waitcnt lgkmcnt(0)
	v_mul_f64 v[27:28], v[27:28], v[31:32]
	v_or_b32_e32 v31, s12, v0
	v_fma_f64 v[29:30], -v[5:6], v[29:30], v[35:36]
	v_or_b32_e32 v32, s13, v0
	v_or_b32_e32 v36, s15, v0
	;; [unrolled: 1-line block ×3, first 2 shown]
	v_lshlrev_b32_e32 v31, 3, v31
	s_delay_alu instid0(VALU_DEP_4) | instskip(NEXT) | instid1(VALU_DEP_3)
	v_lshlrev_b32_e32 v32, 3, v32
	v_lshlrev_b32_e32 v35, 3, v35
	v_fma_f64 v[25:26], -v[27:28], v[25:26], v[29:30]
	v_or_b32_e32 v30, s19, v0
	v_lshlrev_b32_e32 v29, 3, v36
	v_or_b32_e32 v36, s20, v0
	ds_store_b64 v31, v[75:76] offset:8192
	ds_store_b64 v32, v[77:78] offset:8192
	;; [unrolled: 1-line block ×4, first 2 shown]
	v_or_b32_e32 v35, s30, v0
	v_lshlrev_b32_e32 v29, 3, v30
	v_lshlrev_b32_e32 v31, 3, v39
	;; [unrolled: 1-line block ×3, first 2 shown]
	v_or_b32_e32 v36, s23, v0
	v_or_b32_e32 v39, s39, v0
	v_lshlrev_b32_e32 v32, 3, v40
	v_or_b32_e32 v40, s22, v0
	ds_store_b64 v29, v[83:84] offset:8192
	ds_store_b64 v30, v[85:86] offset:8192
	;; [unrolled: 1-line block ×4, first 2 shown]
	v_lshlrev_b32_e32 v23, 3, v35
	v_lshlrev_b32_e32 v24, 3, v36
	;; [unrolled: 1-line block ×4, first 2 shown]
	ds_store_b64 v23, v[19:20] offset:8192
	ds_store_b64 v24, v[15:16] offset:8192
	;; [unrolled: 1-line block ×4, first 2 shown]
	v_or_b32_e32 v31, s33, v0
	v_or_b32_e32 v32, s25, v0
	;; [unrolled: 1-line block ×5, first 2 shown]
	v_lshlrev_b32_e32 v11, 3, v31
	v_lshlrev_b32_e32 v12, 3, v32
	v_or_b32_e32 v20, s40, v0
	v_lshlrev_b32_e32 v15, 3, v35
	v_or_b32_e32 v23, s31, v0
	;; [unrolled: 2-line block ×3, first 2 shown]
	ds_store_b64 v11, v[3:4] offset:8192
	ds_store_b64 v12, v[1:2] offset:8192
	;; [unrolled: 1-line block ×4, first 2 shown]
	v_lshlrev_b32_e32 v1, 3, v19
	v_or_b32_e32 v11, s35, v0
	v_lshlrev_b32_e32 v2, 3, v20
	v_or_b32_e32 v12, s42, v0
	v_lshlrev_b32_e32 v3, 3, v23
	v_mul_f64 v[7:8], v[37:38], v[25:26]
	v_lshlrev_b32_e32 v4, 3, v24
	ds_store_b64 v1, v[21:22] offset:8192
	ds_store_b64 v2, v[67:68] offset:8192
	;; [unrolled: 1-line block ×4, first 2 shown]
	v_lshlrev_b32_e32 v1, 3, v11
	v_or_b32_e32 v11, s37, v0
	v_lshlrev_b32_e32 v2, 3, v12
	v_or_b32_e32 v12, s8, v0
	v_or_b32_e32 v3, s36, v0
	v_lshlrev_b32_e32 v15, 3, v0
	v_or_b32_e32 v4, s43, v0
	v_lshlrev_b32_e32 v11, 3, v11
	v_lshlrev_b32_e32 v12, 3, v12
	;; [unrolled: 1-line block ×3, first 2 shown]
	v_lshl_or_b32 v15, s38, 8, v15
	v_lshlrev_b32_e32 v4, 3, v4
	ds_store_b64 v1, v[13:14] offset:8192
	ds_store_b64 v2, v[43:44] offset:8192
	ds_store_b64 v3, v[9:10] offset:8192
	ds_store_b64 v4, v[33:34] offset:8192
	ds_store_b64 v11, v[5:6] offset:8192
	ds_store_b64 v12, v[27:28] offset:8192
	ds_store_b64 v15, v[7:8] offset:8192
.LBB102_47:
	s_cmp_lt_i32 s4, 0
	s_cbranch_scc1 .LBB102_60
; %bb.48:
	s_bitcmp1_b32 s4, 0
	s_cselect_b32 s8, -1, 0
	s_delay_alu instid0(SALU_CYCLE_1)
	s_and_b32 vcc_lo, exec_lo, s8
	s_mov_b32 s8, s4
	s_cbranch_vccnz .LBB102_53
; %bb.49:
	v_lshlrev_b32_e32 v1, 3, v0
	s_cmp_le_i32 s29, s4
	s_delay_alu instid0(VALU_DEP_1)
	v_lshl_or_b32 v3, s4, 8, v1
	ds_load_b64 v[1:2], v3 offset:8192
	s_cbranch_scc1 .LBB102_52
; %bb.50:
	s_lshl_b32 s8, s28, 8
	s_lshl_b32 s9, s4, 3
	v_lshl_or_b32 v4, v0, 3, s8
	s_add_i32 s8, s8, s9
	s_mov_b32 s9, s29
	s_addk_i32 s8, 0xff00
	s_delay_alu instid0(VALU_DEP_1)
	v_add_nc_u32_e32 v4, 0x1f00, v4
.LBB102_51:                             ; =>This Inner Loop Header: Depth=1
	v_mov_b32_e32 v7, s8
	s_add_i32 s9, s9, -1
	s_addk_i32 s8, 0xff00
	s_cmp_gt_i32 s9, s4
	ds_load_b64 v[5:6], v4
	ds_load_b64 v[7:8], v7
	v_add_nc_u32_e32 v4, 0xffffff00, v4
	s_waitcnt lgkmcnt(0)
	v_fma_f64 v[1:2], -v[5:6], v[7:8], v[1:2]
	s_cbranch_scc1 .LBB102_51
.LBB102_52:
	s_mul_i32 s8, s4, 0x108
	s_delay_alu instid0(SALU_CYCLE_1)
	v_dual_mov_b32 v4, s8 :: v_dual_add_nc_u32 v3, 0x2000, v3
	s_add_i32 s8, s4, -1
	ds_load_b64 v[4:5], v4
	s_waitcnt lgkmcnt(0)
	v_mul_f64 v[1:2], v[4:5], v[1:2]
	ds_store_b64 v3, v[1:2]
.LBB102_53:
	s_cmp_eq_u32 s4, 0
	s_cbranch_scc1 .LBB102_60
; %bb.54:
	s_lshl_b32 s4, s28, 8
	s_lshl_b32 s9, s8, 3
	v_lshl_or_b32 v1, v0, 3, s4
	v_lshlrev_b32_e32 v6, 3, v0
	s_add_i32 s9, s4, s9
	s_delay_alu instid0(SALU_CYCLE_1) | instskip(NEXT) | instid1(VALU_DEP_2)
	s_add_i32 s4, s9, 0xffffff00
	v_add_nc_u32_e32 v5, 0x1f00, v1
	s_addk_i32 s9, 0xfef8
	s_branch .LBB102_56
.LBB102_55:                             ;   in Loop: Header=BB102_56 Depth=1
	s_addk_i32 s12, 0xfef8
	s_delay_alu instid0(SALU_CYCLE_1)
	v_dual_mov_b32 v2, s12 :: v_dual_add_nc_u32 v1, 0x2000, v7
	s_add_i32 s12, s8, -2
	s_add_i32 s4, s4, -16
	s_add_i32 s9, s9, -16
	s_cmp_lt_i32 s8, 2
	ds_load_b64 v[7:8], v2
	s_mov_b32 s8, s12
	s_waitcnt lgkmcnt(0)
	v_mul_f64 v[2:3], v[7:8], v[3:4]
	ds_store_b64 v1, v[2:3]
	s_cbranch_scc1 .LBB102_60
.LBB102_56:                             ; =>This Loop Header: Depth=1
                                        ;     Child Loop BB102_57 Depth 2
                                        ;     Child Loop BB102_59 Depth 2
	v_lshl_or_b32 v3, s8, 8, v6
	s_delay_alu instid0(VALU_DEP_2)
	v_mov_b32_e32 v4, v5
	s_cmp_le_i32 s29, s8
	s_mov_b32 s12, s4
	s_mov_b32 s13, s29
	ds_load_b64 v[1:2], v3 offset:8192
	s_cbranch_scc1 .LBB102_58
.LBB102_57:                             ;   Parent Loop BB102_56 Depth=1
                                        ; =>  This Inner Loop Header: Depth=2
	v_mov_b32_e32 v9, s12
	s_add_i32 s13, s13, -1
	s_addk_i32 s12, 0xff00
	s_cmp_gt_i32 s13, s8
	ds_load_b64 v[7:8], v4
	ds_load_b64 v[9:10], v9
	v_add_nc_u32_e32 v4, 0xffffff00, v4
	s_waitcnt lgkmcnt(0)
	v_fma_f64 v[1:2], -v[7:8], v[9:10], v[1:2]
	s_cbranch_scc1 .LBB102_57
.LBB102_58:                             ;   in Loop: Header=BB102_56 Depth=1
	s_mul_i32 s12, s8, 0x108
	s_delay_alu instid0(SALU_CYCLE_1)
	v_dual_mov_b32 v3, s12 :: v_dual_add_nc_u32 v8, 0x2000, v3
	s_lshl_b32 s13, s8, 8
	s_mov_b32 s14, s28
	s_addk_i32 s13, 0xff00
	s_cmp_lt_i32 s29, s8
	ds_load_b64 v[9:10], v3
	v_lshl_or_b32 v7, v0, 3, s13
	s_mov_b32 s13, s9
	ds_load_b64 v[3:4], v7 offset:8192
	s_waitcnt lgkmcnt(1)
	v_mul_f64 v[9:10], v[9:10], v[1:2]
	v_mov_b32_e32 v1, v5
	ds_store_b64 v8, v[9:10]
	s_cbranch_scc1 .LBB102_55
.LBB102_59:                             ;   Parent Loop BB102_56 Depth=1
                                        ; =>  This Inner Loop Header: Depth=2
	v_mov_b32_e32 v2, s13
	s_add_i32 s14, s14, -1
	s_addk_i32 s13, 0xff00
	s_cmp_gt_i32 s14, s8
	ds_load_b64 v[8:9], v1
	ds_load_b64 v[10:11], v2
	v_add_nc_u32_e32 v1, 0xffffff00, v1
	s_waitcnt lgkmcnt(0)
	v_fma_f64 v[3:4], -v[8:9], v[10:11], v[3:4]
	s_cbranch_scc1 .LBB102_59
	s_branch .LBB102_55
.LBB102_60:
	s_waitcnt vmcnt(0) lgkmcnt(0)
	s_waitcnt_vscnt null, 0x0
	; wave barrier
	s_waitcnt lgkmcnt(0)
	buffer_gl0_inv
	s_and_saveexec_b32 s4, s18
	s_cbranch_execz .LBB102_67
; %bb.61:
	s_cmp_lt_i32 s6, 8
	s_mov_b32 s4, 0
	s_cbranch_scc1 .LBB102_64
; %bb.62:
	v_mad_i64_i32 v[1:2], null, s16, v0, 0
	v_lshl_or_b32 v3, v0, 3, 0x2000
	s_lshl_b32 s4, s28, 3
	s_delay_alu instid0(VALU_DEP_2) | instskip(NEXT) | instid1(VALU_DEP_1)
	v_lshlrev_b64 v[1:2], 3, v[1:2]
	v_add_co_u32 v1, vcc_lo, s5, v1
	s_delay_alu instid0(VALU_DEP_2)
	v_add_co_ci_u32_e32 v2, vcc_lo, s7, v2, vcc_lo
	s_and_b32 s5, s4, 0x1c0
	s_mov_b32 s4, 0
	s_mov_b64 s[6:7], 0
	.p2align	6
.LBB102_63:                             ; =>This Inner Loop Header: Depth=1
	ds_load_2addr_b64 v[4:7], v3 offset1:32
	ds_load_2addr_b64 v[8:11], v3 offset0:64 offset1:96
	ds_load_2addr_b64 v[12:15], v3 offset0:128 offset1:160
	ds_load_2addr_b64 v[16:19], v3 offset0:192 offset1:224
	v_add_co_u32 v20, vcc_lo, v1, s6
	v_add_co_ci_u32_e32 v21, vcc_lo, s7, v2, vcc_lo
	s_add_i32 s4, s4, 8
	v_add_nc_u32_e32 v3, 0x800, v3
	s_add_u32 s6, s6, 64
	s_addc_u32 s7, s7, 0
	s_cmp_lg_u32 s5, s6
	s_waitcnt lgkmcnt(3)
	global_store_b128 v[20:21], v[4:7], off
	s_waitcnt lgkmcnt(2)
	global_store_b128 v[20:21], v[8:11], off offset:16
	s_waitcnt lgkmcnt(1)
	global_store_b128 v[20:21], v[12:15], off offset:32
	;; [unrolled: 2-line block ×3, first 2 shown]
	s_cbranch_scc1 .LBB102_63
.LBB102_64:
	s_and_b32 s6, s28, 7
	s_mov_b32 s5, 0
	s_cmp_eq_u32 s6, 0
	s_cbranch_scc1 .LBB102_67
; %bb.65:
	v_lshlrev_b32_e32 v2, 3, v0
	s_lshl_b64 s[8:9], s[10:11], 3
	s_lshl_b64 s[10:11], s[4:5], 3
	s_delay_alu instid0(SALU_CYCLE_1) | instskip(NEXT) | instid1(VALU_DEP_1)
	s_add_u32 s2, s2, s10
	v_add_co_u32 v3, s5, s8, v2
	s_delay_alu instid0(VALU_DEP_1) | instskip(SKIP_3) | instid1(VALU_DEP_1)
	v_add_co_ci_u32_e64 v4, null, s9, 0, s5
	s_addc_u32 s3, s3, s11
	s_add_u32 s0, s2, s0
	s_addc_u32 s1, s3, s1
	v_mul_lo_u32 v4, v4, s16
	v_mad_u64_u32 v[0:1], null, v3, s16, s[0:1]
	v_mul_lo_u32 v3, v3, s17
	v_lshl_or_b32 v2, s4, 8, v2
	s_delay_alu instid0(VALU_DEP_1) | instskip(NEXT) | instid1(VALU_DEP_3)
	v_add_nc_u32_e32 v2, 0x2000, v2
	v_add3_u32 v1, v4, v1, v3
.LBB102_66:                             ; =>This Inner Loop Header: Depth=1
	ds_load_b64 v[3:4], v2
	v_add_nc_u32_e32 v2, 0x100, v2
	s_add_i32 s6, s6, -1
	s_delay_alu instid0(SALU_CYCLE_1)
	s_cmp_lg_u32 s6, 0
	s_waitcnt lgkmcnt(0)
	global_store_b64 v[0:1], v[3:4], off
	v_add_co_u32 v0, vcc_lo, v0, 8
	v_add_co_ci_u32_e32 v1, vcc_lo, 0, v1, vcc_lo
	s_cbranch_scc1 .LBB102_66
.LBB102_67:
	s_nop 0
	s_sendmsg sendmsg(MSG_DEALLOC_VGPRS)
	s_endpgm
	.section	.rodata,"a",@progbits
	.p2align	6, 0x0
	.amdhsa_kernel _ZL38rocblas_trsm_small_left_device_sharedBILi32ELi32ELb0EddPKPKdPKPdEv13rocblas_fill_18rocblas_operation_17rocblas_diagonal_iiT3_T4_lilT5_lili
		.amdhsa_group_segment_fixed_size 16384
		.amdhsa_private_segment_fixed_size 0
		.amdhsa_kernarg_size 360
		.amdhsa_user_sgpr_count 14
		.amdhsa_user_sgpr_dispatch_ptr 0
		.amdhsa_user_sgpr_queue_ptr 0
		.amdhsa_user_sgpr_kernarg_segment_ptr 1
		.amdhsa_user_sgpr_dispatch_id 0
		.amdhsa_user_sgpr_private_segment_size 0
		.amdhsa_wavefront_size32 1
		.amdhsa_uses_dynamic_stack 0
		.amdhsa_enable_private_segment 0
		.amdhsa_system_sgpr_workgroup_id_x 1
		.amdhsa_system_sgpr_workgroup_id_y 0
		.amdhsa_system_sgpr_workgroup_id_z 1
		.amdhsa_system_sgpr_workgroup_info 0
		.amdhsa_system_vgpr_workitem_id 0
		.amdhsa_next_free_vgpr 164
		.amdhsa_next_free_sgpr 86
		.amdhsa_reserve_vcc 1
		.amdhsa_float_round_mode_32 0
		.amdhsa_float_round_mode_16_64 0
		.amdhsa_float_denorm_mode_32 3
		.amdhsa_float_denorm_mode_16_64 3
		.amdhsa_dx10_clamp 1
		.amdhsa_ieee_mode 1
		.amdhsa_fp16_overflow 0
		.amdhsa_workgroup_processor_mode 1
		.amdhsa_memory_ordered 1
		.amdhsa_forward_progress 0
		.amdhsa_shared_vgpr_count 0
		.amdhsa_exception_fp_ieee_invalid_op 0
		.amdhsa_exception_fp_denorm_src 0
		.amdhsa_exception_fp_ieee_div_zero 0
		.amdhsa_exception_fp_ieee_overflow 0
		.amdhsa_exception_fp_ieee_underflow 0
		.amdhsa_exception_fp_ieee_inexact 0
		.amdhsa_exception_int_div_zero 0
	.end_amdhsa_kernel
	.section	.text._ZL38rocblas_trsm_small_left_device_sharedBILi32ELi32ELb0EddPKPKdPKPdEv13rocblas_fill_18rocblas_operation_17rocblas_diagonal_iiT3_T4_lilT5_lili,"axG",@progbits,_ZL38rocblas_trsm_small_left_device_sharedBILi32ELi32ELb0EddPKPKdPKPdEv13rocblas_fill_18rocblas_operation_17rocblas_diagonal_iiT3_T4_lilT5_lili,comdat
.Lfunc_end102:
	.size	_ZL38rocblas_trsm_small_left_device_sharedBILi32ELi32ELb0EddPKPKdPKPdEv13rocblas_fill_18rocblas_operation_17rocblas_diagonal_iiT3_T4_lilT5_lili, .Lfunc_end102-_ZL38rocblas_trsm_small_left_device_sharedBILi32ELi32ELb0EddPKPKdPKPdEv13rocblas_fill_18rocblas_operation_17rocblas_diagonal_iiT3_T4_lilT5_lili
                                        ; -- End function
	.section	.AMDGPU.csdata,"",@progbits
; Kernel info:
; codeLenInByte = 38896
; NumSgprs: 88
; NumVgprs: 164
; ScratchSize: 0
; MemoryBound: 0
; FloatMode: 240
; IeeeMode: 1
; LDSByteSize: 16384 bytes/workgroup (compile time only)
; SGPRBlocks: 10
; VGPRBlocks: 20
; NumSGPRsForWavesPerEU: 88
; NumVGPRsForWavesPerEU: 164
; Occupancy: 2
; WaveLimiterHint : 1
; COMPUTE_PGM_RSRC2:SCRATCH_EN: 0
; COMPUTE_PGM_RSRC2:USER_SGPR: 14
; COMPUTE_PGM_RSRC2:TRAP_HANDLER: 0
; COMPUTE_PGM_RSRC2:TGID_X_EN: 1
; COMPUTE_PGM_RSRC2:TGID_Y_EN: 0
; COMPUTE_PGM_RSRC2:TGID_Z_EN: 1
; COMPUTE_PGM_RSRC2:TIDIG_COMP_CNT: 0
	.section	.text._ZL30rocblas_trsm_small_left_deviceILi32ELi32ELb0EddPKPKdPKPdEv13rocblas_fill_18rocblas_operation_17rocblas_diagonal_iiT3_T4_lilT5_lili,"axG",@progbits,_ZL30rocblas_trsm_small_left_deviceILi32ELi32ELb0EddPKPKdPKPdEv13rocblas_fill_18rocblas_operation_17rocblas_diagonal_iiT3_T4_lilT5_lili,comdat
	.globl	_ZL30rocblas_trsm_small_left_deviceILi32ELi32ELb0EddPKPKdPKPdEv13rocblas_fill_18rocblas_operation_17rocblas_diagonal_iiT3_T4_lilT5_lili ; -- Begin function _ZL30rocblas_trsm_small_left_deviceILi32ELi32ELb0EddPKPKdPKPdEv13rocblas_fill_18rocblas_operation_17rocblas_diagonal_iiT3_T4_lilT5_lili
	.p2align	8
	.type	_ZL30rocblas_trsm_small_left_deviceILi32ELi32ELb0EddPKPKdPKPdEv13rocblas_fill_18rocblas_operation_17rocblas_diagonal_iiT3_T4_lilT5_lili,@function
_ZL30rocblas_trsm_small_left_deviceILi32ELi32ELb0EddPKPKdPKPdEv13rocblas_fill_18rocblas_operation_17rocblas_diagonal_iiT3_T4_lilT5_lili: ; @_ZL30rocblas_trsm_small_left_deviceILi32ELi32ELb0EddPKPKdPKPdEv13rocblas_fill_18rocblas_operation_17rocblas_diagonal_iiT3_T4_lilT5_lili
; %bb.0:
	s_load_b128 s[16:19], s[0:1], 0x40
	s_mov_b32 s2, s15
	s_mov_b32 s3, 0
	s_clause 0x1
	s_load_b128 s[8:11], s[0:1], 0x4
	s_load_b64 s[20:21], s[0:1], 0x28
	s_lshl_b64 s[24:25], s[2:3], 3
	s_waitcnt lgkmcnt(0)
	s_add_u32 s12, s16, s24
	s_addc_u32 s13, s17, s25
	s_load_b128 s[4:7], s[0:1], 0x18
	s_load_b64 s[16:17], s[12:13], 0x0
	s_min_i32 s2, s10, 32
	s_mov_b32 s13, exec_lo
	s_add_i32 s12, s2, -1
	v_cmpx_gt_i32_e64 s2, v0
	s_cbranch_execz .LBB103_10
; %bb.1:
	s_load_b32 s22, s[0:1], 0x30
	v_lshlrev_b32_e32 v3, 3, v0
	s_waitcnt lgkmcnt(0)
	s_ashr_i32 s23, s22, 31
	s_add_u32 s6, s6, s24
	s_addc_u32 s7, s7, s25
	s_cmp_lt_u32 s12, 3
	s_load_b64 s[6:7], s[6:7], 0x0
	s_cbranch_scc1 .LBB103_4
; %bb.2:
	s_lshl_b64 s[24:25], s[20:21], 3
	v_mov_b32_e32 v4, v3
	s_waitcnt lgkmcnt(0)
	s_add_u32 s3, s6, s24
	s_addc_u32 s15, s7, s25
	v_add_co_u32 v1, s3, s3, v3
	s_delay_alu instid0(VALU_DEP_1)
	v_add_co_ci_u32_e64 v2, null, s15, 0, s3
	s_and_b32 s3, s2, -4
	s_mul_hi_i32 s15, s22, 24
	s_mul_i32 s30, s22, 24
	s_lshl_b64 s[24:25], s[22:23], 5
	s_lshl_b64 s[26:27], s[22:23], 4
	;; [unrolled: 1-line block ×3, first 2 shown]
	s_mov_b32 s31, 0
	.p2align	6
.LBB103_3:                              ; =>This Inner Loop Header: Depth=1
	v_add_co_u32 v5, vcc_lo, v1, s28
	v_add_co_ci_u32_e32 v6, vcc_lo, s29, v2, vcc_lo
	v_add_co_u32 v7, vcc_lo, v1, s26
	v_add_co_ci_u32_e32 v8, vcc_lo, s27, v2, vcc_lo
	;; [unrolled: 2-line block ×3, first 2 shown]
	s_clause 0x3
	global_load_b64 v[11:12], v[1:2], off
	global_load_b64 v[5:6], v[5:6], off
	;; [unrolled: 1-line block ×4, first 2 shown]
	v_add_co_u32 v1, vcc_lo, v1, s24
	v_add_co_ci_u32_e32 v2, vcc_lo, s25, v2, vcc_lo
	s_add_i32 s31, s31, 4
	s_waitcnt vmcnt(2)
	ds_store_2addr_b64 v4, v[11:12], v[5:6] offset1:32
	s_waitcnt vmcnt(0)
	ds_store_2addr_b64 v4, v[7:8], v[9:10] offset0:64 offset1:96
	v_add_nc_u32_e32 v4, 0x400, v4
	s_cmp_eq_u32 s3, s31
	s_cbranch_scc0 .LBB103_3
.LBB103_4:
	s_and_b32 s15, s2, 3
	s_delay_alu instid0(SALU_CYCLE_1)
	s_cmp_eq_u32 s15, 0
	s_cbranch_scc1 .LBB103_7
; %bb.5:
	s_mul_i32 s25, s23, s3
	s_mul_hi_u32 s26, s22, s3
	s_mul_i32 s24, s22, s3
	s_add_i32 s25, s26, s25
	s_lshl_b64 s[20:21], s[20:21], 3
	s_lshl_b64 s[24:25], s[24:25], 3
	v_lshl_or_b32 v4, s3, 8, v3
	s_add_u32 s3, s24, s20
	s_addc_u32 s20, s25, s21
	s_waitcnt lgkmcnt(0)
	s_add_u32 s3, s6, s3
	s_addc_u32 s6, s7, s20
	v_add_co_u32 v1, s3, s3, v3
	s_delay_alu instid0(VALU_DEP_1)
	v_add_co_ci_u32_e64 v2, null, s6, 0, s3
	s_lshl_b64 s[6:7], s[22:23], 3
.LBB103_6:                              ; =>This Inner Loop Header: Depth=1
	global_load_b64 v[5:6], v[1:2], off
	v_add_co_u32 v1, vcc_lo, v1, s6
	v_add_co_ci_u32_e32 v2, vcc_lo, s7, v2, vcc_lo
	s_add_i32 s15, s15, -1
	s_delay_alu instid0(SALU_CYCLE_1)
	s_cmp_lg_u32 s15, 0
	s_waitcnt vmcnt(0)
	ds_store_b64 v4, v[5:6]
	v_add_nc_u32_e32 v4, 0x100, v4
	s_cbranch_scc1 .LBB103_6
.LBB103_7:
	v_mul_u32_u24_e32 v3, 33, v0
	v_mov_b32_e32 v1, 0
	v_mov_b32_e32 v2, 0x3ff00000
	s_cmpk_lg_i32 s9, 0x84
	s_delay_alu instid0(VALU_DEP_3)
	v_lshlrev_b32_e32 v3, 3, v3
	s_cbranch_scc0 .LBB103_9
; %bb.8:
	ds_load_b64 v[1:2], v3
	s_waitcnt lgkmcnt(0)
	v_div_scale_f64 v[4:5], null, v[1:2], v[1:2], 1.0
	s_delay_alu instid0(VALU_DEP_1) | instskip(SKIP_2) | instid1(VALU_DEP_1)
	v_rcp_f64_e32 v[6:7], v[4:5]
	s_waitcnt_depctr 0xfff
	v_fma_f64 v[8:9], -v[4:5], v[6:7], 1.0
	v_fma_f64 v[6:7], v[6:7], v[8:9], v[6:7]
	s_delay_alu instid0(VALU_DEP_1) | instskip(NEXT) | instid1(VALU_DEP_1)
	v_fma_f64 v[8:9], -v[4:5], v[6:7], 1.0
	v_fma_f64 v[6:7], v[6:7], v[8:9], v[6:7]
	v_div_scale_f64 v[8:9], vcc_lo, 1.0, v[1:2], 1.0
	s_delay_alu instid0(VALU_DEP_1) | instskip(NEXT) | instid1(VALU_DEP_1)
	v_mul_f64 v[10:11], v[8:9], v[6:7]
	v_fma_f64 v[4:5], -v[4:5], v[10:11], v[8:9]
	s_delay_alu instid0(VALU_DEP_1) | instskip(NEXT) | instid1(VALU_DEP_1)
	v_div_fmas_f64 v[4:5], v[4:5], v[6:7], v[10:11]
	v_div_fixup_f64 v[1:2], v[4:5], v[1:2], 1.0
.LBB103_9:
	ds_store_b64 v3, v[1:2]
.LBB103_10:
	s_or_b32 exec_lo, exec_lo, s13
	s_load_b32 s3, s[0:1], 0x68
	s_waitcnt lgkmcnt(0)
	s_lshl_b32 s6, s14, 5
	s_delay_alu instid0(SALU_CYCLE_1) | instskip(SKIP_2) | instid1(SALU_CYCLE_1)
	s_sub_i32 s7, s11, s6
	; wave barrier
	buffer_gl0_inv
	s_add_i32 s3, s3, -1
	s_cmp_ge_u32 s14, s3
	s_cselect_b32 s3, s7, 32
	s_delay_alu instid0(SALU_CYCLE_1)
	v_cmp_gt_i32_e32 vcc_lo, s3, v0
	s_mov_b32 s3, -1
	s_and_saveexec_b32 s7, vcc_lo
	s_cbranch_execz .LBB103_57
; %bb.11:
	s_load_b32 s0, s[0:1], 0x50
	v_add_nc_u32_e32 v2, s6, v0
	s_lshl_b64 s[58:59], s[18:19], 3
	s_delay_alu instid0(SALU_CYCLE_1) | instskip(SKIP_4) | instid1(VALU_DEP_1)
	s_add_u32 s6, s16, s58
	s_addc_u32 s7, s17, s59
	s_cmpk_eq_i32 s8, 0x6f
	s_waitcnt lgkmcnt(0)
	v_mad_i64_i32 v[0:1], null, s0, v2, 0
	v_lshlrev_b64 v[100:101], 3, v[0:1]
	s_delay_alu instid0(VALU_DEP_1) | instskip(NEXT) | instid1(VALU_DEP_2)
	v_add_co_u32 v98, vcc_lo, s6, v100
	v_add_co_ci_u32_e32 v99, vcc_lo, s7, v101, vcc_lo
	s_cbranch_scc1 .LBB103_35
; %bb.12:
	s_cmp_lt_i32 s10, 32
	s_mov_b32 s6, 0
	s_cselect_b32 s3, -1, 0
	s_cmp_gt_i32 s10, 31
	s_cbranch_scc0 .LBB103_14
; %bb.13:
	s_clause 0x3
	global_load_b128 v[0:3], v[98:99], off
	global_load_b128 v[4:7], v[98:99], off offset:16
	global_load_b128 v[8:11], v[98:99], off offset:32
	;; [unrolled: 1-line block ×3, first 2 shown]
	v_mov_b32_e32 v102, 0
	global_load_b128 v[28:31], v[98:99], off offset:64
	s_mov_b32 s6, 32
	ds_load_2addr_b64 v[20:23], v102 offset1:66
	ds_load_b128 v[12:15], v102 offset:256
	ds_load_b128 v[24:27], v102 offset:512
	ds_load_b128 v[32:35], v102 offset:768
	ds_load_b128 v[40:43], v102 offset:784
	global_load_b128 v[36:39], v[98:99], off offset:80
	ds_load_b128 v[44:47], v102 offset:1024
	ds_load_b128 v[48:51], v102 offset:1040
	;; [unrolled: 1-line block ×3, first 2 shown]
	s_waitcnt vmcnt(5)
	v_mul_f64 v[0:1], v[0:1], s[4:5]
	s_waitcnt lgkmcnt(7)
	s_delay_alu instid0(VALU_DEP_1) | instskip(SKIP_1) | instid1(VALU_DEP_1)
	v_mul_f64 v[0:1], v[20:21], v[0:1]
	s_waitcnt lgkmcnt(6)
	v_mul_f64 v[12:13], v[0:1], v[12:13]
	s_waitcnt lgkmcnt(5)
	v_mul_f64 v[20:21], v[0:1], v[24:25]
	s_delay_alu instid0(VALU_DEP_2) | instskip(SKIP_3) | instid1(VALU_DEP_3)
	v_fma_f64 v[2:3], v[2:3], s[4:5], -v[12:13]
	s_waitcnt lgkmcnt(4)
	v_mul_f64 v[12:13], v[0:1], v[32:33]
	s_waitcnt vmcnt(4)
	v_fma_f64 v[4:5], v[4:5], s[4:5], -v[20:21]
	s_waitcnt lgkmcnt(2)
	v_mul_f64 v[20:21], v[0:1], v[44:45]
	s_delay_alu instid0(VALU_DEP_4) | instskip(NEXT) | instid1(VALU_DEP_4)
	v_mul_f64 v[2:3], v[14:15], v[2:3]
	v_fma_f64 v[24:25], v[6:7], s[4:5], -v[12:13]
	global_load_b128 v[12:15], v[98:99], off offset:96
	s_waitcnt vmcnt(4)
	v_fma_f64 v[8:9], v[8:9], s[4:5], -v[20:21]
	v_fma_f64 v[26:27], -v[2:3], v[26:27], v[4:5]
	ds_load_b128 v[4:7], v102 offset:1280
	v_fma_f64 v[24:25], -v[2:3], v[34:35], v[24:25]
	v_fma_f64 v[46:47], -v[2:3], v[46:47], v[8:9]
	s_waitcnt lgkmcnt(0)
	v_mul_f64 v[32:33], v[0:1], v[4:5]
	v_mul_f64 v[4:5], v[22:23], v[26:27]
	ds_load_b128 v[20:23], v102 offset:1536
	v_fma_f64 v[44:45], v[10:11], s[4:5], -v[32:33]
	ds_load_b128 v[8:11], v102 offset:1792
	s_waitcnt lgkmcnt(1)
	v_mul_f64 v[20:21], v[0:1], v[20:21]
	ds_load_b128 v[32:35], v102 offset:1808
	v_fma_f64 v[40:41], -v[4:5], v[40:41], v[24:25]
	global_load_b128 v[24:27], v[98:99], off offset:112
	v_fma_f64 v[48:49], -v[4:5], v[48:49], v[46:47]
	s_waitcnt lgkmcnt(1)
	v_mul_f64 v[8:9], v[0:1], v[8:9]
	s_waitcnt vmcnt(4)
	v_fma_f64 v[16:17], v[16:17], s[4:5], -v[20:21]
	v_fma_f64 v[20:21], -v[2:3], v[6:7], v[44:45]
	v_mul_f64 v[6:7], v[42:43], v[40:41]
	ds_load_b128 v[40:43], v102 offset:2048
	ds_load_b128 v[44:47], v102 offset:2064
	v_fma_f64 v[8:9], v[18:19], s[4:5], -v[8:9]
	s_waitcnt lgkmcnt(1)
	v_mul_f64 v[40:41], v[0:1], v[40:41]
	v_fma_f64 v[68:69], -v[2:3], v[22:23], v[16:17]
	v_fma_f64 v[52:53], -v[4:5], v[52:53], v[20:21]
	ds_load_b128 v[20:23], v102 offset:2304
	global_load_b128 v[16:19], v[98:99], off offset:128
	v_fma_f64 v[70:71], -v[6:7], v[50:51], v[48:49]
	ds_load_b128 v[48:51], v102 offset:1552
	ds_load_2addr_b64 v[56:59], v102 offset0:132 offset1:198
	ds_load_b128 v[60:63], v102 offset:1568
	ds_load_b128 v[64:67], v102 offset:2320
	v_fma_f64 v[10:11], -v[2:3], v[10:11], v[8:9]
	s_waitcnt lgkmcnt(4)
	v_mul_f64 v[20:21], v[0:1], v[20:21]
	s_waitcnt vmcnt(4)
	v_fma_f64 v[28:29], v[28:29], s[4:5], -v[40:41]
	s_waitcnt lgkmcnt(3)
	v_fma_f64 v[40:41], -v[4:5], v[48:49], v[68:69]
	v_fma_f64 v[48:49], -v[6:7], v[54:55], v[52:53]
	s_waitcnt lgkmcnt(2)
	v_mul_f64 v[8:9], v[56:57], v[70:71]
	ds_load_b128 v[52:55], v102 offset:2560
	ds_load_b128 v[68:71], v102 offset:1312
	v_fma_f64 v[10:11], -v[4:5], v[32:33], v[10:11]
	v_fma_f64 v[20:21], v[30:31], s[4:5], -v[20:21]
	s_waitcnt lgkmcnt(1)
	v_mul_f64 v[52:53], v[0:1], v[52:53]
	v_fma_f64 v[56:57], -v[2:3], v[42:43], v[28:29]
	global_load_b128 v[28:31], v[98:99], off offset:144
	v_fma_f64 v[32:33], -v[6:7], v[50:51], v[40:41]
	ds_load_b128 v[40:43], v102 offset:2816
	s_waitcnt lgkmcnt(1)
	v_fma_f64 v[68:69], -v[8:9], v[68:69], v[48:49]
	ds_load_b128 v[48:51], v102 offset:2832
	s_waitcnt lgkmcnt(1)
	v_mul_f64 v[40:41], v[0:1], v[40:41]
	v_fma_f64 v[20:21], -v[2:3], v[22:23], v[20:21]
	s_waitcnt vmcnt(4)
	v_fma_f64 v[36:37], v[36:37], s[4:5], -v[52:53]
	v_fma_f64 v[22:23], -v[4:5], v[44:45], v[56:57]
	v_fma_f64 v[44:45], -v[6:7], v[34:35], v[10:11]
	;; [unrolled: 1-line block ×3, first 2 shown]
	v_mul_f64 v[10:11], v[70:71], v[68:69]
	ds_load_b128 v[32:35], v102 offset:3072
	ds_load_b128 v[68:71], v102 offset:1824
	;; [unrolled: 1-line block ×4, first 2 shown]
	v_fma_f64 v[40:41], v[38:39], s[4:5], -v[40:41]
	v_fma_f64 v[64:65], -v[4:5], v[64:65], v[20:21]
	s_waitcnt lgkmcnt(3)
	v_mul_f64 v[32:33], v[0:1], v[32:33]
	v_fma_f64 v[56:57], -v[2:3], v[54:55], v[36:37]
	v_fma_f64 v[88:89], -v[6:7], v[46:47], v[22:23]
	s_waitcnt lgkmcnt(2)
	v_fma_f64 v[68:69], -v[8:9], v[68:69], v[44:45]
	ds_load_b128 v[36:39], v102 offset:3328
	global_load_b128 v[20:23], v[98:99], off offset:160
	v_fma_f64 v[90:91], -v[10:11], v[62:63], v[52:53]
	ds_load_b128 v[44:47], v102 offset:2576
	ds_load_b128 v[52:55], v102 offset:2080
	;; [unrolled: 1-line block ×5, first 2 shown]
	s_waitcnt lgkmcnt(5)
	v_mul_f64 v[36:37], v[0:1], v[36:37]
	v_fma_f64 v[40:41], -v[2:3], v[42:43], v[40:41]
	v_fma_f64 v[94:95], -v[6:7], v[66:67], v[64:65]
	s_waitcnt vmcnt(4)
	v_fma_f64 v[32:33], v[12:13], s[4:5], -v[32:33]
	s_waitcnt lgkmcnt(4)
	v_fma_f64 v[92:93], -v[4:5], v[44:45], v[56:57]
	s_waitcnt lgkmcnt(3)
	v_fma_f64 v[52:53], -v[8:9], v[52:53], v[88:89]
	v_fma_f64 v[68:69], -v[10:11], v[70:71], v[68:69]
	v_mul_f64 v[12:13], v[58:59], v[90:91]
	ds_load_b128 v[42:45], v102 offset:3584
	ds_load_b128 v[56:59], v102 offset:2336
	;; [unrolled: 1-line block ×4, first 2 shown]
	v_fma_f64 v[14:15], v[14:15], s[4:5], -v[36:37]
	v_fma_f64 v[48:49], -v[4:5], v[48:49], v[40:41]
	v_fma_f64 v[32:33], -v[2:3], v[34:35], v[32:33]
	s_waitcnt lgkmcnt(3)
	v_mul_f64 v[70:71], v[0:1], v[42:43]
	v_fma_f64 v[46:47], -v[6:7], v[46:47], v[92:93]
	s_waitcnt lgkmcnt(2)
	v_fma_f64 v[56:57], -v[8:9], v[56:57], v[94:95]
	v_fma_f64 v[52:53], -v[10:11], v[54:55], v[52:53]
	ds_load_b128 v[34:37], v102 offset:3840
	global_load_b128 v[40:43], v[98:99], off offset:176
	v_fma_f64 v[54:55], -v[12:13], v[72:73], v[68:69]
	s_waitcnt lgkmcnt(0)
	v_mul_f64 v[34:35], v[0:1], v[34:35]
	v_fma_f64 v[38:39], -v[2:3], v[38:39], v[14:15]
	v_fma_f64 v[50:51], -v[6:7], v[50:51], v[48:49]
	;; [unrolled: 1-line block ×3, first 2 shown]
	s_waitcnt vmcnt(4)
	v_fma_f64 v[24:25], v[24:25], s[4:5], -v[70:71]
	v_fma_f64 v[68:69], -v[8:9], v[80:81], v[46:47]
	v_fma_f64 v[76:77], -v[10:11], v[58:59], v[56:57]
	;; [unrolled: 1-line block ×3, first 2 shown]
	v_add_nc_u32_e64 v70, 0x800, 0
	v_mul_f64 v[14:15], v[74:75], v[54:55]
	ds_load_b128 v[46:49], v102 offset:4096
	ds_load_b128 v[54:57], v102 offset:2848
	;; [unrolled: 1-line block ×4, first 2 shown]
	v_fma_f64 v[111:112], v[26:27], s[4:5], -v[34:35]
	v_fma_f64 v[38:39], -v[4:5], v[84:85], v[38:39]
	s_waitcnt lgkmcnt(3)
	v_mul_f64 v[96:97], v[0:1], v[46:47]
	v_fma_f64 v[113:114], -v[2:3], v[44:45], v[24:25]
	v_fma_f64 v[84:85], -v[6:7], v[78:79], v[32:33]
	s_waitcnt lgkmcnt(2)
	v_fma_f64 v[50:51], -v[8:9], v[54:55], v[50:51]
	v_fma_f64 v[68:69], -v[10:11], v[82:83], v[68:69]
	;; [unrolled: 1-line block ×3, first 2 shown]
	ds_load_b128 v[44:47], v102 offset:4352
	global_load_b128 v[24:27], v[98:99], off offset:192
	v_fma_f64 v[117:118], -v[14:15], v[62:63], v[52:53]
	ds_load_b128 v[62:65], v102 offset:3600
	ds_load_b128 v[75:78], v102 offset:3104
	;; [unrolled: 1-line block ×3, first 2 shown]
	ds_load_2addr_b64 v[32:35], v70 offset0:8 offset1:74
	ds_load_b128 v[92:95], v102 offset:2624
	ds_load_b128 v[103:106], v102 offset:3120
	;; [unrolled: 1-line block ×4, first 2 shown]
	v_fma_f64 v[36:37], -v[2:3], v[36:37], v[111:112]
	s_waitcnt lgkmcnt(8)
	v_mul_f64 v[44:45], v[0:1], v[44:45]
	v_fma_f64 v[38:39], -v[6:7], v[86:87], v[38:39]
	s_waitcnt vmcnt(4)
	v_fma_f64 v[96:97], v[16:17], s[4:5], -v[96:97]
	s_waitcnt lgkmcnt(6)
	v_fma_f64 v[75:76], -v[8:9], v[75:76], v[84:85]
	v_fma_f64 v[62:63], -v[4:5], v[62:63], v[113:114]
	;; [unrolled: 1-line block ×3, first 2 shown]
	s_waitcnt lgkmcnt(5)
	v_fma_f64 v[56:57], -v[12:13], v[79:80], v[68:69]
	v_fma_f64 v[79:80], -v[14:15], v[66:67], v[115:116]
	s_waitcnt lgkmcnt(4)
	v_mul_f64 v[16:17], v[32:33], v[117:118]
	ds_load_b128 v[66:69], v102 offset:4608
	ds_load_b128 v[83:86], v102 offset:3360
	;; [unrolled: 1-line block ×4, first 2 shown]
	v_fma_f64 v[18:19], v[18:19], s[4:5], -v[44:45]
	s_waitcnt lgkmcnt(3)
	v_mul_f64 v[32:33], v[0:1], v[66:67]
	v_fma_f64 v[44:45], -v[2:3], v[48:49], v[96:97]
	v_fma_f64 v[66:67], -v[4:5], v[88:89], v[36:37]
	;; [unrolled: 1-line block ×3, first 2 shown]
	s_waitcnt lgkmcnt(2)
	v_fma_f64 v[83:84], -v[8:9], v[83:84], v[38:39]
	v_fma_f64 v[75:76], -v[10:11], v[77:78], v[75:76]
	;; [unrolled: 1-line block ×4, first 2 shown]
	ds_load_b128 v[62:65], v102 offset:4864
	ds_load_b128 v[48:51], v102 offset:4880
	global_load_b128 v[36:39], v[98:99], off offset:208
	s_waitcnt lgkmcnt(3)
	v_fma_f64 v[77:78], -v[16:17], v[111:112], v[79:80]
	s_waitcnt lgkmcnt(1)
	v_mul_f64 v[96:97], v[0:1], v[62:63]
	s_waitcnt vmcnt(4)
	v_fma_f64 v[28:29], v[28:29], s[4:5], -v[32:33]
	v_fma_f64 v[32:33], -v[2:3], v[46:47], v[18:19]
	v_fma_f64 v[71:72], -v[4:5], v[71:72], v[44:45]
	;; [unrolled: 1-line block ×8, first 2 shown]
	v_mul_f64 v[18:19], v[113:114], v[77:78]
	ds_load_b128 v[60:63], v102 offset:5120
	ds_load_b128 v[75:78], v102 offset:3872
	;; [unrolled: 1-line block ×6, first 2 shown]
	v_fma_f64 v[96:97], v[30:31], s[4:5], -v[96:97]
	s_waitcnt lgkmcnt(5)
	v_mul_f64 v[131:132], v[0:1], v[60:61]
	v_fma_f64 v[133:134], -v[2:3], v[68:69], v[28:29]
	v_fma_f64 v[32:33], -v[4:5], v[52:53], v[32:33]
	;; [unrolled: 1-line block ×3, first 2 shown]
	s_waitcnt lgkmcnt(4)
	v_fma_f64 v[75:76], -v[8:9], v[75:76], v[66:67]
	v_fma_f64 v[135:136], -v[10:11], v[109:110], v[107:108]
	;; [unrolled: 1-line block ×4, first 2 shown]
	s_waitcnt lgkmcnt(3)
	v_fma_f64 v[79:80], -v[16:17], v[79:80], v[58:59]
	ds_load_b128 v[66:69], v102 offset:5376
	global_load_b128 v[28:31], v[98:99], off offset:224
	v_fma_f64 v[56:57], -v[18:19], v[94:95], v[56:57]
	ds_load_b128 v[71:74], v102 offset:4624
	ds_load_b128 v[91:94], v102 offset:4128
	;; [unrolled: 1-line block ×9, first 2 shown]
	s_waitcnt lgkmcnt(9)
	v_mul_f64 v[139:140], v[0:1], v[66:67]
	v_fma_f64 v[95:96], -v[2:3], v[64:65], v[96:97]
	s_waitcnt vmcnt(4)
	v_fma_f64 v[141:142], v[20:21], s[4:5], -v[131:132]
	s_waitcnt lgkmcnt(8)
	v_fma_f64 v[71:72], -v[4:5], v[71:72], v[133:134]
	v_fma_f64 v[32:33], -v[6:7], v[54:55], v[32:33]
	s_waitcnt lgkmcnt(7)
	v_fma_f64 v[52:53], -v[8:9], v[91:92], v[52:53]
	v_fma_f64 v[54:55], -v[10:11], v[77:78], v[75:76]
	s_waitcnt lgkmcnt(6)
	v_fma_f64 v[91:92], -v[12:13], v[103:104], v[135:136]
	v_fma_f64 v[103:104], -v[14:15], v[117:118], v[115:116]
	s_waitcnt lgkmcnt(5)
	v_fma_f64 v[107:108], -v[16:17], v[107:108], v[137:138]
	v_fma_f64 v[135:136], -v[18:19], v[81:82], v[79:80]
	ds_load_b128 v[75:78], v102 offset:5632
	ds_load_b128 v[64:67], v102 offset:4384
	;; [unrolled: 1-line block ×5, first 2 shown]
	v_mul_f64 v[20:21], v[34:35], v[56:57]
	s_waitcnt lgkmcnt(4)
	v_mul_f64 v[75:76], v[0:1], v[75:76]
	v_fma_f64 v[22:23], v[22:23], s[4:5], -v[139:140]
	v_fma_f64 v[48:49], -v[4:5], v[48:49], v[95:96]
	v_fma_f64 v[62:63], -v[2:3], v[62:63], v[141:142]
	v_fma_f64 v[95:96], -v[6:7], v[73:74], v[71:72]
	s_waitcnt lgkmcnt(3)
	v_fma_f64 v[64:65], -v[8:9], v[64:65], v[32:33]
	v_fma_f64 v[52:53], -v[10:11], v[93:94], v[52:53]
	;; [unrolled: 1-line block ×4, first 2 shown]
	s_waitcnt lgkmcnt(2)
	v_fma_f64 v[79:80], -v[16:17], v[79:80], v[103:104]
	v_fma_f64 v[93:94], -v[18:19], v[109:110], v[107:108]
	ds_load_b128 v[71:74], v102 offset:5888
	ds_load_b128 v[54:57], v102 offset:5904
	global_load_b128 v[32:35], v[98:99], off offset:240
	v_fma_f64 v[83:84], -v[20:21], v[83:84], v[135:136]
	s_waitcnt vmcnt(4)
	v_fma_f64 v[40:41], v[40:41], s[4:5], -v[75:76]
	s_waitcnt lgkmcnt(1)
	v_mul_f64 v[71:72], v[0:1], v[71:72]
	v_fma_f64 v[75:76], -v[2:3], v[68:69], v[22:23]
	v_fma_f64 v[48:49], -v[6:7], v[50:51], v[48:49]
	;; [unrolled: 1-line block ×10, first 2 shown]
	ds_load_b128 v[103:106], v102 offset:6144
	ds_load_b128 v[107:110], v102 offset:4896
	;; [unrolled: 1-line block ×6, first 2 shown]
	v_mul_f64 v[22:23], v[85:86], v[83:84]
	s_waitcnt lgkmcnt(5)
	v_mul_f64 v[103:104], v[0:1], v[103:104]
	v_fma_f64 v[40:41], -v[2:3], v[77:78], v[40:41]
	v_fma_f64 v[71:72], v[42:43], s[4:5], -v[71:72]
	v_fma_f64 v[58:59], -v[4:5], v[58:59], v[75:76]
	s_waitcnt lgkmcnt(4)
	v_fma_f64 v[107:108], -v[8:9], v[107:108], v[48:49]
	v_fma_f64 v[75:76], -v[6:7], v[46:47], v[44:45]
	;; [unrolled: 1-line block ×5, first 2 shown]
	s_waitcnt lgkmcnt(3)
	v_fma_f64 v[135:136], -v[16:17], v[135:136], v[87:88]
	v_fma_f64 v[151:152], -v[18:19], v[121:122], v[89:90]
	;; [unrolled: 1-line block ×4, first 2 shown]
	ds_load_b128 v[111:114], v102 offset:6400
	ds_load_b128 v[119:122], v102 offset:5648
	;; [unrolled: 1-line block ×6, first 2 shown]
	ds_load_2addr_b64 v[42:45], v70 offset0:140 offset1:206
	ds_load_b128 v[78:81], v102 offset:3680
	ds_load_b128 v[82:85], v102 offset:4176
	;; [unrolled: 1-line block ×6, first 2 shown]
	s_waitcnt vmcnt(3)
	v_fma_f64 v[103:104], v[24:25], s[4:5], -v[103:104]
	v_fma_f64 v[155:156], -v[2:3], v[73:74], v[71:72]
	s_waitcnt lgkmcnt(12)
	v_mul_f64 v[111:112], v[0:1], v[111:112]
	s_waitcnt lgkmcnt(11)
	v_fma_f64 v[40:41], -v[4:5], v[119:120], v[40:41]
	v_fma_f64 v[119:120], -v[6:7], v[60:61], v[58:59]
	;; [unrolled: 1-line block ×3, first 2 shown]
	s_waitcnt lgkmcnt(10)
	v_fma_f64 v[123:124], -v[8:9], v[123:124], v[75:76]
	s_waitcnt lgkmcnt(9)
	v_fma_f64 v[127:128], -v[12:13], v[127:128], v[147:148]
	v_fma_f64 v[147:148], -v[14:15], v[133:134], v[131:132]
	s_waitcnt lgkmcnt(8)
	v_fma_f64 v[139:140], -v[16:17], v[139:140], v[149:150]
	v_fma_f64 v[135:136], -v[18:19], v[137:138], v[135:136]
	s_waitcnt lgkmcnt(7)
	v_fma_f64 v[137:138], -v[20:21], v[143:144], v[151:152]
	v_fma_f64 v[143:144], -v[22:23], v[117:118], v[115:116]
	ds_load_b128 v[107:110], v102 offset:6656
	ds_load_b128 v[58:61], v102 offset:5408
	;; [unrolled: 1-line block ×6, first 2 shown]
	s_waitcnt lgkmcnt(12)
	v_mul_f64 v[24:25], v[42:43], v[153:154]
	s_waitcnt lgkmcnt(5)
	v_mul_f64 v[107:108], v[0:1], v[107:108]
	v_fma_f64 v[54:55], -v[4:5], v[54:55], v[155:156]
	v_fma_f64 v[26:27], v[26:27], s[4:5], -v[111:112]
	v_fma_f64 v[111:112], -v[2:3], v[105:106], v[103:104]
	v_fma_f64 v[121:122], -v[6:7], v[121:122], v[40:41]
	s_waitcnt lgkmcnt(4)
	v_fma_f64 v[58:59], -v[8:9], v[58:59], v[119:120]
	v_fma_f64 v[66:67], -v[12:13], v[66:67], v[157:158]
	ds_load_b128 v[103:106], v102 offset:6912
	ds_load_b128 v[40:43], v102 offset:6928
	v_fma_f64 v[119:120], -v[10:11], v[125:126], v[123:124]
	v_fma_f64 v[123:124], -v[14:15], v[129:130], v[127:128]
	s_waitcnt lgkmcnt(5)
	v_fma_f64 v[115:116], -v[16:17], v[115:116], v[147:148]
	v_fma_f64 v[125:126], -v[18:19], v[141:142], v[139:140]
	;; [unrolled: 1-line block ×4, first 2 shown]
	s_waitcnt lgkmcnt(1)
	v_mul_f64 v[103:104], v[0:1], v[103:104]
	v_fma_f64 v[129:130], -v[24:25], v[131:132], v[143:144]
	s_waitcnt vmcnt(2)
	v_fma_f64 v[36:37], v[36:37], s[4:5], -v[107:108]
	v_fma_f64 v[131:132], -v[6:7], v[56:57], v[54:55]
	v_fma_f64 v[107:108], -v[2:3], v[113:114], v[26:27]
	v_fma_f64 v[50:51], -v[4:5], v[50:51], v[111:112]
	v_fma_f64 v[94:95], -v[8:9], v[94:95], v[121:122]
	v_fma_f64 v[135:136], -v[10:11], v[60:61], v[58:59]
	v_fma_f64 v[137:138], -v[14:15], v[68:69], v[66:67]
	v_fma_f64 v[90:91], -v[12:13], v[90:91], v[119:120]
	v_fma_f64 v[86:87], -v[16:17], v[86:87], v[123:124]
	v_fma_f64 v[139:140], -v[18:19], v[117:118], v[115:116]
	v_fma_f64 v[82:83], -v[20:21], v[82:83], v[125:126]
	v_fma_f64 v[141:142], -v[22:23], v[64:65], v[62:63]
	v_fma_f64 v[78:79], -v[24:25], v[78:79], v[127:128]
	ds_load_b128 v[111:114], v102 offset:7168
	ds_load_b128 v[115:118], v102 offset:5920
	ds_load_b128 v[119:122], v102 offset:4928
	ds_load_b128 v[123:126], v102 offset:3936
	ds_load_b128 v[58:61], v102 offset:3952
	ds_load_b128 v[62:65], v102 offset:4944
	ds_load_b128 v[66:69], v102 offset:5936
	ds_load_b128 v[54:57], v102 offset:7184
	v_fma_f64 v[103:104], v[38:39], s[4:5], -v[103:104]
	s_waitcnt lgkmcnt(7)
	v_mul_f64 v[111:112], v[0:1], v[111:112]
	v_mul_f64 v[26:27], v[133:134], v[129:130]
	v_fma_f64 v[151:152], -v[2:3], v[109:110], v[36:37]
	s_waitcnt lgkmcnt(6)
	v_fma_f64 v[115:116], -v[8:9], v[115:116], v[131:132]
	v_fma_f64 v[46:47], -v[4:5], v[46:47], v[107:108]
	;; [unrolled: 1-line block ×5, first 2 shown]
	s_waitcnt lgkmcnt(5)
	v_fma_f64 v[119:120], -v[16:17], v[119:120], v[137:138]
	v_fma_f64 v[157:158], -v[14:15], v[92:93], v[90:91]
	;; [unrolled: 1-line block ×5, first 2 shown]
	s_waitcnt lgkmcnt(4)
	v_fma_f64 v[123:124], -v[24:25], v[123:124], v[141:142]
	v_fma_f64 v[165:166], -v[2:3], v[105:106], v[103:104]
	;; [unrolled: 1-line block ×3, first 2 shown]
	ds_load_b128 v[36:39], v102 offset:7424
	ds_load_b128 v[50:53], v102 offset:6672
	ds_load_b128 v[78:81], v102 offset:6176
	ds_load_b128 v[82:85], v102 offset:5680
	ds_load_b128 v[86:89], v102 offset:5184
	ds_load_b128 v[90:93], v102 offset:4688
	ds_load_b128 v[94:97], v102 offset:4192
	ds_load_b128 v[107:110], v102 offset:4208
	ds_load_b128 v[127:130], v102 offset:4704
	ds_load_b128 v[131:134], v102 offset:5200
	ds_load_b128 v[135:138], v102 offset:5696
	ds_load_b128 v[139:142], v102 offset:6192
	ds_load_b128 v[143:146], v102 offset:6688
	ds_load_b128 v[147:150], v102 offset:7440
	s_waitcnt vmcnt(1)
	v_fma_f64 v[111:112], v[28:29], s[4:5], -v[111:112]
	s_waitcnt lgkmcnt(13)
	v_mul_f64 v[36:37], v[0:1], v[36:37]
	s_waitcnt lgkmcnt(12)
	v_fma_f64 v[151:152], -v[4:5], v[50:51], v[151:152]
	v_fma_f64 v[167:168], -v[6:7], v[48:49], v[46:47]
	s_waitcnt lgkmcnt(11)
	v_fma_f64 v[78:79], -v[8:9], v[78:79], v[153:154]
	v_fma_f64 v[153:154], -v[10:11], v[117:118], v[115:116]
	;; [unrolled: 3-line block ×6, first 2 shown]
	v_add_nc_u32_e64 v161, 0x1000, 0
	v_fma_f64 v[40:41], -v[4:5], v[40:41], v[165:166]
	v_mul_f64 v[28:29], v[44:45], v[163:164]
	ds_load_b128 v[44:47], v102 offset:7680
	ds_load_b128 v[48:51], v102 offset:6432
	;; [unrolled: 1-line block ×7, first 2 shown]
	v_fma_f64 v[30:31], v[30:31], s[4:5], -v[36:37]
	v_fma_f64 v[36:37], -v[2:3], v[113:114], v[111:112]
	v_fma_f64 v[52:53], -v[6:7], v[52:53], v[151:152]
	;; [unrolled: 1-line block ×5, first 2 shown]
	ds_load_b128 v[78:81], v102 offset:7936
	ds_load_b128 v[82:85], v102 offset:7952
	s_waitcnt lgkmcnt(8)
	v_mul_f64 v[44:45], v[0:1], v[44:45]
	s_waitcnt lgkmcnt(7)
	v_fma_f64 v[48:49], -v[8:9], v[48:49], v[167:168]
	s_waitcnt lgkmcnt(6)
	v_fma_f64 v[70:71], -v[16:17], v[70:71], v[155:156]
	v_fma_f64 v[86:87], -v[18:19], v[88:89], v[86:87]
	;; [unrolled: 1-line block ×4, first 2 shown]
	s_waitcnt lgkmcnt(5)
	v_fma_f64 v[74:75], -v[24:25], v[74:75], v[159:160]
	v_fma_f64 v[90:91], -v[26:27], v[96:97], v[94:95]
	;; [unrolled: 1-line block ×3, first 2 shown]
	s_waitcnt lgkmcnt(1)
	v_mul_f64 v[78:79], v[0:1], v[78:79]
	v_fma_f64 v[58:59], -v[28:29], v[58:59], v[123:124]
	v_fma_f64 v[92:93], -v[4:5], v[54:55], v[36:37]
	;; [unrolled: 1-line block ×6, first 2 shown]
	s_waitcnt vmcnt(0)
	v_fma_f64 v[32:33], v[32:33], s[4:5], -v[44:45]
	v_fma_f64 v[44:45], -v[2:3], v[38:39], v[30:31]
	v_fma_f64 v[123:124], -v[10:11], v[50:51], v[48:49]
	;; [unrolled: 1-line block ×8, first 2 shown]
	v_fma_f64 v[78:79], v[34:35], s[4:5], -v[78:79]
	v_mul_f64 v[30:31], v[60:61], v[58:59]
	ds_load_b128 v[36:39], v102 offset:6944
	ds_load_b128 v[40:43], v102 offset:5952
	;; [unrolled: 1-line block ×6, first 2 shown]
	v_fma_f64 v[56:57], -v[6:7], v[56:57], v[92:93]
	v_fma_f64 v[145:146], -v[10:11], v[145:146], v[96:97]
	;; [unrolled: 1-line block ×6, first 2 shown]
	s_waitcnt lgkmcnt(5)
	v_fma_f64 v[36:37], -v[8:9], v[36:37], v[94:95]
	v_fma_f64 v[119:120], -v[12:13], v[119:120], v[123:124]
	s_waitcnt lgkmcnt(4)
	v_fma_f64 v[40:41], -v[16:17], v[40:41], v[66:67]
	v_fma_f64 v[115:116], -v[20:21], v[115:116], v[70:71]
	;; [unrolled: 1-line block ×3, first 2 shown]
	s_waitcnt lgkmcnt(3)
	v_fma_f64 v[48:49], -v[24:25], v[48:49], v[86:87]
	v_fma_f64 v[157:158], -v[26:27], v[129:130], v[88:89]
	;; [unrolled: 1-line block ×3, first 2 shown]
	ds_load_b128 v[32:35], v102 offset:7696
	ds_load_b128 v[44:47], v102 offset:7200
	;; [unrolled: 1-line block ×3, first 2 shown]
	v_fma_f64 v[159:160], -v[30:31], v[109:110], v[76:77]
	ds_load_b128 v[70:73], v102 offset:6208
	ds_load_b128 v[74:77], v102 offset:5712
	;; [unrolled: 1-line block ×3, first 2 shown]
	ds_load_2addr_b64 v[90:93], v161 offset0:16 offset1:82
	ds_load_b128 v[94:97], v102 offset:4720
	ds_load_b128 v[107:110], v102 offset:4736
	ds_load_b128 v[111:114], v102 offset:5232
	ds_load_b128 v[123:126], v102 offset:5728
	ds_load_b128 v[127:130], v102 offset:6224
	ds_load_b128 v[131:134], v102 offset:6720
	ds_load_b128 v[135:138], v102 offset:7216
	ds_load_b128 v[139:142], v102 offset:7712
	s_waitcnt lgkmcnt(13)
	v_fma_f64 v[44:45], -v[8:9], v[44:45], v[56:57]
	s_waitcnt lgkmcnt(12)
	v_fma_f64 v[66:67], -v[12:13], v[66:67], v[145:146]
	;; [unrolled: 2-line block ×4, first 2 shown]
	v_fma_f64 v[143:144], -v[4:5], v[32:33], v[143:144]
	v_fma_f64 v[147:148], -v[6:7], v[149:150], v[147:148]
	;; [unrolled: 1-line block ×6, first 2 shown]
	s_waitcnt lgkmcnt(9)
	v_fma_f64 v[86:87], -v[24:25], v[86:87], v[155:156]
	v_fma_f64 v[153:154], -v[26:27], v[50:51], v[48:49]
	s_waitcnt lgkmcnt(7)
	v_fma_f64 v[94:95], -v[28:29], v[94:95], v[157:158]
	v_fma_f64 v[155:156], -v[30:31], v[105:106], v[103:104]
	v_mul_f64 v[32:33], v[90:91], v[159:160]
	v_fma_f64 v[90:91], -v[2:3], v[80:81], v[78:79]
	ds_load_b128 v[36:39], v102 offset:7456
	ds_load_b128 v[40:43], v102 offset:6464
	;; [unrolled: 1-line block ×7, first 2 shown]
	v_fma_f64 v[44:45], -v[10:11], v[46:47], v[44:45]
	v_fma_f64 v[34:35], -v[6:7], v[34:35], v[143:144]
	s_waitcnt lgkmcnt(6)
	v_fma_f64 v[36:37], -v[8:9], v[36:37], v[147:148]
	v_fma_f64 v[46:47], -v[12:13], v[62:63], v[56:57]
	v_fma_f64 v[56:57], -v[14:15], v[68:69], v[66:67]
	s_waitcnt lgkmcnt(5)
	v_fma_f64 v[40:41], -v[16:17], v[40:41], v[145:146]
	v_fma_f64 v[62:63], -v[18:19], v[72:73], v[70:71]
	v_fma_f64 v[58:59], -v[20:21], v[58:59], v[149:150]
	v_fma_f64 v[66:67], -v[22:23], v[76:77], v[74:75]
	s_waitcnt lgkmcnt(4)
	v_fma_f64 v[48:49], -v[24:25], v[48:49], v[151:152]
	;; [unrolled: 5-line block ×3, first 2 shown]
	v_fma_f64 v[74:75], -v[4:5], v[82:83], v[90:91]
	v_fma_f64 v[82:83], -v[12:13], v[135:136], v[44:45]
	;; [unrolled: 1-line block ×14, first 2 shown]
	ds_load_b128 v[36:39], v102 offset:6976
	ds_load_b128 v[40:43], v102 offset:5984
	;; [unrolled: 1-line block ×8, first 2 shown]
	v_mul_f64 v[34:35], v[80:81], v[72:73]
	v_fma_f64 v[72:73], -v[6:7], v[84:85], v[74:75]
	v_fma_f64 v[137:138], -v[14:15], v[137:138], v[82:83]
	;; [unrolled: 1-line block ×3, first 2 shown]
	s_waitcnt lgkmcnt(8)
	v_fma_f64 v[119:120], -v[12:13], v[119:120], v[78:79]
	s_waitcnt lgkmcnt(7)
	v_fma_f64 v[36:37], -v[16:17], v[36:37], v[86:87]
	v_fma_f64 v[139:140], -v[18:19], v[133:134], v[88:89]
	;; [unrolled: 1-line block ×4, first 2 shown]
	s_waitcnt lgkmcnt(6)
	v_fma_f64 v[40:41], -v[24:25], v[40:41], v[96:97]
	v_fma_f64 v[143:144], -v[26:27], v[125:126], v[123:124]
	;; [unrolled: 1-line block ×4, first 2 shown]
	s_waitcnt lgkmcnt(5)
	v_fma_f64 v[44:45], -v[32:33], v[44:45], v[111:112]
	v_fma_f64 v[147:148], -v[34:35], v[109:110], v[70:71]
	s_waitcnt lgkmcnt(4)
	v_fma_f64 v[48:49], -v[8:9], v[48:49], v[72:73]
	ds_load_b128 v[68:71], v102 offset:7728
	ds_load_b128 v[72:75], v102 offset:7232
	;; [unrolled: 1-line block ×12, first 2 shown]
	s_waitcnt lgkmcnt(10)
	v_fma_f64 v[72:73], -v[16:17], v[72:73], v[137:138]
	v_fma_f64 v[68:69], -v[12:13], v[68:69], v[135:136]
	;; [unrolled: 1-line block ×4, first 2 shown]
	s_waitcnt lgkmcnt(9)
	v_fma_f64 v[76:77], -v[20:21], v[76:77], v[139:140]
	v_fma_f64 v[139:140], -v[22:23], v[117:118], v[115:116]
	s_waitcnt lgkmcnt(8)
	v_fma_f64 v[80:81], -v[24:25], v[80:81], v[141:142]
	v_fma_f64 v[141:142], -v[26:27], v[42:43], v[40:41]
	s_waitcnt lgkmcnt(7)
	v_fma_f64 v[84:85], -v[28:29], v[84:85], v[143:144]
	v_fma_f64 v[143:144], -v[30:31], v[105:106], v[103:104]
	s_waitcnt lgkmcnt(6)
	v_fma_f64 v[88:89], -v[32:33], v[88:89], v[145:146]
	v_fma_f64 v[145:146], -v[34:35], v[46:47], v[44:45]
	v_mul_f64 v[36:37], v[92:93], v[147:148]
	v_fma_f64 v[50:51], -v[10:11], v[50:51], v[48:49]
	ds_load_b128 v[38:41], v102 offset:7488
	ds_load_b128 v[42:45], v102 offset:6496
	;; [unrolled: 1-line block ×6, first 2 shown]
	v_fma_f64 v[68:69], -v[14:15], v[70:71], v[68:69]
	v_fma_f64 v[70:71], -v[18:19], v[74:75], v[72:73]
	s_waitcnt lgkmcnt(5)
	v_fma_f64 v[38:39], -v[16:17], v[38:39], v[135:136]
	v_fma_f64 v[60:61], -v[20:21], v[60:61], v[137:138]
	;; [unrolled: 1-line block ×3, first 2 shown]
	s_waitcnt lgkmcnt(4)
	v_fma_f64 v[42:43], -v[24:25], v[42:43], v[139:140]
	v_fma_f64 v[74:75], -v[26:27], v[82:83], v[80:81]
	;; [unrolled: 1-line block ×4, first 2 shown]
	s_waitcnt lgkmcnt(3)
	v_fma_f64 v[46:47], -v[32:33], v[46:47], v[143:144]
	v_fma_f64 v[78:79], -v[34:35], v[90:91], v[88:89]
	;; [unrolled: 1-line block ×15, first 2 shown]
	v_mul_f64 v[38:39], v[54:55], v[52:53]
	v_fma_f64 v[66:67], -v[14:15], v[66:67], v[50:51]
	ds_load_b128 v[40:43], v102 offset:7008
	ds_load_b128 v[44:47], v102 offset:6016
	;; [unrolled: 1-line block ×6, first 2 shown]
	v_fma_f64 v[127:128], -v[18:19], v[133:134], v[64:65]
	v_fma_f64 v[129:130], -v[22:23], v[129:130], v[70:71]
	s_waitcnt lgkmcnt(6)
	v_fma_f64 v[119:120], -v[20:21], v[119:120], v[68:69]
	s_waitcnt lgkmcnt(5)
	v_fma_f64 v[40:41], -v[24:25], v[40:41], v[80:81]
	v_fma_f64 v[131:132], -v[26:27], v[125:126], v[72:73]
	;; [unrolled: 1-line block ×4, first 2 shown]
	s_waitcnt lgkmcnt(4)
	v_fma_f64 v[44:45], -v[32:33], v[44:45], v[84:85]
	v_fma_f64 v[135:136], -v[34:35], v[109:110], v[76:77]
	;; [unrolled: 1-line block ×4, first 2 shown]
	s_waitcnt lgkmcnt(3)
	v_fma_f64 v[48:49], -v[16:17], v[48:49], v[66:67]
	ds_load_b128 v[64:67], v102 offset:7760
	ds_load_b128 v[68:71], v102 offset:7264
	;; [unrolled: 1-line block ×5, first 2 shown]
	ds_load_2addr_b64 v[84:87], v161 offset0:148 offset1:214
	ds_load_b128 v[88:91], v102 offset:5792
	ds_load_b128 v[92:95], v102 offset:6288
	;; [unrolled: 1-line block ×5, first 2 shown]
	s_waitcnt lgkmcnt(10)
	v_fma_f64 v[64:65], -v[20:21], v[64:65], v[127:128]
	s_waitcnt lgkmcnt(9)
	v_fma_f64 v[68:69], -v[24:25], v[68:69], v[129:130]
	v_fma_f64 v[127:128], -v[22:23], v[121:122], v[119:120]
	;; [unrolled: 1-line block ×3, first 2 shown]
	s_waitcnt lgkmcnt(8)
	v_fma_f64 v[72:73], -v[28:29], v[72:73], v[131:132]
	v_fma_f64 v[131:132], -v[30:31], v[117:118], v[115:116]
	s_waitcnt lgkmcnt(7)
	v_fma_f64 v[76:77], -v[32:33], v[76:77], v[133:134]
	v_fma_f64 v[133:134], -v[34:35], v[46:47], v[44:45]
	s_waitcnt lgkmcnt(6)
	v_fma_f64 v[80:81], -v[36:37], v[80:81], v[135:136]
	v_fma_f64 v[135:136], -v[38:39], v[105:106], v[103:104]
	s_waitcnt lgkmcnt(5)
	v_mul_f64 v[40:41], v[84:85], v[96:97]
	v_fma_f64 v[50:51], -v[18:19], v[50:51], v[48:49]
	ds_load_b128 v[42:45], v102 offset:7520
	ds_load_b128 v[46:49], v102 offset:6528
	;; [unrolled: 1-line block ×5, first 2 shown]
	v_fma_f64 v[64:65], -v[22:23], v[66:67], v[64:65]
	v_fma_f64 v[66:67], -v[26:27], v[70:71], v[68:69]
	s_waitcnt lgkmcnt(4)
	v_fma_f64 v[42:43], -v[24:25], v[42:43], v[127:128]
	v_fma_f64 v[56:57], -v[28:29], v[56:57], v[129:130]
	;; [unrolled: 1-line block ×3, first 2 shown]
	s_waitcnt lgkmcnt(3)
	v_fma_f64 v[46:47], -v[32:33], v[46:47], v[131:132]
	v_fma_f64 v[70:71], -v[34:35], v[78:79], v[76:77]
	;; [unrolled: 1-line block ×4, first 2 shown]
	s_waitcnt lgkmcnt(2)
	v_fma_f64 v[74:75], -v[40:41], v[103:104], v[135:136]
	v_fma_f64 v[50:51], -v[20:21], v[60:61], v[50:51]
	;; [unrolled: 1-line block ×11, first 2 shown]
	v_mul_f64 v[42:43], v[105:106], v[74:75]
	v_fma_f64 v[74:75], -v[22:23], v[62:63], v[50:51]
	ds_load_b128 v[44:47], v102 offset:7040
	ds_load_b128 v[48:51], v102 offset:6048
	;; [unrolled: 1-line block ×6, first 2 shown]
	v_fma_f64 v[96:97], -v[26:27], v[125:126], v[76:77]
	v_fma_f64 v[113:114], -v[30:31], v[113:114], v[80:81]
	s_waitcnt lgkmcnt(6)
	v_fma_f64 v[111:112], -v[28:29], v[119:120], v[78:79]
	s_waitcnt lgkmcnt(5)
	v_fma_f64 v[44:45], -v[32:33], v[44:45], v[82:83]
	v_fma_f64 v[119:120], -v[34:35], v[109:110], v[68:69]
	;; [unrolled: 1-line block ×4, first 2 shown]
	s_waitcnt lgkmcnt(4)
	v_fma_f64 v[48:49], -v[40:41], v[48:49], v[92:93]
	v_fma_f64 v[123:124], -v[42:43], v[90:91], v[72:73]
	s_waitcnt lgkmcnt(3)
	v_fma_f64 v[52:53], -v[24:25], v[52:53], v[74:75]
	ds_load_b128 v[68:71], v102 offset:7792
	ds_load_b128 v[72:75], v102 offset:7296
	;; [unrolled: 1-line block ×8, first 2 shown]
	s_waitcnt lgkmcnt(7)
	v_fma_f64 v[68:69], -v[28:29], v[68:69], v[96:97]
	s_waitcnt lgkmcnt(6)
	v_fma_f64 v[72:73], -v[32:33], v[72:73], v[113:114]
	v_fma_f64 v[96:97], -v[30:31], v[121:122], v[111:112]
	;; [unrolled: 1-line block ×3, first 2 shown]
	s_waitcnt lgkmcnt(5)
	v_fma_f64 v[76:77], -v[36:37], v[76:77], v[119:120]
	v_fma_f64 v[117:118], -v[38:39], v[117:118], v[84:85]
	s_waitcnt lgkmcnt(4)
	v_fma_f64 v[80:81], -v[40:41], v[80:81], v[115:116]
	v_fma_f64 v[115:116], -v[42:43], v[50:51], v[48:49]
	v_mul_f64 v[44:45], v[86:87], v[123:124]
	v_fma_f64 v[54:55], -v[26:27], v[54:55], v[52:53]
	ds_load_b128 v[46:49], v102 offset:7552
	ds_load_b128 v[50:53], v102 offset:6560
	;; [unrolled: 1-line block ×4, first 2 shown]
	v_fma_f64 v[68:69], -v[30:31], v[70:71], v[68:69]
	v_fma_f64 v[70:71], -v[34:35], v[74:75], v[72:73]
	s_waitcnt lgkmcnt(3)
	v_fma_f64 v[46:47], -v[32:33], v[46:47], v[96:97]
	v_fma_f64 v[60:61], -v[36:37], v[60:61], v[121:122]
	;; [unrolled: 1-line block ×3, first 2 shown]
	s_waitcnt lgkmcnt(2)
	v_fma_f64 v[50:51], -v[40:41], v[50:51], v[117:118]
	v_fma_f64 v[74:75], -v[42:43], v[82:83], v[80:81]
	;; [unrolled: 1-line block ×4, first 2 shown]
	v_add_nc_u32_e64 v115, 0x1800, 0
	v_fma_f64 v[64:65], -v[32:33], v[107:108], v[68:69]
	v_fma_f64 v[70:71], -v[36:37], v[103:104], v[70:71]
	;; [unrolled: 1-line block ×7, first 2 shown]
	v_mul_f64 v[46:47], v[58:59], v[56:57]
	v_fma_f64 v[66:67], -v[30:31], v[66:67], v[54:55]
	ds_load_b128 v[48:51], v102 offset:7072
	ds_load_b128 v[52:55], v102 offset:8064
	ds_load_b128 v[56:59], v102 offset:7088
	ds_load_b128 v[60:63], v102 offset:8080
	v_fma_f64 v[96:97], -v[34:35], v[109:110], v[64:65]
	v_fma_f64 v[105:106], -v[38:39], v[105:106], v[70:71]
	s_waitcnt lgkmcnt(4)
	v_fma_f64 v[103:104], -v[36:37], v[111:112], v[68:69]
	s_waitcnt lgkmcnt(3)
	v_fma_f64 v[48:49], -v[40:41], v[48:49], v[76:77]
	v_fma_f64 v[107:108], -v[42:43], v[94:95], v[72:73]
	;; [unrolled: 1-line block ×4, first 2 shown]
	s_waitcnt lgkmcnt(2)
	v_fma_f64 v[52:53], -v[32:33], v[52:53], v[66:67]
	ds_load_b128 v[64:67], v102 offset:7824
	ds_load_b128 v[68:71], v102 offset:7328
	;; [unrolled: 1-line block ×3, first 2 shown]
	ds_load_2addr_b64 v[76:79], v115 offset0:24 offset1:90
	ds_load_b128 v[80:83], v102 offset:6848
	ds_load_b128 v[88:91], v102 offset:7344
	ds_load_b128 v[92:95], v102 offset:7840
	s_waitcnt lgkmcnt(5)
	v_fma_f64 v[68:69], -v[40:41], v[68:69], v[105:106]
	v_fma_f64 v[111:112], -v[42:43], v[50:51], v[48:49]
	s_waitcnt lgkmcnt(4)
	v_fma_f64 v[72:73], -v[44:45], v[72:73], v[107:108]
	v_fma_f64 v[64:65], -v[36:37], v[64:65], v[96:97]
	v_fma_f64 v[96:97], -v[38:39], v[113:114], v[103:104]
	v_fma_f64 v[107:108], -v[46:47], v[86:87], v[84:85]
	s_waitcnt lgkmcnt(3)
	v_mul_f64 v[48:49], v[76:77], v[109:110]
	v_fma_f64 v[54:55], -v[34:35], v[54:55], v[52:53]
	ds_load_b128 v[50:53], v102 offset:7584
	ds_load_b128 v[84:87], v102 offset:6592
	ds_load_b128 v[103:106], v102 offset:7600
	v_fma_f64 v[56:57], -v[44:45], v[56:57], v[111:112]
	v_fma_f64 v[64:65], -v[38:39], v[66:67], v[64:65]
	s_waitcnt lgkmcnt(2)
	v_fma_f64 v[50:51], -v[40:41], v[50:51], v[96:97]
	v_fma_f64 v[66:67], -v[42:43], v[70:71], v[68:69]
	;; [unrolled: 1-line block ×3, first 2 shown]
	s_waitcnt lgkmcnt(1)
	v_fma_f64 v[70:71], -v[48:49], v[84:85], v[107:108]
	v_fma_f64 v[54:55], -v[36:37], v[60:61], v[54:55]
	;; [unrolled: 1-line block ×7, first 2 shown]
	v_mul_f64 v[50:51], v[86:87], v[70:71]
	v_fma_f64 v[70:71], -v[38:39], v[62:63], v[54:55]
	ds_load_b128 v[52:55], v102 offset:7104
	ds_load_b128 v[56:59], v102 offset:8096
	;; [unrolled: 1-line block ×4, first 2 shown]
	s_waitcnt lgkmcnt(3)
	v_fma_f64 v[52:53], -v[48:49], v[52:53], v[84:85]
	v_fma_f64 v[88:89], -v[42:43], v[94:95], v[72:73]
	v_fma_f64 v[92:93], -v[44:45], v[103:104], v[74:75]
	v_fma_f64 v[76:77], -v[46:47], v[90:91], v[76:77]
	v_fma_f64 v[90:91], -v[50:51], v[82:83], v[68:69]
	s_waitcnt lgkmcnt(2)
	v_fma_f64 v[56:57], -v[40:41], v[56:57], v[70:71]
	ds_load_b128 v[68:71], v102 offset:7856
	ds_load_b128 v[72:75], v102 offset:7360
	;; [unrolled: 1-line block ×4, first 2 shown]
	s_waitcnt lgkmcnt(3)
	v_fma_f64 v[68:69], -v[44:45], v[68:69], v[88:89]
	v_fma_f64 v[88:89], -v[46:47], v[105:106], v[92:93]
	s_waitcnt lgkmcnt(2)
	v_fma_f64 v[72:73], -v[48:49], v[72:73], v[76:77]
	v_fma_f64 v[92:93], -v[50:51], v[54:55], v[52:53]
	v_mul_f64 v[52:53], v[78:79], v[90:91]
	v_fma_f64 v[58:59], -v[42:43], v[58:59], v[56:57]
	ds_load_b128 v[54:57], v102 offset:7616
	ds_load_b128 v[76:79], v102 offset:7632
	v_fma_f64 v[68:69], -v[46:47], v[70:71], v[68:69]
	s_waitcnt lgkmcnt(1)
	v_fma_f64 v[54:55], -v[48:49], v[54:55], v[88:89]
	v_fma_f64 v[70:71], -v[50:51], v[74:75], v[72:73]
	;; [unrolled: 1-line block ×7, first 2 shown]
	v_mul_f64 v[54:55], v[62:63], v[60:61]
	v_fma_f64 v[66:67], -v[46:47], v[66:67], v[58:59]
	ds_load_b128 v[56:59], v102 offset:8128
	ds_load_b128 v[60:63], v102 offset:8144
	v_fma_f64 v[80:81], -v[50:51], v[86:87], v[64:65]
	s_waitcnt lgkmcnt(2)
	v_fma_f64 v[76:77], -v[52:53], v[76:77], v[68:69]
	v_fma_f64 v[82:83], -v[54:55], v[82:83], v[70:71]
	s_waitcnt lgkmcnt(1)
	v_fma_f64 v[84:85], -v[48:49], v[56:57], v[66:67]
	ds_load_b128 v[64:67], v102 offset:7888
	ds_load_2addr_b64 v[68:71], v115 offset0:156 offset1:222
	ds_load_b128 v[72:75], v102 offset:7904
	s_waitcnt lgkmcnt(2)
	v_fma_f64 v[64:65], -v[52:53], v[64:65], v[80:81]
	v_fma_f64 v[80:81], -v[54:55], v[78:79], v[76:77]
	ds_load_b128 v[76:79], v102 offset:7648
	s_waitcnt lgkmcnt(2)
	v_mul_f64 v[56:57], v[68:69], v[82:83]
	v_fma_f64 v[58:59], -v[50:51], v[58:59], v[84:85]
	v_fma_f64 v[64:65], -v[54:55], v[66:67], v[64:65]
	s_waitcnt lgkmcnt(0)
	s_delay_alu instid0(VALU_DEP_3) | instskip(NEXT) | instid1(VALU_DEP_3)
	v_fma_f64 v[66:67], -v[56:57], v[76:77], v[80:81]
	v_fma_f64 v[60:61], -v[52:53], v[60:61], v[58:59]
	s_delay_alu instid0(VALU_DEP_3) | instskip(NEXT) | instid1(VALU_DEP_3)
	v_fma_f64 v[68:69], -v[56:57], v[72:73], v[64:65]
	v_mul_f64 v[58:59], v[78:79], v[66:67]
	s_delay_alu instid0(VALU_DEP_3)
	v_fma_f64 v[72:73], -v[54:55], v[62:63], v[60:61]
	ds_load_b128 v[60:63], v102 offset:8160
	ds_load_b128 v[64:67], v102 offset:8176
	s_clause 0xd
	global_store_b128 v[98:99], v[0:3], off
	global_store_b128 v[98:99], v[4:7], off offset:16
	global_store_b128 v[98:99], v[8:11], off offset:32
	global_store_b128 v[98:99], v[12:15], off offset:48
	global_store_b128 v[98:99], v[16:19], off offset:64
	global_store_b128 v[98:99], v[20:23], off offset:80
	global_store_b128 v[98:99], v[24:27], off offset:96
	global_store_b128 v[98:99], v[28:31], off offset:112
	global_store_b128 v[98:99], v[32:35], off offset:128
	global_store_b128 v[98:99], v[36:39], off offset:144
	global_store_b128 v[98:99], v[40:43], off offset:160
	global_store_b128 v[98:99], v[44:47], off offset:176
	global_store_b128 v[98:99], v[48:51], off offset:192
	global_store_b128 v[98:99], v[52:55], off offset:208
	v_fma_f64 v[68:69], -v[58:59], v[74:75], v[68:69]
	s_waitcnt lgkmcnt(1)
	v_fma_f64 v[72:73], -v[56:57], v[60:61], v[72:73]
	s_delay_alu instid0(VALU_DEP_2) | instskip(NEXT) | instid1(VALU_DEP_2)
	v_mul_f64 v[60:61], v[70:71], v[68:69]
	v_fma_f64 v[62:63], -v[58:59], v[62:63], v[72:73]
	s_waitcnt lgkmcnt(0)
	s_delay_alu instid0(VALU_DEP_1) | instskip(NEXT) | instid1(VALU_DEP_1)
	v_fma_f64 v[62:63], -v[60:61], v[64:65], v[62:63]
	v_mul_f64 v[62:63], v[66:67], v[62:63]
	s_clause 0x1
	global_store_b128 v[98:99], v[56:59], off offset:224
	global_store_b128 v[98:99], v[60:63], off offset:240
.LBB103_14:
	s_cmp_lt_i32 s6, s2
	s_cbranch_scc0 .LBB103_34
; %bb.15:
	s_or_b32 s7, s6, 27
	s_delay_alu instid0(SALU_CYCLE_1)
	s_cmp_ge_u32 s7, s2
	s_cbranch_scc1 .LBB103_23
; %bb.16:
	s_lshl_b32 s8, s6, 3
	s_mov_b32 s9, 0
	v_add_co_u32 v34, vcc_lo, v98, s8
	v_add_co_ci_u32_e32 v35, vcc_lo, 0, v99, vcc_lo
	s_and_not1_b32 vcc_lo, exec_lo, s3
	s_clause 0xd
	global_load_b128 v[0:3], v[34:35], off
	global_load_b128 v[4:7], v[34:35], off offset:16
	global_load_b128 v[8:11], v[34:35], off offset:32
	;; [unrolled: 1-line block ×13, first 2 shown]
	s_waitcnt vmcnt(13)
	v_mul_f64 v[0:1], v[0:1], s[4:5]
	v_mul_f64 v[14:15], v[2:3], s[4:5]
	s_waitcnt vmcnt(12)
	v_mul_f64 v[74:75], v[4:5], s[4:5]
	v_mul_f64 v[72:73], v[6:7], s[4:5]
	;; [unrolled: 3-line block ×14, first 2 shown]
	s_cbranch_vccnz .LBB103_18
; %bb.17:
	s_lshl_b32 s3, s7, 5
	s_branch .LBB103_19
.LBB103_18:
	s_mov_b32 s9, -1
                                        ; implicit-def: $sgpr3
.LBB103_19:
	s_delay_alu instid0(SALU_CYCLE_1)
	s_and_not1_b32 vcc_lo, exec_lo, s9
	s_cbranch_vccnz .LBB103_22
; %bb.20:
	v_dual_mov_b32 v2, v98 :: v_dual_mov_b32 v3, v99
	s_lshl_b32 s3, s7, 5
	s_lshl_b32 s9, s6, 8
	s_mov_b32 s11, 0
.LBB103_21:                             ; =>This Inner Loop Header: Depth=1
	global_load_b64 v[12:13], v[2:3], off
	v_mov_b32_e32 v20, s9
	v_add_nc_u32_e64 v21, 0x800, s9
	v_add_nc_u32_e64 v96, 0x1000, s9
	;; [unrolled: 1-line block ×3, first 2 shown]
	ds_load_2addr_b64 v[4:7], v20 offset1:32
	ds_load_2addr_b64 v[8:11], v20 offset0:64 offset1:96
	ds_load_2addr_b64 v[16:19], v20 offset0:128 offset1:160
	ds_load_2addr_b64 v[76:79], v20 offset0:192 offset1:224
	ds_load_2addr_b64 v[80:83], v21 offset1:32
	ds_load_2addr_b64 v[84:87], v21 offset0:64 offset1:96
	ds_load_2addr_b64 v[88:91], v21 offset0:128 offset1:160
	ds_load_2addr_b64 v[92:95], v21 offset0:192 offset1:224
	;; [unrolled: 4-line block ×3, first 2 shown]
	ds_load_2addr_b64 v[118:121], v97 offset1:32
	ds_load_2addr_b64 v[122:125], v97 offset0:64 offset1:96
	v_add_co_u32 v2, vcc_lo, v2, 8
	v_add_co_ci_u32_e32 v3, vcc_lo, 0, v3, vcc_lo
	s_add_i32 s11, s11, 1
	s_add_i32 s9, s9, 8
	s_cmp_lt_u32 s11, s6
	s_waitcnt vmcnt(0) lgkmcnt(13)
	v_fma_f64 v[0:1], -v[12:13], v[4:5], v[0:1]
	v_fma_f64 v[14:15], -v[12:13], v[6:7], v[14:15]
	s_waitcnt lgkmcnt(12)
	v_fma_f64 v[74:75], -v[12:13], v[8:9], v[74:75]
	v_fma_f64 v[72:73], -v[12:13], v[10:11], v[72:73]
	s_waitcnt lgkmcnt(11)
	;; [unrolled: 3-line block ×13, first 2 shown]
	v_fma_f64 v[32:33], -v[12:13], v[122:123], v[32:33]
	v_fma_f64 v[36:37], -v[12:13], v[124:125], v[36:37]
	s_cbranch_scc1 .LBB103_21
.LBB103_22:
	s_lshl_b32 s0, s6, 5
	s_mul_i32 s11, s6, 0x108
	s_add_i32 s0, s6, s0
	s_or_b32 s18, s6, 16
	s_lshl_b32 s9, s0, 3
	s_delay_alu instid0(SALU_CYCLE_1)
	v_dual_mov_b32 v77, s11 :: v_dual_mov_b32 v76, s9
	s_lshl_b32 s0, s6, 8
	s_or_b32 s15, s6, 18
	s_or_b32 s13, s0, s8
	ds_load_2addr_b64 v[2:5], v77 offset1:66
	ds_load_b128 v[6:9], v76 offset:256
	ds_load_b128 v[10:13], v76 offset:768
	s_or_b32 s0, s13, 0x200
	v_add_nc_u32_e64 v148, 0x800, s11
	s_or_b32 s14, s6, 26
	s_waitcnt lgkmcnt(2)
	v_mul_f64 v[0:1], v[2:3], v[0:1]
	s_waitcnt lgkmcnt(1)
	s_delay_alu instid0(VALU_DEP_1)
	v_fma_f64 v[2:3], -v[0:1], v[6:7], v[14:15]
	v_mov_b32_e32 v6, s0
	s_waitcnt lgkmcnt(0)
	v_fma_f64 v[10:11], -v[0:1], v[10:11], v[72:73]
	s_or_b32 s0, s13, 0x400
	ds_load_b128 v[14:17], v6
	ds_load_b128 v[18:21], v76 offset:6592
	s_waitcnt lgkmcnt(1)
	v_fma_f64 v[6:7], -v[0:1], v[14:15], v[74:75]
	v_mov_b32_e32 v14, s0
	s_or_b32 s0, s13, 0x600
	s_delay_alu instid0(SALU_CYCLE_1) | instskip(SKIP_1) | instid1(SALU_CYCLE_1)
	v_mov_b32_e32 v88, s0
	s_or_b32 s0, s13, 0x800
	v_mov_b32_e32 v110, s0
	s_or_b32 s0, s13, 0xa00
	s_delay_alu instid0(SALU_CYCLE_1)
	v_mov_b32_e32 v111, s0
	s_or_b32 s0, s13, 0xc00
	v_mul_f64 v[2:3], v[8:9], v[2:3]
	v_mov_b32_e32 v128, s0
	s_or_b32 s0, s13, 0xe00
	s_or_b32 s13, s6, 20
	s_delay_alu instid0(VALU_DEP_2)
	v_fma_f64 v[72:73], -v[2:3], v[16:17], v[6:7]
	ds_load_b128 v[6:9], v14
	ds_load_b128 v[14:17], v14 offset:16
	v_fma_f64 v[74:75], -v[2:3], v[12:13], v[10:11]
	s_waitcnt lgkmcnt(1)
	v_fma_f64 v[6:7], -v[0:1], v[6:7], v[70:71]
	v_mul_f64 v[4:5], v[4:5], v[72:73]
	ds_load_b128 v[10:13], v76 offset:1280
	ds_load_b128 v[70:73], v76 offset:784
	s_waitcnt lgkmcnt(1)
	v_fma_f64 v[10:11], -v[0:1], v[10:11], v[68:69]
	v_fma_f64 v[78:79], -v[2:3], v[8:9], v[6:7]
	s_waitcnt lgkmcnt(0)
	v_fma_f64 v[74:75], -v[4:5], v[70:71], v[74:75]
	ds_load_b128 v[6:9], v88
	ds_load_b128 v[68:71], v88 offset:16
	s_waitcnt lgkmcnt(1)
	v_fma_f64 v[66:67], -v[0:1], v[6:7], v[66:67]
	v_fma_f64 v[86:87], -v[2:3], v[12:13], v[10:11]
	;; [unrolled: 1-line block ×3, first 2 shown]
	v_mul_f64 v[6:7], v[72:73], v[74:75]
	ds_load_b128 v[10:13], v76 offset:1792
	ds_load_b128 v[72:75], v76 offset:1296
	;; [unrolled: 1-line block ×4, first 2 shown]
	s_waitcnt lgkmcnt(3)
	v_fma_f64 v[64:65], -v[0:1], v[10:11], v[64:65]
	v_fma_f64 v[66:67], -v[2:3], v[8:9], v[66:67]
	s_waitcnt lgkmcnt(2)
	v_fma_f64 v[72:73], -v[4:5], v[72:73], v[86:87]
	v_fma_f64 v[86:87], -v[6:7], v[16:17], v[14:15]
	ds_load_b128 v[8:11], v110
	ds_load_2addr_b64 v[14:17], v77 offset0:132 offset1:198
	v_fma_f64 v[64:65], -v[2:3], v[12:13], v[64:65]
	s_waitcnt lgkmcnt(1)
	v_fma_f64 v[62:63], -v[0:1], v[8:9], v[62:63]
	v_fma_f64 v[66:67], -v[4:5], v[68:69], v[66:67]
	;; [unrolled: 1-line block ×3, first 2 shown]
	s_waitcnt lgkmcnt(0)
	v_mul_f64 v[8:9], v[14:15], v[86:87]
	ds_load_b128 v[12:15], v76 offset:2304
	v_fma_f64 v[82:83], -v[4:5], v[82:83], v[64:65]
	v_fma_f64 v[74:75], -v[2:3], v[10:11], v[62:63]
	s_waitcnt lgkmcnt(0)
	v_fma_f64 v[72:73], -v[0:1], v[12:13], v[60:61]
	v_fma_f64 v[86:87], -v[6:7], v[70:71], v[66:67]
	;; [unrolled: 1-line block ×3, first 2 shown]
	ds_load_b128 v[10:13], v111
	ds_load_b128 v[60:63], v110 offset:16
	ds_load_b128 v[64:67], v88 offset:32
	;; [unrolled: 1-line block ×3, first 2 shown]
	s_waitcnt lgkmcnt(3)
	v_fma_f64 v[88:89], -v[0:1], v[10:11], v[58:59]
	v_fma_f64 v[92:93], -v[6:7], v[84:85], v[82:83]
	s_waitcnt lgkmcnt(2)
	v_fma_f64 v[90:91], -v[4:5], v[60:61], v[74:75]
	v_fma_f64 v[14:15], -v[2:3], v[14:15], v[72:73]
	s_waitcnt lgkmcnt(1)
	v_fma_f64 v[64:65], -v[8:9], v[64:65], v[86:87]
	v_mul_f64 v[10:11], v[80:81], v[77:78]
	ds_load_b128 v[58:61], v76 offset:2816
	ds_load_b128 v[72:75], v76 offset:2320
	;; [unrolled: 1-line block ×4, first 2 shown]
	s_waitcnt lgkmcnt(3)
	v_fma_f64 v[94:95], -v[0:1], v[58:59], v[56:57]
	v_fma_f64 v[96:97], -v[2:3], v[12:13], v[88:89]
	v_fma_f64 v[89:90], -v[6:7], v[62:63], v[90:91]
	s_waitcnt lgkmcnt(2)
	v_fma_f64 v[72:73], -v[4:5], v[72:73], v[14:15]
	s_waitcnt lgkmcnt(1)
	v_fma_f64 v[77:78], -v[8:9], v[77:78], v[92:93]
	v_fma_f64 v[66:67], -v[10:11], v[66:67], v[64:65]
	ds_load_b128 v[12:15], v128
	ds_load_b128 v[56:59], v111 offset:16
	ds_load_b128 v[62:65], v111 offset:32
	;; [unrolled: 1-line block ×3, first 2 shown]
	s_waitcnt lgkmcnt(3)
	v_fma_f64 v[102:103], -v[0:1], v[12:13], v[54:55]
	v_fma_f64 v[60:61], -v[2:3], v[60:61], v[94:95]
	s_waitcnt lgkmcnt(2)
	v_fma_f64 v[93:94], -v[4:5], v[56:57], v[96:97]
	v_fma_f64 v[95:96], -v[6:7], v[74:75], v[72:73]
	;; [unrolled: 1-line block ×4, first 2 shown]
	ds_load_b128 v[54:57], v76 offset:3328
	v_mov_b32_e32 v97, s0
	s_lshl_b32 s0, s18, 8
	s_delay_alu instid0(SALU_CYCLE_1) | instskip(NEXT) | instid1(SALU_CYCLE_1)
	s_or_b32 s0, s0, s8
	v_mov_b32_e32 v158, s0
	s_lshl_b32 s0, s15, 8
	s_delay_alu instid0(SALU_CYCLE_1)
	s_or_b32 s0, s0, s8
	v_mul_f64 v[12:13], v[16:17], v[66:67]
	v_add_nc_u32_e64 v16, 0x400, s9
	ds_load_b128 v[66:69], v76 offset:2832
	ds_load_2addr_b64 v[72:75], v16 offset0:102 offset1:168
	ds_load_b128 v[77:80], v76 offset:2848
	ds_load_b128 v[89:92], v76 offset:3344
	s_waitcnt lgkmcnt(4)
	v_fma_f64 v[108:109], -v[0:1], v[54:55], v[52:53]
	v_fma_f64 v[102:103], -v[2:3], v[14:15], v[102:103]
	ds_load_b128 v[14:17], v97
	v_fma_f64 v[93:94], -v[6:7], v[58:59], v[93:94]
	v_fma_f64 v[81:82], -v[8:9], v[81:82], v[95:96]
	s_waitcnt lgkmcnt(4)
	v_fma_f64 v[66:67], -v[4:5], v[66:67], v[60:61]
	v_fma_f64 v[95:96], -v[10:11], v[70:71], v[104:105]
	v_add_nc_u32_e64 v58, 0x400, s11
	s_or_b32 s11, s6, 24
	s_waitcnt lgkmcnt(3)
	v_fma_f64 v[104:105], -v[12:13], v[72:73], v[106:107]
	ds_load_b128 v[52:55], v110 offset:48
	ds_load_2addr_b64 v[58:61], v58 offset0:103 offset1:136
	ds_load_b128 v[70:73], v97 offset:16
	s_waitcnt lgkmcnt(3)
	v_fma_f64 v[106:107], -v[0:1], v[14:15], v[50:51]
	v_fma_f64 v[108:109], -v[2:3], v[56:57], v[108:109]
	;; [unrolled: 1-line block ×6, first 2 shown]
	s_waitcnt lgkmcnt(2)
	v_fma_f64 v[83:84], -v[12:13], v[52:53], v[95:96]
	s_waitcnt lgkmcnt(1)
	v_mul_f64 v[14:15], v[58:59], v[104:105]
	ds_load_b128 v[50:53], v76 offset:3840
	ds_load_b128 v[56:59], v76 offset:2352
	v_fma_f64 v[16:17], -v[2:3], v[16:17], v[106:107]
	ds_load_b128 v[66:69], v76 offset:3856
	v_fma_f64 v[89:90], -v[4:5], v[89:90], v[108:109]
	v_fma_f64 v[95:96], -v[6:7], v[87:88], v[85:86]
	s_waitcnt lgkmcnt(2)
	v_fma_f64 v[93:94], -v[0:1], v[50:51], v[48:49]
	s_waitcnt lgkmcnt(1)
	v_fma_f64 v[104:105], -v[12:13], v[56:57], v[81:82]
	v_fma_f64 v[77:78], -v[8:9], v[77:78], v[102:103]
	;; [unrolled: 1-line block ×4, first 2 shown]
	ds_load_b128 v[48:51], v158
	ds_load_b128 v[54:57], v128 offset:32
	ds_load_b128 v[62:65], v111 offset:48
	;; [unrolled: 1-line block ×4, first 2 shown]
	v_fma_f64 v[16:17], -v[4:5], v[70:71], v[16:17]
	v_fma_f64 v[70:71], -v[6:7], v[91:92], v[89:90]
	s_waitcnt lgkmcnt(4)
	v_fma_f64 v[48:49], -v[0:1], v[48:49], v[22:23]
	s_waitcnt lgkmcnt(3)
	v_fma_f64 v[110:111], -v[8:9], v[54:55], v[95:96]
	v_fma_f64 v[108:109], -v[2:3], v[52:53], v[93:94]
	;; [unrolled: 1-line block ×4, first 2 shown]
	s_waitcnt lgkmcnt(2)
	v_fma_f64 v[62:63], -v[12:13], v[62:63], v[102:103]
	v_mul_f64 v[22:23], v[60:61], v[106:107]
	ds_load_b128 v[52:55], v76 offset:4352
	ds_load_b128 v[58:61], v76 offset:3360
	;; [unrolled: 1-line block ×3, first 2 shown]
	v_fma_f64 v[16:17], -v[6:7], v[72:73], v[16:17]
	ds_load_b128 v[89:92], v76 offset:2880
	ds_load_b128 v[93:96], v76 offset:3376
	;; [unrolled: 1-line block ×3, first 2 shown]
	v_fma_f64 v[118:119], -v[2:3], v[50:51], v[48:49]
	v_fma_f64 v[122:123], -v[10:11], v[56:57], v[110:111]
	s_waitcnt lgkmcnt(5)
	v_fma_f64 v[52:53], -v[0:1], v[52:53], v[46:47]
	v_fma_f64 v[66:67], -v[4:5], v[66:67], v[108:109]
	s_waitcnt lgkmcnt(4)
	v_fma_f64 v[120:121], -v[8:9], v[58:59], v[70:71]
	s_waitcnt lgkmcnt(3)
	v_fma_f64 v[77:78], -v[12:13], v[77:78], v[112:113]
	v_fma_f64 v[124:125], -v[14:15], v[64:65], v[62:63]
	v_mov_b32_e32 v46, s0
	ds_load_b128 v[47:50], v46
	ds_load_b128 v[56:59], v158 offset:16
	s_lshl_b32 s0, s13, 8
	s_delay_alu instid0(SALU_CYCLE_1)
	s_or_b32 s0, s0, s8
	v_fma_f64 v[74:75], -v[22:23], v[74:75], v[114:115]
	ds_load_b128 v[62:65], v97 offset:32
	ds_load_2addr_b64 v[70:73], v148 offset0:41 offset1:74
	ds_load_b128 v[106:109], v97 offset:48
	ds_load_b128 v[110:113], v158 offset:32
	;; [unrolled: 1-line block ×3, first 2 shown]
	s_waitcnt lgkmcnt(6)
	v_fma_f64 v[47:48], -v[0:1], v[47:48], v[24:25]
	s_waitcnt lgkmcnt(4)
	v_fma_f64 v[16:17], -v[8:9], v[62:63], v[16:17]
	v_fma_f64 v[85:86], -v[12:13], v[85:86], v[122:123]
	;; [unrolled: 1-line block ×8, first 2 shown]
	ds_load_b128 v[51:54], v76 offset:4864
	ds_load_b128 v[60:63], v76 offset:3872
	;; [unrolled: 1-line block ×3, first 2 shown]
	s_waitcnt lgkmcnt(6)
	v_mul_f64 v[24:25], v[70:71], v[74:75]
	s_waitcnt lgkmcnt(2)
	v_fma_f64 v[51:52], -v[0:1], v[51:52], v[44:45]
	v_mov_b32_e32 v44, s0
	v_add_nc_u32_e64 v45, 0x800, s9
	s_or_b32 s9, s6, 22
	v_fma_f64 v[70:71], -v[2:3], v[49:50], v[47:48]
	s_lshl_b32 s0, s9, 8
	s_delay_alu instid0(SALU_CYCLE_1)
	s_or_b32 s0, s0, s8
	v_fma_f64 v[16:17], -v[10:11], v[64:65], v[16:17]
	v_fma_f64 v[85:86], -v[14:15], v[87:88], v[85:86]
	;; [unrolled: 1-line block ×4, first 2 shown]
	s_waitcnt lgkmcnt(1)
	v_fma_f64 v[59:60], -v[8:9], v[60:61], v[118:119]
	v_fma_f64 v[64:65], -v[12:13], v[93:94], v[120:121]
	;; [unrolled: 1-line block ×4, first 2 shown]
	ds_load_b128 v[47:50], v44
	ds_load_b128 v[55:58], v128 offset:64
	ds_load_b128 v[77:80], v128 offset:80
	;; [unrolled: 1-line block ×3, first 2 shown]
	v_fma_f64 v[122:123], -v[2:3], v[53:54], v[51:52]
	v_fma_f64 v[114:115], -v[4:5], v[114:115], v[70:71]
	;; [unrolled: 1-line block ×3, first 2 shown]
	s_waitcnt lgkmcnt(3)
	v_fma_f64 v[47:48], -v[0:1], v[47:48], v[26:27]
	v_fma_f64 v[74:75], -v[6:7], v[104:105], v[74:75]
	;; [unrolled: 1-line block ×5, first 2 shown]
	s_waitcnt lgkmcnt(2)
	v_fma_f64 v[55:56], -v[22:23], v[55:56], v[85:86]
	v_fma_f64 v[106:107], -v[24:25], v[91:92], v[87:88]
	v_mul_f64 v[26:27], v[72:73], v[89:90]
	ds_load_b128 v[51:54], v76 offset:5376
	ds_load_b128 v[59:62], v76 offset:4880
	ds_load_b128 v[70:73], v76 offset:4384
	ds_load_b128 v[85:88], v76 offset:3392
	ds_load_2addr_b64 v[89:92], v45 offset0:106 offset1:172
	ds_load_b128 v[93:96], v76 offset:3408
	ds_load_b128 v[102:105], v76 offset:4400
	ds_load_b128 v[118:121], v76 offset:4896
	v_fma_f64 v[132:133], -v[6:7], v[116:117], v[114:115]
	v_fma_f64 v[16:17], -v[14:15], v[108:109], v[16:17]
	;; [unrolled: 1-line block ×3, first 2 shown]
	s_waitcnt lgkmcnt(7)
	v_fma_f64 v[51:52], -v[0:1], v[51:52], v[42:43]
	s_waitcnt lgkmcnt(6)
	v_fma_f64 v[59:60], -v[4:5], v[59:60], v[122:123]
	;; [unrolled: 2-line block ×3, first 2 shown]
	v_fma_f64 v[74:75], -v[10:11], v[112:113], v[110:111]
	v_fma_f64 v[134:135], -v[12:13], v[66:67], v[124:125]
	s_waitcnt lgkmcnt(4)
	v_fma_f64 v[85:86], -v[22:23], v[85:86], v[63:64]
	v_fma_f64 v[136:137], -v[24:25], v[57:58], v[55:56]
	v_mov_b32_e32 v42, s0
	s_lshl_b32 s0, s11, 8
	s_delay_alu instid0(SALU_CYCLE_1)
	s_or_b32 s0, s0, s8
	s_waitcnt lgkmcnt(3)
	v_fma_f64 v[89:90], -v[26:27], v[89:90], v[106:107]
	ds_load_b128 v[47:50], v42
	ds_load_b128 v[55:58], v46 offset:32
	ds_load_b128 v[63:66], v158 offset:48
	;; [unrolled: 1-line block ×3, first 2 shown]
	ds_load_2addr_b64 v[110:113], v148 offset0:107 offset1:140
	ds_load_b128 v[114:117], v97 offset:80
	ds_load_b128 v[122:125], v158 offset:64
	;; [unrolled: 1-line block ×3, first 2 shown]
	s_waitcnt lgkmcnt(7)
	v_fma_f64 v[47:48], -v[0:1], v[47:48], v[28:29]
	s_waitcnt lgkmcnt(6)
	v_fma_f64 v[55:56], -v[8:9], v[55:56], v[132:133]
	s_waitcnt lgkmcnt(4)
	v_fma_f64 v[16:17], -v[22:23], v[106:107], v[16:17]
	v_fma_f64 v[81:82], -v[4:5], v[81:82], v[130:131]
	v_fma_f64 v[138:139], -v[2:3], v[53:54], v[51:52]
	;; [unrolled: 1-line block ×8, first 2 shown]
	ds_load_b128 v[51:54], v76 offset:5888
	ds_load_b128 v[59:62], v76 offset:5392
	;; [unrolled: 1-line block ×6, first 2 shown]
	s_waitcnt lgkmcnt(9)
	v_mul_f64 v[28:29], v[110:111], v[89:90]
	s_waitcnt lgkmcnt(5)
	v_fma_f64 v[40:41], -v[0:1], v[51:52], v[40:41]
	v_fma_f64 v[51:52], -v[2:3], v[49:50], v[47:48]
	;; [unrolled: 1-line block ×4, first 2 shown]
	s_waitcnt lgkmcnt(4)
	v_fma_f64 v[59:60], -v[4:5], v[59:60], v[138:139]
	v_fma_f64 v[110:111], -v[8:9], v[118:119], v[140:141]
	;; [unrolled: 1-line block ×5, first 2 shown]
	s_waitcnt lgkmcnt(3)
	v_fma_f64 v[67:68], -v[22:23], v[67:68], v[134:135]
	v_fma_f64 v[93:94], -v[26:27], v[93:94], v[106:107]
	v_mov_b32_e32 v16, s0
	s_lshl_b32 s0, s14, 8
	s_delay_alu instid0(SALU_CYCLE_1) | instskip(NEXT) | instid1(SALU_CYCLE_1)
	s_or_b32 s0, s0, s8
	v_mov_b32_e32 v17, s0
	s_add_i32 s0, s3, s6
	s_or_b32 s6, s6, 28
	s_lshl_b32 s0, s0, 3
	v_fma_f64 v[106:107], -v[28:29], v[79:80], v[77:78]
	ds_load_b128 v[47:50], v16
	ds_load_b128 v[55:58], v42 offset:16
	ds_load_b128 v[63:66], v44 offset:32
	;; [unrolled: 1-line block ×4, first 2 shown]
	v_fma_f64 v[40:41], -v[2:3], v[53:54], v[40:41]
	s_waitcnt lgkmcnt(4)
	v_fma_f64 v[47:48], -v[0:1], v[47:48], v[30:31]
	s_waitcnt lgkmcnt(3)
	v_fma_f64 v[55:56], -v[4:5], v[55:56], v[51:52]
	v_fma_f64 v[134:135], -v[6:7], v[61:62], v[59:60]
	s_waitcnt lgkmcnt(2)
	v_fma_f64 v[63:64], -v[8:9], v[63:64], v[89:90]
	v_fma_f64 v[89:90], -v[10:11], v[120:121], v[110:111]
	;; [unrolled: 1-line block ×8, first 2 shown]
	ds_load_b128 v[51:54], v76 offset:6400
	ds_load_b128 v[59:62], v76 offset:4912
	;; [unrolled: 1-line block ×3, first 2 shown]
	v_mul_f64 v[30:31], v[112:113], v[106:107]
	ds_load_b128 v[93:96], v76 offset:4432
	ds_load_b128 v[102:105], v76 offset:4928
	;; [unrolled: 1-line block ×3, first 2 shown]
	v_fma_f64 v[130:131], -v[4:5], v[130:131], v[40:41]
	s_waitcnt lgkmcnt(5)
	v_fma_f64 v[51:52], -v[0:1], v[51:52], v[38:39]
	v_fma_f64 v[136:137], -v[2:3], v[49:50], v[47:48]
	;; [unrolled: 1-line block ×5, first 2 shown]
	s_waitcnt lgkmcnt(4)
	v_fma_f64 v[59:60], -v[12:13], v[59:60], v[89:90]
	v_fma_f64 v[140:141], -v[14:15], v[128:129], v[110:111]
	s_waitcnt lgkmcnt(3)
	v_fma_f64 v[67:68], -v[22:23], v[67:68], v[118:119]
	v_fma_f64 v[142:143], -v[24:25], v[124:125], v[120:121]
	;; [unrolled: 1-line block ×5, first 2 shown]
	ds_load_b128 v[38:41], v17
	ds_load_b128 v[47:50], v16 offset:16
	ds_load_b128 v[55:58], v46 offset:64
	;; [unrolled: 1-line block ×4, first 2 shown]
	ds_load_2addr_b64 v[110:113], v148 offset0:173 offset1:206
	ds_load_b128 v[114:117], v158 offset:96
	ds_load_b128 v[118:121], v46 offset:80
	;; [unrolled: 1-line block ×4, first 2 shown]
	v_mov_b32_e32 v97, s0
	s_mul_i32 s0, s18, 0x108
	s_delay_alu instid0(SALU_CYCLE_1)
	v_mov_b32_e32 v43, s0
	v_fma_f64 v[150:151], -v[6:7], v[132:133], v[130:131]
	s_mul_i32 s0, s15, 0x108
	v_fma_f64 v[148:149], -v[2:3], v[53:54], v[51:52]
	ds_load_b128 v[51:54], v76 offset:5920
	s_waitcnt lgkmcnt(10)
	v_fma_f64 v[38:39], -v[0:1], v[38:39], v[32:33]
	s_waitcnt lgkmcnt(9)
	v_fma_f64 v[47:48], -v[4:5], v[47:48], v[136:137]
	v_fma_f64 v[81:82], -v[8:9], v[81:82], v[138:139]
	;; [unrolled: 1-line block ×5, first 2 shown]
	ds_load_b128 v[59:62], v76 offset:5424
	s_waitcnt lgkmcnt(9)
	v_fma_f64 v[55:56], -v[22:23], v[55:56], v[140:141]
	v_fma_f64 v[156:157], -v[24:25], v[69:70], v[67:68]
	s_waitcnt lgkmcnt(8)
	v_fma_f64 v[63:64], -v[26:27], v[63:64], v[142:143]
	v_fma_f64 v[142:143], -v[28:29], v[73:74], v[71:72]
	s_waitcnt lgkmcnt(7)
	v_fma_f64 v[89:90], -v[30:31], v[89:90], v[144:145]
	ds_load_b128 v[67:70], v76 offset:3936
	ds_load_b128 v[71:74], v97
	ds_load_b128 v[85:88], v97 offset:16
	ds_load_b128 v[130:133], v76 offset:3952
	;; [unrolled: 1-line block ×4, first 2 shown]
	s_waitcnt lgkmcnt(12)
	v_mul_f64 v[32:33], v[110:111], v[146:147]
	s_waitcnt lgkmcnt(7)
	v_fma_f64 v[51:52], -v[8:9], v[51:52], v[150:151]
	s_waitcnt lgkmcnt(4)
	v_fma_f64 v[71:72], -v[0:1], v[71:72], v[36:37]
	v_fma_f64 v[106:107], -v[4:5], v[106:107], v[148:149]
	;; [unrolled: 1-line block ×12, first 2 shown]
	ds_load_b128 v[36:39], v42 offset:48
	ds_load_b128 v[47:50], v44 offset:64
	ds_load_b128 v[55:58], v44 offset:80
	ds_load_b128 v[63:66], v42 offset:64
	v_fma_f64 v[89:90], -v[32:33], v[91:92], v[89:90]
	v_fma_f64 v[91:92], -v[6:7], v[108:109], v[106:107]
	;; [unrolled: 1-line block ×5, first 2 shown]
	s_waitcnt lgkmcnt(3)
	v_fma_f64 v[110:111], -v[12:13], v[36:37], v[81:82]
	v_fma_f64 v[122:123], -v[14:15], v[61:62], v[59:60]
	s_waitcnt lgkmcnt(2)
	v_fma_f64 v[47:48], -v[22:23], v[47:48], v[77:78]
	v_fma_f64 v[104:105], -v[24:25], v[104:105], v[79:80]
	v_fma_f64 v[118:119], -v[26:27], v[118:119], v[83:84]
	v_fma_f64 v[93:94], -v[28:29], v[95:96], v[93:94]
	v_fma_f64 v[95:96], -v[30:31], v[114:115], v[102:103]
	v_fma_f64 v[102:103], -v[32:33], v[69:70], v[67:68]
	v_mul_f64 v[36:37], v[112:113], v[89:90]
	v_fma_f64 v[89:90], -v[2:3], v[73:74], v[71:72]
	ds_load_b128 v[51:54], v76 offset:6432
	ds_load_b128 v[59:62], v76 offset:4944
	;; [unrolled: 1-line block ×6, first 2 shown]
	v_fma_f64 v[126:127], -v[12:13], v[138:139], v[108:109]
	v_fma_f64 v[114:115], -v[6:7], v[128:129], v[40:41]
	s_waitcnt lgkmcnt(5)
	v_fma_f64 v[51:52], -v[8:9], v[51:52], v[91:92]
	v_fma_f64 v[124:125], -v[10:11], v[124:125], v[106:107]
	;; [unrolled: 1-line block ×5, first 2 shown]
	s_waitcnt lgkmcnt(4)
	v_fma_f64 v[59:60], -v[26:27], v[59:60], v[104:105]
	v_fma_f64 v[118:119], -v[28:29], v[120:121], v[118:119]
	s_waitcnt lgkmcnt(3)
	v_fma_f64 v[67:68], -v[30:31], v[67:68], v[93:94]
	v_fma_f64 v[116:117], -v[32:33], v[116:117], v[95:96]
	;; [unrolled: 1-line block ×4, first 2 shown]
	ds_load_b128 v[38:41], v17 offset:32
	ds_load_b128 v[47:50], v16 offset:48
	;; [unrolled: 1-line block ×4, first 2 shown]
	ds_load_b64 v[130:131], v43
	ds_load_b128 v[102:105], v46 offset:112
	ds_load_b128 v[106:109], v16 offset:64
	;; [unrolled: 1-line block ×3, first 2 shown]
	v_mov_b32_e32 v43, s0
	s_mul_i32 s0, s13, 0x108
	v_fma_f64 v[142:143], -v[10:11], v[53:54], v[51:52]
	v_fma_f64 v[63:64], -v[22:23], v[63:64], v[128:129]
	s_waitcnt lgkmcnt(7)
	v_fma_f64 v[138:139], -v[8:9], v[38:39], v[114:115]
	s_waitcnt lgkmcnt(6)
	v_fma_f64 v[47:48], -v[12:13], v[47:48], v[124:125]
	v_fma_f64 v[124:125], -v[14:15], v[140:141], v[126:127]
	;; [unrolled: 1-line block ×5, first 2 shown]
	s_waitcnt lgkmcnt(5)
	v_fma_f64 v[89:90], -v[30:31], v[89:90], v[118:119]
	v_fma_f64 v[128:129], -v[32:33], v[69:70], v[67:68]
	s_waitcnt lgkmcnt(4)
	v_fma_f64 v[93:94], -v[36:37], v[93:94], v[116:117]
	v_mul_f64 v[38:39], v[132:133], v[120:121]
	v_fma_f64 v[132:133], -v[6:7], v[87:88], v[85:86]
	ds_load_b128 v[51:54], v76 offset:5952
	ds_load_b128 v[59:62], v76 offset:5456
	;; [unrolled: 1-line block ×6, first 2 shown]
	v_fma_f64 v[81:82], -v[12:13], v[81:82], v[142:143]
	v_fma_f64 v[40:41], -v[10:11], v[40:41], v[138:139]
	;; [unrolled: 1-line block ×3, first 2 shown]
	s_waitcnt lgkmcnt(5)
	v_fma_f64 v[51:52], -v[22:23], v[51:52], v[124:125]
	v_fma_f64 v[124:125], -v[24:25], v[65:66], v[63:64]
	s_waitcnt lgkmcnt(4)
	v_fma_f64 v[59:60], -v[26:27], v[59:60], v[122:123]
	v_fma_f64 v[122:123], -v[28:29], v[57:58], v[55:56]
	;; [unrolled: 1-line block ×5, first 2 shown]
	ds_load_b128 v[47:50], v42 offset:80
	ds_load_b128 v[55:58], v44 offset:96
	ds_load_b128 v[63:66], v44 offset:112
	ds_load_b128 v[89:92], v42 offset:96
	v_fma_f64 v[93:94], -v[38:39], v[95:96], v[93:94]
	s_waitcnt lgkmcnt(7)
	v_fma_f64 v[67:68], -v[8:9], v[67:68], v[132:133]
	v_fma_f64 v[81:82], -v[14:15], v[83:84], v[81:82]
	;; [unrolled: 1-line block ×5, first 2 shown]
	s_waitcnt lgkmcnt(3)
	v_fma_f64 v[106:107], -v[26:27], v[47:48], v[124:125]
	v_fma_f64 v[110:111], -v[28:29], v[61:62], v[59:60]
	s_waitcnt lgkmcnt(2)
	v_fma_f64 v[55:56], -v[30:31], v[55:56], v[122:123]
	v_fma_f64 v[122:123], -v[32:33], v[79:80], v[77:78]
	;; [unrolled: 1-line block ×4, first 2 shown]
	v_mul_f64 v[47:48], v[130:131], v[93:94]
	v_fma_f64 v[93:94], -v[10:11], v[69:70], v[67:68]
	ds_load_b128 v[51:54], v76 offset:6464
	ds_load_b128 v[59:62], v76 offset:4976
	;; [unrolled: 1-line block ×5, first 2 shown]
	v_fma_f64 v[40:41], -v[14:15], v[112:113], v[40:41]
	s_waitcnt lgkmcnt(4)
	v_fma_f64 v[112:113], -v[22:23], v[51:52], v[81:82]
	v_fma_f64 v[108:109], -v[24:25], v[108:109], v[83:84]
	;; [unrolled: 1-line block ×6, first 2 shown]
	s_waitcnt lgkmcnt(3)
	v_fma_f64 v[59:60], -v[36:37], v[59:60], v[122:123]
	v_fma_f64 v[122:123], -v[38:39], v[104:105], v[102:103]
	ds_load_b128 v[49:52], v17 offset:64
	ds_load_b128 v[55:58], v16 offset:80
	;; [unrolled: 1-line block ×3, first 2 shown]
	s_waitcnt lgkmcnt(5)
	v_fma_f64 v[67:68], -v[47:48], v[67:68], v[124:125]
	v_fma_f64 v[85:86], -v[12:13], v[85:86], v[93:94]
	ds_load_b64 v[124:125], v43
	ds_load_b128 v[93:96], v16 offset:96
	ds_load_b128 v[102:105], v17 offset:80
	s_waitcnt lgkmcnt(5)
	v_fma_f64 v[40:41], -v[22:23], v[49:50], v[40:41]
	v_fma_f64 v[45:46], -v[24:25], v[53:54], v[112:113]
	s_waitcnt lgkmcnt(4)
	v_fma_f64 v[126:127], -v[26:27], v[55:56], v[108:109]
	v_fma_f64 v[118:119], -v[28:29], v[120:121], v[118:119]
	;; [unrolled: 1-line block ×6, first 2 shown]
	s_waitcnt lgkmcnt(3)
	v_fma_f64 v[81:82], -v[47:48], v[81:82], v[122:123]
	v_mul_f64 v[49:50], v[69:70], v[67:68]
	v_fma_f64 v[120:121], -v[14:15], v[87:88], v[85:86]
	ds_load_b128 v[53:56], v76 offset:5984
	ds_load_b128 v[59:62], v76 offset:5488
	;; [unrolled: 1-line block ×6, first 2 shown]
	v_fma_f64 v[40:41], -v[24:25], v[51:52], v[40:41]
	v_fma_f64 v[77:78], -v[26:27], v[77:78], v[45:46]
	v_fma_f64 v[122:123], -v[28:29], v[57:58], v[126:127]
	s_waitcnt lgkmcnt(5)
	v_fma_f64 v[118:119], -v[30:31], v[53:54], v[118:119]
	v_fma_f64 v[89:90], -v[32:33], v[91:92], v[89:90]
	s_waitcnt lgkmcnt(4)
	v_fma_f64 v[91:92], -v[36:37], v[59:60], v[116:117]
	v_fma_f64 v[116:117], -v[38:39], v[65:66], v[63:64]
	;; [unrolled: 1-line block ×3, first 2 shown]
	ds_load_b128 v[51:54], v42 offset:112
	ds_load_b128 v[57:60], v44 offset:128
	;; [unrolled: 1-line block ×4, first 2 shown]
	v_fma_f64 v[81:82], -v[49:50], v[83:84], v[81:82]
	s_waitcnt lgkmcnt(7)
	v_fma_f64 v[67:68], -v[22:23], v[67:68], v[120:121]
	v_fma_f64 v[40:41], -v[26:27], v[102:103], v[40:41]
	;; [unrolled: 1-line block ×5, first 2 shown]
	s_waitcnt lgkmcnt(3)
	v_fma_f64 v[89:90], -v[36:37], v[51:52], v[89:90]
	v_fma_f64 v[61:62], -v[38:39], v[61:62], v[91:92]
	s_waitcnt lgkmcnt(2)
	v_fma_f64 v[91:92], -v[47:48], v[57:58], v[116:117]
	v_fma_f64 v[93:94], -v[49:50], v[73:74], v[71:72]
	v_mul_f64 v[51:52], v[124:125], v[81:82]
	v_fma_f64 v[81:82], -v[24:25], v[69:70], v[67:68]
	ds_load_b128 v[55:58], v76 offset:6496
	ds_load_b128 v[67:70], v76 offset:5008
	ds_load_b128 v[71:74], v76 offset:6512
	v_fma_f64 v[40:41], -v[28:29], v[104:105], v[40:41]
	s_waitcnt lgkmcnt(2)
	v_fma_f64 v[102:103], -v[30:31], v[55:56], v[77:78]
	v_fma_f64 v[95:96], -v[32:33], v[95:96], v[79:80]
	;; [unrolled: 1-line block ×6, first 2 shown]
	s_waitcnt lgkmcnt(1)
	v_fma_f64 v[67:68], -v[51:52], v[67:68], v[93:94]
	v_fma_f64 v[85:86], -v[26:27], v[85:86], v[81:82]
	ds_load_b128 v[53:56], v17 offset:96
	ds_load_b128 v[59:62], v16 offset:112
	;; [unrolled: 1-line block ×4, first 2 shown]
	s_waitcnt lgkmcnt(3)
	v_fma_f64 v[40:41], -v[30:31], v[53:54], v[40:41]
	v_fma_f64 v[110:111], -v[32:33], v[57:58], v[102:103]
	s_waitcnt lgkmcnt(2)
	v_fma_f64 v[114:115], -v[36:37], v[59:60], v[95:96]
	v_fma_f64 v[112:113], -v[38:39], v[112:113], v[104:105]
	;; [unrolled: 1-line block ×5, first 2 shown]
	v_mul_f64 v[53:54], v[69:70], v[67:68]
	v_fma_f64 v[108:109], -v[28:29], v[87:88], v[85:86]
	ds_load_b128 v[57:60], v76 offset:6016
	ds_load_b128 v[67:70], v76 offset:5520
	;; [unrolled: 1-line block ×6, first 2 shown]
	v_fma_f64 v[40:41], -v[32:33], v[55:56], v[40:41]
	v_fma_f64 v[71:72], -v[36:37], v[71:72], v[110:111]
	;; [unrolled: 1-line block ×3, first 2 shown]
	s_waitcnt lgkmcnt(5)
	v_fma_f64 v[110:111], -v[47:48], v[57:58], v[112:113]
	v_fma_f64 v[63:64], -v[49:50], v[65:66], v[63:64]
	s_waitcnt lgkmcnt(4)
	v_fma_f64 v[65:66], -v[51:52], v[67:68], v[106:107]
	v_mov_b32_e32 v55, s0
	s_mul_i32 s0, s9, 0x108
	v_fma_f64 v[67:68], -v[53:54], v[45:46], v[43:44]
	s_waitcnt lgkmcnt(3)
	v_fma_f64 v[85:86], -v[30:31], v[85:86], v[108:109]
	ds_load_b128 v[43:46], v42 offset:144
	ds_load_b64 v[106:107], v55
	ds_load_b128 v[55:58], v42 offset:160
	v_fma_f64 v[81:82], -v[36:37], v[81:82], v[40:41]
	v_fma_f64 v[71:72], -v[38:39], v[73:74], v[71:72]
	;; [unrolled: 1-line block ×4, first 2 shown]
	s_waitcnt lgkmcnt(2)
	v_fma_f64 v[42:43], -v[51:52], v[43:44], v[63:64]
	v_fma_f64 v[69:70], -v[53:54], v[69:70], v[65:66]
	ds_load_b128 v[59:62], v76 offset:6528
	ds_load_b128 v[63:66], v76 offset:6544
	s_waitcnt lgkmcnt(3)
	v_mul_f64 v[40:41], v[106:107], v[67:68]
	v_fma_f64 v[67:68], -v[32:33], v[87:88], v[85:86]
	v_fma_f64 v[81:82], -v[38:39], v[83:84], v[81:82]
	s_waitcnt lgkmcnt(1)
	v_fma_f64 v[59:60], -v[47:48], v[59:60], v[71:72]
	v_fma_f64 v[83:84], -v[49:50], v[79:80], v[73:74]
	v_fma_f64 v[85:86], -v[51:52], v[102:103], v[77:78]
	v_fma_f64 v[87:88], -v[53:54], v[45:46], v[42:43]
	v_mov_b32_e32 v46, s0
	s_mul_i32 s0, s11, 0x108
	v_fma_f64 v[93:94], -v[40:41], v[93:94], v[69:70]
	v_fma_f64 v[89:90], -v[36:37], v[89:90], v[67:68]
	ds_load_b128 v[42:45], v17 offset:128
	ds_load_b128 v[67:70], v16 offset:144
	;; [unrolled: 1-line block ×4, first 2 shown]
	s_waitcnt lgkmcnt(3)
	v_fma_f64 v[102:103], -v[47:48], v[42:43], v[81:82]
	v_fma_f64 v[106:107], -v[49:50], v[61:62], v[59:60]
	s_waitcnt lgkmcnt(2)
	v_fma_f64 v[67:68], -v[51:52], v[67:68], v[83:84]
	v_fma_f64 v[104:105], -v[53:54], v[104:105], v[85:86]
	;; [unrolled: 1-line block ×3, first 2 shown]
	v_mul_f64 v[42:43], v[95:96], v[93:94]
	v_fma_f64 v[93:94], -v[38:39], v[91:92], v[89:90]
	ds_load_b128 v[59:62], v76 offset:6048
	ds_load_b128 v[81:84], v97 offset:128
	;; [unrolled: 1-line block ×4, first 2 shown]
	v_fma_f64 v[44:45], -v[49:50], v[44:45], v[102:103]
	v_fma_f64 v[63:64], -v[51:52], v[63:64], v[106:107]
	;; [unrolled: 1-line block ×3, first 2 shown]
	s_waitcnt lgkmcnt(3)
	v_fma_f64 v[59:60], -v[40:41], v[59:60], v[104:105]
	ds_load_b64 v[69:70], v46
	v_fma_f64 v[55:56], -v[42:43], v[57:58], v[55:56]
	s_waitcnt lgkmcnt(3)
	v_fma_f64 v[57:58], -v[47:48], v[81:82], v[93:94]
	v_fma_f64 v[44:45], -v[51:52], v[77:78], v[44:45]
	v_fma_f64 v[65:66], -v[53:54], v[65:66], v[63:64]
	v_fma_f64 v[67:68], -v[40:41], v[71:72], v[67:68]
	v_fma_f64 v[71:72], -v[42:43], v[61:62], v[59:60]
	s_waitcnt lgkmcnt(0)
	v_mul_f64 v[55:56], v[69:70], v[55:56]
	v_fma_f64 v[69:70], -v[49:50], v[83:84], v[57:58]
	ds_load_b128 v[57:60], v76 offset:6560
	ds_load_b128 v[61:64], v76 offset:6576
	v_fma_f64 v[44:45], -v[53:54], v[79:80], v[44:45]
	s_waitcnt lgkmcnt(1)
	v_fma_f64 v[57:58], -v[40:41], v[57:58], v[65:66]
	v_fma_f64 v[77:78], -v[42:43], v[73:74], v[67:68]
	;; [unrolled: 1-line block ×4, first 2 shown]
	ds_load_b128 v[65:68], v17 offset:160
	ds_load_b128 v[69:72], v16 offset:176
	v_mov_b32_e32 v16, s0
	ds_load_b64 v[85:86], v16
	ds_load_b128 v[73:76], v17 offset:176
	s_mul_i32 s0, s14, 0x108
	s_delay_alu instid0(SALU_CYCLE_1)
	v_mov_b32_e32 v46, s0
	s_mul_i32 s0, s7, 0x108
	s_waitcnt lgkmcnt(3)
	v_fma_f64 v[44:45], -v[40:41], v[65:66], v[44:45]
	v_fma_f64 v[59:60], -v[42:43], v[59:60], v[57:58]
	s_waitcnt lgkmcnt(2)
	v_fma_f64 v[65:66], -v[55:56], v[69:70], v[77:78]
	v_mul_f64 v[57:58], v[91:92], v[79:80]
	v_fma_f64 v[69:70], -v[53:54], v[87:88], v[81:82]
	ds_load_b128 v[77:80], v97 offset:160
	ds_load_b128 v[81:84], v97 offset:176
	v_fma_f64 v[44:45], -v[42:43], v[67:68], v[44:45]
	v_fma_f64 v[59:60], -v[55:56], v[61:62], v[59:60]
	ds_load_b64 v[67:68], v46
	v_fma_f64 v[61:62], -v[57:58], v[71:72], v[65:66]
	s_waitcnt lgkmcnt(2)
	v_fma_f64 v[65:66], -v[40:41], v[77:78], v[69:70]
	v_fma_f64 v[44:45], -v[55:56], v[73:74], v[44:45]
	;; [unrolled: 1-line block ×3, first 2 shown]
	s_delay_alu instid0(VALU_DEP_4) | instskip(NEXT) | instid1(VALU_DEP_4)
	v_mul_f64 v[59:60], v[85:86], v[61:62]
	v_fma_f64 v[61:62], -v[42:43], v[79:80], v[65:66]
	s_delay_alu instid0(VALU_DEP_4) | instskip(NEXT) | instid1(VALU_DEP_3)
	v_fma_f64 v[44:45], -v[57:58], v[75:76], v[44:45]
	v_fma_f64 v[63:64], -v[59:60], v[18:19], v[63:64]
	s_waitcnt lgkmcnt(1)
	s_delay_alu instid0(VALU_DEP_3)
	v_fma_f64 v[65:66], -v[55:56], v[81:82], v[61:62]
	ds_load_b128 v[16:19], v17 offset:192
	s_waitcnt lgkmcnt(0)
	v_fma_f64 v[16:17], -v[59:60], v[16:17], v[44:45]
	v_mul_f64 v[61:62], v[20:21], v[63:64]
	v_fma_f64 v[20:21], -v[57:58], v[83:84], v[65:66]
	ds_load_b128 v[63:66], v97 offset:192
	ds_load_b64 v[44:45], v97 offset:208
	v_fma_f64 v[16:17], -v[61:62], v[18:19], v[16:17]
	s_waitcnt lgkmcnt(1)
	v_fma_f64 v[18:19], -v[59:60], v[63:64], v[20:21]
	v_mov_b32_e32 v20, s0
	ds_load_b64 v[20:21], v20
	v_mul_f64 v[16:17], v[67:68], v[16:17]
	v_fma_f64 v[18:19], -v[61:62], v[65:66], v[18:19]
	s_waitcnt lgkmcnt(1)
	s_delay_alu instid0(VALU_DEP_1) | instskip(SKIP_1) | instid1(VALU_DEP_1)
	v_fma_f64 v[18:19], -v[16:17], v[44:45], v[18:19]
	s_waitcnt lgkmcnt(0)
	v_mul_f64 v[18:19], v[20:21], v[18:19]
	s_clause 0xd
	global_store_b128 v[34:35], v[0:3], off
	global_store_b128 v[34:35], v[4:7], off offset:16
	global_store_b128 v[34:35], v[8:11], off offset:32
	;; [unrolled: 1-line block ×13, first 2 shown]
.LBB103_23:
	s_cmp_ge_i32 s6, s2
	s_cbranch_scc1 .LBB103_34
; %bb.24:
	s_add_i32 s3, s6, -1
	s_lshl_b32 s11, s6, 8
	s_add_u32 s0, s16, s58
	s_addc_u32 s1, s17, s59
	v_add_co_u32 v8, vcc_lo, s0, v100
	v_add_co_ci_u32_e32 v9, vcc_lo, s1, v101, vcc_lo
	s_mov_b32 s9, 0
	s_delay_alu instid0(VALU_DEP_2) | instskip(NEXT) | instid1(VALU_DEP_2)
	v_add_co_u32 v0, vcc_lo, v8, 56
	v_add_co_ci_u32_e32 v1, vcc_lo, 0, v9, vcc_lo
	s_mov_b32 s14, s6
	s_mov_b32 s13, 0
	s_branch .LBB103_26
.LBB103_25:                             ;   in Loop: Header=BB103_26 Depth=1
	s_mul_i32 s0, s6, 0x108
	s_add_i32 s6, s6, 1
	v_mov_b32_e32 v6, s0
	s_add_i32 s13, s13, 1
	s_addk_i32 s11, 0x100
	s_cmp_ge_i32 s6, s2
	ds_load_b64 v[6:7], v6
	s_waitcnt lgkmcnt(0)
	v_mul_f64 v[4:5], v[6:7], v[4:5]
	v_add_nc_u16 v6, s14, 1
	s_delay_alu instid0(VALU_DEP_1)
	v_readfirstlane_b32 s14, v6
	global_store_b64 v[2:3], v[4:5], off
	s_cbranch_scc1 .LBB103_34
.LBB103_26:                             ; =>This Loop Header: Depth=1
                                        ;     Child Loop BB103_29 Depth 2
                                        ;     Child Loop BB103_33 Depth 2
	s_ashr_i32 s7, s6, 31
	s_delay_alu instid0(SALU_CYCLE_1)
	s_lshl_b64 s[18:19], s[6:7], 3
	s_cmp_eq_u32 s6, 0
	v_add_co_u32 v2, vcc_lo, v98, s18
	v_add_co_ci_u32_e32 v3, vcc_lo, s19, v99, vcc_lo
	global_load_b64 v[4:5], v[2:3], off
	s_waitcnt vmcnt(0)
	v_mul_f64 v[4:5], v[4:5], s[4:5]
	s_cbranch_scc1 .LBB103_25
; %bb.27:                               ;   in Loop: Header=BB103_26 Depth=1
	s_add_i32 s0, s3, s13
	s_delay_alu instid0(SALU_CYCLE_1)
	s_cmp_lt_u32 s0, 7
	s_cbranch_scc1 .LBB103_31
; %bb.28:                               ;   in Loop: Header=BB103_26 Depth=1
	v_dual_mov_b32 v7, v1 :: v_dual_mov_b32 v6, v0
	s_and_b32 s8, s6, -8
	s_mov_b32 s7, 0
	s_mov_b32 s15, s11
	s_set_inst_prefetch_distance 0x1
	.p2align	6
.LBB103_29:                             ;   Parent Loop BB103_26 Depth=1
                                        ; =>  This Inner Loop Header: Depth=2
	s_clause 0x3
	global_load_b128 v[10:13], v[6:7], off offset:-56
	global_load_b128 v[14:17], v[6:7], off offset:-40
	;; [unrolled: 1-line block ×4, first 2 shown]
	v_mov_b32_e32 v34, s15
	v_add_co_u32 v6, vcc_lo, v6, 64
	v_add_co_ci_u32_e32 v7, vcc_lo, 0, v7, vcc_lo
	ds_load_b128 v[26:29], v34
	ds_load_b128 v[30:33], v34 offset:16
	s_add_i32 s7, s7, 8
	s_add_i32 s15, s15, 64
	s_cmp_lg_u32 s8, s7
	s_waitcnt vmcnt(3) lgkmcnt(1)
	v_fma_f64 v[4:5], -v[10:11], v[26:27], v[4:5]
	s_delay_alu instid0(VALU_DEP_1) | instskip(SKIP_1) | instid1(VALU_DEP_1)
	v_fma_f64 v[4:5], -v[12:13], v[28:29], v[4:5]
	s_waitcnt vmcnt(2) lgkmcnt(0)
	v_fma_f64 v[4:5], -v[14:15], v[30:31], v[4:5]
	s_delay_alu instid0(VALU_DEP_1) | instskip(SKIP_4) | instid1(VALU_DEP_1)
	v_fma_f64 v[4:5], -v[16:17], v[32:33], v[4:5]
	ds_load_b128 v[10:13], v34 offset:32
	ds_load_b128 v[14:17], v34 offset:48
	s_waitcnt vmcnt(1) lgkmcnt(1)
	v_fma_f64 v[4:5], -v[18:19], v[10:11], v[4:5]
	v_fma_f64 v[4:5], -v[20:21], v[12:13], v[4:5]
	s_waitcnt vmcnt(0) lgkmcnt(0)
	s_delay_alu instid0(VALU_DEP_1) | instskip(NEXT) | instid1(VALU_DEP_1)
	v_fma_f64 v[4:5], -v[22:23], v[14:15], v[4:5]
	v_fma_f64 v[4:5], -v[24:25], v[16:17], v[4:5]
	s_cbranch_scc1 .LBB103_29
; %bb.30:                               ;   in Loop: Header=BB103_26 Depth=1
	s_set_inst_prefetch_distance 0x2
	s_and_b32 s0, s6, 7
	s_delay_alu instid0(SALU_CYCLE_1)
	s_cmp_eq_u32 s0, 0
	s_cbranch_scc0 .LBB103_32
	s_branch .LBB103_25
.LBB103_31:                             ;   in Loop: Header=BB103_26 Depth=1
	s_mov_b32 s8, 0
	s_and_b32 s0, s6, 7
	s_delay_alu instid0(SALU_CYCLE_1)
	s_cmp_eq_u32 s0, 0
	s_cbranch_scc1 .LBB103_25
.LBB103_32:                             ;   in Loop: Header=BB103_26 Depth=1
	s_lshl_b64 s[18:19], s[8:9], 3
	s_and_b32 s7, s14, 7
	v_add_co_u32 v6, vcc_lo, v8, s18
	v_add_co_ci_u32_e32 v7, vcc_lo, s19, v9, vcc_lo
	s_lshl_b32 s8, s8, 3
.LBB103_33:                             ;   Parent Loop BB103_26 Depth=1
                                        ; =>  This Inner Loop Header: Depth=2
	global_load_b64 v[10:11], v[6:7], off
	s_add_i32 s0, s11, s8
	v_add_co_u32 v6, vcc_lo, v6, 8
	v_mov_b32_e32 v12, s0
	v_add_co_ci_u32_e32 v7, vcc_lo, 0, v7, vcc_lo
	s_add_i32 s7, s7, -1
	s_add_i32 s8, s8, 8
	ds_load_b64 v[12:13], v12
	s_cmp_lg_u32 s7, 0
	s_waitcnt vmcnt(0) lgkmcnt(0)
	v_fma_f64 v[4:5], -v[10:11], v[12:13], v[4:5]
	s_cbranch_scc1 .LBB103_33
	s_branch .LBB103_25
.LBB103_34:
	s_mov_b32 s3, 0
.LBB103_35:
	s_delay_alu instid0(SALU_CYCLE_1)
	s_and_b32 vcc_lo, exec_lo, s3
	s_cbranch_vccz .LBB103_57
; %bb.36:
	s_cmp_gt_i32 s10, 31
	s_mov_b32 s6, s12
	s_cbranch_scc0 .LBB103_38
; %bb.37:
	s_ashr_i32 s13, s12, 31
	s_mov_b32 s3, 0
	s_lshl_b64 s[6:7], s[12:13], 3
	s_lshl_b32 s13, s12, 5
	v_add_co_u32 v46, vcc_lo, v98, s6
	v_add_co_ci_u32_e32 v47, vcc_lo, s7, v99, vcc_lo
	s_lshl_b64 s[6:7], s[2:3], 3
	s_add_i32 s3, s2, -2
	v_add_co_u32 v52, vcc_lo, v98, s6
	global_load_b64 v[4:5], v[46:47], off
	v_add_co_ci_u32_e32 v53, vcc_lo, s7, v99, vcc_lo
	s_clause 0x4
	global_load_b64 v[16:17], v[52:53], off offset:-16
	global_load_b128 v[0:3], v[52:53], off offset:-32
	global_load_b128 v[20:23], v[52:53], off offset:-48
	;; [unrolled: 1-line block ×4, first 2 shown]
	s_add_i32 s6, s3, s13
	s_mul_i32 s14, s12, 0x108
	s_lshl_b32 s6, s6, 3
	s_lshl_b32 s8, s3, 5
	v_mov_b32_e32 v6, s6
	s_add_i32 s6, s14, 0xfffffef8
	s_add_i32 s18, s2, -6
	s_add_i32 s19, s2, -8
	;; [unrolled: 1-line block ×3, first 2 shown]
	ds_load_2addr_b64 v[12:15], v6 offset1:1
	v_mov_b32_e32 v6, s6
	s_add_i32 s6, s2, -4
	s_add_i32 s22, s2, -12
	s_add_i32 s7, s6, s13
	s_add_i32 s3, s6, s8
	s_lshl_b32 s7, s7, 3
	ds_load_b64 v[32:33], v6
	s_lshl_b32 s3, s3, 3
	s_lshl_b32 s10, s6, 5
	v_mov_b32_e32 v28, s3
	s_add_i32 s3, s18, s13
	s_add_i32 s29, s22, s8
	s_lshl_b32 s3, s3, 3
	s_lshl_b32 s30, s29, 3
	ds_load_2addr_b64 v[28:31], v28 offset1:1
	s_add_i32 s25, s2, -16
	s_lshl_b32 s39, s21, 5
	s_add_i32 s52, s14, 0xfffff5b0
	s_lshl_b32 s42, s18, 5
	v_mov_b32_e32 v126, s52
	s_add_i32 s52, s25, s39
	s_add_i32 s24, s2, -14
	s_lshl_b32 s52, s52, 3
	s_add_i32 s45, s14, 0xfffff9d0
	s_add_i32 s47, s14, 0xfffff8c8
	;; [unrolled: 1-line block ×4, first 2 shown]
                                        ; implicit-def: $vgpr169 : SGPR spill to VGPR lane
	s_sub_i32 s27, s2, 18
	v_writelane_b32 v169, s16, 0
	s_sub_i32 s0, s2, 22
	s_sub_i32 s20, s2, 24
	;; [unrolled: 1-line block ×6, first 2 shown]
	s_add_i32 s55, s25, s13
	v_writelane_b32 v169, s17, 1
	s_mov_b64 s[16:17], s[58:59]
	s_add_i32 s59, s27, s13
	s_add_i32 s46, s0, s13
	;; [unrolled: 1-line block ×7, first 2 shown]
	s_lshl_b32 s41, s19, 5
	v_mov_b32_e32 v84, s47
	s_add_i32 s60, s21, s41
	s_lshl_b32 s37, s22, 5
	v_mov_b32_e32 v108, s49
	s_add_i32 s49, s22, s10
	s_add_i32 s65, s22, s42
	;; [unrolled: 1-line block ×4, first 2 shown]
	s_lshl_b32 s33, s25, 5
	s_lshl_b32 s35, s24, 5
	s_add_i32 s84, s24, s42
	s_add_i32 s91, s24, s41
	;; [unrolled: 1-line block ×12, first 2 shown]
	s_add_i32 vcc_lo, s0, s8
	s_lshl_b32 s87, s87, 3
	s_add_i32 s15, s0, s10
	s_waitcnt vmcnt(5)
	v_mul_f64 v[4:5], v[4:5], s[4:5]
	s_waitcnt lgkmcnt(2)
	s_delay_alu instid0(VALU_DEP_1) | instskip(NEXT) | instid1(VALU_DEP_1)
	v_mul_f64 v[48:49], v[14:15], v[4:5]
	v_mul_f64 v[18:19], v[48:49], v[12:13]
	v_mov_b32_e32 v12, s7
	ds_load_2addr_b64 v[12:15], v12 offset1:1
	global_load_b128 v[4:7], v[52:53], off offset:-80
	s_waitcnt lgkmcnt(0)
	v_mul_f64 v[14:15], v[48:49], v[14:15]
	v_mul_f64 v[12:13], v[48:49], v[12:13]
	s_waitcnt vmcnt(5)
	v_fma_f64 v[34:35], v[16:17], s[4:5], -v[18:19]
	global_load_b128 v[16:19], v[52:53], off offset:-96
	s_waitcnt vmcnt(5)
	v_fma_f64 v[2:3], v[2:3], s[4:5], -v[14:15]
	v_mov_b32_e32 v14, s3
	v_fma_f64 v[40:41], v[0:1], s[4:5], -v[12:13]
	s_add_i32 s3, s18, s8
	s_delay_alu instid0(SALU_CYCLE_1) | instskip(SKIP_4) | instid1(SALU_CYCLE_1)
	s_lshl_b32 s3, s3, 3
	v_mul_f64 v[50:51], v[32:33], v[34:35]
	ds_load_2addr_b64 v[32:35], v14 offset1:1
	v_mov_b32_e32 v14, s3
	s_lshl_b32 s3, s2, 5
	s_add_i32 s9, s3, 0xffffffa0
	s_add_i32 s38, s3, 0xfffffee0
	;; [unrolled: 1-line block ×3, first 2 shown]
	ds_load_2addr_b64 v[36:39], v14 offset1:1
	s_lshl_b32 s7, s7, 3
	s_add_i32 s6, s18, s10
	v_mov_b32_e32 v0, s7
	s_add_i32 s7, s14, 0xfffffce8
	s_lshl_b32 s6, s6, 3
	v_mov_b32_e32 v42, s7
	s_add_i32 s7, s19, s13
	v_mov_b32_e32 v44, s6
	s_lshl_b32 s7, s7, 3
	s_add_i32 s72, s21, s38
	ds_load_b64 v[42:43], v42
	s_lshl_b32 s1, s72, 3
	s_waitcnt lgkmcnt(2)
	v_mul_f64 v[34:35], v[48:49], v[34:35]
	v_mul_f64 v[32:33], v[48:49], v[32:33]
	s_add_i32 s6, s21, s13
	s_add_i32 s40, s3, 0xffffff20
	s_lshl_b32 s6, s6, 3
	s_add_i32 s47, s21, s40
	s_add_i32 s31, s3, 0xfffffe20
	;; [unrolled: 1-line block ×5, first 2 shown]
	s_lshl_b32 s70, s70, 3
	v_mov_b32_e32 v112, s51
	s_add_i32 s51, s22, s36
	s_add_i32 s34, s3, 0xfffffe60
	;; [unrolled: 1-line block ×5, first 2 shown]
	v_fma_f64 v[30:31], -v[50:51], v[30:31], v[2:3]
	ds_load_2addr_b64 v[0:3], v0 offset1:1
	global_load_b128 v[12:15], v[52:53], off offset:-112
	s_add_i32 s57, s25, s38
	s_add_i32 s56, s25, s36
	;; [unrolled: 1-line block ×5, first 2 shown]
	s_add_i32 vcc_hi, s0, s9
	s_lshl_b32 s57, s57, 3
	s_lshl_b32 s56, s56, 3
	s_add_i32 s72, s0, s37
	v_mov_b32_e32 v140, s56
	s_add_i32 s56, s23, s38
	ds_load_2addr_b64 v[66:69], v44 offset1:1
	s_waitcnt vmcnt(5)
	v_fma_f64 v[22:23], v[22:23], s[4:5], -v[34:35]
	v_fma_f64 v[34:35], -v[50:51], v[28:29], v[40:41]
	v_mov_b32_e32 v28, s7
	s_add_i32 s7, s19, s8
	s_delay_alu instid0(SALU_CYCLE_1) | instskip(NEXT) | instid1(SALU_CYCLE_1)
	s_lshl_b32 s7, s7, 3
	v_mov_b32_e32 v40, s7
	s_add_i32 s7, s18, s9
	s_delay_alu instid0(SALU_CYCLE_1)
	s_lshl_b32 s7, s7, 3
	ds_load_2addr_b64 v[56:59], v40 offset1:1
	v_fma_f64 v[40:41], v[20:21], s[4:5], -v[32:33]
	v_mov_b32_e32 v32, s7
	s_add_i32 s7, s3, 0xffffff60
	s_waitcnt lgkmcnt(2)
	v_mul_f64 v[2:3], v[2:3], v[30:31]
	ds_load_2addr_b64 v[28:31], v28 offset1:1
	s_add_i32 s11, s18, s7
	s_add_i32 s18, s21, s9
	s_lshl_b32 s11, s11, 3
	s_lshl_b32 s18, s18, 3
	s_add_i32 s63, s22, s7
	s_add_i32 s83, s24, s7
	;; [unrolled: 1-line block ×5, first 2 shown]
	v_fma_f64 v[38:39], -v[50:51], v[38:39], v[22:23]
	global_load_b128 v[20:23], v[52:53], off offset:-128
	v_fma_f64 v[36:37], -v[50:51], v[36:37], v[40:41]
	v_fma_f64 v[0:1], -v[2:3], v[0:1], v[34:35]
	ds_load_2addr_b64 v[32:35], v32 offset1:1
	s_waitcnt lgkmcnt(1)
	v_mul_f64 v[30:31], v[48:49], v[30:31]
	v_mul_f64 v[44:45], v[48:49], v[28:29]
	v_mov_b32_e32 v28, s6
	s_add_i32 s6, s21, s8
	s_delay_alu instid0(SALU_CYCLE_1) | instskip(SKIP_3) | instid1(SALU_CYCLE_1)
	s_lshl_b32 s6, s6, 3
	ds_load_2addr_b64 v[60:63], v28 offset1:1
	v_mov_b32_e32 v28, s6
	s_add_i32 s6, s19, s9
	s_lshl_b32 s6, s6, 3
	s_waitcnt lgkmcnt(1)
	v_fma_f64 v[34:35], -v[2:3], v[34:35], v[38:39]
	s_waitcnt lgkmcnt(0)
	v_mul_f64 v[62:63], v[48:49], v[62:63]
	v_mul_f64 v[64:65], v[48:49], v[60:61]
	v_fma_f64 v[70:71], -v[2:3], v[32:33], v[36:37]
	v_dual_mov_b32 v32, s6 :: v_dual_mov_b32 v33, s11
	s_add_i32 s6, s19, s10
	v_mul_f64 v[0:1], v[42:43], v[0:1]
	s_lshl_b32 s6, s6, 3
	s_waitcnt vmcnt(5)
	v_fma_f64 v[26:27], v[26:27], s[4:5], -v[30:31]
	v_fma_f64 v[44:45], v[24:25], s[4:5], -v[44:45]
	ds_load_2addr_b64 v[28:31], v28 offset1:1
	s_add_i32 s11, s14, 0xfffffad8
	s_add_i32 s14, s24, s13
	s_delay_alu instid0(SALU_CYCLE_1)
	s_lshl_b32 s14, s14, 3
	v_fma_f64 v[68:69], -v[0:1], v[68:69], v[34:35]
	v_fma_f64 v[58:59], -v[50:51], v[58:59], v[26:27]
	global_load_b128 v[24:27], v[52:53], off offset:-144
	ds_load_2addr_b64 v[40:43], v32 offset1:1
	ds_load_2addr_b64 v[36:39], v33 offset1:1
	v_fma_f64 v[60:61], -v[50:51], v[56:57], v[44:45]
	v_fma_f64 v[56:57], -v[0:1], v[66:67], v[70:71]
	v_mov_b32_e32 v33, s6
	s_add_i32 s6, s22, s13
	v_mov_b32_e32 v32, s11
	s_lshl_b32 s6, s6, 3
	ds_load_b64 v[54:55], v32
	ds_load_2addr_b64 v[32:35], v33 offset1:1
	s_sub_i32 s11, s2, 20
	s_delay_alu instid0(SALU_CYCLE_1)
	s_add_i32 s62, s11, s13
	s_add_i32 s13, s24, s8
	;; [unrolled: 1-line block ×3, first 2 shown]
	s_lshl_b32 s13, s13, 3
	s_lshl_b32 s68, s68, 3
	s_add_i32 s103, s11, s9
	s_add_i32 s104, s11, s10
	;; [unrolled: 1-line block ×9, first 2 shown]
	s_waitcnt lgkmcnt(3)
	v_fma_f64 v[58:59], -v[2:3], v[42:43], v[58:59]
	s_waitcnt vmcnt(4)
	v_fma_f64 v[62:63], v[6:7], s[4:5], -v[62:63]
	s_waitcnt lgkmcnt(2)
	v_mul_f64 v[6:7], v[38:39], v[68:69]
	v_mov_b32_e32 v38, s6
	v_fma_f64 v[4:5], v[4:5], s[4:5], -v[64:65]
	v_fma_f64 v[64:65], -v[2:3], v[40:41], v[60:61]
	s_mul_i32 s6, s2, 0x108
	ds_load_2addr_b64 v[42:45], v38 offset1:1
	v_mov_b32_e32 v38, s30
	s_add_i32 s30, s19, s7
	s_add_i32 s58, s6, 0xffffef80
	s_lshl_b32 s30, s30, 3
	s_add_i32 s53, s6, 0xfffff3a0
	ds_load_2addr_b64 v[66:69], v38 offset1:1
	s_add_i32 s54, s6, 0xfffff190
	s_add_i32 s61, s6, 0xffffed70
	v_mov_b32_e32 v138, s54
	s_waitcnt lgkmcnt(2)
	v_fma_f64 v[74:75], -v[0:1], v[34:35], v[58:59]
	s_add_i32 s54, s25, s35
	s_add_i32 s67, s6, 0xffffeb60
	s_waitcnt lgkmcnt(1)
	v_mul_f64 v[44:45], v[48:49], v[44:45]
	v_mul_f64 v[78:79], v[48:49], v[42:43]
	v_fma_f64 v[30:31], -v[50:51], v[30:31], v[62:63]
	v_fma_f64 v[76:77], -v[6:7], v[36:37], v[56:57]
	v_mov_b32_e32 v56, s30
	global_load_b128 v[34:37], v[52:53], off offset:-160
	v_fma_f64 v[32:33], -v[0:1], v[32:33], v[64:65]
	s_add_i32 s30, s21, s10
	v_mov_b32_e32 v64, s45
	ds_load_2addr_b64 v[56:59], v56 offset1:1
	v_mov_b32_e32 v38, s18
	s_add_i32 s18, s19, s42
	s_lshl_b32 s30, s30, 3
	s_lshl_b32 s18, s18, 3
	v_mov_b32_e32 v70, s30
	ds_load_2addr_b64 v[38:41], v38 offset1:1
	v_mov_b32_e32 v60, s18
	ds_load_2addr_b64 v[60:63], v60 offset1:1
	ds_load_2addr_b64 v[70:73], v70 offset1:1
	s_add_i32 s45, s21, s7
	ds_load_b64 v[82:83], v64
	s_lshl_b32 s45, s45, 3
	s_add_i32 s19, s19, s40
	s_add_i32 s30, s3, 0xfffffde0
	s_lshl_b32 s19, s19, 3
	s_lshl_b32 s18, s27, 5
	s_waitcnt vmcnt(4)
	v_fma_f64 v[18:19], v[18:19], s[4:5], -v[44:45]
	v_fma_f64 v[44:45], -v[50:51], v[28:29], v[4:5]
	s_waitcnt lgkmcnt(4)
	v_fma_f64 v[58:59], -v[6:7], v[58:59], v[74:75]
	v_mov_b32_e32 v28, s14
	v_fma_f64 v[78:79], v[16:17], s[4:5], -v[78:79]
	s_add_i32 s66, s27, s30
	s_add_i32 s14, s3, 0xfffffda0
	s_waitcnt lgkmcnt(3)
	v_fma_f64 v[80:81], -v[2:3], v[40:41], v[30:31]
	v_mul_f64 v[4:5], v[54:55], v[76:77]
	ds_load_2addr_b64 v[28:31], v28 offset1:1
	v_mov_b32_e32 v40, s13
	s_add_i32 s13, s21, s42
	s_add_i32 s21, s22, s9
	s_lshl_b32 s13, s13, 3
	s_lshl_b32 s21, s21, 3
	ds_load_2addr_b64 v[40:43], v40 offset1:1
	v_mov_b32_e32 v16, s21
	s_add_i32 s21, s22, s40
	s_lshl_b32 s22, s49, 3
	s_add_i32 s49, s24, s36
	v_fma_f64 v[68:69], -v[50:51], v[68:69], v[18:19]
	v_fma_f64 v[38:39], -v[2:3], v[38:39], v[44:45]
	ds_load_2addr_b64 v[16:19], v16 offset1:1
	s_waitcnt lgkmcnt(2)
	v_mul_f64 v[76:77], v[48:49], v[30:31]
	v_mov_b32_e32 v30, s45
	v_mul_f64 v[28:29], v[48:49], v[28:29]
	v_fma_f64 v[78:79], -v[50:51], v[66:67], v[78:79]
	s_lshl_b32 s45, s55, 3
	v_mov_b32_e32 v66, s19
	s_add_i32 s19, s25, s8
	s_add_i32 s55, s25, s37
	v_fma_f64 v[44:45], -v[0:1], v[72:73], v[80:81]
	v_fma_f64 v[80:81], -v[6:7], v[56:57], v[32:33]
	;; [unrolled: 1-line block ×3, first 2 shown]
	ds_load_2addr_b64 v[30:33], v30 offset1:1
	global_load_b128 v[54:57], v[52:53], off offset:-176
	v_mov_b32_e32 v62, s13
	v_mov_b32_e32 v72, s22
	ds_load_2addr_b64 v[62:65], v62 offset1:1
	ds_load_2addr_b64 v[72:75], v72 offset1:1
	s_add_i32 s13, s24, s9
	s_lshl_b32 s19, s19, 3
	s_lshl_b32 s13, s13, 3
	s_add_i32 s22, s24, s10
	s_delay_alu instid0(SALU_CYCLE_1) | instskip(NEXT) | instid1(SALU_CYCLE_1)
	s_lshl_b32 s22, s22, 3
	v_mov_b32_e32 v86, s22
	s_lshl_b32 s22, s62, 3
	s_add_i32 s62, s11, s35
	s_waitcnt lgkmcnt(3)
	v_fma_f64 v[18:19], -v[2:3], v[18:19], v[68:69]
	v_fma_f64 v[38:39], -v[0:1], v[70:71], v[38:39]
	ds_load_b64 v[70:71], v66
	s_waitcnt vmcnt(4)
	v_fma_f64 v[76:77], v[14:15], s[4:5], -v[76:77]
	v_mov_b32_e32 v66, s19
	v_fma_f64 v[12:13], v[12:13], s[4:5], -v[28:29]
	v_fma_f64 v[92:93], -v[2:3], v[16:17], v[78:79]
	v_mov_b32_e32 v28, s58
	s_lshl_b32 s58, s63, 3
	s_delay_alu instid0(SALU_CYCLE_1)
	v_dual_mov_b32 v16, s13 :: v_dual_mov_b32 v29, s58
	s_waitcnt lgkmcnt(3)
	v_fma_f64 v[32:33], -v[6:7], v[32:33], v[44:45]
	v_fma_f64 v[44:45], -v[4:5], v[60:61], v[80:81]
	v_mul_f64 v[14:15], v[82:83], v[58:59]
	v_mov_b32_e32 v58, s45
	s_lshl_b32 s13, s47, 3
	s_lshl_b32 s58, s65, 3
	;; [unrolled: 1-line block ×3, first 2 shown]
	ds_load_2addr_b64 v[66:69], v66 offset1:1
	ds_load_2addr_b64 v[58:61], v58 offset1:1
	v_mov_b32_e32 v82, s58
	s_add_i32 s65, s27, s33
	s_add_i32 s45, s24, s34
	s_add_i32 s24, s25, s9
	s_lshl_b32 s65, s65, 3
	v_mov_b32_e32 v128, s53
	s_add_i32 s53, s25, s34
	s_add_i32 s25, s27, s8
	;; [unrolled: 1-line block ×5, first 2 shown]
	s_lshl_b32 s45, s45, 3
	s_add_i32 s63, s11, s31
	v_mov_b32_e32 v139, s45
	s_add_i32 s45, s20, s33
	s_waitcnt lgkmcnt(3)
	v_fma_f64 v[94:95], -v[0:1], v[74:75], v[18:19]
	s_waitcnt lgkmcnt(0)
	v_mul_f64 v[60:61], v[48:49], v[60:61]
	v_fma_f64 v[38:39], -v[6:7], v[30:31], v[38:39]
	v_fma_f64 v[90:91], -v[50:51], v[42:43], v[76:77]
	ds_load_2addr_b64 v[16:19], v16 offset1:1
	v_mul_f64 v[102:103], v[48:49], v[58:59]
	v_fma_f64 v[104:105], -v[50:51], v[40:41], v[12:13]
	v_fma_f64 v[72:73], -v[0:1], v[72:73], v[92:93]
	;; [unrolled: 1-line block ×3, first 2 shown]
	ds_load_2addr_b64 v[29:32], v29 offset1:1
	v_fma_f64 v[70:71], -v[14:15], v[70:71], v[44:45]
	v_mov_b32_e32 v33, s13
	global_load_b128 v[42:45], v[52:53], off offset:-192
	ds_load_2addr_b64 v[74:77], v33 offset1:1
	ds_load_b64 v[96:97], v84
	s_lshl_b32 s13, s60, 3
	s_add_i32 s60, s27, s36
	v_mov_b32_e32 v33, s13
	ds_load_2addr_b64 v[78:81], v33 offset1:1
	ds_load_2addr_b64 v[82:85], v82 offset1:1
	;; [unrolled: 1-line block ×3, first 2 shown]
	v_mov_b32_e32 v33, s19
	s_lshl_b32 s19, s21, 3
	s_lshl_b32 s13, s25, 3
	ds_load_b64 v[108:109], v108
	v_mov_b32_e32 v58, s13
	s_lshl_b32 s13, s24, 3
	s_lshl_b32 s24, s84, 3
	s_add_i32 s27, s11, s8
	s_add_i32 s84, s0, s41
	s_lshl_b32 s60, s60, 3
	s_waitcnt lgkmcnt(6)
	v_fma_f64 v[31:32], -v[6:7], v[31:32], v[94:95]
	s_waitcnt vmcnt(4)
	v_fma_f64 v[22:23], v[22:23], s[4:5], -v[60:61]
	v_fma_f64 v[62:63], -v[4:5], v[62:63], v[38:39]
	v_fma_f64 v[18:19], -v[2:3], v[18:19], v[90:91]
	ds_load_2addr_b64 v[38:41], v33 offset1:1
	ds_load_2addr_b64 v[58:61], v58 offset1:1
	s_add_i32 s25, s11, s33
	v_fma_f64 v[29:30], -v[6:7], v[29:30], v[72:73]
	s_add_i32 s21, s11, s18
	s_waitcnt lgkmcnt(7)
	v_fma_f64 v[64:65], -v[14:15], v[76:77], v[64:65]
	v_fma_f64 v[76:77], v[20:21], s[4:5], -v[102:103]
	s_waitcnt lgkmcnt(6)
	v_mul_f64 v[12:13], v[96:97], v[70:71]
	v_fma_f64 v[102:103], -v[2:3], v[16:17], v[104:105]
	v_mov_b32_e32 v16, s13
	s_lshl_b32 s13, s83, 3
	s_add_i32 s83, s0, s40
	v_mov_b32_e32 v20, s13
	s_lshl_b32 s13, s79, 3
	s_lshl_b32 s79, s92, 3
	s_add_i32 s92, s0, s42
	v_mov_b32_e32 v92, s79
	s_add_i32 s79, s0, s38
	s_waitcnt lgkmcnt(4)
	v_fma_f64 v[84:85], -v[4:5], v[84:85], v[31:32]
	v_mov_b32_e32 v31, s19
	v_fma_f64 v[96:97], -v[50:51], v[68:69], v[22:23]
	s_waitcnt lgkmcnt(3)
	v_fma_f64 v[104:105], -v[0:1], v[88:89], v[18:19]
	v_fma_f64 v[106:107], -v[14:15], v[74:75], v[62:63]
	ds_load_2addr_b64 v[16:19], v16 offset1:1
	ds_load_2addr_b64 v[20:23], v20 offset1:1
	ds_load_2addr_b64 v[68:71], v31 offset1:1
	s_waitcnt lgkmcnt(4)
	v_mul_f64 v[40:41], v[48:49], v[40:41]
	v_dual_mov_b32 v31, s13 :: v_dual_mov_b32 v88, s24
	v_mul_f64 v[110:111], v[48:49], v[38:39]
	v_fma_f64 v[66:67], -v[50:51], v[66:67], v[76:77]
	v_fma_f64 v[80:81], -v[12:13], v[80:81], v[64:65]
	global_load_b128 v[62:65], v[52:53], off offset:-208
	v_fma_f64 v[86:87], -v[0:1], v[86:87], v[102:103]
	v_fma_f64 v[29:30], -v[4:5], v[82:83], v[29:30]
	ds_load_2addr_b64 v[72:75], v31 offset1:1
	ds_load_2addr_b64 v[88:91], v88 offset1:1
	;; [unrolled: 1-line block ×3, first 2 shown]
	v_mov_b32_e32 v31, s22
	s_lshl_b32 s22, s43, 3
	s_lshl_b32 s24, s46, 3
	v_mov_b32_e32 v129, s22
	s_lshl_b32 s22, s27, 3
	v_mov_b32_e32 v124, s24
	v_mov_b32_e32 v76, s22
	s_lshl_b32 s22, s90, 3
	v_mov_b32_e32 v33, s61
	s_add_i32 s61, s11, s40
	s_add_i32 s90, s20, s7
	;; [unrolled: 1-line block ×8, first 2 shown]
	s_lshl_b32 s13, s13, 3
	s_lshl_b32 s24, s24, 3
	s_waitcnt lgkmcnt(3)
	v_fma_f64 v[70:71], -v[14:15], v[70:71], v[84:85]
	v_mov_b32_e32 v84, s22
	v_fma_f64 v[96:97], -v[2:3], v[18:19], v[96:97]
	v_fma_f64 v[22:23], -v[6:7], v[22:23], v[104:105]
	;; [unrolled: 1-line block ×3, first 2 shown]
	ds_load_2addr_b64 v[76:79], v76 offset1:1
	s_lshl_b32 s22, s47, 3
	s_add_i32 s47, s0, s35
	s_waitcnt vmcnt(4)
	v_fma_f64 v[26:27], v[26:27], s[4:5], -v[40:41]
	ds_load_2addr_b64 v[38:41], v31 offset1:1
	v_mov_b32_e32 v31, s1
	v_fma_f64 v[114:115], v[24:25], s[4:5], -v[110:111]
	v_fma_f64 v[16:17], -v[2:3], v[16:17], v[66:67]
	v_mul_f64 v[18:19], v[108:109], v[80:81]
	s_lshl_b32 s1, s80, 3
	ds_load_b64 v[80:81], v31
	v_fma_f64 v[118:119], -v[6:7], v[20:21], v[86:87]
	v_fma_f64 v[29:30], -v[14:15], v[68:69], v[29:30]
	v_mov_b32_e32 v31, s1
	s_lshl_b32 s1, s85, 3
	v_mov_b32_e32 v20, s22
	v_mov_b32_e32 v102, s1
	s_lshl_b32 s1, s98, 3
	global_load_b128 v[66:69], v[52:53], off offset:-224
	v_mov_b32_e32 v24, s1
	s_lshl_b32 s1, s91, 3
	s_lshl_b32 s22, s100, 3
	v_mov_b32_e32 v103, s1
	s_lshl_b32 s1, s99, 3
	s_waitcnt lgkmcnt(1)
	v_mul_f64 v[40:41], v[48:49], v[40:41]
	v_mul_f64 v[122:123], v[48:49], v[38:39]
	v_mov_b32_e32 v110, s22
	s_add_i32 s99, s20, s9
	s_add_i32 s100, s20, s10
	;; [unrolled: 1-line block ×6, first 2 shown]
	v_fma_f64 v[70:71], -v[12:13], v[74:75], v[70:71]
	s_add_i32 s22, s0, s30
	v_fma_f64 v[116:117], -v[0:1], v[94:95], v[96:97]
	v_fma_f64 v[90:91], -v[4:5], v[90:91], v[22:23]
	ds_load_2addr_b64 v[20:23], v20 offset1:1
	s_lshl_b32 s22, s22, 3
	v_mov_b32_e32 v32, s67
	s_add_i32 s67, s0, s36
	v_fma_f64 v[60:61], -v[50:51], v[60:61], v[26:27]
	ds_load_2addr_b64 v[24:27], v24 offset1:1
	v_fma_f64 v[114:115], -v[50:51], v[58:59], v[114:115]
	v_fma_f64 v[92:93], -v[0:1], v[92:93], v[16:17]
	s_waitcnt lgkmcnt(2)
	v_fma_f64 v[74:75], -v[18:19], v[80:81], v[82:83]
	ds_load_2addr_b64 v[80:83], v84 offset1:1
	ds_load_2addr_b64 v[84:87], v31 offset1:1
	ds_load_b64 v[120:121], v112
	v_fma_f64 v[88:89], -v[4:5], v[88:89], v[118:119]
	v_fma_f64 v[29:30], -v[12:13], v[72:73], v[29:30]
	v_mov_b32_e32 v31, s1
	ds_load_2addr_b64 v[94:97], v102 offset1:1
	ds_load_2addr_b64 v[102:105], v103 offset1:1
	;; [unrolled: 1-line block ×4, first 2 shown]
	s_lshl_b32 s1, s50, 3
	s_add_i32 s50, s20, s36
	v_mov_b32_e32 v31, s1
	s_lshl_b32 s1, s44, 3
	s_lshl_b32 s44, s48, 3
	;; [unrolled: 1-line block ×3, first 2 shown]
	v_mov_b32_e32 v146, s44
	s_lshl_b32 s44, s51, 3
	s_waitcnt vmcnt(4)
	v_fma_f64 v[40:41], v[36:37], s[4:5], -v[40:41]
	ds_load_2addr_b64 v[36:39], v124 offset1:1
	v_fma_f64 v[34:35], v[34:35], s[4:5], -v[122:123]
	v_mov_b32_e32 v130, s44
	s_lshl_b32 s44, s81, 3
	v_mov_b32_e32 v142, s1
	s_add_i32 s1, s20, s8
	s_add_i32 s81, s20, s38
	s_waitcnt lgkmcnt(6)
	v_fma_f64 v[70:71], -v[18:19], v[86:87], v[70:71]
	v_mov_b32_e32 v86, s48
	v_fma_f64 v[26:27], -v[6:7], v[26:27], v[116:117]
	v_fma_f64 v[82:83], -v[14:15], v[82:83], v[90:91]
	s_lshl_b32 s48, vcc_lo, 3
	s_delay_alu instid0(SALU_CYCLE_1)
	v_dual_mov_b32 v87, s44 :: v_dual_mov_b32 v58, s48
	s_lshl_b32 s44, s86, 3
	v_fma_f64 v[22:23], -v[2:3], v[22:23], v[60:61]
	s_lshl_b32 s48, s97, 3
	v_mov_b32_e32 v72, s44
	v_fma_f64 v[118:119], -v[2:3], v[20:21], v[114:115]
	v_fma_f64 v[122:123], -v[6:7], v[24:25], v[92:93]
	s_waitcnt lgkmcnt(5)
	v_mul_f64 v[16:17], v[120:121], v[74:75]
	s_waitcnt lgkmcnt(0)
	v_mul_f64 v[74:75], v[48:49], v[38:39]
	v_mov_b32_e32 v90, s48
	v_fma_f64 v[124:125], -v[14:15], v[80:81], v[88:89]
	v_fma_f64 v[29:30], -v[18:19], v[84:85], v[29:30]
	s_lshl_b32 s44, s103, 3
	s_lshl_b32 s48, s101, 3
	v_mov_b32_e32 v20, s44
	v_mov_b32_e32 v24, s48
	ds_load_2addr_b64 v[58:61], v58 offset1:1
	s_lshl_b32 s44, s102, 3
	s_lshl_b32 s1, s1, 3
	v_mov_b32_e32 v91, s44
	s_lshl_b32 s44, s104, 3
	s_add_i32 s101, s23, s8
	s_add_i32 s102, s23, s9
	;; [unrolled: 1-line block ×3, first 2 shown]
	v_fma_f64 v[116:117], -v[50:51], v[78:79], v[40:41]
	global_load_b128 v[38:41], v[52:53], off offset:-240
	ds_load_2addr_b64 v[78:81], v86 offset1:1
	ds_load_b64 v[52:53], v126
	v_mul_f64 v[126:127], v[48:49], v[36:37]
	v_fma_f64 v[76:77], -v[50:51], v[76:77], v[34:35]
	s_add_i32 s86, s20, s41
	s_add_i32 s97, s23, s42
	;; [unrolled: 1-line block ×4, first 2 shown]
	v_fma_f64 v[108:109], -v[4:5], v[108:109], v[26:27]
	v_fma_f64 v[104:105], -v[12:13], v[104:105], v[82:83]
	ds_load_2addr_b64 v[24:27], v24 offset1:1
	s_add_i32 s48, s20, s34
	v_fma_f64 v[120:121], -v[0:1], v[112:113], v[22:23]
	ds_load_2addr_b64 v[20:23], v20 offset1:1
	v_mov_b32_e32 v112, s44
	v_fma_f64 v[110:111], -v[0:1], v[110:111], v[118:119]
	v_fma_f64 v[106:107], -v[4:5], v[106:107], v[122:123]
	;; [unrolled: 1-line block ×3, first 2 shown]
	ds_load_2addr_b64 v[70:73], v72 offset1:1
	ds_load_2addr_b64 v[82:85], v87 offset1:1
	;; [unrolled: 1-line block ×5, first 2 shown]
	v_fma_f64 v[102:103], -v[12:13], v[102:103], v[124:125]
	v_fma_f64 v[29:30], -v[16:17], v[94:95], v[29:30]
	ds_load_2addr_b64 v[34:37], v129 offset1:1
	s_lshl_b32 s44, s49, 3
	v_mov_b32_e32 v119, s52
	s_lshl_b32 s52, s96, 3
	v_mov_b32_e32 v136, s44
	v_dual_mov_b32 v94, s57 :: v_dual_mov_b32 v95, s52
	v_mov_b32_e32 v118, s87
	s_lshl_b32 s52, s88, 3
	s_add_i32 s96, s23, s7
	s_add_i32 s87, s23, s40
	;; [unrolled: 1-line block ×3, first 2 shown]
	s_waitcnt lgkmcnt(6)
	v_fma_f64 v[116:117], -v[2:3], v[22:23], v[116:117]
	s_waitcnt vmcnt(4)
	v_fma_f64 v[56:57], v[56:57], s[4:5], -v[74:75]
	s_add_i32 s57, s23, s39
	s_add_i32 s49, s20, s35
	s_add_i32 s44, s20, s31
	v_fma_f64 v[20:21], -v[2:3], v[20:21], v[76:77]
	s_waitcnt lgkmcnt(5)
	v_fma_f64 v[108:109], -v[14:15], v[72:73], v[108:109]
	v_fma_f64 v[80:81], -v[18:19], v[80:81], v[104:105]
	v_mov_b32_e32 v72, s1
	s_lshl_b32 s1, vcc_hi, 3
	v_fma_f64 v[26:27], -v[6:7], v[26:27], v[120:121]
	v_fma_f64 v[110:111], -v[6:7], v[24:25], v[110:111]
	v_fma_f64 v[70:71], -v[14:15], v[70:71], v[106:107]
	v_mul_f64 v[22:23], v[52:53], v[96:97]
	ds_load_b64 v[52:53], v130
	v_fma_f64 v[130:131], v[54:55], s[4:5], -v[126:127]
	s_waitcnt lgkmcnt(1)
	v_mul_f64 v[36:37], v[48:49], v[36:37]
	v_fma_f64 v[134:135], -v[18:19], v[78:79], v[102:103]
	v_mov_b32_e32 v24, s1
	s_lshl_b32 s1, s95, 3
	ds_load_b64 v[96:97], v128
	ds_load_2addr_b64 v[72:75], v72 offset1:1
	ds_load_2addr_b64 v[76:79], v95 offset1:1
	s_add_i32 s95, s26, s42
	ds_load_2addr_b64 v[102:105], v136 offset1:1
	v_fma_f64 v[56:57], -v[50:51], v[60:61], v[56:57]
	v_fma_f64 v[60:61], -v[0:1], v[114:115], v[116:117]
	;; [unrolled: 1-line block ×5, first 2 shown]
	v_mov_b32_e32 v84, s52
	s_add_i32 s52, s23, s36
	v_fma_f64 v[132:133], -v[4:5], v[92:93], v[26:27]
	ds_load_2addr_b64 v[24:27], v24 offset1:1
	ds_load_2addr_b64 v[92:95], v94 offset1:1
	v_fma_f64 v[90:91], -v[4:5], v[90:91], v[110:111]
	v_fma_f64 v[70:71], -v[12:13], v[86:87], v[70:71]
	s_waitcnt lgkmcnt(6)
	v_fma_f64 v[29:30], -v[22:23], v[52:53], v[29:30]
	v_mov_b32_e32 v52, s1
	s_lshl_b32 s1, s94, 3
	v_fma_f64 v[58:59], -v[50:51], v[58:59], v[130:131]
	v_mov_b32_e32 v85, s1
	s_lshl_b32 s1, s15, 3
	ds_load_2addr_b64 v[52:55], v52 offset1:1
	v_mov_b32_e32 v126, s1
	ds_load_2addr_b64 v[106:109], v118 offset1:1
	ds_load_2addr_b64 v[114:117], v119 offset1:1
	ds_load_2addr_b64 v[118:121], v84 offset1:1
	ds_load_2addr_b64 v[122:125], v85 offset1:1
	ds_load_2addr_b64 v[126:129], v126 offset1:1
	v_mul_f64 v[84:85], v[48:49], v[34:35]
	v_fma_f64 v[82:83], -v[16:17], v[82:83], v[134:135]
	s_lshl_b32 s15, s53, 3
	s_lshl_b32 s1, s55, 3
	v_mov_b32_e32 v144, s15
	s_lshl_b32 s15, s54, 3
	s_lshl_b32 s54, s59, 3
	;; [unrolled: 1-line block ×3, first 2 shown]
	s_add_i32 s94, s26, s7
	s_waitcnt vmcnt(3)
	v_fma_f64 v[44:45], v[44:45], s[4:5], -v[36:37]
	s_waitcnt lgkmcnt(7)
	v_fma_f64 v[26:27], -v[2:3], v[26:27], v[56:57]
	ds_load_2addr_b64 v[34:37], v31 offset1:1
	s_add_i32 s59, s26, s41
	s_add_i32 s53, s23, s37
	s_waitcnt lgkmcnt(6)
	v_fma_f64 v[60:61], -v[6:7], v[54:55], v[60:61]
	v_fma_f64 v[86:87], -v[18:19], v[94:95], v[88:89]
	v_fma_f64 v[80:81], -v[22:23], v[104:105], v[80:81]
	v_mov_b32_e32 v89, s54
	s_lshl_b32 s54, s58, 3
	v_fma_f64 v[52:53], -v[6:7], v[52:53], v[112:113]
	v_mov_b32_e32 v94, s54
	v_fma_f64 v[78:79], -v[14:15], v[78:79], v[132:133]
	s_lshl_b32 s54, s61, 3
	s_lshl_b32 s61, s92, 3
	v_mov_b32_e32 v95, s54
	s_lshl_b32 s54, s99, 3
	v_mul_f64 v[20:21], v[96:97], v[29:30]
	v_mov_b32_e32 v29, s55
	v_fma_f64 v[70:71], -v[18:19], v[92:93], v[70:71]
	v_fma_f64 v[132:133], -v[2:3], v[24:25], v[58:59]
	v_mov_b32_e32 v24, s54
	s_lshl_b32 s55, s89, 3
	ds_load_2addr_b64 v[54:57], v29 offset1:1
	v_mov_b32_e32 v96, s55
	s_lshl_b32 s55, s93, 3
	v_mov_b32_e32 v88, s1
	v_fma_f64 v[134:135], -v[22:23], v[102:103], v[82:83]
	v_mov_b32_e32 v102, s61
	s_lshl_b32 s61, s100, 3
	s_add_i32 s1, s26, s8
	s_add_i32 s89, s28, s8
	s_lshl_b32 s1, s1, 3
	s_add_i32 s92, s28, s9
	s_add_i32 s93, s28, s10
	v_fma_f64 v[130:131], -v[50:51], v[74:75], v[44:45]
	s_waitcnt lgkmcnt(2)
	v_fma_f64 v[128:129], -v[0:1], v[128:129], v[26:27]
	ds_load_2addr_b64 v[24:27], v24 offset1:1
	s_add_i32 s58, s26, s40
	s_add_i32 s54, s26, s38
	v_fma_f64 v[112:113], -v[4:5], v[124:125], v[60:61]
	v_fma_f64 v[124:125], -v[14:15], v[76:77], v[90:91]
	v_fma_f64 v[116:117], -v[16:17], v[116:117], v[86:87]
	ds_load_2addr_b64 v[74:77], v89 offset1:1
	s_waitcnt lgkmcnt(3)
	v_mul_f64 v[29:30], v[48:49], v[36:37]
	v_fma_f64 v[36:37], v[42:43], s[4:5], -v[84:85]
	v_mov_b32_e32 v42, s55
	v_fma_f64 v[120:121], -v[12:13], v[120:121], v[78:79]
	ds_load_2addr_b64 v[58:61], v95 offset1:1
	v_fma_f64 v[52:53], -v[4:5], v[122:123], v[52:53]
	v_mov_b32_e32 v31, s15
	ds_load_2addr_b64 v[42:45], v42 offset1:1
	v_fma_f64 v[136:137], -v[20:21], v[108:109], v[80:81]
	ds_load_2addr_b64 v[78:81], v140 offset1:1
	v_mov_b32_e32 v108, s61
	ds_load_2addr_b64 v[82:85], v139 offset1:1
	ds_load_b64 v[138:139], v138
	ds_load_2addr_b64 v[86:89], v88 offset1:1
	ds_load_2addr_b64 v[90:93], v94 offset1:1
	;; [unrolled: 1-line block ×5, first 2 shown]
	v_mul_f64 v[140:141], v[48:49], v[34:35]
	v_fma_f64 v[126:127], -v[0:1], v[126:127], v[132:133]
	v_fma_f64 v[114:115], -v[16:17], v[114:115], v[70:71]
	s_add_i32 s15, s26, s9
	v_mov_b32_e32 v70, s1
	s_lshl_b32 s1, s64, 3
	v_fma_f64 v[106:107], -v[20:21], v[106:107], v[134:135]
	s_add_i32 s64, s29, s8
	s_add_i32 s8, s29, s9
	;; [unrolled: 1-line block ×3, first 2 shown]
	s_lshl_b32 s10, s73, 3
	s_lshl_b32 s73, s74, 3
	;; [unrolled: 1-line block ×4, first 2 shown]
	s_waitcnt lgkmcnt(11)
	v_fma_f64 v[130:131], -v[2:3], v[26:27], v[130:131]
	s_waitcnt lgkmcnt(8)
	v_fma_f64 v[44:45], -v[6:7], v[44:45], v[128:129]
	s_lshl_b32 s76, s77, 3
	s_lshl_b32 s77, s78, 3
	s_lshl_b32 s78, s83, 3
	s_lshl_b32 s83, s84, 3
	s_lshl_b32 s84, s90, 3
	s_lshl_b32 s90, s91, 3
	v_fma_f64 v[60:61], -v[14:15], v[60:61], v[112:113]
	v_fma_f64 v[112:113], -v[12:13], v[118:119], v[124:125]
	s_waitcnt lgkmcnt(7)
	v_fma_f64 v[80:81], -v[22:23], v[80:81], v[116:117]
	s_lshl_b32 s91, s98, 3
	s_waitcnt vmcnt(2)
	v_fma_f64 v[29:30], v[64:65], s[4:5], -v[29:30]
	v_fma_f64 v[64:65], -v[50:51], v[72:73], v[36:37]
	ds_load_2addr_b64 v[34:37], v142 offset1:1
	v_fma_f64 v[76:77], -v[18:19], v[76:77], v[120:121]
	ds_load_2addr_b64 v[70:73], v70 offset1:1
	v_fma_f64 v[52:53], -v[14:15], v[58:59], v[52:53]
	v_mov_b32_e32 v118, s83
	v_mov_b32_e32 v122, s90
	s_waitcnt lgkmcnt(8)
	v_mul_f64 v[26:27], v[84:85], v[136:137]
	v_mov_b32_e32 v84, s60
	s_lshl_b32 s60, s102, 3
	s_lshl_b32 s15, s15, 3
	v_fma_f64 v[132:133], v[62:63], s[4:5], -v[140:141]
	v_mov_b32_e32 v85, s60
	v_fma_f64 v[140:141], -v[22:23], v[78:79], v[114:115]
	v_mov_b32_e32 v114, s77
	s_lshl_b32 s77, s85, 3
	s_lshl_b32 s83, s103, 3
	v_mov_b32_e32 v150, s1
	s_lshl_b32 s64, s64, 3
	s_lshl_b32 s1, s62, 3
	;; [unrolled: 1-line block ×3, first 2 shown]
	s_waitcnt lgkmcnt(1)
	v_mul_f64 v[36:37], v[48:49], v[36:37]
	s_lshl_b32 s63, s72, 3
	s_lshl_b32 s72, s95, 3
	s_add_i32 s60, s28, s7
	s_lshl_b32 s8, s8, 3
	v_fma_f64 v[134:135], -v[4:5], v[104:105], v[44:45]
	s_add_i32 s61, s28, s42
	s_lshl_b32 s9, s9, 3
	s_add_i32 s7, s29, s7
	s_add_i32 s55, s26, s39
	s_lshl_b32 s7, s7, 3
	v_fma_f64 v[96:97], -v[12:13], v[96:97], v[60:61]
	v_fma_f64 v[136:137], -v[18:19], v[74:75], v[112:113]
	;; [unrolled: 1-line block ×3, first 2 shown]
	v_mov_b32_e32 v60, s78
	v_fma_f64 v[29:30], -v[50:51], v[56:57], v[29:30]
	v_fma_f64 v[24:25], -v[2:3], v[24:25], v[64:65]
	;; [unrolled: 1-line block ×5, first 2 shown]
	v_mov_b32_e32 v56, s84
	v_mov_b32_e32 v74, s76
	ds_load_2addr_b64 v[42:45], v85 offset1:1
	ds_load_2addr_b64 v[78:81], v84 offset1:1
	v_fma_f64 v[142:143], -v[26:27], v[82:83], v[106:107]
	ds_load_2addr_b64 v[56:59], v56 offset1:1
	ds_load_2addr_b64 v[60:63], v60 offset1:1
	ds_load_2addr_b64 v[74:77], v74 offset1:1
	v_mov_b32_e32 v110, s10
	v_mov_b32_e32 v126, s91
	ds_load_2addr_b64 v[82:85], v144 offset1:1
	ds_load_2addr_b64 v[104:107], v31 offset1:1
	;; [unrolled: 1-line block ×7, first 2 shown]
	v_mul_f64 v[144:145], v[48:49], v[34:35]
	v_fma_f64 v[132:133], -v[50:51], v[54:55], v[132:133]
	v_fma_f64 v[94:95], -v[12:13], v[94:95], v[52:53]
	;; [unrolled: 1-line block ×3, first 2 shown]
	s_lshl_b32 s10, s66, 3
	s_waitcnt vmcnt(1)
	v_fma_f64 v[68:69], v[68:69], s[4:5], -v[36:37]
	ds_load_2addr_b64 v[34:37], v146 offset1:1
	s_lshl_b32 s66, s69, 3
	s_lshl_b32 s69, s71, 3
	;; [unrolled: 1-line block ×6, first 2 shown]
	v_mov_b32_e32 v52, s84
	s_waitcnt lgkmcnt(9)
	v_fma_f64 v[62:63], -v[14:15], v[62:63], v[134:135]
	s_lshl_b32 s78, s86, 3
	s_lshl_b32 s80, s97, 3
	s_waitcnt lgkmcnt(8)
	v_fma_f64 v[76:77], -v[18:19], v[76:77], v[96:97]
	v_fma_f64 v[90:91], -v[16:17], v[90:91], v[136:137]
	s_waitcnt lgkmcnt(7)
	v_fma_f64 v[84:85], -v[26:27], v[84:85], v[88:89]
	ds_load_2addr_b64 v[52:55], v52 offset1:1
	v_fma_f64 v[29:30], -v[2:3], v[44:45], v[29:30]
	v_fma_f64 v[44:45], -v[0:1], v[108:109], v[24:25]
	;; [unrolled: 1-line block ×5, first 2 shown]
	s_waitcnt lgkmcnt(1)
	v_mul_f64 v[36:37], v[48:49], v[36:37]
	v_dual_mov_b32 v92, s66 :: v_dual_mov_b32 v31, s70
	v_mov_b32_e32 v88, s73
	v_mul_f64 v[24:25], v[138:139], v[142:143]
	v_mov_b32_e32 v89, s74
	v_mov_b32_e32 v93, s68
	v_mul_f64 v[148:149], v[48:49], v[34:35]
	s_lshl_b32 s66, s81, 3
	s_lshl_b32 s68, s87, 3
	;; [unrolled: 1-line block ×4, first 2 shown]
	v_fma_f64 v[96:97], v[66:67], s[4:5], -v[144:145]
	v_fma_f64 v[102:103], -v[2:3], v[42:43], v[132:133]
	v_fma_f64 v[138:139], -v[18:19], v[74:75], v[94:95]
	;; [unrolled: 1-line block ×3, first 2 shown]
	v_mov_b32_e32 v94, s78
	v_fma_f64 v[68:69], -v[50:51], v[72:73], v[68:69]
	s_lshl_b32 s74, s93, 3
	v_fma_f64 v[120:121], -v[12:13], v[120:121], v[62:63]
	v_fma_f64 v[116:117], -v[16:17], v[116:117], v[76:77]
	;; [unrolled: 1-line block ×3, first 2 shown]
	v_mov_b32_e32 v90, s76
	v_fma_f64 v[132:133], -v[0:1], v[128:129], v[29:30]
	v_fma_f64 v[134:135], -v[6:7], v[56:57], v[44:45]
	;; [unrolled: 1-line block ×5, first 2 shown]
	v_dual_mov_b32 v29, s15 :: v_dual_mov_b32 v56, s79
	v_mov_b32_e32 v60, s77
	v_mov_b32_e32 v30, s71
	v_fma_f64 v[144:145], -v[24:25], v[106:107], v[84:85]
	ds_load_2addr_b64 v[42:45], v29 offset1:1
	ds_load_2addr_b64 v[56:59], v56 offset1:1
	;; [unrolled: 1-line block ×3, first 2 shown]
	v_mov_b32_e32 v106, s80
	v_mov_b32_e32 v128, s83
	ds_load_2addr_b64 v[64:67], v30 offset1:1
	ds_load_2addr_b64 v[72:75], v92 offset1:1
	;; [unrolled: 1-line block ×3, first 2 shown]
	ds_load_b64 v[146:147], v28
	ds_load_2addr_b64 v[28:31], v88 offset1:1
	ds_load_2addr_b64 v[80:83], v89 offset1:1
	;; [unrolled: 1-line block ×7, first 2 shown]
	s_waitcnt vmcnt(0)
	v_fma_f64 v[40:41], v[40:41], s[4:5], -v[36:37]
	v_fma_f64 v[70:71], -v[50:51], v[70:71], v[96:97]
	v_fma_f64 v[96:97], -v[0:1], v[126:127], v[102:103]
	;; [unrolled: 1-line block ×4, first 2 shown]
	ds_load_2addr_b64 v[34:37], v150 offset1:1
	s_lshl_b32 s71, s94, 3
	s_lshl_b32 s15, s67, 3
	;; [unrolled: 1-line block ×3, first 2 shown]
	s_waitcnt lgkmcnt(14)
	v_fma_f64 v[44:45], -v[2:3], v[44:45], v[68:69]
	s_waitcnt lgkmcnt(11)
	v_fma_f64 v[120:121], -v[18:19], v[66:67], v[120:121]
	v_mov_b32_e32 v66, s64
	s_waitcnt lgkmcnt(10)
	v_fma_f64 v[74:75], -v[22:23], v[74:75], v[116:117]
	v_fma_f64 v[110:111], -v[20:21], v[110:111], v[140:141]
	v_mov_b32_e32 v116, s75
	ds_load_2addr_b64 v[66:69], v66 offset1:1
	v_fma_f64 v[58:59], -v[6:7], v[58:59], v[132:133]
	v_fma_f64 v[102:103], -v[4:5], v[122:123], v[134:135]
	v_fma_f64 v[62:63], -v[14:15], v[62:63], v[124:125]
	v_fma_f64 v[118:119], -v[12:13], v[118:119], v[136:137]
	s_waitcnt lgkmcnt(8)
	v_fma_f64 v[112:113], -v[26:27], v[30:31], v[112:113]
	v_fma_f64 v[132:133], v[38:39], s[4:5], -v[148:149]
	v_dual_mov_b32 v125, s73 :: v_dual_mov_b32 v124, s15
	v_mov_b32_e32 v122, s69
	v_mul_f64 v[30:31], v[78:79], v[144:145]
	s_waitcnt lgkmcnt(1)
	v_mul_f64 v[78:79], v[48:49], v[36:37]
	ds_load_2addr_b64 v[36:39], v125 offset1:1
	v_mov_b32_e32 v117, s65
	v_mov_b32_e32 v123, s1
	;; [unrolled: 1-line block ×3, first 2 shown]
	v_mul_f64 v[34:35], v[48:49], v[34:35]
	v_fma_f64 v[134:135], -v[50:51], v[54:55], v[40:41]
	v_fma_f64 v[136:137], -v[2:3], v[42:43], v[70:71]
	v_mov_b32_e32 v40, s71
	v_fma_f64 v[148:149], -v[22:23], v[72:73], v[114:115]
	v_mov_b32_e32 v54, s68
	s_lshl_b32 s15, s46, 3
	s_lshl_b32 s46, s50, 3
	ds_load_2addr_b64 v[40:43], v40 offset1:1
	s_lshl_b32 s50, s56, 3
	s_lshl_b32 s56, s58, 3
	;; [unrolled: 1-line block ×6, first 2 shown]
	v_fma_f64 v[44:45], -v[0:1], v[130:131], v[44:45]
	v_fma_f64 v[130:131], -v[6:7], v[56:57], v[96:97]
	ds_load_2addr_b64 v[54:57], v54 offset1:1
	v_fma_f64 v[90:91], -v[16:17], v[90:91], v[120:121]
	v_fma_f64 v[86:87], -v[20:21], v[86:87], v[74:75]
	;; [unrolled: 1-line block ×3, first 2 shown]
	v_mov_b32_e32 v120, s72
	s_lshl_b32 s51, s57, 3
	v_fma_f64 v[138:139], -v[4:5], v[108:109], v[58:59]
	v_fma_f64 v[140:141], -v[14:15], v[60:61], v[102:103]
	;; [unrolled: 1-line block ×5, first 2 shown]
	v_mov_b32_e32 v58, s66
	v_mov_b32_e32 v108, s63
	;; [unrolled: 1-line block ×4, first 2 shown]
	v_fma_f64 v[150:151], -v[30:31], v[76:77], v[104:105]
	ds_load_2addr_b64 v[58:61], v58 offset1:1
	ds_load_2addr_b64 v[62:65], v124 offset1:1
	;; [unrolled: 1-line block ×11, first 2 shown]
	v_fma_f64 v[10:11], v[10:11], s[4:5], -v[78:79]
	v_fma_f64 v[52:53], -v[50:51], v[52:53], v[132:133]
	s_lshl_b32 s57, s59, 3
	s_lshl_b32 s59, s61, 3
	s_waitcnt lgkmcnt(13)
	v_fma_f64 v[38:39], -v[2:3], v[38:39], v[134:135]
	v_fma_f64 v[78:79], -v[0:1], v[128:129], v[136:137]
	v_mov_b32_e32 v128, s8
	v_fma_f64 v[84:85], -v[20:21], v[84:85], v[148:149]
	s_add_i32 s8, s28, s41
	s_delay_alu instid0(SALU_CYCLE_1)
	s_lshl_b32 s8, s8, 3
	s_waitcnt lgkmcnt(12)
	v_fma_f64 v[42:43], -v[6:7], v[42:43], v[44:45]
	v_fma_f64 v[44:45], -v[4:5], v[106:107], v[130:131]
	v_mov_b32_e32 v107, s58
	s_waitcnt lgkmcnt(9)
	v_fma_f64 v[64:65], -v[22:23], v[64:65], v[90:91]
	s_waitcnt lgkmcnt(8)
	v_fma_f64 v[72:73], -v[26:27], v[72:73], v[86:87]
	v_fma_f64 v[80:81], -v[24:25], v[80:81], v[28:29]
	v_mov_b32_e32 v91, s46
	v_mov_b32_e32 v87, s15
	v_fma_f64 v[56:57], -v[14:15], v[56:57], v[138:139]
	v_fma_f64 v[92:93], -v[12:13], v[92:93], v[140:141]
	;; [unrolled: 1-line block ×4, first 2 shown]
	s_waitcnt lgkmcnt(7)
	v_fma_f64 v[76:77], -v[30:31], v[76:77], v[82:83]
	v_dual_mov_b32 v82, s10 :: v_dual_mov_b32 v83, s62
	v_mov_b32_e32 v86, s1
	v_mov_b32_e32 v90, s25
	v_mul_f64 v[28:29], v[146:147], v[150:151]
	v_fma_f64 v[146:147], v[8:9], s[4:5], -v[34:35]
	v_mov_b32_e32 v106, s47
	v_fma_f64 v[130:131], -v[50:51], v[68:69], v[10:11]
	v_fma_f64 v[132:133], -v[2:3], v[36:37], v[52:53]
	ds_load_2addr_b64 v[8:11], v128 offset1:1
	ds_load_2addr_b64 v[34:37], v107 offset1:1
	s_waitcnt lgkmcnt(2)
	v_fma_f64 v[134:135], -v[0:1], v[126:127], v[38:39]
	v_fma_f64 v[136:137], -v[6:7], v[40:41], v[78:79]
	v_mov_b32_e32 v38, s56
	v_mov_b32_e32 v126, s9
	s_add_i32 s1, s28, s40
	s_add_i32 s9, s29, s42
	s_lshl_b32 s10, s19, 3
	ds_load_2addr_b64 v[38:41], v38 offset1:1
	s_lshl_b32 s19, s27, 3
	s_lshl_b32 s25, s48, 3
	;; [unrolled: 1-line block ×6, first 2 shown]
	v_fma_f64 v[122:123], -v[4:5], v[122:123], v[42:43]
	v_fma_f64 v[138:139], -v[14:15], v[54:55], v[44:45]
	v_mov_b32_e32 v42, s50
	v_fma_f64 v[64:65], -v[20:21], v[110:111], v[64:65]
	v_fma_f64 v[110:111], -v[26:27], v[70:71], v[84:85]
	;; [unrolled: 1-line block ×4, first 2 shown]
	ds_load_2addr_b64 v[42:45], v42 offset1:1
	v_fma_f64 v[118:119], -v[12:13], v[118:119], v[56:57]
	v_fma_f64 v[92:93], -v[18:19], v[58:59], v[92:93]
	;; [unrolled: 1-line block ×4, first 2 shown]
	v_mov_b32_e32 v84, s51
	v_mov_b32_e32 v88, s57
	;; [unrolled: 1-line block ×3, first 2 shown]
	s_lshl_b32 s21, s43, 3
	s_lshl_b32 s27, s49, 3
	v_fma_f64 v[96:97], -v[28:29], v[96:97], v[76:77]
	ds_load_2addr_b64 v[52:55], v91 offset1:1
	ds_load_2addr_b64 v[56:59], v87 offset1:1
	;; [unrolled: 1-line block ×3, first 2 shown]
	ds_load_b64 v[148:149], v33
	ds_load_2addr_b64 v[68:71], v83 offset1:1
	ds_load_2addr_b64 v[72:75], v86 offset1:1
	;; [unrolled: 1-line block ×8, first 2 shown]
	v_mov_b32_e32 v33, s7
	s_waitcnt lgkmcnt(15)
	v_fma_f64 v[130:131], -v[2:3], v[10:11], v[130:131]
	v_fma_f64 v[124:125], -v[0:1], v[124:125], v[132:133]
	s_lshl_b32 s43, s53, 3
	s_lshl_b32 s9, s9, 3
	s_waitcnt lgkmcnt(14)
	v_fma_f64 v[36:37], -v[6:7], v[36:37], v[134:135]
	v_fma_f64 v[120:121], -v[4:5], v[120:121], v[136:137]
	s_lshl_b32 s47, s55, 3
	s_add_i32 s7, s23, s35
	s_mov_b64 s[58:59], s[16:17]
	s_lshl_b32 s7, s7, 3
	v_readlane_b32 s16, v169, 0
	v_readlane_b32 s17, v169, 1
	s_waitcnt lgkmcnt(13)
	v_fma_f64 v[40:41], -v[14:15], v[40:41], v[122:123]
	v_fma_f64 v[116:117], -v[12:13], v[116:117], v[138:139]
	s_waitcnt lgkmcnt(10)
	v_fma_f64 v[58:59], -v[26:27], v[58:59], v[64:65]
	v_fma_f64 v[64:65], -v[24:25], v[102:103], v[110:111]
	;; [unrolled: 3-line block ×3, first 2 shown]
	v_fma_f64 v[44:45], -v[18:19], v[44:45], v[118:119]
	v_fma_f64 v[92:93], -v[16:17], v[112:113], v[92:93]
	;; [unrolled: 1-line block ×4, first 2 shown]
	v_mov_b32_e32 v118, s9
	s_add_i32 s9, s26, s37
	s_delay_alu instid0(SALU_CYCLE_1)
	s_lshl_b32 s9, s9, 3
	v_mul_f64 v[10:11], v[62:63], v[96:97]
	v_fma_f64 v[62:63], -v[50:51], v[66:67], v[146:147]
	v_mov_b32_e32 v67, s19
	s_waitcnt lgkmcnt(0)
	v_fma_f64 v[102:103], -v[0:1], v[128:129], v[130:131]
	v_fma_f64 v[122:123], -v[6:7], v[34:35], v[124:125]
	v_mov_b32_e32 v66, s10
	v_mov_b32_e32 v96, s15
	v_fma_f64 v[124:125], -v[4:5], v[106:107], v[36:37]
	v_fma_f64 v[128:129], -v[14:15], v[38:39], v[120:121]
	ds_load_2addr_b64 v[33:36], v33 offset1:1
	v_dual_mov_b32 v97, s21 :: v_dual_mov_b32 v106, s43
	s_add_i32 s10, s28, s38
	s_add_i32 s19, s29, s40
	s_lshl_b32 s10, s10, 3
	s_lshl_b32 s19, s19, 3
	s_add_i32 s21, s29, s41
	s_add_i32 s15, s28, s39
	s_lshl_b32 s21, s21, 3
	s_lshl_b32 s15, s15, 3
	v_fma_f64 v[130:131], -v[12:13], v[90:91], v[40:41]
	v_fma_f64 v[132:133], -v[18:19], v[42:43], v[116:117]
	v_mov_b32_e32 v41, s46
	v_fma_f64 v[78:79], -v[24:25], v[78:79], v[58:59]
	v_fma_f64 v[138:139], -v[30:31], v[68:69], v[64:65]
	;; [unrolled: 1-line block ×4, first 2 shown]
	ds_load_2addr_b64 v[41:44], v41 offset1:1
	v_fma_f64 v[134:135], -v[22:23], v[52:53], v[92:93]
	v_fma_f64 v[82:83], -v[20:21], v[82:83], v[54:55]
	;; [unrolled: 1-line block ×3, first 2 shown]
	v_mov_b32_e32 v45, s42
	v_fma_f64 v[140:141], -v[10:11], v[60:61], v[94:95]
	v_fma_f64 v[142:143], -v[2:3], v[8:9], v[62:63]
	v_dual_mov_b32 v8, s1 :: v_dual_mov_b32 v9, s25
	ds_load_2addr_b64 v[52:55], v45 offset1:1
	ds_load_2addr_b64 v[60:63], v67 offset1:1
	v_mov_b32_e32 v45, s47
	ds_load_2addr_b64 v[37:40], v8 offset1:1
	ds_load_2addr_b64 v[56:59], v9 offset1:1
	v_dual_mov_b32 v8, s27 :: v_dual_mov_b32 v9, s8
	ds_load_2addr_b64 v[64:67], v66 offset1:1
	ds_load_2addr_b64 v[68:71], v96 offset1:1
	;; [unrolled: 1-line block ×8, first 2 shown]
	s_waitcnt lgkmcnt(13)
	v_fma_f64 v[35:36], -v[6:7], v[35:36], v[102:103]
	v_fma_f64 v[102:103], -v[4:5], v[104:105], v[122:123]
	;; [unrolled: 1-line block ×3, first 2 shown]
	s_add_i32 s1, s23, s34
	s_add_i32 s8, s26, s36
	s_lshl_b32 s25, s44, 3
	s_lshl_b32 s1, s1, 3
	;; [unrolled: 1-line block ×4, first 2 shown]
	s_waitcnt lgkmcnt(12)
	v_fma_f64 v[43:44], -v[18:19], v[43:44], v[130:131]
	v_fma_f64 v[84:85], -v[16:17], v[84:85], v[132:133]
	s_waitcnt lgkmcnt(10)
	v_fma_f64 v[62:63], -v[30:31], v[62:63], v[78:79]
	v_fma_f64 v[72:73], -v[28:29], v[72:73], v[138:139]
	s_waitcnt lgkmcnt(9)
	v_fma_f64 v[39:40], -v[14:15], v[39:40], v[124:125]
	s_waitcnt lgkmcnt(7)
	v_fma_f64 v[66:67], -v[10:11], v[66:67], v[74:75]
	v_fma_f64 v[54:55], -v[22:23], v[54:55], v[86:87]
	v_mov_b32_e32 v79, s22
	v_fma_f64 v[80:81], -v[20:21], v[80:81], v[134:135]
	v_fma_f64 v[58:59], -v[26:27], v[58:59], v[82:83]
	;; [unrolled: 1-line block ×3, first 2 shown]
	v_mov_b32_e32 v82, s19
	v_mov_b32_e32 v78, s13
	;; [unrolled: 1-line block ×3, first 2 shown]
	s_add_i32 s9, s20, s30
	v_mul_f64 v[8:9], v[148:149], v[140:141]
	v_fma_f64 v[74:75], -v[0:1], v[126:127], v[142:143]
	s_lshl_b32 s9, s9, 3
	s_add_i32 s13, s23, s33
	s_add_i32 s19, s26, s35
	s_add_i32 s22, s28, s37
	s_lshl_b32 s13, s13, 3
	s_lshl_b32 s19, s19, 3
	;; [unrolled: 1-line block ×3, first 2 shown]
	s_waitcnt lgkmcnt(0)
	v_fma_f64 v[124:125], -v[4:5], v[120:121], v[35:36]
	v_fma_f64 v[126:127], -v[14:15], v[37:38], v[102:103]
	;; [unrolled: 1-line block ×3, first 2 shown]
	v_dual_mov_b32 v35, s25 :: v_dual_mov_b32 v120, s21
	s_add_i32 s21, s28, s36
	s_add_i32 s25, s29, s39
	s_lshl_b32 s21, s21, 3
	v_fma_f64 v[44:45], -v[16:17], v[112:113], v[43:44]
	v_fma_f64 v[112:113], -v[22:23], v[52:53], v[84:85]
	v_mov_b32_e32 v52, s8
	v_fma_f64 v[92:93], -v[28:29], v[92:93], v[62:63]
	v_fma_f64 v[134:135], -v[10:11], v[64:65], v[72:73]
	;; [unrolled: 1-line block ×3, first 2 shown]
	ds_load_2addr_b64 v[36:39], v82 offset1:1
	v_fma_f64 v[108:109], -v[20:21], v[108:109], v[54:55]
	ds_load_2addr_b64 v[52:55], v52 offset1:1
	v_fma_f64 v[130:131], -v[26:27], v[56:57], v[80:81]
	v_fma_f64 v[96:97], -v[24:25], v[96:97], v[58:59]
	;; [unrolled: 1-line block ×3, first 2 shown]
	v_mov_b32_e32 v56, s1
	v_mov_b32_e32 v80, s27
	s_add_i32 s1, s0, s14
	ds_load_2addr_b64 v[60:63], v35 offset1:1
	v_fma_f64 v[136:137], -v[8:9], v[70:71], v[66:67]
	ds_load_2addr_b64 v[56:59], v56 offset1:1
	v_fma_f64 v[138:139], -v[6:7], v[33:34], v[74:75]
	v_mov_b32_e32 v33, s10
	ds_load_2addr_b64 v[64:67], v79 offset1:1
	v_mov_b32_e32 v34, s24
	v_dual_mov_b32 v82, s7 :: v_dual_mov_b32 v35, s15
	ds_load_2addr_b64 v[40:43], v33 offset1:1
	ds_load_2addr_b64 v[70:73], v78 offset1:1
	ds_load_b64 v[32:33], v32
	ds_load_2addr_b64 v[74:77], v34 offset1:1
	ds_load_2addr_b64 v[78:81], v80 offset1:1
	;; [unrolled: 1-line block ×6, first 2 shown]
	s_lshl_b32 s7, s11, 5
	s_add_i32 s11, s23, s31
	s_waitcnt lgkmcnt(13)
	v_fma_f64 v[38:39], -v[14:15], v[38:39], v[124:125]
	v_fma_f64 v[114:115], -v[12:13], v[114:115], v[126:127]
	;; [unrolled: 1-line block ×3, first 2 shown]
	s_add_i32 s15, s26, s34
	s_add_i32 s24, s29, s38
	s_lshl_b32 s1, s1, 3
	s_lshl_b32 s11, s11, 3
	;; [unrolled: 1-line block ×4, first 2 shown]
	s_waitcnt lgkmcnt(12)
	v_fma_f64 v[44:45], -v[22:23], v[54:55], v[44:45]
	v_fma_f64 v[54:55], -v[20:21], v[106:107], v[112:113]
	s_add_i32 s8, s0, s7
	s_add_i32 s10, s20, s18
	s_waitcnt lgkmcnt(9)
	v_fma_f64 v[66:67], -v[10:11], v[66:67], v[92:93]
	v_fma_f64 v[68:69], -v[8:9], v[68:69], v[134:135]
	s_lshl_b32 s8, s8, 3
	s_waitcnt lgkmcnt(8)
	v_fma_f64 v[42:43], -v[18:19], v[42:43], v[116:117]
	v_fma_f64 v[58:59], -v[26:27], v[58:59], v[108:109]
	s_lshl_b32 s10, s10, 3
	v_fma_f64 v[94:95], -v[24:25], v[94:95], v[130:131]
	v_fma_f64 v[62:63], -v[30:31], v[62:63], v[96:97]
	;; [unrolled: 1-line block ×3, first 2 shown]
	v_mov_b32_e32 v92, s13
	v_mov_b32_e32 v108, s22
	s_add_i32 s13, s23, s18
	s_add_i32 s22, s28, s35
	s_waitcnt lgkmcnt(7)
	v_mul_f64 v[34:35], v[72:73], v[136:137]
	s_lshl_b32 s13, s13, 3
	v_fma_f64 v[72:73], -v[4:5], v[118:119], v[138:139]
	s_lshl_b32 s22, s22, 3
	s_waitcnt lgkmcnt(0)
	v_fma_f64 v[96:97], -v[12:13], v[122:123], v[38:39]
	v_fma_f64 v[116:117], -v[18:19], v[40:41], v[114:115]
	;; [unrolled: 1-line block ×3, first 2 shown]
	v_mov_b32_e32 v40, s21
	v_mov_b32_e32 v52, s15
	s_add_i32 s15, s26, s31
	s_add_i32 s21, s28, s34
	s_lshl_b32 s15, s15, 3
	s_lshl_b32 s21, s21, 3
	v_fma_f64 v[44:45], -v[20:21], v[88:89], v[44:45]
	v_fma_f64 v[124:125], -v[26:27], v[56:57], v[54:55]
	v_mov_b32_e32 v56, s11
	ds_load_2addr_b64 v[52:55], v52 offset1:1
	v_fma_f64 v[76:77], -v[8:9], v[76:77], v[66:67]
	v_mov_b32_e32 v88, s10
	s_add_i32 s11, s23, s30
	v_fma_f64 v[118:119], -v[16:17], v[104:105], v[42:43]
	v_fma_f64 v[84:85], -v[24:25], v[84:85], v[58:59]
	ds_load_2addr_b64 v[56:59], v56 offset1:1
	v_fma_f64 v[126:127], -v[30:31], v[60:61], v[94:95]
	v_fma_f64 v[80:81], -v[28:29], v[80:81], v[62:63]
	;; [unrolled: 1-line block ×3, first 2 shown]
	v_mov_b32_e32 v64, s1
	v_mov_b32_e32 v60, s9
	;; [unrolled: 1-line block ×3, first 2 shown]
	ds_load_2addr_b64 v[40:43], v40 offset1:1
	v_fma_f64 v[130:131], -v[34:35], v[70:71], v[68:69]
	ds_load_2addr_b64 v[64:67], v64 offset1:1
	v_fma_f64 v[72:73], -v[14:15], v[36:37], v[72:73]
	v_mov_b32_e32 v36, s24
	ds_load_2addr_b64 v[60:63], v60 offset1:1
	v_mov_b32_e32 v68, s8
	s_lshl_b32 s24, s25, 3
	s_add_i32 s8, s3, 0xfffffd60
	ds_load_2addr_b64 v[36:39], v36 offset1:1
	v_mov_b32_e32 v112, s24
	ds_load_2addr_b64 v[68:71], v68 offset1:1
	ds_load_2addr_b64 v[88:91], v88 offset1:1
	;; [unrolled: 1-line block ×6, first 2 shown]
	s_add_i32 s1, s6, 0xffffe950
	s_add_i32 s9, s0, s8
	;; [unrolled: 1-line block ×3, first 2 shown]
	v_fma_f64 v[86:87], -v[20:21], v[86:87], v[122:123]
	s_lshl_b32 s9, s9, 3
	s_lshl_b32 s11, s11, 3
	;; [unrolled: 1-line block ×3, first 2 shown]
	s_add_i32 s10, s20, s7
	s_add_i32 s19, s26, s33
	s_lshl_b32 s10, s10, 3
	s_waitcnt lgkmcnt(11)
	v_fma_f64 v[44:45], -v[26:27], v[54:55], v[44:45]
	v_fma_f64 v[54:55], -v[24:25], v[82:83], v[124:125]
	s_add_i32 s25, s29, s37
	s_lshl_b32 s19, s19, 3
	s_waitcnt lgkmcnt(8)
	v_fma_f64 v[66:67], -v[34:35], v[66:67], v[76:77]
	v_mov_b32_e32 v76, s1
	s_add_i32 s1, s20, s14
	s_waitcnt lgkmcnt(6)
	v_fma_f64 v[38:39], -v[18:19], v[38:39], v[96:97]
	v_fma_f64 v[96:97], -v[16:17], v[102:103], v[116:117]
	;; [unrolled: 1-line block ×7, first 2 shown]
	s_lshl_b32 s1, s1, 3
	v_mov_b32_e32 v82, s22
	s_add_i32 s22, s29, s34
	v_mul_f64 v[32:33], v[32:33], v[130:131]
	s_lshl_b32 s22, s22, 3
	v_fma_f64 v[72:73], -v[12:13], v[120:121], v[72:73]
	v_fma_f64 v[86:87], -v[26:27], v[52:53], v[86:87]
	v_mov_b32_e32 v52, s15
	s_add_i32 s15, s26, s18
	s_waitcnt lgkmcnt(2)
	v_fma_f64 v[44:45], -v[24:25], v[106:107], v[44:45]
	v_fma_f64 v[106:107], -v[30:31], v[56:57], v[54:55]
	v_mov_b32_e32 v56, s11
	ds_load_2addr_b64 v[52:55], v52 offset1:1
	s_add_i32 s11, s23, s7
	s_delay_alu instid0(SALU_CYCLE_1)
	s_lshl_b32 s11, s11, 3
	s_waitcnt lgkmcnt(1)
	v_fma_f64 v[102:103], -v[16:17], v[114:115], v[38:39]
	v_fma_f64 v[114:115], -v[22:23], v[40:41], v[96:97]
	;; [unrolled: 1-line block ×4, first 2 shown]
	ds_load_2addr_b64 v[56:59], v56 offset1:1
	v_fma_f64 v[118:119], -v[10:11], v[60:61], v[78:79]
	v_fma_f64 v[90:91], -v[8:9], v[90:91], v[62:63]
	;; [unrolled: 1-line block ×3, first 2 shown]
	v_mov_b32_e32 v40, s21
	v_mov_b32_e32 v60, s1
	v_fma_f64 v[122:123], -v[32:33], v[70:71], v[66:67]
	v_mov_b32_e32 v64, s9
	v_fma_f64 v[124:125], -v[18:19], v[36:37], v[72:73]
	v_mov_b32_e32 v36, s24
	ds_load_2addr_b64 v[40:43], v40 offset1:1
	ds_load_2addr_b64 v[60:63], v60 offset1:1
	ds_load_2addr_b64 v[64:67], v64 offset1:1
	v_mov_b32_e32 v70, s10
	ds_load_2addr_b64 v[36:39], v36 offset1:1
	s_lshl_b32 s21, s25, 3
	v_mov_b32_e32 v74, s13
	v_mov_b32_e32 v78, s19
	;; [unrolled: 1-line block ×3, first 2 shown]
	ds_load_b64 v[126:127], v76
	ds_load_2addr_b64 v[70:73], v70 offset1:1
	ds_load_2addr_b64 v[74:77], v74 offset1:1
	;; [unrolled: 1-line block ×5, first 2 shown]
	v_fma_f64 v[86:87], -v[24:25], v[104:105], v[86:87]
	s_add_i32 s19, s28, s31
	s_lshl_b32 s9, s0, 5
	s_lshl_b32 s19, s19, 3
	s_add_i32 s0, s20, s8
	s_add_i32 s10, s23, s14
	;; [unrolled: 1-line block ×3, first 2 shown]
	s_waitcnt lgkmcnt(11)
	v_fma_f64 v[44:45], -v[30:31], v[54:55], v[44:45]
	v_fma_f64 v[54:55], -v[28:29], v[92:93], v[106:107]
	s_lshl_b32 s0, s0, 3
	s_lshl_b32 s10, s10, 3
	;; [unrolled: 1-line block ×3, first 2 shown]
	s_add_i32 s1, s20, s9
	s_add_i32 s21, s28, s33
	s_waitcnt lgkmcnt(6)
	v_fma_f64 v[102:103], -v[22:23], v[38:39], v[102:103]
	v_fma_f64 v[108:109], -v[20:21], v[108:109], v[114:115]
	v_fma_f64 v[42:43], -v[26:27], v[42:43], v[110:111]
	v_fma_f64 v[58:59], -v[10:11], v[58:59], v[116:117]
	s_lshl_b32 s1, s1, 3
	v_fma_f64 v[88:89], -v[8:9], v[88:89], v[118:119]
	v_fma_f64 v[62:63], -v[34:35], v[62:63], v[90:91]
	;; [unrolled: 1-line block ×3, first 2 shown]
	s_add_i32 s24, s29, s35
	v_mul_f64 v[38:39], v[66:67], v[122:123]
	v_fma_f64 v[66:67], -v[16:17], v[112:113], v[124:125]
	v_fma_f64 v[116:117], -v[30:31], v[52:53], v[86:87]
	s_waitcnt lgkmcnt(2)
	v_fma_f64 v[44:45], -v[28:29], v[80:81], v[44:45]
	v_fma_f64 v[80:81], -v[10:11], v[56:57], v[54:55]
	v_mov_b32_e32 v56, s13
	s_lshl_b32 s13, s24, 3
	s_add_i32 s24, s29, s33
	v_mov_b32_e32 v110, s13
	s_add_i32 s13, s26, s14
	s_waitcnt lgkmcnt(0)
	v_fma_f64 v[92:93], -v[20:21], v[96:97], v[102:103]
	v_fma_f64 v[96:97], -v[26:27], v[40:41], v[108:109]
	;; [unrolled: 1-line block ×4, first 2 shown]
	ds_load_2addr_b64 v[56:59], v56 offset1:1
	v_fma_f64 v[118:119], -v[34:35], v[60:61], v[88:89]
	v_fma_f64 v[72:73], -v[32:33], v[72:73], v[62:63]
	s_lshl_b32 s13, s13, 3
	v_fma_f64 v[68:69], -v[38:39], v[64:65], v[68:69]
	v_fma_f64 v[120:121], -v[22:23], v[36:37], v[66:67]
	v_dual_mov_b32 v36, s22 :: v_dual_mov_b32 v37, s19
	s_add_i32 s19, s28, s30
	s_add_i32 s22, s29, s31
	s_lshl_b32 s19, s19, 3
	ds_load_2addr_b64 v[40:43], v36 offset1:1
	ds_load_2addr_b64 v[52:55], v37 offset1:1
	v_dual_mov_b32 v36, s10 :: v_dual_mov_b32 v37, s0
	s_lshl_b32 s0, s15, 3
	s_lshl_b32 s10, s21, 3
	v_mov_b32_e32 v102, s0
	ds_load_2addr_b64 v[60:63], v36 offset1:1
	ds_load_2addr_b64 v[64:67], v37 offset1:1
	v_dual_mov_b32 v36, s1 :: v_dual_mov_b32 v37, s11
	v_mov_b32_e32 v106, s10
	ds_load_2addr_b64 v[84:87], v36 offset1:1
	ds_load_2addr_b64 v[88:91], v37 offset1:1
	;; [unrolled: 1-line block ×5, first 2 shown]
	v_fma_f64 v[78:79], -v[28:29], v[78:79], v[116:117]
	s_waitcnt lgkmcnt(9)
	v_fma_f64 v[44:45], -v[10:11], v[58:59], v[44:45]
	v_fma_f64 v[58:59], -v[8:9], v[74:75], v[80:81]
	s_add_i32 s0, s3, 0xfffffd20
	s_add_i32 s1, s6, 0xffffe740
	s_waitcnt lgkmcnt(8)
	v_fma_f64 v[42:43], -v[26:27], v[42:43], v[92:93]
	v_fma_f64 v[82:83], -v[24:25], v[82:83], v[96:97]
	s_waitcnt lgkmcnt(7)
	v_fma_f64 v[54:55], -v[30:31], v[54:55], v[114:115]
	s_add_i32 s10, s20, s0
	s_lshl_b32 s22, s22, 3
	v_fma_f64 v[70:71], -v[32:33], v[70:71], v[118:119]
	s_lshl_b32 s10, s10, 3
	s_waitcnt lgkmcnt(6)
	v_fma_f64 v[62:63], -v[34:35], v[62:63], v[76:77]
	s_waitcnt lgkmcnt(5)
	v_fma_f64 v[66:67], -v[38:39], v[66:67], v[72:73]
	v_mov_b32_e32 v72, s1
	v_mul_f64 v[36:37], v[126:127], v[68:69]
	s_add_i32 s1, s23, s8
	v_fma_f64 v[68:69], -v[20:21], v[94:95], v[120:121]
	s_lshl_b32 s1, s1, 3
	s_add_i32 s11, s23, s9
	s_add_i32 s15, s26, s7
	;; [unrolled: 1-line block ×3, first 2 shown]
	s_waitcnt lgkmcnt(2)
	v_fma_f64 v[44:45], -v[8:9], v[104:105], v[44:45]
	v_fma_f64 v[104:105], -v[34:35], v[60:61], v[58:59]
	v_mov_b32_e32 v60, s1
	s_lshl_b32 s1, s11, 3
	s_waitcnt lgkmcnt(0)
	v_fma_f64 v[92:93], -v[24:25], v[112:113], v[42:43]
	v_fma_f64 v[94:95], -v[30:31], v[52:53], v[82:83]
	;; [unrolled: 1-line block ×4, first 2 shown]
	v_mov_b32_e32 v52, s19
	v_fma_f64 v[112:113], -v[38:39], v[64:65], v[70:71]
	v_mov_b32_e32 v56, s13
	v_fma_f64 v[90:91], -v[32:33], v[90:91], v[62:63]
	v_mov_b32_e32 v64, s10
	ds_load_2addr_b64 v[52:55], v52 offset1:1
	v_fma_f64 v[86:87], -v[36:37], v[86:87], v[66:67]
	ds_load_2addr_b64 v[56:59], v56 offset1:1
	ds_load_2addr_b64 v[60:63], v60 offset1:1
	v_fma_f64 v[114:115], -v[26:27], v[40:41], v[68:69]
	v_mov_b32_e32 v40, s22
	ds_load_2addr_b64 v[64:67], v64 offset1:1
	s_lshl_b32 s10, s15, 3
	s_lshl_b32 s11, s21, 3
	v_mov_b32_e32 v68, s1
	ds_load_2addr_b64 v[40:43], v40 offset1:1
	s_lshl_b32 s13, s24, 3
	v_dual_mov_b32 v73, s10 :: v_dual_mov_b32 v76, s11
	v_mov_b32_e32 v80, s13
	ds_load_b64 v[116:117], v72
	ds_load_2addr_b64 v[68:71], v68 offset1:1
	ds_load_2addr_b64 v[72:75], v73 offset1:1
	;; [unrolled: 1-line block ×4, first 2 shown]
	s_lshl_b32 s1, s20, 5
	s_add_i32 s19, s29, s30
	s_add_i32 s20, s28, s14
	s_lshl_b32 s19, s19, 3
	s_lshl_b32 s20, s20, 3
	s_add_i32 s10, s23, s0
	s_add_i32 s13, s26, s8
	s_lshl_b32 s10, s10, 3
	s_lshl_b32 s13, s13, 3
	s_waitcnt lgkmcnt(8)
	v_fma_f64 v[44:45], -v[34:35], v[58:59], v[44:45]
	v_fma_f64 v[58:59], -v[32:33], v[88:89], v[104:105]
	s_add_i32 s11, s23, s1
	s_add_i32 s15, s26, s9
	s_lshl_b32 s11, s11, 3
	s_waitcnt lgkmcnt(5)
	v_fma_f64 v[92:93], -v[30:31], v[42:43], v[92:93]
	v_fma_f64 v[94:95], -v[28:29], v[106:107], v[94:95]
	;; [unrolled: 1-line block ×5, first 2 shown]
	s_lshl_b32 s15, s15, 3
	v_fma_f64 v[62:63], -v[38:39], v[62:63], v[90:91]
	s_add_i32 s14, s29, s14
	v_mul_f64 v[42:43], v[66:67], v[86:87]
	s_lshl_b32 s14, s14, 3
	v_fma_f64 v[66:67], -v[24:25], v[110:111], v[114:115]
	s_waitcnt lgkmcnt(2)
	v_fma_f64 v[44:45], -v[32:33], v[74:75], v[44:45]
	v_fma_f64 v[74:75], -v[38:39], v[60:61], v[58:59]
	v_mov_b32_e32 v60, s13
	s_add_i32 s13, s29, s18
	s_add_i32 s18, s28, s8
	s_waitcnt lgkmcnt(0)
	v_fma_f64 v[102:103], -v[28:29], v[82:83], v[92:93]
	v_fma_f64 v[104:105], -v[10:11], v[52:53], v[94:95]
	;; [unrolled: 1-line block ×4, first 2 shown]
	s_lshl_b32 s13, s13, 3
	s_lshl_b32 s18, s18, 3
	v_fma_f64 v[70:71], -v[36:37], v[70:71], v[62:63]
	ds_load_2addr_b64 v[60:63], v60 offset1:1
	v_mov_b32_e32 v94, s13
	v_fma_f64 v[108:109], -v[42:43], v[64:65], v[84:85]
	s_add_i32 s8, s29, s8
	v_fma_f64 v[110:111], -v[30:31], v[40:41], v[66:67]
	v_dual_mov_b32 v40, s19 :: v_dual_mov_b32 v41, s20
	s_lshl_b32 s8, s8, 3
	ds_load_2addr_b64 v[52:55], v40 offset1:1
	ds_load_2addr_b64 v[56:59], v41 offset1:1
	v_mov_b32_e32 v40, s10
	s_add_i32 s10, s28, s7
	v_mov_b32_e32 v41, s15
	s_lshl_b32 s10, s10, 3
	s_add_i32 s15, s26, s0
	ds_load_2addr_b64 v[64:67], v40 offset1:1
	v_mov_b32_e32 v40, s11
	v_mov_b32_e32 v90, s10
	ds_load_2addr_b64 v[82:85], v40 offset1:1
	ds_load_2addr_b64 v[86:89], v41 offset1:1
	;; [unrolled: 1-line block ×4, first 2 shown]
	s_add_i32 s10, s3, 0xfffffce0
	s_waitcnt lgkmcnt(7)
	v_fma_f64 v[44:45], -v[38:39], v[62:63], v[44:45]
	v_fma_f64 v[62:63], -v[36:37], v[68:69], v[74:75]
	s_add_i32 s13, s23, s10
	s_add_i32 s11, s6, 0xffffe530
	s_lshl_b32 s13, s13, 3
	s_waitcnt lgkmcnt(6)
	v_fma_f64 v[54:55], -v[10:11], v[54:55], v[102:103]
	v_fma_f64 v[76:77], -v[8:9], v[76:77], v[104:105]
	s_waitcnt lgkmcnt(5)
	v_fma_f64 v[58:59], -v[34:35], v[58:59], v[78:79]
	v_fma_f64 v[72:73], -v[32:33], v[72:73], v[106:107]
	s_add_i32 s7, s29, s7
	s_delay_alu instid0(SALU_CYCLE_1)
	s_lshl_b32 s7, s7, 3
	s_waitcnt lgkmcnt(4)
	v_fma_f64 v[66:67], -v[42:43], v[66:67], v[70:71]
	v_mul_f64 v[40:41], v[116:117], v[108:109]
	v_fma_f64 v[68:69], -v[28:29], v[80:81], v[110:111]
	s_waitcnt lgkmcnt(2)
	v_fma_f64 v[44:45], -v[36:37], v[88:89], v[44:45]
	v_fma_f64 v[88:89], -v[42:43], v[64:65], v[62:63]
	v_mov_b32_e32 v64, s13
	s_add_i32 s13, s28, s9
	s_add_i32 s9, s29, s9
	s_waitcnt lgkmcnt(0)
	v_fma_f64 v[80:81], -v[8:9], v[96:97], v[54:55]
	v_fma_f64 v[96:97], -v[34:35], v[56:57], v[76:77]
	;; [unrolled: 1-line block ×4, first 2 shown]
	v_mov_b32_e32 v56, s18
	s_lshl_b32 s13, s13, 3
	v_mov_b32_e32 v76, s7
	v_mov_b32_e32 v72, s13
	s_add_i32 s7, s26, s10
	v_fma_f64 v[84:85], -v[40:41], v[84:85], v[66:67]
	ds_load_2addr_b64 v[56:59], v56 offset1:1
	ds_load_2addr_b64 v[64:67], v64 offset1:1
	v_fma_f64 v[104:105], -v[10:11], v[52:53], v[68:69]
	v_mov_b32_e32 v52, s14
	s_lshl_b32 s14, s15, 3
	v_mov_b32_e32 v68, s11
	v_mov_b32_e32 v60, s14
	s_add_i32 s11, s26, s1
	ds_load_2addr_b64 v[52:55], v52 offset1:1
	s_lshl_b32 s11, s11, 3
	s_lshl_b32 s7, s7, 3
	ds_load_2addr_b64 v[60:63], v60 offset1:1
	v_mov_b32_e32 v69, s11
	ds_load_b64 v[106:107], v68
	ds_load_2addr_b64 v[68:71], v69 offset1:1
	ds_load_2addr_b64 v[72:75], v72 offset1:1
	;; [unrolled: 1-line block ×3, first 2 shown]
	s_add_i32 s11, s28, s0
	s_lshl_b32 s9, s9, 3
	s_lshl_b32 s11, s11, 3
	s_add_i32 s0, s29, s0
	s_delay_alu instid0(SALU_CYCLE_1)
	s_lshl_b32 s0, s0, 3
	s_waitcnt lgkmcnt(5)
	v_fma_f64 v[80:81], -v[34:35], v[54:55], v[80:81]
	v_fma_f64 v[90:91], -v[32:33], v[90:91], v[96:97]
	;; [unrolled: 1-line block ×4, first 2 shown]
	s_waitcnt lgkmcnt(4)
	v_fma_f64 v[44:45], -v[42:43], v[62:63], v[44:45]
	v_fma_f64 v[62:63], -v[40:41], v[82:83], v[88:89]
	v_mul_f64 v[54:55], v[66:67], v[84:85]
	v_fma_f64 v[66:67], -v[8:9], v[94:95], v[104:105]
	s_waitcnt lgkmcnt(0)
	v_fma_f64 v[92:93], -v[32:33], v[78:79], v[80:81]
	v_fma_f64 v[90:91], -v[38:39], v[56:57], v[90:91]
	;; [unrolled: 1-line block ×5, first 2 shown]
	v_mov_b32_e32 v86, s9
	v_fma_f64 v[70:71], -v[54:55], v[64:65], v[62:63]
	v_mov_b32_e32 v64, s7
	s_lshl_b32 s7, s23, 5
	v_fma_f64 v[96:97], -v[34:35], v[52:53], v[66:67]
	v_dual_mov_b32 v52, s8 :: v_dual_mov_b32 v53, s11
	ds_load_2addr_b64 v[56:59], v52 offset1:1
	ds_load_2addr_b64 v[60:63], v53 offset1:1
	;; [unrolled: 1-line block ×3, first 2 shown]
	s_add_i32 s8, s26, s7
	s_add_i32 s11, s28, s1
	s_lshl_b32 s8, s8, 3
	s_lshl_b32 s11, s11, 3
	s_delay_alu instid0(SALU_CYCLE_1)
	v_dual_mov_b32 v52, s8 :: v_dual_mov_b32 v53, s11
	ds_load_2addr_b64 v[78:81], v52 offset1:1
	ds_load_2addr_b64 v[82:85], v53 offset1:1
	;; [unrolled: 1-line block ×3, first 2 shown]
	s_add_i32 s8, s3, 0xfffffca0
	s_add_i32 s11, s28, s10
	;; [unrolled: 1-line block ×3, first 2 shown]
	s_lshl_b32 s11, s11, 3
	s_add_i32 s1, s29, s1
	s_delay_alu instid0(SALU_CYCLE_1)
	s_lshl_b32 s1, s1, 3
	s_waitcnt lgkmcnt(5)
	v_fma_f64 v[58:59], -v[38:39], v[58:59], v[92:93]
	v_fma_f64 v[72:73], -v[36:37], v[72:73], v[90:91]
	s_waitcnt lgkmcnt(4)
	v_fma_f64 v[62:63], -v[42:43], v[62:63], v[74:75]
	v_fma_f64 v[68:69], -v[40:41], v[68:69], v[94:95]
	s_waitcnt lgkmcnt(3)
	v_fma_f64 v[44:45], -v[54:55], v[66:67], v[44:45]
	v_mul_f64 v[52:53], v[106:107], v[70:71]
	v_fma_f64 v[66:67], -v[32:33], v[76:77], v[96:97]
	s_waitcnt lgkmcnt(0)
	v_fma_f64 v[76:77], -v[36:37], v[88:89], v[58:59]
	v_fma_f64 v[88:89], -v[42:43], v[60:61], v[72:73]
	;; [unrolled: 1-line block ×4, first 2 shown]
	v_mov_b32_e32 v60, s11
	v_mov_b32_e32 v72, s1
	s_add_i32 s1, s28, s8
	s_delay_alu instid0(SALU_CYCLE_1) | instskip(SKIP_4) | instid1(SALU_CYCLE_1)
	s_lshl_b32 s1, s1, 3
	v_fma_f64 v[44:45], -v[52:53], v[80:81], v[44:45]
	v_fma_f64 v[80:81], -v[38:39], v[56:57], v[66:67]
	v_mov_b32_e32 v56, s0
	s_lshl_b32 s0, s9, 3
	v_mov_b32_e32 v64, s0
	ds_load_2addr_b64 v[56:59], v56 offset1:1
	ds_load_2addr_b64 v[60:63], v60 offset1:1
	;; [unrolled: 1-line block ×3, first 2 shown]
	s_add_i32 s0, s6, 0xffffe320
	s_delay_alu instid0(SALU_CYCLE_1)
	v_mov_b32_e32 v68, s0
	s_add_i32 s0, s28, s7
	s_add_i32 s7, s29, s7
	s_lshl_b32 s0, s0, 3
	s_lshl_b32 s7, s7, 3
	v_mov_b32_e32 v69, s0
	ds_load_b64 v[92:93], v68
	ds_load_2addr_b64 v[68:71], v69 offset1:1
	ds_load_2addr_b64 v[72:75], v72 offset1:1
	s_add_i32 s0, s29, s10
	s_delay_alu instid0(SALU_CYCLE_1)
	s_lshl_b32 s0, s0, 3
	s_waitcnt lgkmcnt(5)
	v_fma_f64 v[76:77], -v[42:43], v[58:59], v[76:77]
	v_fma_f64 v[82:83], -v[40:41], v[82:83], v[88:89]
	s_waitcnt lgkmcnt(4)
	v_fma_f64 v[62:63], -v[54:55], v[62:63], v[84:85]
	v_fma_f64 v[78:79], -v[52:53], v[78:79], v[90:91]
	s_waitcnt lgkmcnt(3)
	v_mul_f64 v[58:59], v[66:67], v[44:45]
	v_fma_f64 v[44:45], -v[36:37], v[86:87], v[80:81]
	s_waitcnt lgkmcnt(0)
	v_fma_f64 v[84:85], -v[40:41], v[74:75], v[76:77]
	v_fma_f64 v[82:83], -v[54:55], v[60:61], v[82:83]
	;; [unrolled: 1-line block ×5, first 2 shown]
	v_dual_mov_b32 v56, s0 :: v_dual_mov_b32 v57, s1
	ds_load_2addr_b64 v[60:63], v56 offset1:1
	ds_load_2addr_b64 v[64:67], v57 offset1:1
	s_lshl_b32 s0, s26, 5
	v_mov_b32_e32 v57, s7
	s_add_i32 s1, s28, s0
	s_add_i32 s7, s29, s8
	s_lshl_b32 s1, s1, 3
	s_lshl_b32 s7, s7, 3
	v_mov_b32_e32 v56, s1
	ds_load_2addr_b64 v[74:77], v56 offset1:1
	ds_load_2addr_b64 v[78:81], v57 offset1:1
	s_add_i32 s1, s3, 0xfffffc60
	s_add_i32 s0, s29, s0
	;; [unrolled: 1-line block ×3, first 2 shown]
	s_lshl_b32 s0, s0, 3
	s_lshl_b32 s8, s8, 3
	s_add_i32 s3, s3, s29
	s_waitcnt lgkmcnt(3)
	v_fma_f64 v[62:63], -v[54:55], v[62:63], v[84:85]
	v_fma_f64 v[68:69], -v[52:53], v[68:69], v[82:83]
	s_waitcnt lgkmcnt(2)
	v_fma_f64 v[66:67], -v[58:59], v[66:67], v[70:71]
	v_mul_f64 v[56:57], v[92:93], v[86:87]
	v_fma_f64 v[44:45], -v[40:41], v[72:73], v[44:45]
	s_waitcnt lgkmcnt(0)
	v_fma_f64 v[72:73], -v[52:53], v[80:81], v[62:63]
	v_fma_f64 v[80:81], -v[58:59], v[64:65], v[68:69]
	v_dual_mov_b32 v64, s8 :: v_dual_mov_b32 v69, s0
	s_add_i32 s0, s29, s1
	s_delay_alu instid0(SALU_CYCLE_1)
	s_lshl_b32 s0, s0, 3
	v_fma_f64 v[76:77], -v[56:57], v[76:77], v[66:67]
	v_fma_f64 v[44:45], -v[54:55], v[60:61], v[44:45]
	v_mov_b32_e32 v60, s7
	ds_load_2addr_b64 v[60:63], v60 offset1:1
	ds_load_2addr_b64 v[64:67], v64 offset1:1
	s_add_i32 s7, s6, 0xffffe110
	s_delay_alu instid0(SALU_CYCLE_1)
	v_mov_b32_e32 v68, s7
	ds_load_b64 v[82:83], v68
	ds_load_2addr_b64 v[68:71], v69 offset1:1
	s_waitcnt lgkmcnt(3)
	v_fma_f64 v[72:73], -v[58:59], v[62:63], v[72:73]
	v_fma_f64 v[74:75], -v[56:57], v[74:75], v[80:81]
	s_waitcnt lgkmcnt(2)
	v_mul_f64 v[62:63], v[66:67], v[76:77]
	v_fma_f64 v[44:45], -v[52:53], v[78:79], v[44:45]
	s_waitcnt lgkmcnt(0)
	s_delay_alu instid0(VALU_DEP_4) | instskip(NEXT) | instid1(VALU_DEP_3)
	v_fma_f64 v[76:77], -v[56:57], v[70:71], v[72:73]
	v_fma_f64 v[74:75], -v[62:63], v[64:65], v[74:75]
	s_delay_alu instid0(VALU_DEP_3) | instskip(SKIP_2) | instid1(SALU_CYCLE_1)
	v_fma_f64 v[44:45], -v[58:59], v[60:61], v[44:45]
	v_mov_b32_e32 v60, s0
	s_lshl_b32 s0, s28, 5
	s_add_i32 s0, s29, s0
	ds_load_2addr_b64 v[64:67], v60 offset1:1
	s_lshl_b32 s0, s0, 3
	s_delay_alu instid0(SALU_CYCLE_1)
	v_mov_b32_e32 v60, s0
	s_lshl_b32 s0, s3, 3
	s_ashr_i32 s3, s2, 31
	s_addk_i32 s0, 0xe100
	ds_load_2addr_b64 v[70:73], v60 offset1:1
	s_waitcnt lgkmcnt(1)
	v_fma_f64 v[66:67], -v[62:63], v[66:67], v[76:77]
	v_mul_f64 v[60:61], v[82:83], v[74:75]
	v_fma_f64 v[44:45], -v[56:57], v[68:69], v[44:45]
	s_waitcnt lgkmcnt(0)
	s_delay_alu instid0(VALU_DEP_2) | instskip(NEXT) | instid1(VALU_DEP_2)
	v_fma_f64 v[68:69], -v[60:61], v[72:73], v[66:67]
	v_fma_f64 v[44:45], -v[62:63], v[64:65], v[44:45]
	v_mov_b32_e32 v64, s0
	s_add_i32 s0, s6, 0xffffdf00
	s_lshl_b64 s[6:7], s[2:3], 3
	v_mov_b32_e32 v72, s0
	ds_load_2addr_b64 v[64:67], v64 offset1:1
	ds_load_b64 v[72:73], v72
	s_waitcnt lgkmcnt(1)
	v_mul_f64 v[66:67], v[66:67], v[68:69]
	v_fma_f64 v[44:45], -v[60:61], v[70:71], v[44:45]
	s_delay_alu instid0(VALU_DEP_1) | instskip(SKIP_1) | instid1(VALU_DEP_1)
	v_fma_f64 v[44:45], -v[66:67], v[64:65], v[44:45]
	s_waitcnt lgkmcnt(0)
	v_mul_f64 v[64:65], v[72:73], v[44:45]
	v_add_co_u32 v44, vcc_lo, v98, s6
	v_add_co_ci_u32_e32 v45, vcc_lo, s7, v99, vcc_lo
	s_sub_i32 s6, s2, 33
	s_clause 0x10
	global_store_b64 v[46:47], v[48:49], off
	global_store_b64 v[44:45], v[50:51], off offset:-16
	global_store_b128 v[44:45], v[0:3], off offset:-32
	global_store_b128 v[44:45], v[4:7], off offset:-48
	;; [unrolled: 1-line block ×15, first 2 shown]
.LBB103_38:
	s_cmp_gt_i32 s6, -1
	s_cbranch_scc0 .LBB103_57
; %bb.39:
	s_cmp_lt_u32 s6, 27
	s_cbranch_scc1 .LBB103_44
; %bb.40:
	s_mov_b32 s7, 0
	s_delay_alu instid0(SALU_CYCLE_1)
	s_lshl_b64 s[8:9], s[6:7], 3
	s_cmp_le_i32 s12, s6
	v_add_co_u32 v44, vcc_lo, v98, s8
	v_add_co_ci_u32_e32 v45, vcc_lo, s9, v99, vcc_lo
	s_clause 0xd
	global_load_b128 v[0:3], v[44:45], off offset:-8
	global_load_b128 v[4:7], v[44:45], off offset:-24
	;; [unrolled: 1-line block ×14, first 2 shown]
	s_waitcnt vmcnt(13)
	v_mul_f64 v[26:27], v[2:3], s[4:5]
	v_mul_f64 v[28:29], v[0:1], s[4:5]
	s_waitcnt vmcnt(12)
	v_mul_f64 v[24:25], v[6:7], s[4:5]
	v_mul_f64 v[22:23], v[4:5], s[4:5]
	;; [unrolled: 3-line block ×14, first 2 shown]
	s_cbranch_scc1 .LBB103_43
; %bb.41:
	s_lshl_b32 s3, s2, 8
	s_lshl_b32 s7, s6, 3
	s_ashr_i32 s13, s12, 31
	s_add_i32 s3, s3, s7
	s_lshl_b64 s[8:9], s[12:13], 3
	s_addk_i32 s3, 0xfe28
	s_add_u32 s7, s16, s8
	s_addc_u32 s8, s17, s9
	s_add_u32 s7, s7, s58
	s_addc_u32 s8, s8, s59
	v_add_co_u32 v30, vcc_lo, s7, v100
	v_add_co_ci_u32_e32 v31, vcc_lo, s8, v101, vcc_lo
	s_mov_b32 s7, s12
.LBB103_42:                             ; =>This Inner Loop Header: Depth=1
	global_load_b64 v[96:97], v[30:31], off
	v_mov_b32_e32 v118, s3
	v_add_co_u32 v30, vcc_lo, v30, -8
	v_add_co_ci_u32_e32 v31, vcc_lo, -1, v31, vcc_lo
	ds_load_2addr_b64 v[32:35], v118 offset0:26 offset1:27
	ds_load_2addr_b64 v[36:39], v118 offset0:24 offset1:25
	;; [unrolled: 1-line block ×13, first 2 shown]
	ds_load_2addr_b64 v[118:121], v118 offset1:1
	s_add_i32 s7, s7, -1
	s_addk_i32 s3, 0xff00
	s_cmp_gt_i32 s7, s6
	s_waitcnt vmcnt(0) lgkmcnt(13)
	v_fma_f64 v[26:27], -v[96:97], v[34:35], v[26:27]
	v_fma_f64 v[28:29], -v[96:97], v[32:33], v[28:29]
	s_waitcnt lgkmcnt(12)
	v_fma_f64 v[24:25], -v[96:97], v[38:39], v[24:25]
	v_fma_f64 v[22:23], -v[96:97], v[36:37], v[22:23]
	s_waitcnt lgkmcnt(11)
	;; [unrolled: 3-line block ×13, first 2 shown]
	v_fma_f64 v[52:53], -v[96:97], v[120:121], v[52:53]
	v_fma_f64 v[50:51], -v[96:97], v[118:119], v[50:51]
	s_cbranch_scc1 .LBB103_42
.LBB103_43:
	s_add_i32 s8, s6, -1
	s_lshl_b32 s7, s6, 5
	s_add_i32 s13, s6, -3
	s_add_i32 s3, s8, s7
	s_lshl_b32 s11, s8, 5
	s_lshl_b32 s3, s3, 3
	s_add_i32 s8, s13, s11
	v_mov_b32_e32 v30, s3
	s_mul_i32 s3, s6, 0x108
	s_sub_i32 s10, s7, 64
	s_add_i32 s9, s3, 0xfffffef8
	s_add_i32 s24, s6, -13
	ds_load_2addr_b64 v[30:33], v30 offset1:1
	v_mov_b32_e32 v34, s9
	s_add_i32 s9, s13, s7
	s_lshl_b32 s8, s8, 3
	s_lshl_b32 s9, s9, 3
	s_add_i32 s27, s24, s10
	ds_load_b64 v[34:35], v34
	s_lshl_b32 s27, s27, 3
	s_add_i32 s14, s13, s10
	s_add_i32 s34, s7, 0xffffff00
	;; [unrolled: 1-line block ×3, first 2 shown]
	s_lshl_b32 s14, s14, 3
	v_mov_b32_e32 v116, s39
	s_add_i32 s39, s24, s34
	s_add_i32 s15, s6, -7
	s_lshl_b32 s39, s39, 3
	s_lshl_b32 s13, s13, 5
	s_add_i32 s20, s6, -9
	s_add_i32 s19, s15, s10
	s_add_i32 s22, s6, -11
	s_waitcnt lgkmcnt(1)
	v_mul_f64 v[46:47], v[32:33], v[26:27]
	v_mov_b32_e32 v26, s9
	s_add_i32 s9, s6, -5
	s_lshl_b32 s19, s19, 3
	s_add_i32 s28, s24, s13
	s_lshl_b32 s35, s20, 5
	s_add_i32 s36, s3, 0xfffff6b8
	s_add_i32 s40, s3, 0xfffff298
	;; [unrolled: 1-line block ×3, first 2 shown]
	v_mov_b32_e32 v128, s40
	s_delay_alu instid0(VALU_DEP_3) | instskip(SKIP_3) | instid1(SALU_CYCLE_1)
	v_fma_f64 v[36:37], -v[46:47], v[30:31], v[28:29]
	ds_load_2addr_b64 v[26:29], v26 offset1:1
	v_mov_b32_e32 v30, s8
	s_add_i32 s8, s9, s7
	s_lshl_b32 s8, s8, 3
	ds_load_2addr_b64 v[30:33], v30 offset1:1
	s_waitcnt lgkmcnt(1)
	v_fma_f64 v[24:25], -v[46:47], v[28:29], v[24:25]
	v_mul_f64 v[48:49], v[34:35], v[36:37]
	v_fma_f64 v[36:37], -v[46:47], v[26:27], v[22:23]
	v_mov_b32_e32 v22, s8
	v_mov_b32_e32 v26, s14
	s_add_i32 s8, s9, s11
	s_add_i32 s14, s3, 0xfffffce8
	s_lshl_b32 s8, s8, 3
	s_waitcnt lgkmcnt(0)
	s_delay_alu instid0(VALU_DEP_4)
	v_fma_f64 v[38:39], -v[48:49], v[32:33], v[24:25]
	ds_load_2addr_b64 v[22:25], v22 offset1:1
	ds_load_2addr_b64 v[26:29], v26 offset1:1
	v_fma_f64 v[30:31], -v[48:49], v[30:31], v[36:37]
	v_dual_mov_b32 v32, s14 :: v_dual_mov_b32 v33, s8
	ds_load_b64 v[40:41], v32
	ds_load_2addr_b64 v[32:35], v33 offset1:1
	s_add_i32 s8, s15, s7
	s_add_i32 s14, s9, s10
	s_lshl_b32 s8, s8, 3
	s_lshl_b32 s14, s14, 3
	s_waitcnt lgkmcnt(3)
	v_fma_f64 v[24:25], -v[46:47], v[24:25], v[2:3]
	s_waitcnt lgkmcnt(2)
	v_mul_f64 v[2:3], v[28:29], v[38:39]
	v_fma_f64 v[38:39], -v[46:47], v[22:23], v[20:21]
	v_mov_b32_e32 v20, s8
	s_add_i32 s8, s9, s13
	s_delay_alu instid0(SALU_CYCLE_1) | instskip(NEXT) | instid1(SALU_CYCLE_1)
	s_lshl_b32 s8, s8, 3
	v_mov_b32_e32 v28, s8
	s_add_i32 s8, s7, 0xffffff80
	s_delay_alu instid0(SALU_CYCLE_1)
	s_add_i32 s18, s9, s8
	s_lshl_b32 s9, s9, 5
	s_add_i32 s25, s22, s8
	s_add_i32 s26, s22, s9
	;; [unrolled: 1-line block ×4, first 2 shown]
	s_waitcnt lgkmcnt(0)
	v_fma_f64 v[42:43], -v[48:49], v[34:35], v[24:25]
	v_mov_b32_e32 v24, s14
	s_add_i32 s14, s15, s11
	s_delay_alu instid0(SALU_CYCLE_1) | instskip(NEXT) | instid1(SALU_CYCLE_1)
	s_lshl_b32 s14, s14, 3
	v_mov_b32_e32 v34, s14
	s_add_i32 s14, s20, s7
	s_delay_alu instid0(SALU_CYCLE_1)
	s_lshl_b32 s14, s14, 3
	v_fma_f64 v[76:77], -v[2:3], v[26:27], v[30:31]
	ds_load_2addr_b64 v[20:23], v20 offset1:1
	ds_load_2addr_b64 v[24:27], v24 offset1:1
	v_fma_f64 v[32:33], -v[48:49], v[32:33], v[38:39]
	ds_load_2addr_b64 v[28:31], v28 offset1:1
	ds_load_2addr_b64 v[34:37], v34 offset1:1
	s_waitcnt lgkmcnt(3)
	v_fma_f64 v[22:23], -v[46:47], v[22:23], v[0:1]
	s_waitcnt lgkmcnt(2)
	v_fma_f64 v[26:27], -v[2:3], v[26:27], v[42:43]
	v_mul_f64 v[0:1], v[40:41], v[76:77]
	v_fma_f64 v[76:77], -v[46:47], v[20:21], v[18:19]
	v_fma_f64 v[80:81], -v[2:3], v[24:25], v[32:33]
	v_mov_b32_e32 v18, s14
	s_lshl_b32 s14, s18, 3
	s_add_i32 s18, s20, s11
	s_delay_alu instid0(SALU_CYCLE_1) | instskip(NEXT) | instid1(SALU_CYCLE_1)
	s_lshl_b32 s18, s18, 3
	v_mov_b32_e32 v40, s18
	s_add_i32 s18, s15, s8
	s_waitcnt lgkmcnt(0)
	v_fma_f64 v[78:79], -v[48:49], v[36:37], v[22:23]
	v_mov_b32_e32 v22, s19
	s_add_i32 s19, s20, s10
	s_delay_alu instid0(SALU_CYCLE_1)
	s_lshl_b32 s19, s19, 3
	v_fma_f64 v[26:27], -v[0:1], v[30:31], v[26:27]
	v_mov_b32_e32 v30, s14
	ds_load_2addr_b64 v[18:21], v18 offset1:1
	ds_load_2addr_b64 v[22:25], v22 offset1:1
	ds_load_2addr_b64 v[30:33], v30 offset1:1
	v_fma_f64 v[34:35], -v[48:49], v[34:35], v[76:77]
	v_fma_f64 v[28:29], -v[0:1], v[28:29], v[80:81]
	s_add_i32 s14, s3, 0xfffffad8
	s_delay_alu instid0(SALU_CYCLE_1) | instskip(SKIP_1) | instid1(SALU_CYCLE_1)
	v_mov_b32_e32 v36, s14
	s_add_i32 s14, s15, s13
	s_lshl_b32 s14, s14, 3
	s_delay_alu instid0(SALU_CYCLE_1) | instskip(SKIP_4) | instid1(SALU_CYCLE_1)
	v_mov_b32_e32 v37, s14
	ds_load_b64 v[82:83], v36
	ds_load_2addr_b64 v[36:39], v37 offset1:1
	ds_load_2addr_b64 v[40:43], v40 offset1:1
	s_add_i32 s14, s22, s7
	s_lshl_b32 s14, s14, 3
	s_waitcnt lgkmcnt(5)
	v_fma_f64 v[20:21], -v[46:47], v[20:21], v[6:7]
	s_waitcnt lgkmcnt(4)
	v_fma_f64 v[24:25], -v[2:3], v[24:25], v[78:79]
	v_fma_f64 v[80:81], -v[46:47], v[18:19], v[16:17]
	v_mov_b32_e32 v16, s14
	s_lshl_b32 s14, s18, 3
	s_add_i32 s18, s20, s13
	s_delay_alu instid0(SALU_CYCLE_1)
	s_lshl_b32 s18, s18, 3
	s_waitcnt lgkmcnt(3)
	v_mul_f64 v[6:7], v[32:33], v[26:27]
	v_mov_b32_e32 v32, s18
	s_add_i32 s18, s20, s8
	v_fma_f64 v[84:85], -v[2:3], v[22:23], v[34:35]
	s_waitcnt lgkmcnt(0)
	v_fma_f64 v[42:43], -v[48:49], v[42:43], v[20:21]
	v_fma_f64 v[38:39], -v[0:1], v[38:39], v[24:25]
	v_mov_b32_e32 v24, s14
	v_mov_b32_e32 v20, s19
	ds_load_2addr_b64 v[16:19], v16 offset1:1
	ds_load_2addr_b64 v[20:23], v20 offset1:1
	;; [unrolled: 1-line block ×3, first 2 shown]
	v_fma_f64 v[40:41], -v[48:49], v[40:41], v[80:81]
	s_add_i32 s14, s15, s9
	s_add_i32 s19, s22, s11
	s_lshl_b32 s14, s14, 3
	s_lshl_b32 s19, s19, 3
	s_delay_alu instid0(SALU_CYCLE_1)
	v_mov_b32_e32 v76, s19
	v_fma_f64 v[86:87], -v[6:7], v[30:31], v[28:29]
	v_mov_b32_e32 v28, s14
	s_add_i32 s14, s24, s7
	s_add_i32 s19, s22, s10
	ds_load_2addr_b64 v[28:31], v28 offset1:1
	ds_load_2addr_b64 v[32:35], v32 offset1:1
	;; [unrolled: 1-line block ×3, first 2 shown]
	v_fma_f64 v[36:37], -v[0:1], v[36:37], v[84:85]
	s_lshl_b32 s14, s14, 3
	s_lshl_b32 s19, s19, 3
	s_waitcnt lgkmcnt(5)
	v_fma_f64 v[18:19], -v[46:47], v[18:19], v[4:5]
	s_waitcnt lgkmcnt(4)
	v_fma_f64 v[22:23], -v[2:3], v[22:23], v[42:43]
	;; [unrolled: 2-line block ×3, first 2 shown]
	v_fma_f64 v[38:39], -v[46:47], v[16:17], v[14:15]
	v_mov_b32_e32 v14, s14
	s_lshl_b32 s14, s18, 3
	s_add_i32 s18, s3, 0xfffff9d0
	ds_load_2addr_b64 v[14:17], v14 offset1:1
	v_fma_f64 v[40:41], -v[2:3], v[20:21], v[40:41]
	v_mul_f64 v[4:5], v[82:83], v[86:87]
	v_fma_f64 v[36:37], -v[6:7], v[24:25], v[36:37]
	s_waitcnt lgkmcnt(1)
	v_fma_f64 v[42:43], -v[48:49], v[78:79], v[18:19]
	v_mov_b32_e32 v18, s19
	s_waitcnt lgkmcnt(0)
	v_fma_f64 v[16:17], -v[46:47], v[16:17], v[10:11]
	s_add_i32 s19, s24, s11
	s_delay_alu instid0(SALU_CYCLE_1) | instskip(NEXT) | instid1(SALU_CYCLE_1)
	s_lshl_b32 s19, s19, 3
	v_mov_b32_e32 v80, s19
	s_add_i32 s19, s3, 0xfffff8c8
	s_delay_alu instid0(SALU_CYCLE_1)
	v_mov_b32_e32 v82, s19
	v_fma_f64 v[34:35], -v[0:1], v[34:35], v[22:23]
	v_mov_b32_e32 v22, s14
	ds_load_2addr_b64 v[18:21], v18 offset1:1
	ds_load_2addr_b64 v[22:25], v22 offset1:1
	v_fma_f64 v[38:39], -v[48:49], v[76:77], v[38:39]
	s_add_i32 s14, s20, s9
	v_fma_f64 v[76:77], -v[46:47], v[14:15], v[12:13]
	v_fma_f64 v[32:33], -v[0:1], v[32:33], v[40:41]
	s_lshl_b32 s14, s14, 3
	s_delay_alu instid0(SALU_CYCLE_1)
	v_dual_mov_b32 v13, s27 :: v_dual_mov_b32 v78, s14
	s_add_i32 s14, s7, 0xffffff40
	s_sub_i32 s27, s6, 27
	s_add_i32 s19, s20, s14
	v_fma_f64 v[26:27], -v[4:5], v[30:31], v[26:27]
	v_mov_b32_e32 v30, s18
	s_add_i32 s18, s22, s13
	s_lshl_b32 s19, s19, 3
	s_lshl_b32 s18, s18, 3
	s_add_i32 s45, s24, s14
	ds_load_b64 v[30:31], v30
	v_fma_f64 v[28:29], -v[4:5], v[28:29], v[36:37]
	v_mov_b32_e32 v79, s18
	s_add_i32 s18, s15, s14
	s_waitcnt lgkmcnt(2)
	v_fma_f64 v[20:21], -v[2:3], v[20:21], v[42:43]
	s_lshl_b32 s18, s18, 3
	ds_load_2addr_b64 v[84:87], v78 offset1:1
	ds_load_2addr_b64 v[88:91], v79 offset1:1
	;; [unrolled: 1-line block ×3, first 2 shown]
	s_lshl_b32 s15, s15, 5
	s_lshl_b32 s45, s45, 3
	s_add_i32 s23, s20, s15
	s_add_i32 s30, s22, s15
	;; [unrolled: 1-line block ×4, first 2 shown]
	s_lshl_b32 s20, s20, 3
	s_lshl_b32 s46, s46, 3
	s_waitcnt lgkmcnt(4)
	v_fma_f64 v[24:25], -v[6:7], v[24:25], v[34:35]
	v_fma_f64 v[94:95], -v[2:3], v[18:19], v[38:39]
	;; [unrolled: 1-line block ×3, first 2 shown]
	s_waitcnt lgkmcnt(0)
	v_fma_f64 v[92:93], -v[48:49], v[80:81], v[16:17]
	v_fma_f64 v[80:81], -v[48:49], v[78:79], v[76:77]
	v_mul_f64 v[10:11], v[30:31], v[26:27]
	v_mov_b32_e32 v26, s18
	s_add_i32 s18, s6, -15
	s_delay_alu instid0(SALU_CYCLE_1)
	s_add_i32 s21, s18, s7
	s_add_i32 s37, s18, s10
	ds_load_b64 v[26:27], v26
	s_lshl_b32 s21, s21, 3
	s_lshl_b32 s37, s37, 3
	v_mov_b32_e32 v12, s21
	s_lshl_b32 s21, s25, 3
	v_fma_f64 v[90:91], -v[0:1], v[90:91], v[20:21]
	v_mov_b32_e32 v14, s21
	s_lshl_b32 s21, s23, 3
	ds_load_2addr_b64 v[32:35], v12 offset1:1
	s_lshl_b32 s23, s26, 3
	s_lshl_b32 s25, s28, 3
	ds_load_2addr_b64 v[40:43], v14 offset1:1
	v_mov_b32_e32 v16, s23
	v_mov_b32_e32 v20, s25
	s_add_i32 s28, s3, 0xfffff7c0
	s_add_i32 s38, s18, s13
	v_fma_f64 v[86:87], -v[4:5], v[86:87], v[24:25]
	s_add_i32 s47, s18, s8
	s_add_i32 s48, s18, s9
	s_sub_i32 s23, s6, 21
	s_add_i32 s40, s18, s15
	s_add_i32 s43, s23, s7
	v_fma_f64 v[76:77], -v[0:1], v[88:89], v[94:95]
	s_lshl_b32 s43, s43, 3
	s_lshl_b32 s40, s40, 3
	s_add_i32 s57, s23, s11
	s_sub_i32 s25, s6, 23
	s_sub_i32 s26, s6, 25
	s_add_i32 s44, s25, s7
	s_delay_alu instid0(SALU_CYCLE_1)
	s_lshl_b32 s44, s44, 3
	s_waitcnt lgkmcnt(2)
	v_fma_f64 v[102:103], -v[10:11], v[26:27], v[28:29]
	ds_load_2addr_b64 v[28:31], v13 offset1:1
	v_mov_b32_e32 v12, s19
	s_add_i32 s19, s18, s11
	ds_load_2addr_b64 v[36:39], v12 offset1:1
	ds_load_b64 v[104:105], v82
	s_waitcnt lgkmcnt(4)
	v_fma_f64 v[82:83], -v[46:47], v[34:35], v[8:9]
	v_fma_f64 v[34:35], -v[4:5], v[84:85], v[96:97]
	v_mov_b32_e32 v12, s21
	s_waitcnt lgkmcnt(3)
	v_fma_f64 v[42:43], -v[6:7], v[42:43], v[90:91]
	s_lshl_b32 s19, s19, 3
	v_fma_f64 v[90:91], -v[46:47], v[32:33], v[74:75]
	v_mov_b32_e32 v24, s19
	ds_load_2addr_b64 v[12:15], v12 offset1:1
	ds_load_2addr_b64 v[16:19], v16 offset1:1
	;; [unrolled: 1-line block ×4, first 2 shown]
	s_sub_i32 s19, s6, 17
	v_mov_b32_e32 v84, s28
	s_add_i32 s29, s19, s7
	s_add_i32 s28, s22, s14
	s_waitcnt lgkmcnt(6)
	v_fma_f64 v[78:79], -v[2:3], v[30:31], v[92:93]
	v_fma_f64 v[94:95], -v[2:3], v[28:29], v[80:81]
	s_lshl_b32 s29, s29, 3
	s_lshl_b32 s28, s28, 3
	s_sub_i32 s21, s6, 19
	s_waitcnt lgkmcnt(5)
	v_fma_f64 v[30:31], -v[10:11], v[38:39], v[86:87]
	v_mov_b32_e32 v38, s28
	v_fma_f64 v[96:97], -v[6:7], v[40:41], v[76:77]
	s_add_i32 s28, s19, s11
	s_add_i32 s42, s21, s7
	s_lshl_b32 s28, s28, 3
	s_lshl_b32 s42, s42, 3
	v_mov_b32_e32 v86, s28
	s_add_i32 s49, s19, s10
	s_add_i32 s50, s19, s13
	s_lshl_b32 s49, s49, 3
	s_add_i32 s51, s21, s11
	s_waitcnt lgkmcnt(4)
	v_mul_f64 v[8:9], v[104:105], v[102:103]
	ds_load_b64 v[102:103], v84
	s_add_i32 s53, s19, s8
	s_add_i32 s55, s21, s10
	;; [unrolled: 1-line block ×3, first 2 shown]
	s_lshl_b32 s55, s55, 3
	s_add_i32 s56, s21, s13
	s_add_i32 s28, s7, 0xfffffe40
	s_waitcnt lgkmcnt(1)
	v_fma_f64 v[92:93], -v[48:49], v[26:27], v[82:83]
	v_mov_b32_e32 v26, s29
	s_lshl_b32 s29, s31, 3
	v_fma_f64 v[18:19], -v[4:5], v[18:19], v[42:43]
	v_fma_f64 v[42:43], -v[10:11], v[36:37], v[34:35]
	v_mov_b32_e32 v34, s29
	ds_load_2addr_b64 v[26:29], v26 offset1:1
	ds_load_2addr_b64 v[38:41], v38 offset1:1
	v_fma_f64 v[24:25], -v[48:49], v[24:25], v[90:91]
	s_lshl_b32 s29, s30, 3
	ds_load_2addr_b64 v[34:37], v34 offset1:1
	s_lshl_b32 s30, s33, 3
	s_lshl_b32 s31, s38, 3
	v_fma_f64 v[22:23], -v[0:1], v[22:23], v[78:79]
	v_fma_f64 v[20:21], -v[0:1], v[20:21], v[94:95]
	v_mov_b32_e32 v74, s29
	v_mov_b32_e32 v78, s30
	;; [unrolled: 1-line block ×3, first 2 shown]
	s_add_i32 s31, s7, 0xfffffec0
	s_lshl_b32 s33, s22, 5
	v_fma_f64 v[16:17], -v[4:5], v[16:17], v[96:97]
	s_add_i32 s30, s7, 0xfffffe80
	s_lshl_b32 s29, s24, 5
	s_add_i32 s38, s26, s7
	s_add_i32 s52, s18, s33
	s_lshl_b32 s38, s38, 3
	s_lshl_b32 s52, s52, 3
	v_fma_f64 v[14:15], -v[8:9], v[14:15], v[30:31]
	v_mov_b32_e32 v30, s37
	s_add_i32 s37, s3, 0xfffff5b0
	ds_load_2addr_b64 v[30:33], v30 offset1:1
	s_waitcnt lgkmcnt(3)
	v_fma_f64 v[28:29], -v[46:47], v[28:29], v[72:73]
	ds_load_2addr_b64 v[74:77], v74 offset1:1
	ds_load_2addr_b64 v[78:81], v78 offset1:1
	;; [unrolled: 1-line block ×4, first 2 shown]
	v_fma_f64 v[96:97], -v[46:47], v[26:27], v[70:71]
	s_waitcnt lgkmcnt(6)
	v_fma_f64 v[18:19], -v[10:11], v[40:41], v[18:19]
	v_fma_f64 v[12:13], -v[8:9], v[12:13], v[42:43]
	v_mov_b32_e32 v40, s36
	s_add_i32 s36, s22, s35
	s_delay_alu instid0(SALU_CYCLE_1)
	s_lshl_b32 s36, s36, 3
	s_waitcnt lgkmcnt(5)
	v_fma_f64 v[22:23], -v[6:7], v[36:37], v[22:23]
	v_mov_b32_e32 v36, s20
	v_fma_f64 v[106:107], -v[6:7], v[34:35], v[20:21]
	s_add_i32 s20, s22, s34
	v_mov_b32_e32 v20, s49
	s_waitcnt lgkmcnt(4)
	v_fma_f64 v[32:33], -v[2:3], v[32:33], v[92:93]
	ds_load_b64 v[36:37], v36
	v_fma_f64 v[104:105], -v[2:3], v[30:31], v[24:25]
	v_fma_f64 v[108:109], -v[10:11], v[38:39], v[16:17]
	v_mov_b32_e32 v16, s42
	s_lshl_b32 s42, s47, 3
	s_lshl_b32 s20, s20, 3
	v_mov_b32_e32 v24, s42
	s_lshl_b32 s47, s48, 3
	s_lshl_b32 s42, s51, 3
	v_mov_b32_e32 v70, s47
	v_mov_b32_e32 v92, s42
	v_mul_f64 v[14:15], v[102:103], v[14:15]
	ds_load_2addr_b64 v[24:27], v24 offset1:1
	s_add_i32 s47, s24, s33
	s_add_i32 s48, s24, s30
	;; [unrolled: 1-line block ×4, first 2 shown]
	s_lshl_b32 s42, s42, 3
	s_waitcnt lgkmcnt(2)
	v_fma_f64 v[102:103], -v[48:49], v[88:89], v[28:29]
	v_mov_b32_e32 v28, s45
	s_add_i32 s45, s24, s35
	s_lshl_b32 s49, s49, 3
	v_fma_f64 v[76:77], -v[8:9], v[76:77], v[18:19]
	ds_load_2addr_b64 v[16:19], v16 offset1:1
	ds_load_2addr_b64 v[28:31], v28 offset1:1
	s_lshl_b32 s45, s45, 3
	s_lshl_b32 s47, s47, 3
	s_add_i32 s51, s18, s31
	s_lshl_b32 s48, s48, 3
	s_lshl_b32 s51, s51, 3
	s_add_i32 s22, s18, s28
	v_fma_f64 v[80:81], -v[4:5], v[80:81], v[22:23]
	ds_load_2addr_b64 v[20:23], v20 offset1:1
	v_fma_f64 v[78:79], -v[4:5], v[78:79], v[106:107]
	v_fma_f64 v[84:85], -v[0:1], v[84:85], v[32:33]
	v_mov_b32_e32 v32, s20
	v_fma_f64 v[82:83], -v[0:1], v[82:83], v[104:105]
	ds_load_2addr_b64 v[32:35], v32 offset1:1
	ds_load_b64 v[110:111], v40
	s_waitcnt lgkmcnt(4)
	v_fma_f64 v[18:19], -v[46:47], v[18:19], v[68:69]
	v_fma_f64 v[68:69], -v[48:49], v[86:87], v[96:97]
	;; [unrolled: 1-line block ×3, first 2 shown]
	s_lshl_b32 s20, s50, 3
	v_mov_b32_e32 v40, s46
	v_fma_f64 v[12:13], -v[14:15], v[36:37], v[12:13]
	v_mov_b32_e32 v36, s36
	v_mov_b32_e32 v88, s20
	s_add_i32 s46, s24, s31
	ds_load_2addr_b64 v[36:39], v36 offset1:1
	ds_load_2addr_b64 v[40:43], v40 offset1:1
	ds_load_2addr_b64 v[70:73], v70 offset1:1
	ds_load_2addr_b64 v[88:91], v88 offset1:1
	ds_load_2addr_b64 v[92:95], v92 offset1:1
	s_waitcnt lgkmcnt(7)
	v_fma_f64 v[22:23], -v[2:3], v[22:23], v[102:103]
	v_fma_f64 v[102:103], -v[46:47], v[16:17], v[66:67]
	s_add_i32 s24, s18, s14
	v_mov_b32_e32 v16, s43
	s_lshl_b32 s24, s24, 3
	s_lshl_b32 s43, s53, 3
	s_waitcnt lgkmcnt(6)
	v_fma_f64 v[34:35], -v[14:15], v[34:35], v[76:77]
	v_mov_b32_e32 v76, s37
	s_lshl_b32 s53, s54, 3
	s_add_i32 s54, s21, s8
	s_lshl_b32 s46, s46, 3
	s_lshl_b32 s54, s54, 3
	s_add_i32 s50, s18, s35
	s_add_i32 s20, s27, s7
	v_fma_f64 v[30:31], -v[10:11], v[30:31], v[80:81]
	v_mov_b32_e32 v80, s53
	v_fma_f64 v[112:113], -v[10:11], v[28:29], v[78:79]
	v_mov_b32_e32 v29, s24
	s_lshl_b32 s24, s56, 3
	v_fma_f64 v[26:27], -v[6:7], v[26:27], v[84:85]
	v_mov_b32_e32 v84, s24
	v_fma_f64 v[108:109], -v[6:7], v[24:25], v[82:83]
	v_mov_b32_e32 v24, s43
	s_add_i32 s56, s23, s10
	s_lshl_b32 s50, s50, 3
	s_lshl_b32 s56, s56, 3
	s_waitcnt lgkmcnt(0)
	v_fma_f64 v[104:105], -v[48:49], v[94:95], v[18:19]
	v_fma_f64 v[106:107], -v[2:3], v[20:21], v[68:69]
	v_fma_f64 v[114:115], -v[14:15], v[32:33], v[74:75]
	v_mov_b32_e32 v20, s55
	ds_load_2addr_b64 v[16:19], v16 offset1:1
	v_mul_f64 v[12:13], v[110:111], v[12:13]
	s_add_i32 s55, s21, s9
	s_add_i32 s43, s19, s35
	s_lshl_b32 s55, s55, 3
	s_lshl_b32 s43, s43, 3
	;; [unrolled: 1-line block ×3, first 2 shown]
	s_add_i32 s36, s18, s30
	v_fma_f64 v[90:91], -v[0:1], v[90:91], v[22:23]
	ds_load_2addr_b64 v[20:23], v20 offset1:1
	v_fma_f64 v[92:93], -v[48:49], v[92:93], v[102:103]
	s_add_i32 s37, s18, s29
	s_add_i32 s53, s19, s33
	s_lshl_b32 s36, s36, 3
	s_lshl_b32 s37, s37, 3
	s_add_i32 s24, s19, s30
	s_waitcnt lgkmcnt(1)
	v_fma_f64 v[64:65], -v[46:47], v[18:19], v[64:65]
	v_fma_f64 v[16:17], -v[46:47], v[16:17], v[62:63]
	;; [unrolled: 1-line block ×3, first 2 shown]
	ds_load_2addr_b64 v[29:32], v29 offset1:1
	v_fma_f64 v[40:41], -v[8:9], v[40:41], v[112:113]
	v_fma_f64 v[110:111], -v[4:5], v[72:73], v[26:27]
	ds_load_2addr_b64 v[25:28], v24 offset1:1
	v_mov_b32_e32 v24, s45
	v_fma_f64 v[70:71], -v[4:5], v[70:71], v[108:109]
	s_add_i32 s45, s19, s31
	s_delay_alu instid0(SALU_CYCLE_1)
	s_lshl_b32 s45, s45, 3
	s_waitcnt lgkmcnt(2)
	v_fma_f64 v[22:23], -v[2:3], v[22:23], v[104:105]
	v_fma_f64 v[88:89], -v[0:1], v[88:89], v[106:107]
	v_fma_f64 v[33:34], -v[12:13], v[38:39], v[34:35]
	v_mov_b32_e32 v35, s39
	ds_load_b64 v[38:39], v76
	s_lshl_b32 s39, s57, 3
	s_add_i32 s57, s25, s11
	v_mov_b32_e32 v94, s39
	ds_load_2addr_b64 v[66:69], v35 offset1:1
	v_mov_b32_e32 v35, s40
	ds_load_2addr_b64 v[72:75], v24 offset1:1
	ds_load_2addr_b64 v[76:79], v35 offset1:1
	;; [unrolled: 1-line block ×5, first 2 shown]
	s_waitcnt lgkmcnt(7)
	v_fma_f64 v[27:28], -v[6:7], v[27:28], v[90:91]
	v_fma_f64 v[35:36], -v[12:13], v[36:37], v[114:115]
	ds_load_b64 v[114:115], v116
	s_add_i32 s39, s19, s14
	v_mov_b32_e32 v37, s49
	s_lshl_b32 s39, s39, 3
	s_add_i32 s40, s19, s15
	v_mov_b32_e32 v24, s41
	s_lshl_b32 s40, s40, 3
	s_add_i32 s41, s19, s34
	v_mov_b32_e32 v90, s40
	s_add_i32 s40, s21, s14
	s_add_i32 s49, s23, s8
	s_lshl_b32 s41, s41, 3
	s_waitcnt lgkmcnt(6)
	v_fma_f64 v[42:43], -v[14:15], v[68:69], v[42:43]
	v_fma_f64 v[31:32], -v[10:11], v[31:32], v[110:111]
	;; [unrolled: 1-line block ×4, first 2 shown]
	v_mov_b32_e32 v29, s54
	s_waitcnt lgkmcnt(1)
	v_fma_f64 v[96:97], -v[48:49], v[96:97], v[64:65]
	v_mov_b32_e32 v66, s47
	v_fma_f64 v[118:119], -v[0:1], v[86:87], v[22:23]
	v_fma_f64 v[120:121], -v[6:7], v[25:26], v[88:89]
	v_dual_mov_b32 v25, s56 :: v_dual_mov_b32 v86, s50
	s_add_i32 s54, s25, s10
	v_mul_f64 v[18:19], v[38:39], v[33:34]
	v_mov_b32_e32 v33, s42
	s_add_i32 s42, s23, s13
	s_lshl_b32 s40, s40, 3
	s_lshl_b32 s42, s42, 3
	;; [unrolled: 1-line block ×3, first 2 shown]
	ds_load_b64 v[33:34], v33
	v_mov_b32_e32 v106, s42
	s_lshl_b32 s54, s54, 3
	s_add_i32 s42, s21, s15
	s_add_i32 s50, s23, s9
	;; [unrolled: 1-line block ×3, first 2 shown]
	v_fma_f64 v[82:83], -v[4:5], v[82:83], v[27:28]
	s_lshl_b32 s42, s42, 3
	s_lshl_b32 s50, s50, 3
	s_add_i32 s11, s27, s11
	s_add_i32 s47, s21, s31
	s_lshl_b32 s11, s11, 3
	ds_load_2addr_b64 v[25:28], v25 offset1:1
	ds_load_2addr_b64 v[37:40], v37 offset1:1
	v_fma_f64 v[41:42], -v[12:13], v[74:75], v[42:43]
	v_mov_b32_e32 v43, s46
	v_fma_f64 v[78:79], -v[8:9], v[78:79], v[31:32]
	ds_load_2addr_b64 v[29:32], v29 offset1:1
	v_fma_f64 v[70:71], -v[8:9], v[76:77], v[70:71]
	v_fma_f64 v[72:73], -v[12:13], v[72:73], v[122:123]
	ds_load_2addr_b64 v[62:65], v43 offset1:1
	v_fma_f64 v[116:117], -v[2:3], v[20:21], v[92:93]
	v_mov_b32_e32 v20, s44
	v_fma_f64 v[80:81], -v[4:5], v[80:81], v[120:121]
	s_lshl_b32 s44, s57, 3
	v_mov_b32_e32 v43, s55
	s_waitcnt lgkmcnt(4)
	v_fma_f64 v[74:75], -v[18:19], v[33:34], v[35:36]
	v_mov_b32_e32 v33, s39
	ds_load_2addr_b64 v[20:23], v20 offset1:1
	v_mov_b32_e32 v110, s44
	s_add_i32 s55, s25, s13
	v_mov_b32_e32 v76, s42
	ds_load_2addr_b64 v[33:36], v33 offset1:1
	ds_load_2addr_b64 v[66:69], v66 offset1:1
	;; [unrolled: 1-line block ×7, first 2 shown]
	v_mov_b32_e32 v43, s38
	s_lshl_b32 s55, s55, 3
	s_lshl_b32 s38, s56, 3
	s_waitcnt lgkmcnt(9)
	v_fma_f64 v[31:32], -v[6:7], v[31:32], v[118:119]
	s_add_i32 s44, s21, s34
	s_add_i32 s46, s21, s35
	s_lshl_b32 s44, s44, 3
	s_add_i32 s42, s25, s9
	v_fma_f64 v[27:28], -v[2:3], v[27:28], v[96:97]
	s_lshl_b32 s46, s46, 3
	s_lshl_b32 s42, s42, 3
	s_add_i32 s39, s19, s29
	s_waitcnt lgkmcnt(7)
	v_fma_f64 v[22:23], -v[46:47], v[22:23], v[60:61]
	v_fma_f64 v[60:61], -v[48:49], v[94:95], v[16:17]
	;; [unrolled: 1-line block ×3, first 2 shown]
	v_mov_b32_e32 v58, s51
	s_waitcnt lgkmcnt(6)
	v_fma_f64 v[35:36], -v[10:11], v[35:36], v[82:83]
	v_fma_f64 v[41:42], -v[18:19], v[64:65], v[41:42]
	;; [unrolled: 1-line block ×3, first 2 shown]
	v_mov_b32_e32 v64, s48
	v_fma_f64 v[124:125], -v[14:15], v[37:38], v[70:71]
	v_fma_f64 v[126:127], -v[18:19], v[62:63], v[72:73]
	v_mov_b32_e32 v37, s41
	v_fma_f64 v[84:85], -v[0:1], v[84:85], v[116:117]
	s_add_i32 s41, s25, s8
	v_fma_f64 v[120:121], -v[10:11], v[33:34], v[80:81]
	v_dual_mov_b32 v33, s40 :: v_dual_mov_b32 v80, s50
	v_mul_f64 v[16:17], v[114:115], v[74:75]
	s_lshl_b32 s41, s41, 3
	s_add_i32 s40, s23, s15
	s_add_i32 s48, s26, s13
	s_lshl_b32 s40, s40, 3
	s_lshl_b32 s48, s48, 3
	s_waitcnt lgkmcnt(2)
	v_fma_f64 v[104:105], -v[4:5], v[104:105], v[31:32]
	s_waitcnt lgkmcnt(1)
	v_fma_f64 v[108:109], -v[0:1], v[108:109], v[27:28]
	;; [unrolled: 2-line block ×3, first 2 shown]
	v_fma_f64 v[118:119], -v[2:3], v[25:26], v[60:61]
	v_mov_b32_e32 v25, s54
	ds_load_2addr_b64 v[20:23], v43 offset1:1
	ds_load_2addr_b64 v[58:61], v58 offset1:1
	v_fma_f64 v[122:123], -v[8:9], v[92:93], v[35:36]
	v_fma_f64 v[88:89], -v[12:13], v[88:89], v[39:40]
	ds_load_2addr_b64 v[25:28], v25 offset1:1
	ds_load_2addr_b64 v[33:36], v33 offset1:1
	;; [unrolled: 1-line block ×3, first 2 shown]
	v_mov_b32_e32 v43, s43
	v_fma_f64 v[84:85], -v[6:7], v[29:30], v[84:85]
	v_dual_mov_b32 v29, s49 :: v_dual_mov_b32 v92, s55
	v_mov_b32_e32 v112, s38
	v_fma_f64 v[96:97], -v[48:49], v[110:111], v[96:97]
	v_fma_f64 v[41:42], -v[16:17], v[68:69], v[41:42]
	ds_load_2addr_b64 v[29:32], v29 offset1:1
	v_mov_b32_e32 v68, s52
	ds_load_2addr_b64 v[62:65], v64 offset1:1
	ds_load_b64 v[128:129], v128
	ds_load_2addr_b64 v[68:71], v68 offset1:1
	ds_load_2addr_b64 v[72:75], v43 offset1:1
	;; [unrolled: 1-line block ×6, first 2 shown]
	v_fma_f64 v[90:91], -v[8:9], v[90:91], v[120:121]
	s_waitcnt lgkmcnt(13)
	v_fma_f64 v[56:57], -v[46:47], v[22:23], v[56:57]
	v_fma_f64 v[86:87], -v[12:13], v[86:87], v[124:125]
	;; [unrolled: 1-line block ×4, first 2 shown]
	s_add_i32 s38, s23, s14
	s_waitcnt lgkmcnt(10)
	v_fma_f64 v[35:36], -v[10:11], v[35:36], v[104:105]
	s_add_i32 s43, s26, s10
	s_lshl_b32 s38, s38, 3
	s_lshl_b32 s43, s43, 3
	v_dual_mov_b32 v43, s20 :: v_dual_mov_b32 v54, s44
	s_lshl_b32 s49, s53, 3
	s_add_i32 s44, s26, s9
	s_add_i32 s9, s27, s9
	s_waitcnt lgkmcnt(8)
	v_fma_f64 v[31:32], -v[6:7], v[31:32], v[108:109]
	v_fma_f64 v[27:28], -v[2:3], v[27:28], v[116:117]
	;; [unrolled: 1-line block ×3, first 2 shown]
	v_mov_b32_e32 v118, s11
	s_add_i32 s11, s21, s33
	v_fma_f64 v[39:40], -v[14:15], v[39:40], v[122:123]
	v_fma_f64 v[60:61], -v[18:19], v[60:61], v[88:89]
	v_mov_b32_e32 v88, s37
	s_lshl_b32 s37, s47, 3
	v_fma_f64 v[84:85], -v[4:5], v[102:103], v[84:85]
	v_mov_b32_e32 v102, s40
	s_add_i32 s40, s23, s35
	v_fma_f64 v[110:111], -v[2:3], v[25:26], v[96:97]
	s_waitcnt lgkmcnt(7)
	v_mul_f64 v[22:23], v[64:65], v[41:42]
	v_dual_mov_b32 v65, s45 :: v_dual_mov_b32 v64, s36
	s_add_i32 s36, s23, s34
	s_add_i32 s45, s27, s10
	s_lshl_b32 s10, s11, 3
	v_fma_f64 v[90:91], -v[14:15], v[37:38], v[90:91]
	s_waitcnt lgkmcnt(0)
	v_fma_f64 v[41:42], -v[48:49], v[114:115], v[56:57]
	v_fma_f64 v[132:133], -v[18:19], v[58:59], v[86:87]
	v_mov_b32_e32 v37, s38
	ds_load_2addr_b64 v[54:57], v54 offset1:1
	v_mov_b32_e32 v86, s49
	v_fma_f64 v[78:79], -v[8:9], v[78:79], v[35:36]
	v_mov_b32_e32 v114, s48
	s_lshl_b32 s49, s24, 3
	s_lshl_b32 s38, s39, 3
	;; [unrolled: 1-line block ×6, first 2 shown]
	v_fma_f64 v[126:127], -v[4:5], v[82:83], v[31:32]
	v_fma_f64 v[122:123], -v[0:1], v[94:95], v[27:28]
	;; [unrolled: 1-line block ×3, first 2 shown]
	v_mov_b32_e32 v29, s43
	ds_load_2addr_b64 v[25:28], v43 offset1:1
	v_mov_b32_e32 v106, s42
	v_fma_f64 v[74:75], -v[12:13], v[74:75], v[39:40]
	ds_load_2addr_b64 v[37:40], v37 offset1:1
	v_fma_f64 v[70:71], -v[16:17], v[70:71], v[60:61]
	ds_load_2addr_b64 v[29:32], v29 offset1:1
	ds_load_2addr_b64 v[58:61], v65 offset1:1
	v_mov_b32_e32 v43, s46
	v_fma_f64 v[130:131], -v[10:11], v[33:34], v[84:85]
	v_mov_b32_e32 v33, s41
	s_add_i32 s41, s25, s14
	s_add_i32 s43, s26, s8
	s_lshl_b32 s39, s41, 3
	v_fma_f64 v[66:67], -v[22:23], v[62:63], v[66:67]
	ds_load_2addr_b64 v[33:36], v33 offset1:1
	ds_load_2addr_b64 v[62:65], v64 offset1:1
	;; [unrolled: 1-line block ×9, first 2 shown]
	s_lshl_b32 s40, s43, 3
	s_lshl_b32 s41, s45, 3
	s_add_i32 s42, s25, s15
	v_fma_f64 v[72:73], -v[12:13], v[72:73], v[90:91]
	s_waitcnt lgkmcnt(12)
	v_fma_f64 v[27:28], -v[46:47], v[27:28], v[52:53]
	v_fma_f64 v[52:53], -v[48:49], v[112:113], v[20:21]
	;; [unrolled: 1-line block ×3, first 2 shown]
	v_mov_b32_e32 v43, s41
	s_add_i32 s46, s27, s13
	s_waitcnt lgkmcnt(10)
	v_fma_f64 v[31:32], -v[2:3], v[31:32], v[41:42]
	v_fma_f64 v[41:42], -v[0:1], v[92:93], v[110:111]
	;; [unrolled: 1-line block ×3, first 2 shown]
	s_lshl_b32 s13, s42, 3
	s_lshl_b32 s24, s46, 3
	s_add_i32 s8, s27, s8
	s_delay_alu instid0(SALU_CYCLE_1)
	s_lshl_b32 s8, s8, 3
	v_fma_f64 v[39:40], -v[10:11], v[39:40], v[126:127]
	s_waitcnt lgkmcnt(8)
	v_fma_f64 v[35:36], -v[6:7], v[35:36], v[122:123]
	v_fma_f64 v[80:81], -v[4:5], v[80:81], v[124:125]
	;; [unrolled: 1-line block ×3, first 2 shown]
	v_mov_b32_e32 v74, s13
	s_waitcnt lgkmcnt(7)
	v_fma_f64 v[64:65], -v[22:23], v[64:65], v[70:71]
	v_mov_b32_e32 v70, s11
	s_add_i32 s11, s19, s28
	v_fma_f64 v[76:77], -v[8:9], v[76:77], v[130:131]
	v_fma_f64 v[130:131], -v[46:47], v[25:26], v[50:51]
	v_dual_mov_b32 v25, s40 :: v_dual_mov_b32 v26, s38
	s_lshl_b32 s11, s11, 3
	v_mul_f64 v[20:21], v[128:129], v[66:67]
	v_dual_mov_b32 v67, s49 :: v_dual_mov_b32 v66, s48
	s_add_i32 s38, s25, s35
	s_add_i32 s40, s26, s15
	s_lshl_b32 s38, s38, 3
	v_fma_f64 v[124:125], -v[18:19], v[58:59], v[72:73]
	s_waitcnt lgkmcnt(0)
	v_fma_f64 v[92:93], -v[48:49], v[120:121], v[27:28]
	v_fma_f64 v[110:111], -v[2:3], v[29:30], v[52:53]
	;; [unrolled: 1-line block ×3, first 2 shown]
	v_dual_mov_b32 v27, s37 :: v_dual_mov_b32 v68, s10
	v_fma_f64 v[112:113], -v[0:1], v[116:117], v[31:32]
	v_fma_f64 v[116:117], -v[6:7], v[33:34], v[41:42]
	;; [unrolled: 1-line block ×3, first 2 shown]
	ds_load_2addr_b64 v[28:31], v43 offset1:1
	ds_load_2addr_b64 v[50:53], v27 offset1:1
	v_mov_b32_e32 v27, s22
	s_lshl_b32 s10, s18, 5
	s_add_i32 s18, s21, s30
	s_add_i32 s37, s25, s34
	v_fma_f64 v[104:105], -v[8:9], v[104:105], v[39:40]
	v_fma_f64 v[108:109], -v[4:5], v[108:109], v[35:36]
	;; [unrolled: 1-line block ×3, first 2 shown]
	v_mov_b32_e32 v36, s39
	v_mov_b32_e32 v40, s36
	ds_load_2addr_b64 v[32:35], v25 offset1:1
	v_fma_f64 v[126:127], -v[16:17], v[88:89], v[60:61]
	v_mov_b32_e32 v88, s24
	ds_load_2addr_b64 v[36:39], v36 offset1:1
	s_add_i32 s24, s23, s31
	s_add_i32 s39, s26, s14
	s_lshl_b32 s18, s18, 3
	v_fma_f64 v[122:123], -v[14:15], v[54:55], v[76:77]
	ds_load_2addr_b64 v[54:57], v67 offset1:1
	ds_load_2addr_b64 v[40:43], v40 offset1:1
	s_lshl_b32 s24, s24, 3
	s_lshl_b32 s37, s37, 3
	v_fma_f64 v[84:85], -v[20:21], v[84:85], v[64:65]
	ds_load_2addr_b64 v[58:61], v66 offset1:1
	ds_load_b64 v[24:25], v24
	ds_load_2addr_b64 v[62:65], v26 offset1:1
	ds_load_2addr_b64 v[66:69], v68 offset1:1
	;; [unrolled: 1-line block ×6, first 2 shown]
	s_lshl_b32 s39, s39, 3
	s_add_i32 s13, s19, s10
	s_add_i32 s22, s21, s29
	;; [unrolled: 1-line block ×3, first 2 shown]
	v_fma_f64 v[86:87], -v[16:17], v[86:87], v[124:125]
	s_waitcnt lgkmcnt(13)
	v_fma_f64 v[30:31], -v[2:3], v[30:31], v[92:93]
	v_fma_f64 v[92:93], -v[0:1], v[114:115], v[110:111]
	;; [unrolled: 1-line block ×3, first 2 shown]
	s_lshl_b32 s13, s13, 3
	s_lshl_b32 s22, s22, 3
	s_waitcnt lgkmcnt(11)
	v_fma_f64 v[34:35], -v[6:7], v[34:35], v[112:113]
	v_fma_f64 v[106:107], -v[4:5], v[106:107], v[116:117]
	;; [unrolled: 1-line block ×3, first 2 shown]
	s_lshl_b32 s36, s36, 3
	s_lshl_b32 s40, s40, 3
	s_add_i32 s14, s27, s14
	s_add_i32 s15, s27, s15
	s_lshl_b32 s14, s14, 3
	s_lshl_b32 s15, s15, 3
	s_waitcnt lgkmcnt(8)
	v_fma_f64 v[42:43], -v[14:15], v[42:43], v[104:105]
	v_fma_f64 v[38:39], -v[10:11], v[38:39], v[108:109]
	;; [unrolled: 1-line block ×5, first 2 shown]
	s_waitcnt lgkmcnt(7)
	v_mul_f64 v[26:27], v[60:61], v[84:85]
	v_fma_f64 v[60:61], -v[48:49], v[118:119], v[130:131]
	v_mov_b32_e32 v84, s36
	s_add_i32 s36, s25, s33
	s_delay_alu instid0(SALU_CYCLE_1)
	s_lshl_b32 s36, s36, 3
	v_fma_f64 v[118:119], -v[22:23], v[54:55], v[86:87]
	s_waitcnt lgkmcnt(0)
	v_fma_f64 v[108:109], -v[0:1], v[90:91], v[30:31]
	v_fma_f64 v[110:111], -v[6:7], v[32:33], v[92:93]
	v_mov_b32_e32 v32, s39
	v_mov_b32_e32 v54, s11
	;; [unrolled: 1-line block ×3, first 2 shown]
	v_fma_f64 v[112:113], -v[4:5], v[80:81], v[34:35]
	v_fma_f64 v[106:107], -v[10:11], v[36:37], v[106:107]
	;; [unrolled: 1-line block ×3, first 2 shown]
	v_mov_b32_e32 v36, s37
	v_mov_b32_e32 v80, s22
	s_add_i32 s37, s26, s34
	s_add_i32 s22, s23, s29
	s_lshl_b32 s37, s37, 3
	s_add_i32 s38, s26, s35
	v_fma_f64 v[72:73], -v[12:13], v[72:73], v[42:43]
	v_fma_f64 v[76:77], -v[8:9], v[76:77], v[38:39]
	;; [unrolled: 1-line block ×3, first 2 shown]
	v_mov_b32_e32 v40, s24
	ds_load_2addr_b64 v[36:39], v36 offset1:1
	s_add_i32 s24, s25, s31
	v_fma_f64 v[64:65], -v[20:21], v[64:65], v[56:57]
	s_lshl_b32 s24, s24, 3
	ds_load_2addr_b64 v[40:43], v40 offset1:1
	s_lshl_b32 s22, s22, 3
	s_add_i32 s34, s27, s34
	s_add_i32 s35, s27, s35
	v_fma_f64 v[116:117], -v[18:19], v[50:51], v[94:95]
	v_mov_b32_e32 v50, s18
	ds_load_2addr_b64 v[54:57], v54 offset1:1
	v_mov_b32_e32 v94, s40
	s_add_i32 s18, s23, s30
	v_fma_f64 v[120:121], -v[26:27], v[58:59], v[82:83]
	v_fma_f64 v[122:123], -v[2:3], v[28:29], v[60:61]
	v_mov_b32_e32 v28, s8
	ds_load_2addr_b64 v[50:53], v50 offset1:1
	ds_load_2addr_b64 v[32:35], v32 offset1:1
	v_mov_b32_e32 v58, s13
	v_fma_f64 v[62:63], -v[20:21], v[62:63], v[118:119]
	ds_load_2addr_b64 v[28:31], v28 offset1:1
	v_fma_f64 v[78:79], -v[4:5], v[78:79], v[110:111]
	s_lshl_b32 s8, s9, 3
	s_add_i32 s9, s3, 0xffffee78
	v_mov_b32_e32 v102, s8
	ds_load_2addr_b64 v[58:61], v58 offset1:1
	ds_load_2addr_b64 v[80:83], v80 offset1:1
	;; [unrolled: 1-line block ×6, first 2 shown]
	v_fma_f64 v[74:75], -v[8:9], v[74:75], v[106:107]
	s_add_i32 s8, s7, 0xfffffe00
	s_lshl_b32 s18, s18, 3
	s_add_i32 s11, s19, s8
	s_add_i32 s13, s21, s10
	s_lshl_b32 s11, s11, 3
	s_lshl_b32 s13, s13, 3
	;; [unrolled: 1-line block ×3, first 2 shown]
	s_waitcnt lgkmcnt(10)
	v_fma_f64 v[42:43], -v[18:19], v[42:43], v[72:73]
	v_fma_f64 v[38:39], -v[14:15], v[38:39], v[76:77]
	v_fma_f64 v[70:71], -v[12:13], v[70:71], v[114:115]
	s_waitcnt lgkmcnt(7)
	v_fma_f64 v[34:35], -v[10:11], v[34:35], v[112:113]
	v_fma_f64 v[52:53], -v[22:23], v[52:53], v[68:69]
	v_mov_b32_e32 v68, s9
	s_waitcnt lgkmcnt(6)
	v_fma_f64 v[30:31], -v[6:7], v[30:31], v[108:109]
	v_fma_f64 v[56:57], -v[26:27], v[56:57], v[64:65]
	s_add_i32 s9, s21, s28
	v_mov_b32_e32 v69, s36
	s_lshl_b32 s9, s9, 3
	v_mov_b32_e32 v76, s15
	v_fma_f64 v[66:67], -v[16:17], v[66:67], v[116:117]
	s_add_i32 s15, s23, s10
	s_delay_alu instid0(SALU_CYCLE_1)
	s_lshl_b32 s15, s15, 3
	v_mul_f64 v[24:25], v[24:25], v[120:121]
	v_fma_f64 v[64:65], -v[0:1], v[88:89], v[122:123]
	v_fma_f64 v[112:113], -v[26:27], v[54:55], v[62:63]
	v_mov_b32_e32 v54, s11
	s_add_i32 s11, s21, s8
	s_delay_alu instid0(SALU_CYCLE_1)
	s_lshl_b32 s11, s11, 3
	v_fma_f64 v[106:107], -v[14:15], v[36:37], v[74:75]
	v_mov_b32_e32 v36, s24
	s_add_i32 s24, s26, s33
	s_add_i32 s33, s27, s33
	s_waitcnt lgkmcnt(3)
	v_fma_f64 v[86:87], -v[16:17], v[86:87], v[42:43]
	s_waitcnt lgkmcnt(2)
	v_fma_f64 v[92:93], -v[12:13], v[92:93], v[38:39]
	v_fma_f64 v[108:109], -v[18:19], v[40:41], v[70:71]
	s_waitcnt lgkmcnt(1)
	v_fma_f64 v[96:97], -v[8:9], v[96:97], v[34:35]
	v_fma_f64 v[82:83], -v[20:21], v[82:83], v[52:53]
	v_mov_b32_e32 v40, s18
	s_waitcnt lgkmcnt(0)
	v_fma_f64 v[88:89], -v[4:5], v[104:105], v[30:31]
	v_fma_f64 v[104:105], -v[10:11], v[32:33], v[78:79]
	v_mov_b32_e32 v32, s37
	ds_load_2addr_b64 v[36:39], v36 offset1:1
	ds_load_2addr_b64 v[40:43], v40 offset1:1
	s_add_i32 s18, s25, s30
	v_fma_f64 v[110:111], -v[22:23], v[50:51], v[66:67]
	v_mov_b32_e32 v50, s9
	s_lshl_b32 s18, s18, 3
	s_lshl_b32 s9, s19, 5
	s_add_i32 s19, s25, s29
	v_fma_f64 v[114:115], -v[24:25], v[60:61], v[56:57]
	v_fma_f64 v[116:117], -v[6:7], v[28:29], v[64:65]
	v_mov_b32_e32 v28, s14
	ds_load_2addr_b64 v[50:53], v50 offset1:1
	ds_load_2addr_b64 v[54:57], v54 offset1:1
	;; [unrolled: 1-line block ×3, first 2 shown]
	v_fma_f64 v[58:59], -v[24:25], v[58:59], v[112:113]
	ds_load_2addr_b64 v[28:31], v28 offset1:1
	v_mov_b32_e32 v60, s13
	s_lshl_b32 s14, s38, 3
	v_mov_b32_e32 v64, s22
	v_mov_b32_e32 v72, s14
	ds_load_b64 v[118:119], v68
	ds_load_2addr_b64 v[60:63], v60 offset1:1
	ds_load_2addr_b64 v[64:67], v64 offset1:1
	;; [unrolled: 1-line block ×5, first 2 shown]
	v_fma_f64 v[90:91], -v[12:13], v[90:91], v[106:107]
	s_add_i32 s22, s26, s31
	s_add_i32 s14, s23, s28
	s_lshl_b32 s22, s22, 3
	s_lshl_b32 s14, s14, 3
	s_add_i32 s13, s21, s9
	s_add_i32 s31, s27, s31
	s_waitcnt lgkmcnt(10)
	v_fma_f64 v[42:43], -v[22:23], v[42:43], v[86:87]
	v_fma_f64 v[38:39], -v[18:19], v[38:39], v[92:93]
	;; [unrolled: 1-line block ×3, first 2 shown]
	s_lshl_b32 s13, s13, 3
	s_waitcnt lgkmcnt(7)
	v_fma_f64 v[34:35], -v[14:15], v[34:35], v[96:97]
	v_fma_f64 v[52:53], -v[26:27], v[52:53], v[82:83]
	s_waitcnt lgkmcnt(6)
	v_fma_f64 v[88:89], -v[10:11], v[30:31], v[88:89]
	v_fma_f64 v[94:95], -v[8:9], v[94:95], v[104:105]
	s_lshl_b32 s31, s31, 3
	v_fma_f64 v[80:81], -v[20:21], v[80:81], v[110:111]
	v_mul_f64 v[30:31], v[56:57], v[114:115]
	v_fma_f64 v[56:57], -v[4:5], v[102:103], v[116:117]
	v_fma_f64 v[106:107], -v[18:19], v[36:37], v[90:91]
	s_waitcnt lgkmcnt(3)
	v_fma_f64 v[66:67], -v[20:21], v[66:67], v[42:43]
	s_waitcnt lgkmcnt(2)
	v_fma_f64 v[70:71], -v[16:17], v[70:71], v[38:39]
	v_fma_f64 v[108:109], -v[22:23], v[40:41], v[84:85]
	v_mov_b32_e32 v40, s18
	s_waitcnt lgkmcnt(1)
	v_fma_f64 v[74:75], -v[12:13], v[74:75], v[34:35]
	v_fma_f64 v[62:63], -v[24:25], v[62:63], v[52:53]
	s_waitcnt lgkmcnt(0)
	v_fma_f64 v[102:103], -v[8:9], v[78:79], v[88:89]
	v_fma_f64 v[104:105], -v[14:15], v[32:33], v[94:95]
	ds_load_2addr_b64 v[40:43], v40 offset1:1
	s_lshl_b32 s18, s35, 3
	s_delay_alu instid0(SALU_CYCLE_1) | instskip(SKIP_2) | instid1(SALU_CYCLE_1)
	v_mov_b32_e32 v94, s18
	v_fma_f64 v[110:111], -v[26:27], v[50:51], v[80:81]
	s_add_i32 s18, s25, s28
	s_lshl_b32 s18, s18, 3
	v_fma_f64 v[58:59], -v[30:31], v[54:55], v[58:59]
	v_fma_f64 v[112:113], -v[10:11], v[28:29], v[56:57]
	v_dual_mov_b32 v28, s34 :: v_dual_mov_b32 v29, s22
	s_add_i32 s22, s26, s30
	s_delay_alu instid0(SALU_CYCLE_1)
	s_lshl_b32 s22, s22, 3
	ds_load_2addr_b64 v[32:35], v28 offset1:1
	ds_load_2addr_b64 v[36:39], v29 offset1:1
	v_dual_mov_b32 v28, s14 :: v_dual_mov_b32 v29, s11
	s_lshl_b32 s11, s19, 3
	s_lshl_b32 s14, s24, 3
	v_mov_b32_e32 v86, s11
	ds_load_2addr_b64 v[50:53], v28 offset1:1
	ds_load_2addr_b64 v[54:57], v29 offset1:1
	v_dual_mov_b32 v28, s13 :: v_dual_mov_b32 v29, s15
	v_mov_b32_e32 v90, s14
	ds_load_2addr_b64 v[78:81], v28 offset1:1
	ds_load_2addr_b64 v[82:85], v29 offset1:1
	;; [unrolled: 1-line block ×5, first 2 shown]
	v_fma_f64 v[68:69], -v[16:17], v[68:69], v[106:107]
	s_waitcnt lgkmcnt(9)
	v_fma_f64 v[42:43], -v[22:23], v[42:43], v[70:71]
	v_fma_f64 v[64:65], -v[20:21], v[64:65], v[108:109]
	s_add_i32 s11, s7, 0xfffffdc0
	s_add_i32 s13, s3, 0xffffec68
	s_waitcnt lgkmcnt(8)
	v_fma_f64 v[34:35], -v[14:15], v[34:35], v[102:103]
	v_fma_f64 v[72:73], -v[12:13], v[72:73], v[104:105]
	s_waitcnt lgkmcnt(7)
	v_fma_f64 v[38:39], -v[18:19], v[38:39], v[74:75]
	s_add_i32 s14, s21, s11
	s_add_i32 s15, s23, s9
	s_lshl_b32 s14, s14, 3
	v_fma_f64 v[60:61], -v[24:25], v[60:61], v[110:111]
	s_waitcnt lgkmcnt(6)
	v_fma_f64 v[52:53], -v[26:27], v[52:53], v[66:67]
	s_waitcnt lgkmcnt(5)
	v_fma_f64 v[56:57], -v[30:31], v[56:57], v[62:63]
	v_mov_b32_e32 v62, s13
	s_add_i32 s13, s23, s8
	v_mul_f64 v[28:29], v[118:119], v[58:59]
	v_fma_f64 v[58:59], -v[8:9], v[76:77], v[112:113]
	s_lshl_b32 s13, s13, 3
	s_add_i32 s19, s25, s10
	s_add_i32 s24, s26, s29
	s_waitcnt lgkmcnt(2)
	v_fma_f64 v[88:89], -v[20:21], v[88:89], v[42:43]
	v_fma_f64 v[102:103], -v[26:27], v[50:51], v[64:65]
	v_mov_b32_e32 v50, s13
	s_lshl_b32 s13, s15, 3
	s_waitcnt lgkmcnt(0)
	v_fma_f64 v[74:75], -v[12:13], v[96:97], v[34:35]
	v_fma_f64 v[76:77], -v[18:19], v[36:37], v[72:73]
	;; [unrolled: 1-line block ×4, first 2 shown]
	v_mov_b32_e32 v36, s22
	v_mov_b32_e32 v40, s18
	v_fma_f64 v[104:105], -v[30:31], v[54:55], v[60:61]
	v_fma_f64 v[84:85], -v[24:25], v[84:85], v[52:53]
	v_mov_b32_e32 v54, s14
	ds_load_2addr_b64 v[50:53], v50 offset1:1
	ds_load_2addr_b64 v[40:43], v40 offset1:1
	v_fma_f64 v[80:81], -v[28:29], v[80:81], v[56:57]
	v_fma_f64 v[106:107], -v[14:15], v[32:33], v[58:59]
	v_mov_b32_e32 v32, s31
	ds_load_2addr_b64 v[54:57], v54 offset1:1
	ds_load_2addr_b64 v[36:39], v36 offset1:1
	s_lshl_b32 s14, s19, 3
	s_lshl_b32 s15, s24, 3
	ds_load_2addr_b64 v[32:35], v32 offset1:1
	v_mov_b32_e32 v58, s13
	s_lshl_b32 s18, s33, 3
	v_dual_mov_b32 v63, s14 :: v_dual_mov_b32 v66, s15
	v_mov_b32_e32 v70, s18
	ds_load_b64 v[108:109], v62
	ds_load_2addr_b64 v[58:61], v58 offset1:1
	ds_load_2addr_b64 v[62:65], v63 offset1:1
	;; [unrolled: 1-line block ×4, first 2 shown]
	s_lshl_b32 s13, s21, 5
	s_add_i32 s21, s27, s30
	s_add_i32 s22, s26, s28
	s_lshl_b32 s21, s21, 3
	s_lshl_b32 s22, s22, 3
	s_add_i32 s14, s23, s11
	s_add_i32 s18, s25, s8
	s_lshl_b32 s14, s14, 3
	s_lshl_b32 s18, s18, 3
	s_waitcnt lgkmcnt(8)
	v_fma_f64 v[42:43], -v[26:27], v[42:43], v[88:89]
	v_fma_f64 v[82:83], -v[24:25], v[82:83], v[102:103]
	s_add_i32 s15, s23, s13
	s_add_i32 s19, s25, s9
	s_waitcnt lgkmcnt(5)
	v_fma_f64 v[74:75], -v[18:19], v[34:35], v[74:75]
	v_fma_f64 v[76:77], -v[16:17], v[90:91], v[76:77]
	;; [unrolled: 1-line block ×4, first 2 shown]
	s_lshl_b32 s15, s15, 3
	s_lshl_b32 s19, s19, 3
	v_fma_f64 v[78:79], -v[28:29], v[78:79], v[104:105]
	v_fma_f64 v[52:53], -v[30:31], v[52:53], v[84:85]
	v_mul_f64 v[34:35], v[56:57], v[80:81]
	v_fma_f64 v[56:57], -v[12:13], v[94:95], v[106:107]
	s_waitcnt lgkmcnt(2)
	v_fma_f64 v[64:65], -v[24:25], v[64:65], v[42:43]
	v_fma_f64 v[94:95], -v[30:31], v[50:51], v[82:83]
	v_mov_b32_e32 v50, s18
	s_add_i32 s18, s27, s29
	s_waitcnt lgkmcnt(0)
	v_fma_f64 v[88:89], -v[16:17], v[72:73], v[74:75]
	v_fma_f64 v[90:91], -v[22:23], v[36:37], v[76:77]
	v_fma_f64 v[68:69], -v[20:21], v[68:69], v[38:39]
	v_fma_f64 v[92:93], -v[26:27], v[40:41], v[86:87]
	s_lshl_b32 s18, s18, 3
	s_delay_alu instid0(SALU_CYCLE_1)
	v_mov_b32_e32 v84, s18
	v_fma_f64 v[60:61], -v[28:29], v[60:61], v[52:53]
	ds_load_2addr_b64 v[50:53], v50 offset1:1
	v_fma_f64 v[96:97], -v[34:35], v[54:55], v[78:79]
	v_fma_f64 v[102:103], -v[18:19], v[32:33], v[56:57]
	v_dual_mov_b32 v32, s21 :: v_dual_mov_b32 v33, s22
	s_add_i32 s21, s27, s28
	s_add_i32 s22, s26, s8
	s_lshl_b32 s21, s21, 3
	ds_load_2addr_b64 v[36:39], v32 offset1:1
	ds_load_2addr_b64 v[40:43], v33 offset1:1
	v_mov_b32_e32 v32, s14
	s_add_i32 s14, s26, s10
	v_mov_b32_e32 v33, s19
	s_lshl_b32 s14, s14, 3
	s_add_i32 s19, s25, s11
	ds_load_2addr_b64 v[54:57], v32 offset1:1
	v_mov_b32_e32 v32, s15
	v_mov_b32_e32 v80, s14
	ds_load_2addr_b64 v[72:75], v32 offset1:1
	ds_load_2addr_b64 v[76:79], v33 offset1:1
	ds_load_2addr_b64 v[80:83], v80 offset1:1
	ds_load_2addr_b64 v[84:87], v84 offset1:1
	s_add_i32 s14, s7, 0xfffffd80
	s_lshl_b32 s22, s22, 3
	s_waitcnt lgkmcnt(7)
	v_fma_f64 v[52:53], -v[30:31], v[52:53], v[64:65]
	v_fma_f64 v[58:59], -v[28:29], v[58:59], v[94:95]
	s_add_i32 s18, s23, s14
	s_lshl_b32 s19, s19, 3
	s_waitcnt lgkmcnt(6)
	v_fma_f64 v[38:39], -v[22:23], v[38:39], v[88:89]
	v_fma_f64 v[66:67], -v[20:21], v[66:67], v[90:91]
	s_waitcnt lgkmcnt(5)
	v_fma_f64 v[42:43], -v[26:27], v[42:43], v[68:69]
	v_fma_f64 v[62:63], -v[24:25], v[62:63], v[92:93]
	s_lshl_b32 s18, s18, 3
	s_add_i32 s15, s3, 0xffffea58
	s_add_i32 s10, s27, s10
	s_waitcnt lgkmcnt(4)
	v_fma_f64 v[56:57], -v[34:35], v[56:57], v[60:61]
	s_lshl_b32 s10, s10, 3
	s_add_i32 s8, s27, s8
	v_mul_f64 v[32:33], v[108:109], v[96:97]
	v_fma_f64 v[60:61], -v[16:17], v[70:71], v[102:103]
	s_lshl_b32 s8, s8, 3
	s_waitcnt lgkmcnt(2)
	v_fma_f64 v[78:79], -v[28:29], v[78:79], v[52:53]
	v_fma_f64 v[90:91], -v[34:35], v[54:55], v[58:59]
	v_mov_b32_e32 v54, s18
	v_mov_b32_e32 v58, s15
	s_waitcnt lgkmcnt(0)
	v_fma_f64 v[70:71], -v[20:21], v[86:87], v[38:39]
	v_fma_f64 v[86:87], -v[26:27], v[40:41], v[66:67]
	;; [unrolled: 1-line block ×4, first 2 shown]
	v_mov_b32_e32 v40, s22
	v_mov_b32_e32 v50, s19
	s_add_i32 s15, s25, s13
	s_add_i32 s18, s26, s9
	s_lshl_b32 s15, s15, 3
	s_lshl_b32 s18, s18, 3
	ds_load_2addr_b64 v[50:53], v50 offset1:1
	v_fma_f64 v[74:75], -v[32:33], v[74:75], v[56:57]
	ds_load_2addr_b64 v[54:57], v54 offset1:1
	v_fma_f64 v[92:93], -v[22:23], v[36:37], v[60:61]
	v_mov_b32_e32 v36, s21
	ds_load_2addr_b64 v[40:43], v40 offset1:1
	v_dual_mov_b32 v59, s15 :: v_dual_mov_b32 v62, s18
	v_mov_b32_e32 v66, s10
	ds_load_2addr_b64 v[36:39], v36 offset1:1
	ds_load_b64 v[94:95], v58
	ds_load_2addr_b64 v[58:61], v59 offset1:1
	ds_load_2addr_b64 v[62:65], v62 offset1:1
	;; [unrolled: 1-line block ×3, first 2 shown]
	s_add_i32 s10, s25, s14
	s_add_i32 s15, s26, s11
	;; [unrolled: 1-line block ×3, first 2 shown]
	s_lshl_b32 s15, s15, 3
	s_lshl_b32 s9, s9, 3
	s_add_i32 s11, s27, s11
	s_delay_alu instid0(SALU_CYCLE_1)
	s_lshl_b32 s11, s11, 3
	s_waitcnt lgkmcnt(7)
	v_fma_f64 v[52:53], -v[34:35], v[52:53], v[78:79]
	v_fma_f64 v[72:73], -v[32:33], v[72:73], v[90:91]
	s_waitcnt lgkmcnt(4)
	v_fma_f64 v[70:71], -v[26:27], v[38:39], v[70:71]
	v_fma_f64 v[80:81], -v[24:25], v[80:81], v[86:87]
	;; [unrolled: 1-line block ×4, first 2 shown]
	v_mul_f64 v[38:39], v[56:57], v[74:75]
	v_fma_f64 v[56:57], -v[20:21], v[84:85], v[92:93]
	s_waitcnt lgkmcnt(2)
	v_fma_f64 v[60:61], -v[32:33], v[60:61], v[52:53]
	s_waitcnt lgkmcnt(0)
	v_fma_f64 v[82:83], -v[24:25], v[68:69], v[70:71]
	v_fma_f64 v[80:81], -v[30:31], v[40:41], v[80:81]
	;; [unrolled: 1-line block ×4, first 2 shown]
	v_mov_b32_e32 v76, s9
	s_add_i32 s9, s7, 0xfffffd40
	s_addk_i32 s7, 0xfd00
	v_fma_f64 v[86:87], -v[38:39], v[54:55], v[72:73]
	v_fma_f64 v[88:89], -v[26:27], v[36:37], v[56:57]
	v_mov_b32_e32 v36, s8
	s_lshl_b32 s8, s10, 3
	s_delay_alu instid0(SALU_CYCLE_1)
	v_dual_mov_b32 v37, s15 :: v_dual_mov_b32 v54, s8
	ds_load_2addr_b64 v[40:43], v36 offset1:1
	ds_load_2addr_b64 v[50:53], v37 offset1:1
	s_lshl_b32 s8, s23, 5
	ds_load_2addr_b64 v[54:57], v54 offset1:1
	s_add_i32 s10, s25, s8
	s_add_i32 s15, s26, s13
	s_lshl_b32 s10, s10, 3
	s_lshl_b32 s15, s15, 3
	s_delay_alu instid0(SALU_CYCLE_1)
	v_dual_mov_b32 v36, s10 :: v_dual_mov_b32 v37, s15
	ds_load_2addr_b64 v[68:71], v36 offset1:1
	ds_load_2addr_b64 v[72:75], v37 offset1:1
	;; [unrolled: 1-line block ×3, first 2 shown]
	s_add_i32 s15, s26, s14
	s_add_i32 s10, s25, s9
	s_lshl_b32 s15, s15, 3
	s_lshl_b32 s10, s10, 3
	s_waitcnt lgkmcnt(5)
	v_fma_f64 v[42:43], -v[30:31], v[42:43], v[82:83]
	v_fma_f64 v[62:63], -v[28:29], v[62:63], v[80:81]
	s_waitcnt lgkmcnt(4)
	v_fma_f64 v[52:53], -v[34:35], v[52:53], v[64:65]
	v_fma_f64 v[58:59], -v[32:33], v[58:59], v[84:85]
	s_waitcnt lgkmcnt(3)
	v_fma_f64 v[56:57], -v[38:39], v[56:57], v[60:61]
	v_mul_f64 v[36:37], v[94:95], v[86:87]
	v_fma_f64 v[60:61], -v[24:25], v[66:67], v[88:89]
	s_waitcnt lgkmcnt(0)
	v_fma_f64 v[66:67], -v[28:29], v[78:79], v[42:43]
	v_fma_f64 v[78:79], -v[34:35], v[50:51], v[62:63]
	;; [unrolled: 1-line block ×4, first 2 shown]
	v_mov_b32_e32 v50, s15
	v_mov_b32_e32 v54, s10
	s_add_i32 s10, s3, 0xffffe848
	s_delay_alu instid0(SALU_CYCLE_1)
	v_mov_b32_e32 v58, s10
	s_add_i32 s10, s26, s8
	v_fma_f64 v[70:71], -v[36:37], v[70:71], v[56:57]
	s_lshl_b32 s10, s10, 3
	v_fma_f64 v[82:83], -v[30:31], v[40:41], v[60:61]
	v_mov_b32_e32 v40, s11
	ds_load_2addr_b64 v[40:43], v40 offset1:1
	ds_load_2addr_b64 v[50:53], v50 offset1:1
	ds_load_2addr_b64 v[54:57], v54 offset1:1
	s_add_i32 s11, s27, s13
	v_mov_b32_e32 v59, s10
	s_lshl_b32 s11, s11, 3
	s_add_i32 s10, s27, s14
	v_mov_b32_e32 v62, s11
	ds_load_b64 v[84:85], v58
	ds_load_2addr_b64 v[58:61], v59 offset1:1
	ds_load_2addr_b64 v[62:65], v62 offset1:1
	s_add_i32 s11, s26, s9
	s_lshl_b32 s10, s10, 3
	s_lshl_b32 s11, s11, 3
	s_add_i32 s8, s27, s8
	s_delay_alu instid0(SALU_CYCLE_1)
	s_lshl_b32 s8, s8, 3
	s_waitcnt lgkmcnt(5)
	v_fma_f64 v[66:67], -v[34:35], v[42:43], v[66:67]
	v_fma_f64 v[72:73], -v[32:33], v[72:73], v[78:79]
	s_waitcnt lgkmcnt(4)
	v_fma_f64 v[52:53], -v[38:39], v[52:53], v[74:75]
	v_fma_f64 v[68:69], -v[36:37], v[68:69], v[80:81]
	s_waitcnt lgkmcnt(3)
	v_mul_f64 v[42:43], v[56:57], v[70:71]
	v_fma_f64 v[56:57], -v[28:29], v[76:77], v[82:83]
	s_waitcnt lgkmcnt(0)
	v_fma_f64 v[74:75], -v[32:33], v[64:65], v[66:67]
	v_fma_f64 v[72:73], -v[38:39], v[50:51], v[72:73]
	;; [unrolled: 1-line block ×5, first 2 shown]
	v_dual_mov_b32 v40, s10 :: v_dual_mov_b32 v41, s11
	ds_load_2addr_b64 v[50:53], v40 offset1:1
	ds_load_2addr_b64 v[54:57], v41 offset1:1
	s_lshl_b32 s10, s25, 5
	v_mov_b32_e32 v41, s8
	s_add_i32 s11, s26, s10
	s_add_i32 s8, s27, s9
	s_lshl_b32 s11, s11, 3
	s_add_i32 s9, s26, s7
	v_mov_b32_e32 v40, s11
	ds_load_2addr_b64 v[64:67], v40 offset1:1
	ds_load_2addr_b64 v[68:71], v41 offset1:1
	s_lshl_b32 s8, s8, 3
	s_lshl_b32 s9, s9, 3
	s_add_i32 s7, s27, s7
	s_delay_alu instid0(SALU_CYCLE_1)
	s_lshl_b32 s7, s7, 3
	s_waitcnt lgkmcnt(3)
	v_fma_f64 v[52:53], -v[38:39], v[52:53], v[74:75]
	v_fma_f64 v[58:59], -v[36:37], v[58:59], v[72:73]
	s_waitcnt lgkmcnt(2)
	v_fma_f64 v[56:57], -v[42:43], v[56:57], v[60:61]
	v_mul_f64 v[40:41], v[84:85], v[76:77]
	v_fma_f64 v[60:61], -v[32:33], v[62:63], v[78:79]
	s_waitcnt lgkmcnt(0)
	v_fma_f64 v[62:63], -v[36:37], v[70:71], v[52:53]
	v_fma_f64 v[70:71], -v[42:43], v[54:55], v[58:59]
	v_mov_b32_e32 v54, s9
	s_add_i32 s9, s3, 0xffffe638
	s_addk_i32 s3, 0xe428
	v_mov_b32_e32 v58, s9
	v_fma_f64 v[66:67], -v[40:41], v[66:67], v[56:57]
	v_fma_f64 v[72:73], -v[38:39], v[50:51], v[60:61]
	v_mov_b32_e32 v50, s8
	ds_load_2addr_b64 v[50:53], v50 offset1:1
	ds_load_2addr_b64 v[54:57], v54 offset1:1
	s_add_i32 s8, s27, s10
	s_delay_alu instid0(SALU_CYCLE_1) | instskip(NEXT) | instid1(SALU_CYCLE_1)
	s_lshl_b32 s8, s8, 3
	v_mov_b32_e32 v59, s8
	ds_load_b64 v[74:75], v58
	ds_load_2addr_b64 v[58:61], v59 offset1:1
	s_waitcnt lgkmcnt(3)
	v_fma_f64 v[62:63], -v[42:43], v[52:53], v[62:63]
	v_fma_f64 v[64:65], -v[40:41], v[64:65], v[70:71]
	s_waitcnt lgkmcnt(2)
	v_mul_f64 v[52:53], v[56:57], v[66:67]
	v_fma_f64 v[56:57], -v[36:37], v[68:69], v[72:73]
	s_waitcnt lgkmcnt(0)
	s_delay_alu instid0(VALU_DEP_4) | instskip(NEXT) | instid1(VALU_DEP_3)
	v_fma_f64 v[66:67], -v[40:41], v[60:61], v[62:63]
	v_fma_f64 v[64:65], -v[52:53], v[54:55], v[64:65]
	s_delay_alu instid0(VALU_DEP_3) | instskip(SKIP_2) | instid1(SALU_CYCLE_1)
	v_fma_f64 v[68:69], -v[42:43], v[50:51], v[56:57]
	v_mov_b32_e32 v50, s7
	s_lshl_b32 s7, s26, 5
	s_add_i32 s27, s27, s7
	ds_load_2addr_b64 v[54:57], v50 offset1:1
	s_lshl_b32 s7, s27, 3
	s_delay_alu instid0(SALU_CYCLE_1)
	v_mov_b32_e32 v50, s7
	s_add_i32 s7, s20, 0xffffe600
	ds_load_2addr_b64 v[60:63], v50 offset1:1
	s_waitcnt lgkmcnt(1)
	v_fma_f64 v[56:57], -v[52:53], v[56:57], v[66:67]
	v_mul_f64 v[50:51], v[74:75], v[64:65]
	v_mov_b32_e32 v64, s3
	v_fma_f64 v[58:59], -v[40:41], v[58:59], v[68:69]
	ds_load_b64 v[64:65], v64
	s_waitcnt lgkmcnt(1)
	v_fma_f64 v[62:63], -v[50:51], v[62:63], v[56:57]
	v_fma_f64 v[58:59], -v[52:53], v[54:55], v[58:59]
	v_mov_b32_e32 v54, s7
	s_ashr_i32 s7, s6, 31
	s_delay_alu instid0(SALU_CYCLE_1)
	s_lshl_b64 s[8:9], s[6:7], 3
	s_sub_i32 s6, s6, 28
	ds_load_2addr_b64 v[54:57], v54 offset1:1
	s_waitcnt lgkmcnt(0)
	v_mul_f64 v[56:57], v[56:57], v[62:63]
	v_fma_f64 v[58:59], -v[50:51], v[60:61], v[58:59]
	s_delay_alu instid0(VALU_DEP_1)
	v_fma_f64 v[54:55], -v[56:57], v[54:55], v[58:59]
	v_add_co_u32 v58, vcc_lo, v98, s8
	v_add_co_ci_u32_e32 v59, vcc_lo, s9, v99, vcc_lo
	s_clause 0xc
	global_store_b64 v[58:59], v[48:49], off offset:-8
	global_store_b128 v[58:59], v[0:3], off offset:-24
	global_store_b128 v[58:59], v[4:7], off offset:-40
	;; [unrolled: 1-line block ×12, first 2 shown]
	v_mul_f64 v[54:55], v[64:65], v[54:55]
	s_clause 0x1
	global_store_b64 v[44:45], v[46:47], off
	global_store_b128 v[58:59], v[54:57], off offset:-216
.LBB103_44:
	s_cmp_lt_i32 s6, 0
	s_cbranch_scc1 .LBB103_57
; %bb.45:
	s_bitcmp1_b32 s6, 0
	s_mov_b32 s8, s6
	s_cselect_b32 s3, -1, 0
	s_delay_alu instid0(SALU_CYCLE_1)
	s_and_b32 vcc_lo, exec_lo, s3
	s_cbranch_vccnz .LBB103_50
; %bb.46:
	s_mov_b32 s7, 0
	s_delay_alu instid0(SALU_CYCLE_1)
	s_lshl_b64 s[8:9], s[6:7], 3
	s_cmp_le_i32 s12, s6
	v_add_co_u32 v0, vcc_lo, v98, s8
	v_add_co_ci_u32_e32 v1, vcc_lo, s9, v99, vcc_lo
	global_load_b64 v[2:3], v[0:1], off
	s_waitcnt vmcnt(0)
	v_mul_f64 v[2:3], v[2:3], s[4:5]
	s_cbranch_scc1 .LBB103_49
; %bb.47:
	s_lshl_b32 s3, s2, 8
	s_lshl_b32 s7, s6, 3
	s_ashr_i32 s13, s12, 31
	s_add_i32 s3, s3, s7
	s_lshl_b64 s[8:9], s[12:13], 3
	s_addk_i32 s3, 0xff00
	s_add_u32 s7, s16, s8
	s_addc_u32 s8, s17, s9
	s_add_u32 s7, s7, s58
	s_addc_u32 s8, s8, s59
	v_add_co_u32 v4, vcc_lo, s7, v100
	v_add_co_ci_u32_e32 v5, vcc_lo, s8, v101, vcc_lo
	s_mov_b32 s7, s12
.LBB103_48:                             ; =>This Inner Loop Header: Depth=1
	global_load_b64 v[6:7], v[4:5], off
	v_mov_b32_e32 v8, s3
	v_add_co_u32 v4, vcc_lo, v4, -8
	v_add_co_ci_u32_e32 v5, vcc_lo, -1, v5, vcc_lo
	ds_load_b64 v[8:9], v8
	s_add_i32 s7, s7, -1
	s_addk_i32 s3, 0xff00
	s_cmp_gt_i32 s7, s6
	s_waitcnt vmcnt(0) lgkmcnt(0)
	v_fma_f64 v[2:3], -v[6:7], v[8:9], v[2:3]
	s_cbranch_scc1 .LBB103_48
.LBB103_49:
	s_mul_i32 s3, s6, 0x108
	s_add_i32 s8, s6, -1
	v_mov_b32_e32 v4, s3
	ds_load_b64 v[4:5], v4
	s_waitcnt lgkmcnt(0)
	v_mul_f64 v[2:3], v[4:5], v[2:3]
	global_store_b64 v[0:1], v[2:3], off
.LBB103_50:
	s_cmp_eq_u32 s6, 0
	s_mov_b32 s9, 0
	s_cbranch_scc1 .LBB103_57
; %bb.51:
	s_lshl_b32 s3, s2, 8
	s_lshl_b32 s6, s8, 3
	s_ashr_i32 s13, s12, 31
	s_add_i32 s10, s3, s6
	s_lshl_b64 s[6:7], s[12:13], 3
	s_add_i32 s3, s10, 0xffffff00
	s_add_u32 s6, s16, s6
	s_addc_u32 s7, s17, s7
	s_add_u32 s0, s6, s58
	s_addc_u32 s1, s7, s59
	v_add_co_u32 v0, vcc_lo, s0, v100
	v_add_co_ci_u32_e32 v1, vcc_lo, s1, v101, vcc_lo
	s_add_i32 s0, s10, 0xfffffef8
	s_branch .LBB103_53
.LBB103_52:                             ;   in Loop: Header=BB103_53 Depth=1
	s_addk_i32 s1, 0xfef8
	s_add_i32 s3, s3, -16
	v_mov_b32_e32 v6, s1
	s_add_i32 s1, s8, -2
	s_add_i32 s0, s0, -16
	s_cmp_lt_i32 s8, 2
	s_mov_b32 s8, s1
	ds_load_b64 v[6:7], v6
	s_waitcnt lgkmcnt(0)
	v_mul_f64 v[4:5], v[6:7], v[4:5]
	global_store_b64 v[2:3], v[4:5], off offset:-8
	s_cbranch_scc1 .LBB103_57
.LBB103_53:                             ; =>This Loop Header: Depth=1
                                        ;     Child Loop BB103_54 Depth 2
                                        ;     Child Loop BB103_56 Depth 2
	s_lshl_b64 s[6:7], s[8:9], 3
	s_delay_alu instid0(VALU_DEP_1)
	v_dual_mov_b32 v5, v1 :: v_dual_mov_b32 v4, v0
	v_add_co_u32 v2, vcc_lo, v98, s6
	v_add_co_ci_u32_e32 v3, vcc_lo, s7, v99, vcc_lo
	s_cmp_le_i32 s12, s8
	s_mov_b32 s1, s3
	s_mov_b32 s6, s12
	global_load_b64 v[2:3], v[2:3], off
	s_waitcnt vmcnt(0)
	v_mul_f64 v[2:3], v[2:3], s[4:5]
	s_cbranch_scc1 .LBB103_55
.LBB103_54:                             ;   Parent Loop BB103_53 Depth=1
                                        ; =>  This Inner Loop Header: Depth=2
	global_load_b64 v[6:7], v[4:5], off
	v_mov_b32_e32 v8, s1
	v_add_co_u32 v4, vcc_lo, v4, -8
	v_add_co_ci_u32_e32 v5, vcc_lo, -1, v5, vcc_lo
	ds_load_b64 v[8:9], v8
	s_add_i32 s6, s6, -1
	s_addk_i32 s1, 0xff00
	s_cmp_gt_i32 s6, s8
	s_waitcnt vmcnt(0) lgkmcnt(0)
	v_fma_f64 v[2:3], -v[6:7], v[8:9], v[2:3]
	s_cbranch_scc1 .LBB103_54
.LBB103_55:                             ;   in Loop: Header=BB103_53 Depth=1
	s_add_i32 s6, s8, -1
	s_mov_b32 s7, s9
	s_mul_i32 s1, s8, 0x108
	s_lshl_b64 s[6:7], s[6:7], 3
	v_mov_b32_e32 v6, s1
	v_add_co_u32 v4, vcc_lo, v98, s6
	v_add_co_ci_u32_e32 v5, vcc_lo, s7, v99, vcc_lo
	ds_load_b64 v[6:7], v6
	s_ashr_i32 s7, s8, 31
	s_mov_b32 s6, s8
	global_load_b64 v[4:5], v[4:5], off
	s_lshl_b64 s[6:7], s[6:7], 3
	s_cmp_lt_i32 s12, s8
	s_waitcnt lgkmcnt(0)
	v_mul_f64 v[8:9], v[6:7], v[2:3]
	v_add_co_u32 v2, vcc_lo, v98, s6
	v_add_co_ci_u32_e32 v3, vcc_lo, s7, v99, vcc_lo
	v_dual_mov_b32 v7, v1 :: v_dual_mov_b32 v6, v0
	s_mov_b32 s6, s0
	s_mov_b32 s7, s2
	global_store_b64 v[2:3], v[8:9], off
	s_waitcnt vmcnt(0)
	v_mul_f64 v[4:5], v[4:5], s[4:5]
	s_cbranch_scc1 .LBB103_52
.LBB103_56:                             ;   Parent Loop BB103_53 Depth=1
                                        ; =>  This Inner Loop Header: Depth=2
	global_load_b64 v[8:9], v[6:7], off
	v_mov_b32_e32 v10, s6
	v_add_co_u32 v6, vcc_lo, v6, -8
	v_add_co_ci_u32_e32 v7, vcc_lo, -1, v7, vcc_lo
	ds_load_b64 v[10:11], v10
	s_add_i32 s7, s7, -1
	s_addk_i32 s6, 0xff00
	s_cmp_gt_i32 s7, s8
	s_waitcnt vmcnt(0) lgkmcnt(0)
	v_fma_f64 v[4:5], -v[8:9], v[10:11], v[4:5]
	s_cbranch_scc1 .LBB103_56
	s_branch .LBB103_52
.LBB103_57:
	s_nop 0
	s_sendmsg sendmsg(MSG_DEALLOC_VGPRS)
	s_endpgm
	.section	.rodata,"a",@progbits
	.p2align	6, 0x0
	.amdhsa_kernel _ZL30rocblas_trsm_small_left_deviceILi32ELi32ELb0EddPKPKdPKPdEv13rocblas_fill_18rocblas_operation_17rocblas_diagonal_iiT3_T4_lilT5_lili
		.amdhsa_group_segment_fixed_size 8192
		.amdhsa_private_segment_fixed_size 0
		.amdhsa_kernarg_size 360
		.amdhsa_user_sgpr_count 14
		.amdhsa_user_sgpr_dispatch_ptr 0
		.amdhsa_user_sgpr_queue_ptr 0
		.amdhsa_user_sgpr_kernarg_segment_ptr 1
		.amdhsa_user_sgpr_dispatch_id 0
		.amdhsa_user_sgpr_private_segment_size 0
		.amdhsa_wavefront_size32 1
		.amdhsa_uses_dynamic_stack 0
		.amdhsa_enable_private_segment 0
		.amdhsa_system_sgpr_workgroup_id_x 1
		.amdhsa_system_sgpr_workgroup_id_y 0
		.amdhsa_system_sgpr_workgroup_id_z 1
		.amdhsa_system_sgpr_workgroup_info 0
		.amdhsa_system_vgpr_workitem_id 0
		.amdhsa_next_free_vgpr 170
		.amdhsa_next_free_sgpr 105
		.amdhsa_reserve_vcc 1
		.amdhsa_float_round_mode_32 0
		.amdhsa_float_round_mode_16_64 0
		.amdhsa_float_denorm_mode_32 3
		.amdhsa_float_denorm_mode_16_64 3
		.amdhsa_dx10_clamp 1
		.amdhsa_ieee_mode 1
		.amdhsa_fp16_overflow 0
		.amdhsa_workgroup_processor_mode 1
		.amdhsa_memory_ordered 1
		.amdhsa_forward_progress 0
		.amdhsa_shared_vgpr_count 0
		.amdhsa_exception_fp_ieee_invalid_op 0
		.amdhsa_exception_fp_denorm_src 0
		.amdhsa_exception_fp_ieee_div_zero 0
		.amdhsa_exception_fp_ieee_overflow 0
		.amdhsa_exception_fp_ieee_underflow 0
		.amdhsa_exception_fp_ieee_inexact 0
		.amdhsa_exception_int_div_zero 0
	.end_amdhsa_kernel
	.section	.text._ZL30rocblas_trsm_small_left_deviceILi32ELi32ELb0EddPKPKdPKPdEv13rocblas_fill_18rocblas_operation_17rocblas_diagonal_iiT3_T4_lilT5_lili,"axG",@progbits,_ZL30rocblas_trsm_small_left_deviceILi32ELi32ELb0EddPKPKdPKPdEv13rocblas_fill_18rocblas_operation_17rocblas_diagonal_iiT3_T4_lilT5_lili,comdat
.Lfunc_end103:
	.size	_ZL30rocblas_trsm_small_left_deviceILi32ELi32ELb0EddPKPKdPKPdEv13rocblas_fill_18rocblas_operation_17rocblas_diagonal_iiT3_T4_lilT5_lili, .Lfunc_end103-_ZL30rocblas_trsm_small_left_deviceILi32ELi32ELb0EddPKPKdPKPdEv13rocblas_fill_18rocblas_operation_17rocblas_diagonal_iiT3_T4_lilT5_lili
                                        ; -- End function
	.section	.AMDGPU.csdata,"",@progbits
; Kernel info:
; codeLenInByte = 37264
; NumSgprs: 107
; NumVgprs: 170
; ScratchSize: 0
; MemoryBound: 1
; FloatMode: 240
; IeeeMode: 1
; LDSByteSize: 8192 bytes/workgroup (compile time only)
; SGPRBlocks: 13
; VGPRBlocks: 21
; NumSGPRsForWavesPerEU: 107
; NumVGPRsForWavesPerEU: 170
; Occupancy: 4
; WaveLimiterHint : 1
; COMPUTE_PGM_RSRC2:SCRATCH_EN: 0
; COMPUTE_PGM_RSRC2:USER_SGPR: 14
; COMPUTE_PGM_RSRC2:TRAP_HANDLER: 0
; COMPUTE_PGM_RSRC2:TGID_X_EN: 1
; COMPUTE_PGM_RSRC2:TGID_Y_EN: 0
; COMPUTE_PGM_RSRC2:TGID_Z_EN: 1
; COMPUTE_PGM_RSRC2:TIDIG_COMP_CNT: 0
	.section	.text._ZL38rocblas_trsm_small_left_device_sharedBILi32ELi32ELb1EddPKPKdPKPdEv13rocblas_fill_18rocblas_operation_17rocblas_diagonal_iiT3_T4_lilT5_lili,"axG",@progbits,_ZL38rocblas_trsm_small_left_device_sharedBILi32ELi32ELb1EddPKPKdPKPdEv13rocblas_fill_18rocblas_operation_17rocblas_diagonal_iiT3_T4_lilT5_lili,comdat
	.globl	_ZL38rocblas_trsm_small_left_device_sharedBILi32ELi32ELb1EddPKPKdPKPdEv13rocblas_fill_18rocblas_operation_17rocblas_diagonal_iiT3_T4_lilT5_lili ; -- Begin function _ZL38rocblas_trsm_small_left_device_sharedBILi32ELi32ELb1EddPKPKdPKPdEv13rocblas_fill_18rocblas_operation_17rocblas_diagonal_iiT3_T4_lilT5_lili
	.p2align	8
	.type	_ZL38rocblas_trsm_small_left_device_sharedBILi32ELi32ELb1EddPKPKdPKPdEv13rocblas_fill_18rocblas_operation_17rocblas_diagonal_iiT3_T4_lilT5_lili,@function
_ZL38rocblas_trsm_small_left_device_sharedBILi32ELi32ELb1EddPKPKdPKPdEv13rocblas_fill_18rocblas_operation_17rocblas_diagonal_iiT3_T4_lilT5_lili: ; @_ZL38rocblas_trsm_small_left_device_sharedBILi32ELi32ELb1EddPKPKdPKPdEv13rocblas_fill_18rocblas_operation_17rocblas_diagonal_iiT3_T4_lilT5_lili
; %bb.0:
	s_load_b128 s[16:19], s[0:1], 0x40
	s_mov_b32 s12, s15
	s_mov_b32 s13, 0
	s_clause 0x1
	s_load_b128 s[4:7], s[0:1], 0x4
	s_load_b64 s[20:21], s[0:1], 0x28
	s_lshl_b64 s[22:23], s[12:13], 3
	s_mov_b32 s12, exec_lo
	s_waitcnt lgkmcnt(0)
	s_add_u32 s2, s16, s22
	s_addc_u32 s3, s17, s23
	s_load_b128 s[8:11], s[0:1], 0x18
	s_load_b64 s[2:3], s[2:3], 0x0
	s_min_i32 s28, s6, 32
	s_delay_alu instid0(SALU_CYCLE_1)
	s_add_i32 s29, s28, -1
	v_cmpx_gt_i32_e64 s28, v0
	s_cbranch_execz .LBB104_10
; %bb.1:
	s_load_b32 s16, s[0:1], 0x30
	s_waitcnt lgkmcnt(0)
	s_ashr_i32 s17, s16, 31
	s_add_u32 s10, s10, s22
	s_addc_u32 s11, s11, s23
	s_cmp_lt_u32 s29, 3
	s_load_b64 s[10:11], s[10:11], 0x0
	s_cbranch_scc1 .LBB104_4
; %bb.2:
	v_lshlrev_b32_e32 v3, 3, v0
	s_lshl_b64 s[22:23], s[20:21], 3
	s_mul_i32 s30, s16, 24
	s_waitcnt lgkmcnt(0)
	s_add_u32 s13, s10, s22
	s_addc_u32 s15, s11, s23
	v_add_co_u32 v1, s13, s13, v3
	s_delay_alu instid0(VALU_DEP_1)
	v_add_co_ci_u32_e64 v2, null, s15, 0, s13
	s_and_b32 s13, s28, -4
	s_mul_hi_i32 s15, s16, 24
	s_lshl_b64 s[22:23], s[16:17], 5
	s_lshl_b64 s[24:25], s[16:17], 4
	;; [unrolled: 1-line block ×3, first 2 shown]
	s_mov_b32 s31, 0
	.p2align	6
.LBB104_3:                              ; =>This Inner Loop Header: Depth=1
	v_add_co_u32 v4, vcc_lo, v1, s26
	v_add_co_ci_u32_e32 v5, vcc_lo, s27, v2, vcc_lo
	v_add_co_u32 v6, vcc_lo, v1, s24
	v_add_co_ci_u32_e32 v7, vcc_lo, s25, v2, vcc_lo
	;; [unrolled: 2-line block ×3, first 2 shown]
	s_clause 0x3
	global_load_b64 v[10:11], v[1:2], off
	global_load_b64 v[4:5], v[4:5], off
	;; [unrolled: 1-line block ×4, first 2 shown]
	v_add_co_u32 v1, vcc_lo, v1, s22
	v_add_co_ci_u32_e32 v2, vcc_lo, s23, v2, vcc_lo
	s_add_i32 s31, s31, 4
	s_waitcnt vmcnt(2)
	ds_store_2addr_b64 v3, v[10:11], v[4:5] offset1:32
	s_waitcnt vmcnt(0)
	ds_store_2addr_b64 v3, v[6:7], v[8:9] offset0:64 offset1:96
	v_add_nc_u32_e32 v3, 0x400, v3
	s_cmp_eq_u32 s13, s31
	s_cbranch_scc0 .LBB104_3
.LBB104_4:
	s_and_b32 s15, s28, 3
	s_delay_alu instid0(SALU_CYCLE_1)
	s_cmp_eq_u32 s15, 0
	s_cbranch_scc1 .LBB104_7
; %bb.5:
	s_mul_i32 s22, s17, s13
	s_mul_hi_u32 s23, s16, s13
	v_lshlrev_b32_e32 v1, 3, v0
	s_add_i32 s23, s23, s22
	s_mul_i32 s22, s16, s13
	s_lshl_b64 s[20:21], s[20:21], 3
	s_lshl_b64 s[22:23], s[22:23], 3
	v_lshl_or_b32 v3, s13, 8, v1
	s_add_u32 s13, s22, s20
	s_addc_u32 s20, s23, s21
	s_waitcnt lgkmcnt(0)
	s_add_u32 s10, s10, s13
	s_addc_u32 s11, s11, s20
	v_add_co_u32 v1, s10, s10, v1
	s_delay_alu instid0(VALU_DEP_1)
	v_add_co_ci_u32_e64 v2, null, s11, 0, s10
	s_lshl_b64 s[10:11], s[16:17], 3
.LBB104_6:                              ; =>This Inner Loop Header: Depth=1
	global_load_b64 v[4:5], v[1:2], off
	v_add_co_u32 v1, vcc_lo, v1, s10
	v_add_co_ci_u32_e32 v2, vcc_lo, s11, v2, vcc_lo
	s_add_i32 s15, s15, -1
	s_delay_alu instid0(SALU_CYCLE_1)
	s_cmp_lg_u32 s15, 0
	s_waitcnt vmcnt(0)
	ds_store_b64 v3, v[4:5]
	v_add_nc_u32_e32 v3, 0x100, v3
	s_cbranch_scc1 .LBB104_6
.LBB104_7:
	v_mul_u32_u24_e32 v3, 33, v0
	v_mov_b32_e32 v1, 0
	v_mov_b32_e32 v2, 0x3ff00000
	s_cmpk_lg_i32 s5, 0x84
	s_delay_alu instid0(VALU_DEP_3)
	v_lshlrev_b32_e32 v3, 3, v3
	s_cbranch_scc0 .LBB104_9
; %bb.8:
	ds_load_b64 v[1:2], v3
	s_waitcnt lgkmcnt(0)
	v_div_scale_f64 v[4:5], null, v[1:2], v[1:2], 1.0
	s_delay_alu instid0(VALU_DEP_1) | instskip(SKIP_2) | instid1(VALU_DEP_1)
	v_rcp_f64_e32 v[6:7], v[4:5]
	s_waitcnt_depctr 0xfff
	v_fma_f64 v[8:9], -v[4:5], v[6:7], 1.0
	v_fma_f64 v[6:7], v[6:7], v[8:9], v[6:7]
	s_delay_alu instid0(VALU_DEP_1) | instskip(NEXT) | instid1(VALU_DEP_1)
	v_fma_f64 v[8:9], -v[4:5], v[6:7], 1.0
	v_fma_f64 v[6:7], v[6:7], v[8:9], v[6:7]
	v_div_scale_f64 v[8:9], vcc_lo, 1.0, v[1:2], 1.0
	s_delay_alu instid0(VALU_DEP_1) | instskip(NEXT) | instid1(VALU_DEP_1)
	v_mul_f64 v[10:11], v[8:9], v[6:7]
	v_fma_f64 v[4:5], -v[4:5], v[10:11], v[8:9]
	s_delay_alu instid0(VALU_DEP_1) | instskip(NEXT) | instid1(VALU_DEP_1)
	v_div_fmas_f64 v[4:5], v[4:5], v[6:7], v[10:11]
	v_div_fixup_f64 v[1:2], v[4:5], v[1:2], 1.0
.LBB104_9:
	ds_store_b64 v3, v[1:2]
.LBB104_10:
	s_or_b32 exec_lo, exec_lo, s12
	s_clause 0x1
	s_load_b32 s5, s[0:1], 0x68
	s_load_b32 s16, s[0:1], 0x50
	s_lshl_b64 s[0:1], s[18:19], 3
	s_waitcnt lgkmcnt(0)
	s_ashr_i32 s17, s16, 31
	s_add_u32 s15, s2, s0
	s_addc_u32 s18, s3, s1
	s_lshl_b32 s10, s14, 5
	s_add_i32 s5, s5, -1
	s_sub_i32 s7, s7, s10
	s_mul_hi_i32 s13, s16, s10
	s_cmp_ge_u32 s14, s5
	s_mul_i32 s12, s16, s10
	s_cselect_b32 s14, s7, 32
	s_lshl_b64 s[12:13], s[12:13], 3
	s_ashr_i32 s11, s10, 31
	s_add_u32 s5, s15, s12
	s_addc_u32 s7, s18, s13
	v_cmp_gt_i32_e32 vcc_lo, s14, v0
	s_cmp_gt_i32 s6, 0
	s_mov_b32 s12, 0
	s_cselect_b32 s13, -1, 0
	s_delay_alu instid0(SALU_CYCLE_1) | instskip(NEXT) | instid1(SALU_CYCLE_1)
	s_and_b32 s18, vcc_lo, s13
	s_and_saveexec_b32 s19, s18
	s_cbranch_execz .LBB104_17
; %bb.11:
	s_cmp_lt_i32 s6, 8
	s_cbranch_scc1 .LBB104_14
; %bb.12:
	v_mad_i64_i32 v[1:2], null, s16, v0, 0
	v_lshl_or_b32 v3, v0, 3, 0x2000
	s_lshl_b32 s12, s28, 3
	s_mov_b64 s[14:15], 0
	s_and_b32 s13, s12, 0x1c0
	s_mov_b32 s12, 0
	s_delay_alu instid0(VALU_DEP_2) | instskip(NEXT) | instid1(VALU_DEP_1)
	v_lshlrev_b64 v[1:2], 3, v[1:2]
	v_add_co_u32 v1, vcc_lo, s5, v1
	s_delay_alu instid0(VALU_DEP_2)
	v_add_co_ci_u32_e32 v2, vcc_lo, s7, v2, vcc_lo
	s_set_inst_prefetch_distance 0x1
	.p2align	6
.LBB104_13:                             ; =>This Inner Loop Header: Depth=1
	s_delay_alu instid0(VALU_DEP_2) | instskip(NEXT) | instid1(VALU_DEP_2)
	v_add_co_u32 v16, vcc_lo, v1, s14
	v_add_co_ci_u32_e32 v17, vcc_lo, s15, v2, vcc_lo
	s_add_i32 s12, s12, 8
	s_add_u32 s14, s14, 64
	s_addc_u32 s15, s15, 0
	s_clause 0x3
	global_load_b128 v[4:7], v[16:17], off
	global_load_b128 v[8:11], v[16:17], off offset:16
	global_load_b128 v[12:15], v[16:17], off offset:32
	;; [unrolled: 1-line block ×3, first 2 shown]
	s_cmp_lg_u32 s13, s14
	s_waitcnt vmcnt(3)
	v_mul_f64 v[4:5], v[4:5], s[8:9]
	v_mul_f64 v[6:7], v[6:7], s[8:9]
	s_waitcnt vmcnt(2)
	v_mul_f64 v[8:9], v[8:9], s[8:9]
	v_mul_f64 v[10:11], v[10:11], s[8:9]
	s_waitcnt vmcnt(1)
	v_mul_f64 v[12:13], v[12:13], s[8:9]
	v_mul_f64 v[14:15], v[14:15], s[8:9]
	s_waitcnt vmcnt(0)
	v_mul_f64 v[16:17], v[16:17], s[8:9]
	v_mul_f64 v[18:19], v[18:19], s[8:9]
	ds_store_2addr_b64 v3, v[4:5], v[6:7] offset1:32
	ds_store_2addr_b64 v3, v[8:9], v[10:11] offset0:64 offset1:96
	ds_store_2addr_b64 v3, v[12:13], v[14:15] offset0:128 offset1:160
	;; [unrolled: 1-line block ×3, first 2 shown]
	v_add_nc_u32_e32 v3, 0x800, v3
	s_cbranch_scc1 .LBB104_13
.LBB104_14:
	s_set_inst_prefetch_distance 0x2
	s_and_b32 s14, s28, 7
	s_mov_b32 s13, 0
	s_cmp_eq_u32 s14, 0
	s_cbranch_scc1 .LBB104_17
; %bb.15:
	v_lshlrev_b32_e32 v3, 3, v0
	s_lshl_b64 s[20:21], s[10:11], 3
	s_lshl_b64 s[22:23], s[12:13], 3
	s_delay_alu instid0(VALU_DEP_1) | instskip(NEXT) | instid1(VALU_DEP_1)
	v_add_co_u32 v4, s13, s20, v3
	v_add_co_ci_u32_e64 v5, null, s21, 0, s13
	s_add_u32 s13, s2, s22
	s_addc_u32 s15, s3, s23
	s_add_u32 s20, s13, s0
	s_addc_u32 s21, s15, s1
	v_mul_lo_u32 v5, v5, s16
	v_mad_u64_u32 v[1:2], null, v4, s16, s[20:21]
	v_mul_lo_u32 v4, v4, s17
	v_lshl_or_b32 v3, s12, 8, v3
	s_delay_alu instid0(VALU_DEP_1) | instskip(NEXT) | instid1(VALU_DEP_3)
	v_add_nc_u32_e32 v3, 0x2000, v3
	v_add3_u32 v2, v5, v2, v4
.LBB104_16:                             ; =>This Inner Loop Header: Depth=1
	global_load_b64 v[4:5], v[1:2], off
	v_add_co_u32 v1, vcc_lo, v1, 8
	v_add_co_ci_u32_e32 v2, vcc_lo, 0, v2, vcc_lo
	s_add_i32 s14, s14, -1
	s_delay_alu instid0(SALU_CYCLE_1)
	s_cmp_lg_u32 s14, 0
	s_waitcnt vmcnt(0)
	v_mul_f64 v[4:5], v[4:5], s[8:9]
	ds_store_b64 v3, v[4:5]
	v_add_nc_u32_e32 v3, 0x100, v3
	s_cbranch_scc1 .LBB104_16
.LBB104_17:
	s_or_b32 exec_lo, exec_lo, s19
	s_cmpk_eq_i32 s4, 0x6f
	s_mov_b32 s4, -1
	s_waitcnt vmcnt(0) lgkmcnt(0)
	s_waitcnt_vscnt null, 0x0
	; wave barrier
	s_waitcnt lgkmcnt(0)
	buffer_gl0_inv
	s_cbranch_scc1 .LBB104_40
; %bb.18:
	s_cmp_gt_i32 s6, 31
	s_mov_b32 s4, s29
	s_cbranch_scc0 .LBB104_20
; %bb.19:
	s_mul_i32 s8, s29, 0x108
	s_lshl_b32 s9, s28, 5
	s_add_i32 s14, s8, 0xfffffef8
	s_delay_alu instid0(SALU_CYCLE_1) | instskip(SKIP_3) | instid1(VALU_DEP_2)
	v_dual_mov_b32 v4, s14 :: v_dual_lshlrev_b32 v67, 3, v0
	s_add_i32 s13, s9, 0xffffff80
	s_sub_i32 s4, s9, 64
	v_or_b32_e32 v3, s13, v0
	v_lshl_or_b32 v68, s29, 8, v67
	v_mov_b32_e32 v1, s8
	s_add_i32 s12, s9, 0xffffffa0
	s_add_i32 s13, s13, s29
	v_lshlrev_b32_e32 v70, 3, v3
	ds_load_b64 v[5:6], v68 offset:8192
	ds_load_b64 v[7:8], v1
	v_or_b32_e32 v1, s4, v0
	v_or_b32_e32 v2, s12, v0
	s_add_i32 s12, s12, s29
	s_add_i32 s15, s9, 0xffffff00
	s_lshl_b32 s4, s12, 3
	v_lshlrev_b32_e32 v9, 3, v1
	v_lshlrev_b32_e32 v69, 3, v2
	ds_load_2addr_b64 v[1:4], v4 offset1:1
	ds_load_b64 v[9:10], v9 offset:8192
	ds_load_b64 v[11:12], v69 offset:8192
	;; [unrolled: 1-line block ×3, first 2 shown]
	s_add_i32 s12, s9, 0xffffff40
	s_add_i32 s39, s9, 0xfffffd40
	;; [unrolled: 1-line block ×3, first 2 shown]
	v_or_b32_e32 v140, s39, v0
	v_or_b32_e32 v142, s41, v0
	s_add_i32 s25, s9, 0xfffffc80
	s_add_i32 s22, s8, 0xfffff9d0
	v_or_b32_e32 v160, s25, v0
	s_add_i32 s21, s9, 0xfffffe20
	s_waitcnt lgkmcnt(4)
	v_mul_f64 v[41:42], v[7:8], v[5:6]
	s_add_i32 s43, s8, 0xfffff7c0
	s_add_i32 s44, s8, 0xfffff6b8
	;; [unrolled: 1-line block ×3, first 2 shown]
	s_sub_i32 s26, s28, 32
	v_or_b32_e32 v97, s27, v0
	s_add_i32 s27, s27, s29
	s_add_i32 s30, s9, 0xfffffdc0
	;; [unrolled: 1-line block ×8, first 2 shown]
	v_or_b32_e32 v139, s38, v0
	s_add_i32 s38, s38, s29
	s_add_i32 s39, s39, s29
	v_or_b32_e32 v141, s40, v0
	v_or_b32_e32 v161, s35, v0
	s_add_i32 s40, s40, s29
	s_add_i32 s35, s35, s29
	;; [unrolled: 1-line block ×3, first 2 shown]
	v_or_b32_e32 v157, s42, v0
	s_add_i32 s42, s42, s29
	s_waitcnt lgkmcnt(2)
	v_fma_f64 v[7:8], -v[41:42], v[3:4], v[9:10]
	v_mov_b32_e32 v3, s4
	s_add_i32 s4, s8, 0xfffffdf0
	ds_load_b64 v[9:10], v3
	v_mov_b32_e32 v3, s4
	s_lshl_b32 s4, s13, 3
	s_add_i32 s13, s9, 0xffffff20
	s_add_i32 s4, s4, -8
	ds_load_2addr_b64 v[3:6], v3 offset1:1
	s_waitcnt lgkmcnt(1)
	v_fma_f64 v[17:18], -v[41:42], v[9:10], v[11:12]
	v_mul_f64 v[39:40], v[1:2], v[7:8]
	v_mov_b32_e32 v1, s4
	s_add_i32 s4, s8, 0xfffffce8
	ds_load_2addr_b64 v[7:10], v1 offset1:1
	v_mov_b32_e32 v1, s4
	s_add_i32 s4, s9, 0xffffff60
	ds_load_2addr_b64 v[11:14], v1 offset1:1
	s_waitcnt lgkmcnt(1)
	v_fma_f64 v[1:2], -v[41:42], v[9:10], v[15:16]
	v_or_b32_e32 v9, s4, v0
	s_add_i32 s4, s4, s29
	v_or_b32_e32 v15, s12, v0
	s_lshl_b32 s4, s4, 3
	s_add_i32 s12, s12, s29
	v_dual_mov_b32 v10, s4 :: v_dual_lshlrev_b32 v71, 3, v9
	ds_load_b64 v[9:10], v10
	ds_load_b64 v[19:20], v71 offset:8192
	v_fma_f64 v[5:6], -v[39:40], v[5:6], v[17:18]
	s_add_i32 s4, s4, -16
	v_or_b32_e32 v16, s13, v0
	v_dual_mov_b32 v15, s4 :: v_dual_lshlrev_b32 v72, 3, v15
	s_lshl_b32 s4, s12, 3
	v_or_b32_e32 v17, s15, v0
	s_add_i32 s12, s4, -8
	v_lshlrev_b32_e32 v73, 3, v16
	s_add_i32 s13, s13, s29
	s_add_i32 s15, s15, s29
	v_lshlrev_b32_e32 v74, 3, v17
	ds_load_b64 v[21:22], v72 offset:8192
	ds_load_b64 v[23:24], v73 offset:8192
	;; [unrolled: 1-line block ×3, first 2 shown]
	ds_load_2addr_b64 v[15:18], v15 offset1:1
	s_lshl_b32 s14, s13, 3
	s_lshl_b32 s19, s15, 3
	s_sub_i32 s4, s4, 24
	s_add_i32 s13, s9, 0xfffffea0
	s_waitcnt lgkmcnt(4)
	v_fma_f64 v[9:10], -v[41:42], v[9:10], v[19:20]
	s_add_i32 s15, s9, 0xfffffe80
	v_fma_f64 v[7:8], -v[39:40], v[7:8], v[1:2]
	v_mov_b32_e32 v1, s12
	s_add_i32 s12, s14, -8
	v_mul_f64 v[43:44], v[3:4], v[5:6]
	ds_load_2addr_b64 v[1:4], v1 offset1:1
	s_waitcnt lgkmcnt(1)
	v_fma_f64 v[17:18], -v[39:40], v[17:18], v[9:10]
	s_waitcnt lgkmcnt(0)
	v_fma_f64 v[19:20], -v[41:42], v[3:4], v[21:22]
	v_mov_b32_e32 v3, s12
	s_sub_i32 s12, s14, 24
	s_sub_i32 s14, s14, 40
	ds_load_2addr_b64 v[3:6], v3 offset1:1
	v_fma_f64 v[13:14], -v[43:44], v[13:14], v[7:8]
	v_mov_b32_e32 v7, s12
	s_add_i32 s12, s8, 0xfffffbe0
	ds_load_2addr_b64 v[7:10], v7 offset1:1
	s_waitcnt lgkmcnt(1)
	v_fma_f64 v[5:6], -v[41:42], v[5:6], v[23:24]
	v_fma_f64 v[29:30], -v[43:44], v[15:16], v[17:18]
	v_mov_b32_e32 v15, s12
	v_fma_f64 v[1:2], -v[39:40], v[1:2], v[19:20]
	s_add_i32 s12, s19, -16
	s_delay_alu instid0(SALU_CYCLE_1)
	v_mov_b32_e32 v23, s12
	v_mul_f64 v[45:46], v[11:12], v[13:14]
	v_dual_mov_b32 v11, s19 :: v_dual_mov_b32 v12, s4
	s_add_i32 s4, s8, 0xfffffad8
	ds_load_b64 v[31:32], v11
	ds_load_2addr_b64 v[11:14], v12 offset1:1
	ds_load_2addr_b64 v[15:18], v15 offset1:1
	v_mov_b32_e32 v19, s4
	s_add_i32 s4, s9, 0xfffffee0
	v_fma_f64 v[5:6], -v[39:40], v[3:4], v[5:6]
	s_add_i32 s12, s4, s29
	ds_load_2addr_b64 v[19:22], v19 offset1:1
	ds_load_2addr_b64 v[23:26], v23 offset1:1
	s_waitcnt lgkmcnt(4)
	v_fma_f64 v[31:32], -v[41:42], v[31:32], v[27:28]
	s_waitcnt lgkmcnt(3)
	v_fma_f64 v[13:14], -v[43:44], v[13:14], v[1:2]
	v_or_b32_e32 v1, s4, v0
	s_lshl_b32 s4, s12, 3
	v_or_b32_e32 v28, s13, v0
	s_add_i32 s12, s4, -8
	s_sub_i32 s20, s4, 24
	v_dual_mov_b32 v2, s12 :: v_dual_lshlrev_b32 v75, 3, v1
	ds_load_2addr_b64 v[1:4], v2 offset1:1
	ds_load_b64 v[33:34], v75 offset:8192
	s_add_i32 s12, s9, 0xfffffec0
	s_waitcnt lgkmcnt(4)
	v_fma_f64 v[17:18], -v[45:46], v[17:18], v[29:30]
	v_or_b32_e32 v27, s12, v0
	s_add_i32 s12, s12, s29
	v_or_b32_e32 v29, s15, v0
	s_lshl_b32 s12, s12, 3
	v_lshlrev_b32_e32 v77, 3, v28
	v_dual_mov_b32 v27, s20 :: v_dual_lshlrev_b32 v76, 3, v27
	s_delay_alu instid0(VALU_DEP_3)
	v_lshlrev_b32_e32 v78, 3, v29
	v_fma_f64 v[5:6], -v[43:44], v[9:10], v[5:6]
	ds_load_b64 v[35:36], v76 offset:8192
	ds_load_b64 v[37:38], v77 offset:8192
	;; [unrolled: 1-line block ×3, first 2 shown]
	ds_load_2addr_b64 v[27:30], v27 offset1:1
	s_add_i32 s20, s12, -16
	s_add_i32 s13, s13, s29
	s_add_i32 s15, s15, s29
	s_lshl_b32 s13, s13, 3
	s_sub_i32 s24, s12, 32
	s_sub_i32 s23, s4, 40
	s_waitcnt lgkmcnt(4)
	v_fma_f64 v[3:4], -v[41:42], v[3:4], v[33:34]
	s_sub_i32 s4, s4, 56
	v_fma_f64 v[25:26], -v[39:40], v[25:26], v[31:32]
	v_fma_f64 v[9:10], -v[45:46], v[11:12], v[13:14]
	v_mov_b32_e32 v11, s12
	v_mov_b32_e32 v13, s20
	s_sub_i32 s20, s19, 32
	ds_load_b64 v[11:12], v11
	v_mul_f64 v[47:48], v[15:16], v[17:18]
	ds_load_2addr_b64 v[13:16], v13 offset1:1
	v_fma_f64 v[31:32], -v[45:46], v[7:8], v[5:6]
	v_mov_b32_e32 v5, s14
	s_sub_i32 s14, s19, 48
	s_add_i32 s19, s13, -16
	s_waitcnt lgkmcnt(1)
	v_fma_f64 v[11:12], -v[41:42], v[11:12], v[35:36]
	v_mov_b32_e32 v33, s19
	s_add_i32 s19, s9, 0xfffffe40
	v_fma_f64 v[17:18], -v[39:40], v[1:2], v[3:4]
	v_dual_mov_b32 v1, s13 :: v_dual_mov_b32 v2, s20
	v_fma_f64 v[25:26], -v[43:44], v[23:24], v[25:26]
	v_fma_f64 v[9:10], -v[47:48], v[21:22], v[9:10]
	ds_load_b64 v[49:50], v1
	ds_load_2addr_b64 v[1:4], v2 offset1:1
	ds_load_2addr_b64 v[21:24], v5 offset1:1
	v_mov_b32_e32 v5, s14
	s_lshl_b32 s14, s15, 3
	ds_load_2addr_b64 v[5:8], v5 offset1:1
	ds_load_2addr_b64 v[33:36], v33 offset1:1
	s_add_i32 s15, s14, -8
	s_sub_i32 s20, s14, 24
	s_waitcnt lgkmcnt(5)
	v_fma_f64 v[15:16], -v[39:40], v[15:16], v[11:12]
	v_fma_f64 v[17:18], -v[43:44], v[29:30], v[17:18]
	s_waitcnt lgkmcnt(4)
	v_fma_f64 v[37:38], -v[41:42], v[49:50], v[37:38]
	s_waitcnt lgkmcnt(2)
	v_fma_f64 v[23:24], -v[47:48], v[23:24], v[31:32]
	v_fma_f64 v[3:4], -v[45:46], v[3:4], v[25:26]
	v_mul_f64 v[49:50], v[19:20], v[9:10]
	v_mov_b32_e32 v9, s15
	s_add_i32 s15, s9, 0xfffffe60
	v_or_b32_e32 v20, s19, v0
	v_or_b32_e32 v19, s15, v0
	s_add_i32 s15, s15, s29
	ds_load_2addr_b64 v[57:60], v9 offset1:1
	s_lshl_b32 s15, s15, 3
	v_mov_b32_e32 v9, s20
	v_lshlrev_b32_e32 v79, 3, v19
	s_add_i32 s19, s19, s29
	s_add_i32 s20, s9, 0xfffffe00
	s_lshl_b32 s19, s19, 3
	ds_load_2addr_b64 v[9:12], v9 offset1:1
	v_lshlrev_b32_e32 v80, 3, v20
	s_sub_i32 s34, s19, 24
	s_sub_i32 s51, s19, 40
	v_fma_f64 v[83:84], -v[45:46], v[27:28], v[17:18]
	s_waitcnt lgkmcnt(2)
	v_fma_f64 v[35:36], -v[39:40], v[35:36], v[37:38]
	v_fma_f64 v[37:38], -v[43:44], v[13:14], v[15:16]
	v_mov_b32_e32 v15, s15
	v_mov_b32_e32 v17, s24
	ds_load_b64 v[61:62], v15
	ds_load_b64 v[63:64], v79 offset:8192
	s_waitcnt lgkmcnt(3)
	v_fma_f64 v[59:60], -v[41:42], v[59:60], v[51:52]
	v_fma_f64 v[1:2], -v[47:48], v[1:2], v[3:4]
	v_dual_mov_b32 v15, s22 :: v_dual_mov_b32 v16, s23
	ds_load_2addr_b64 v[29:32], v17 offset1:1
	ds_load_2addr_b64 v[25:28], v16 offset1:1
	ds_load_b64 v[85:86], v15
	v_or_b32_e32 v13, s21, v0
	v_or_b32_e32 v14, s20, v0
	v_fma_f64 v[3:4], -v[49:50], v[21:22], v[23:24]
	s_sub_i32 s22, s12, 48
	s_add_i32 s23, s15, -16
	v_lshlrev_b32_e32 v81, 3, v13
	v_mov_b32_e32 v13, s4
	s_add_i32 s4, s19, -8
	v_dual_mov_b32 v17, s22 :: v_dual_lshlrev_b32 v82, 3, v14
	s_waitcnt lgkmcnt(3)
	v_fma_f64 v[65:66], -v[41:42], v[61:62], v[63:64]
	v_mov_b32_e32 v21, s23
	ds_load_b64 v[55:56], v80 offset:8192
	ds_load_b64 v[53:54], v81 offset:8192
	;; [unrolled: 1-line block ×3, first 2 shown]
	ds_load_2addr_b64 v[13:16], v13 offset1:1
	ds_load_2addr_b64 v[17:20], v17 offset1:1
	;; [unrolled: 1-line block ×3, first 2 shown]
	s_add_i32 s21, s21, s29
	s_add_i32 s20, s20, s29
	s_lshl_b32 s31, s21, 3
	s_add_i32 s21, s8, 0xfffff8c8
	s_lshl_b32 s33, s20, 3
	s_add_i32 s8, s31, -16
	s_add_i32 s20, s33, -8
	s_sub_i32 s52, s33, 24
	v_fma_f64 v[61:62], -v[43:44], v[33:34], v[35:36]
	v_mov_b32_e32 v87, s52
	s_sub_i32 s12, s12, 64
	s_add_i32 s23, s9, 0xfffffcc0
	s_add_i32 s24, s9, 0xfffffca0
	v_or_b32_e32 v158, s23, v0
	v_or_b32_e32 v159, s24, v0
	v_fma_f64 v[63:64], -v[39:40], v[57:58], v[59:60]
	s_waitcnt lgkmcnt(8)
	v_fma_f64 v[59:60], -v[45:46], v[31:32], v[37:38]
	s_waitcnt lgkmcnt(7)
	v_fma_f64 v[57:58], -v[47:48], v[27:28], v[83:84]
	v_fma_f64 v[7:8], -v[49:50], v[7:8], v[1:2]
	v_mov_b32_e32 v1, s4
	s_sub_i32 s4, s13, 32
	s_delay_alu instid0(SALU_CYCLE_1)
	v_mov_b32_e32 v2, s4
	s_mul_i32 s4, s28, 0x108
	ds_load_2addr_b64 v[35:38], v1 offset1:1
	s_add_i32 s22, s4, 0xfffff298
	s_waitcnt lgkmcnt(7)
	v_mul_f64 v[27:28], v[85:86], v[3:4]
	ds_load_2addr_b64 v[31:34], v2 offset1:1
	v_mov_b32_e32 v1, s22
	s_sub_i32 s22, s13, 48
	s_add_i32 s50, s4, 0xffffee78
	s_sub_i32 s13, s13, 64
	s_add_i32 s45, s4, 0xfffff4a8
	ds_load_2addr_b64 v[1:4], v1 offset1:1
	s_waitcnt lgkmcnt(3)
	v_fma_f64 v[23:24], -v[39:40], v[23:24], v[65:66]
	s_add_i32 s46, s4, 0xfffff3a0
	s_add_i32 s47, s4, 0xfffff190
	;; [unrolled: 1-line block ×3, first 2 shown]
	s_delay_alu instid0(SALU_CYCLE_1) | instskip(SKIP_1) | instid1(SALU_CYCLE_1)
	v_dual_mov_b32 v162, s47 :: v_dual_mov_b32 v165, s48
	s_add_i32 s49, s4, 0xffffef80
	v_mov_b32_e32 v190, s49
	s_waitcnt lgkmcnt(2)
	v_fma_f64 v[37:38], -v[41:42], v[37:38], v[55:56]
	s_waitcnt lgkmcnt(1)
	v_fma_f64 v[33:34], -v[45:46], v[33:34], v[61:62]
	v_mov_b32_e32 v61, s51
	v_fma_f64 v[11:12], -v[43:44], v[11:12], v[63:64]
	v_fma_f64 v[29:30], -v[47:48], v[29:30], v[59:60]
	;; [unrolled: 1-line block ×4, first 2 shown]
	v_mov_b32_e32 v5, s31
	ds_load_b64 v[57:58], v5
	v_mov_b32_e32 v5, s21
	v_fma_f64 v[93:94], -v[43:44], v[21:22], v[23:24]
	s_add_i32 s21, s9, 0xfffffc40
	v_mov_b32_e32 v23, s34
	v_or_b32_e32 v187, s21, v0
	ds_load_b64 v[59:60], v5
	v_mov_b32_e32 v83, s22
	v_mov_b32_e32 v5, s8
	s_sub_i32 s8, s14, 40
	s_sub_i32 s34, s15, 48
	s_add_i32 s22, s9, 0xfffffc20
	v_fma_f64 v[91:92], -v[39:40], v[35:36], v[37:38]
	v_mov_b32_e32 v35, s8
	ds_load_2addr_b64 v[83:86], v83 offset1:1
	v_fma_f64 v[95:96], -v[47:48], v[31:32], v[33:34]
	ds_load_2addr_b64 v[5:8], v5 offset1:1
	s_lshl_b32 s8, s26, 5
	s_sub_i32 s26, s14, 56
	s_addk_i32 s9, 0xfc00
	s_waitcnt lgkmcnt(3)
	v_fma_f64 v[65:66], -v[41:42], v[57:58], v[53:54]
	v_fma_f64 v[11:12], -v[45:46], v[9:10], v[11:12]
	;; [unrolled: 1-line block ×4, first 2 shown]
	v_mov_b32_e32 v19, s20
	s_sub_i32 s20, s15, 32
	v_mov_b32_e32 v57, s34
	v_mov_b32_e32 v31, s20
	s_lshl_b32 s34, s27, 3
	ds_load_2addr_b64 v[19:22], v19 offset1:1
	ds_load_2addr_b64 v[23:26], v23 offset1:1
	;; [unrolled: 1-line block ×4, first 2 shown]
	s_waitcnt lgkmcnt(6)
	v_mul_f64 v[9:10], v[59:60], v[55:56]
	v_mov_b32_e32 v53, s26
	ds_load_2addr_b64 v[53:56], v53 offset1:1
	ds_load_2addr_b64 v[57:60], v57 offset1:1
	;; [unrolled: 1-line block ×4, first 2 shown]
	v_or_b32_e32 v189, s9, v0
	s_sub_i32 s9, s31, 48
	s_add_i32 s20, s4, 0xffffed70
	s_lshl_b32 s27, s38, 3
	s_sub_i32 s38, s34, 32
	v_mov_b32_e32 v205, s20
	s_sub_i32 s20, s33, 40
	s_sub_i32 s48, s27, 32
	v_or_b32_e32 v188, s22, v0
	s_sub_i32 s49, s27, 48
	s_waitcnt lgkmcnt(7)
	v_fma_f64 v[21:22], -v[41:42], v[21:22], v[51:52]
	s_waitcnt lgkmcnt(6)
	v_fma_f64 v[51:52], -v[43:44], v[25:26], v[91:92]
	;; [unrolled: 2-line block ×3, first 2 shown]
	v_lshlrev_b32_e32 v25, 3, v97
	v_mov_b32_e32 v91, s43
	v_or_b32_e32 v26, s30, v0
	s_add_i32 s30, s30, s29
	s_delay_alu instid0(SALU_CYCLE_1)
	s_lshl_b32 s43, s30, 3
	v_fma_f64 v[7:8], -v[39:40], v[7:8], v[65:66]
	s_waitcnt lgkmcnt(4)
	v_fma_f64 v[11:12], -v[47:48], v[37:38], v[11:12]
	v_fma_f64 v[37:38], -v[49:50], v[85:86], v[95:96]
	;; [unrolled: 1-line block ×3, first 2 shown]
	v_or_b32_e32 v29, s36, v0
	v_or_b32_e32 v30, s37, v0
	v_lshlrev_b32_e32 v26, 3, v26
	s_add_i32 s36, s36, s29
	s_add_i32 s37, s37, s29
	v_lshlrev_b32_e32 v29, 3, v29
	v_lshlrev_b32_e32 v30, 3, v30
	s_lshl_b32 s26, s36, 3
	v_fma_f64 v[65:66], -v[9:10], v[13:14], v[15:16]
	v_mov_b32_e32 v13, s34
	s_lshl_b32 s30, s37, 3
	s_add_i32 s37, s26, -16
	ds_load_b64 v[85:86], v13
	ds_load_b64 v[95:96], v25 offset:8192
	v_mov_b32_e32 v13, s12
	s_add_i32 s12, s34, -16
	ds_load_2addr_b64 v[13:16], v13 offset1:1
	ds_load_b64 v[97:98], v91
	v_mov_b32_e32 v91, s12
	s_add_i32 s12, s43, -8
	ds_load_b64 v[99:100], v26 offset:8192
	ds_load_b64 v[101:102], v29 offset:8192
	;; [unrolled: 1-line block ×3, first 2 shown]
	ds_load_2addr_b64 v[91:94], v91 offset1:1
	s_sub_i32 s36, s33, 56
	v_fma_f64 v[103:104], -v[39:40], v[19:20], v[21:22]
	v_fma_f64 v[23:24], -v[45:46], v[23:24], v[51:52]
	;; [unrolled: 1-line block ×3, first 2 shown]
	v_mov_b32_e32 v31, s13
	s_add_i32 s13, s15, 0xffffffb0
	s_sub_i32 s47, s30, 24
	s_delay_alu instid0(SALU_CYCLE_1)
	v_mov_b32_e32 v119, s47
	s_sub_i32 s47, s30, 56
	s_waitcnt lgkmcnt(6)
	v_fma_f64 v[95:96], -v[41:42], v[85:86], v[95:96]
	v_fma_f64 v[105:106], -v[43:44], v[5:6], v[7:8]
	;; [unrolled: 1-line block ×4, first 2 shown]
	v_mov_b32_e32 v5, s50
	s_waitcnt lgkmcnt(5)
	v_fma_f64 v[111:112], -v[9:10], v[15:16], v[17:18]
	v_mov_b32_e32 v15, s12
	s_sub_i32 s12, s31, 32
	ds_load_2addr_b64 v[5:8], v5 offset1:1
	ds_load_2addr_b64 v[15:18], v15 offset1:1
	v_mov_b32_e32 v19, s12
	s_waitcnt lgkmcnt(6)
	v_mul_f64 v[11:12], v[97:98], v[65:66]
	ds_load_2addr_b64 v[31:34], v31 offset1:1
	v_mov_b32_e32 v35, s45
	v_mov_b32_e32 v65, s9
	ds_load_2addr_b64 v[19:22], v19 offset1:1
	ds_load_2addr_b64 v[35:38], v35 offset1:1
	;; [unrolled: 1-line block ×3, first 2 shown]
	v_dual_mov_b32 v97, s44 :: v_dual_mov_b32 v98, s46
	s_add_i32 s46, s30, -8
	s_add_i32 s9, s14, 0xffffffb8
	s_sub_i32 s14, s19, 56
	s_sub_i32 s44, s43, 24
	;; [unrolled: 1-line block ×3, first 2 shown]
	s_add_i32 s15, s19, 0xffffffb8
	s_sub_i32 s45, s43, 40
	v_fma_f64 v[89:90], -v[43:44], v[89:90], v[103:104]
	s_waitcnt lgkmcnt(4)
	v_fma_f64 v[17:18], -v[41:42], v[17:18], v[99:100]
	v_fma_f64 v[63:64], -v[47:48], v[63:64], v[23:24]
	v_fma_f64 v[51:52], -v[49:50], v[59:60], v[51:52]
	v_mov_b32_e32 v99, s13
	v_mov_b32_e32 v103, s15
	;; [unrolled: 1-line block ×3, first 2 shown]
	s_add_i32 s13, s25, s29
	s_lshl_b32 s25, s39, 3
	v_fma_f64 v[65:66], -v[39:40], v[93:94], v[95:96]
	s_waitcnt lgkmcnt(2)
	v_fma_f64 v[93:94], -v[45:46], v[21:22], v[105:106]
	v_fma_f64 v[55:56], -v[27:28], v[55:56], v[107:108]
	;; [unrolled: 1-line block ×3, first 2 shown]
	v_mov_b32_e32 v21, s26
	ds_load_b64 v[95:96], v97
	s_lshl_b32 s15, s35, 3
	s_add_i32 s35, s19, 0xffffffa8
	s_add_i32 s19, s31, 0xffffffb0
	ds_load_b64 v[59:60], v21
	s_add_i32 s39, s34, 0xffffffb0
	s_sub_i32 s50, s25, 24
	v_fma_f64 v[13:14], -v[11:12], v[13:14], v[111:112]
	s_sub_i32 s51, s25, 40
	s_add_i32 s45, s43, 0xffffff98
	v_fma_f64 v[131:132], -v[45:46], v[87:88], v[89:90]
	v_fma_f64 v[127:128], -v[39:40], v[15:16], v[17:18]
	v_mov_b32_e32 v15, s46
	v_fma_f64 v[133:134], -v[49:50], v[61:62], v[63:64]
	v_fma_f64 v[135:136], -v[27:28], v[57:58], v[51:52]
	v_mov_b32_e32 v51, s44
	v_mov_b32_e32 v63, s14
	ds_load_2addr_b64 v[15:18], v15 offset1:1
	s_waitcnt lgkmcnt(1)
	v_fma_f64 v[125:126], -v[41:42], v[59:60], v[101:102]
	v_fma_f64 v[129:130], -v[43:44], v[91:92], v[65:66]
	;; [unrolled: 1-line block ×5, first 2 shown]
	v_dual_mov_b32 v21, s37 :: v_dual_mov_b32 v34, s12
	v_mov_b32_e32 v55, s38
	v_mov_b32_e32 v33, s9
	;; [unrolled: 1-line block ×3, first 2 shown]
	ds_load_2addr_b64 v[21:24], v21 offset1:1
	ds_load_2addr_b64 v[51:54], v51 offset1:1
	;; [unrolled: 1-line block ×4, first 2 shown]
	v_mul_f64 v[13:14], v[95:96], v[13:14]
	ds_load_2addr_b64 v[63:66], v63 offset1:1
	ds_load_2addr_b64 v[87:90], v34 offset1:1
	;; [unrolled: 1-line block ×3, first 2 shown]
	s_sub_i32 s37, s34, 48
	s_delay_alu instid0(SALU_CYCLE_1)
	v_dual_mov_b32 v33, s36 :: v_dual_mov_b32 v34, s37
	ds_load_2addr_b64 v[95:98], v98 offset1:1
	ds_load_2addr_b64 v[99:102], v99 offset1:1
	;; [unrolled: 1-line block ×7, first 2 shown]
	s_waitcnt lgkmcnt(14)
	v_fma_f64 v[123:124], -v[41:42], v[17:18], v[123:124]
	v_mov_b32_e32 v17, s27
	s_add_i32 s9, s23, s29
	s_add_i32 s36, s21, s29
	s_lshl_b32 s21, s9, 3
	s_add_i32 s9, s27, -16
	v_lshlrev_b32_e32 v33, 3, v141
	v_lshlrev_b32_e32 v34, 3, v142
	s_add_i32 s12, s24, s29
	s_add_i32 s37, s22, s29
	;; [unrolled: 1-line block ×3, first 2 shown]
	s_lshl_b32 s24, s40, 3
	s_waitcnt lgkmcnt(12)
	v_fma_f64 v[53:54], -v[43:44], v[53:54], v[127:128]
	s_waitcnt lgkmcnt(10)
	v_fma_f64 v[61:62], -v[47:48], v[61:62], v[131:132]
	s_waitcnt lgkmcnt(9)
	v_fma_f64 v[65:66], -v[27:28], v[65:66], v[133:134]
	s_waitcnt lgkmcnt(8)
	v_fma_f64 v[89:90], -v[9:10], v[89:90], v[135:136]
	s_lshl_b32 s20, s12, 3
	s_lshl_b32 s14, s13, 3
	;; [unrolled: 1-line block ×3, first 2 shown]
	v_fma_f64 v[23:24], -v[39:40], v[23:24], v[125:126]
	v_fma_f64 v[57:58], -v[45:46], v[57:58], v[129:130]
	;; [unrolled: 1-line block ×3, first 2 shown]
	s_waitcnt lgkmcnt(7)
	v_fma_f64 v[93:94], -v[11:12], v[93:94], v[137:138]
	s_lshl_b32 s12, s37, 3
	s_add_i32 s36, s31, 0xffffffa0
	s_add_i32 s37, s33, 0xffffffa8
	s_lshl_b32 s23, s41, 3
	s_add_i32 s40, s34, 0xffffffa0
	s_add_i32 s53, s23, -8
	s_add_i32 s41, s34, 0xffffff90
	s_add_i32 s52, s24, -16
	s_sub_i32 s46, s30, 40
	v_fma_f64 v[37:38], -v[13:14], v[37:38], v[31:32]
	v_lshlrev_b32_e32 v31, 3, v139
	v_lshlrev_b32_e32 v32, 3, v140
	ds_load_b64 v[125:126], v17
	ds_load_b64 v[127:128], v31 offset:8192
	v_fma_f64 v[123:124], -v[39:40], v[15:16], v[123:124]
	v_mov_b32_e32 v17, s9
	s_add_i32 s9, s25, -8
	ds_load_b64 v[129:130], v32 offset:8192
	ds_load_b64 v[131:132], v33 offset:8192
	;; [unrolled: 1-line block ×3, first 2 shown]
	ds_load_2addr_b64 v[17:20], v17 offset1:1
	s_lshl_b32 s22, s42, 3
	s_add_i32 s42, s43, 0xffffffb8
	v_mov_b32_e32 v163, s22
	s_sub_i32 s54, s23, 24
	s_add_i32 s44, s43, 0xffffffa8
	s_add_i32 s58, s20, -16
	s_add_i32 s59, s14, -8
	s_sub_i32 s56, s22, 32
	v_fma_f64 v[133:134], -v[45:46], v[51:52], v[53:54]
	v_fma_f64 v[137:138], -v[49:50], v[59:60], v[61:62]
	;; [unrolled: 1-line block ×4, first 2 shown]
	s_sub_i32 s55, s23, 56
	s_sub_i32 s57, s22, 48
	;; [unrolled: 1-line block ×3, first 2 shown]
	s_waitcnt lgkmcnt(4)
	v_fma_f64 v[125:126], -v[41:42], v[125:126], v[127:128]
	v_fma_f64 v[127:128], -v[43:44], v[21:22], v[23:24]
	v_fma_f64 v[135:136], -v[47:48], v[55:56], v[57:58]
	v_fma_f64 v[83:84], -v[27:28], v[83:84], v[85:86]
	v_fma_f64 v[85:86], -v[13:14], v[91:92], v[93:94]
	v_mov_b32_e32 v21, s9
	s_sub_i32 s9, s26, 32
	v_mov_b32_e32 v55, s19
	s_add_i32 s19, s43, 0xffffff88
	ds_load_2addr_b64 v[21:24], v21 offset1:1
	v_mov_b32_e32 v206, s19
	s_add_i32 s19, s4, 0xffffec68
	v_mul_f64 v[15:16], v[35:36], v[37:38]
	v_mov_b32_e32 v35, s9
	s_sub_i32 s9, s31, 64
	s_add_i32 s31, s33, 0xffffffb8
	v_mov_b32_e32 v51, s9
	s_lshl_b32 s9, s38, 3
	ds_load_2addr_b64 v[35:38], v35 offset1:1
	v_fma_f64 v[87:88], -v[43:44], v[121:122], v[123:124]
	s_add_i32 s38, s33, 0xffffff98
	ds_load_2addr_b64 v[51:54], v51 offset1:1
	s_sub_i32 s33, s26, 48
	v_mov_b32_e32 v123, s47
	v_mov_b32_e32 v59, s33
	ds_load_2addr_b64 v[55:58], v55 offset1:1
	ds_load_2addr_b64 v[59:62], v59 offset1:1
	s_waitcnt lgkmcnt(4)
	v_fma_f64 v[23:24], -v[41:42], v[23:24], v[129:130]
	v_fma_f64 v[89:90], -v[47:48], v[117:118], v[133:134]
	;; [unrolled: 1-line block ×3, first 2 shown]
	s_sub_i32 s33, s34, 64
	v_fma_f64 v[101:102], -v[13:14], v[101:102], v[65:66]
	s_sub_i32 s34, s43, 56
	v_mov_b32_e32 v109, s33
	v_mov_b32_e32 v117, s39
	v_fma_f64 v[19:20], -v[39:40], v[19:20], v[125:126]
	s_waitcnt lgkmcnt(3)
	v_fma_f64 v[37:38], -v[45:46], v[37:38], v[127:128]
	v_fma_f64 v[91:92], -v[49:50], v[113:114], v[135:136]
	v_mov_b32_e32 v113, s37
	s_waitcnt lgkmcnt(2)
	v_fma_f64 v[53:54], -v[9:10], v[53:54], v[83:84]
	v_fma_f64 v[83:84], -v[11:12], v[105:106], v[63:64]
	v_mov_b32_e32 v63, s24
	v_dual_mov_b32 v105, s35 :: v_dual_mov_b32 v106, s31
	v_mov_b32_e32 v127, s49
	v_mov_b32_e32 v135, s54
	s_sub_i32 s43, s26, 64
	s_add_i32 s37, s26, 0xffffffb0
	v_fma_f64 v[85:86], -v[15:16], v[97:98], v[85:86]
	ds_load_b64 v[97:98], v63
	s_add_i32 s47, s30, 0xffffffa8
	s_add_i32 s49, s27, 0xffffffb0
	;; [unrolled: 1-line block ×3, first 2 shown]
	s_sub_i32 s54, s24, 64
	s_add_i32 s33, s30, 0xffffff88
	v_fma_f64 v[145:146], -v[45:46], v[119:120], v[87:88]
	v_mov_b32_e32 v87, s46
	v_mov_b32_e32 v119, s42
	s_add_i32 s46, s30, 0xffffffb8
	s_add_i32 s42, s26, 0xffffff90
	;; [unrolled: 1-line block ×4, first 2 shown]
	v_fma_f64 v[23:24], -v[39:40], v[21:22], v[23:24]
	v_fma_f64 v[149:150], -v[9:10], v[107:108], v[93:94]
	;; [unrolled: 1-line block ×4, first 2 shown]
	v_mov_b32_e32 v19, s53
	v_fma_f64 v[35:36], -v[47:48], v[35:36], v[37:38]
	v_fma_f64 v[37:38], -v[49:50], v[115:116], v[89:90]
	;; [unrolled: 1-line block ×5, first 2 shown]
	ds_load_2addr_b64 v[19:22], v19 offset1:1
	s_waitcnt lgkmcnt(1)
	v_fma_f64 v[141:142], -v[41:42], v[97:98], v[131:132]
	v_mov_b32_e32 v63, s52
	v_mov_b32_e32 v91, s34
	;; [unrolled: 1-line block ×4, first 2 shown]
	v_mul_f64 v[17:18], v[95:96], v[85:86]
	ds_load_2addr_b64 v[63:66], v63 offset1:1
	ds_load_2addr_b64 v[51:54], v51 offset1:1
	;; [unrolled: 1-line block ×8, first 2 shown]
	v_mov_b32_e32 v131, s51
	ds_load_2addr_b64 v[107:110], v162 offset1:1
	ds_load_2addr_b64 v[111:114], v113 offset1:1
	;; [unrolled: 1-line block ×8, first 2 shown]
	s_add_i32 s51, s22, -16
	s_sub_i32 s48, s27, 64
	s_sub_i32 s50, s25, 56
	s_add_i32 s52, s25, 0xffffffb8
	s_add_i32 s34, s27, 0xffffffa0
	;; [unrolled: 1-line block ×3, first 2 shown]
	s_waitcnt lgkmcnt(16)
	v_fma_f64 v[139:140], -v[41:42], v[21:22], v[139:140]
	v_mov_b32_e32 v21, s51
	s_add_i32 s51, s21, -8
	s_waitcnt lgkmcnt(14)
	v_fma_f64 v[53:54], -v[43:44], v[53:54], v[23:24]
	s_waitcnt lgkmcnt(12)
	v_fma_f64 v[89:90], -v[47:48], v[89:90], v[145:146]
	;; [unrolled: 2-line block ×3, first 2 shown]
	v_fma_f64 v[85:86], -v[45:46], v[85:86], v[143:144]
	v_fma_f64 v[61:62], -v[49:50], v[61:62], v[35:36]
	;; [unrolled: 1-line block ×5, first 2 shown]
	s_waitcnt lgkmcnt(8)
	v_fma_f64 v[105:106], -v[15:16], v[105:106], v[153:154]
	v_lshlrev_b32_e32 v35, 3, v157
	v_fma_f64 v[65:66], -v[39:40], v[65:66], v[141:142]
	ds_load_b64 v[141:142], v163
	ds_load_b64 v[143:144], v35 offset:8192
	v_lshlrev_b32_e32 v36, 3, v158
	v_fma_f64 v[3:4], -v[17:18], v[3:4], v[155:156]
	v_lshlrev_b32_e32 v37, 3, v159
	v_lshlrev_b32_e32 v38, 3, v160
	ds_load_b64 v[145:146], v36 offset:8192
	ds_load_b64 v[147:148], v37 offset:8192
	;; [unrolled: 1-line block ×3, first 2 shown]
	ds_load_2addr_b64 v[21:24], v21 offset1:1
	v_mov_b32_e32 v159, s60
	v_fma_f64 v[19:20], -v[39:40], v[19:20], v[139:140]
	s_waitcnt lgkmcnt(4)
	v_fma_f64 v[141:142], -v[41:42], v[141:142], v[143:144]
	v_fma_f64 v[139:140], -v[45:46], v[51:52], v[53:54]
	v_mov_b32_e32 v51, s20
	v_fma_f64 v[149:150], -v[49:50], v[87:88], v[89:90]
	v_fma_f64 v[99:100], -v[13:14], v[99:100], v[101:102]
	;; [unrolled: 1-line block ×9, first 2 shown]
	v_mov_b32_e32 v66, s15
	v_mul_f64 v[1:2], v[1:2], v[3:4]
	v_mov_b32_e32 v3, s51
	s_sub_i32 s51, s24, 32
	s_delay_alu instid0(SALU_CYCLE_1)
	v_mov_b32_e32 v4, s51
	s_add_i32 s51, s25, 0xffffffa8
	ds_load_2addr_b64 v[52:55], v3 offset1:1
	ds_load_2addr_b64 v[56:59], v4 offset1:1
	v_dual_mov_b32 v3, s43 :: v_dual_mov_b32 v4, s36
	s_sub_i32 s43, s24, 48
	s_sub_i32 s36, s23, 40
	v_fma_f64 v[19:20], -v[43:44], v[137:138], v[19:20]
	ds_load_2addr_b64 v[60:63], v3 offset1:1
	ds_load_2addr_b64 v[83:86], v4 offset1:1
	v_dual_mov_b32 v3, s37 :: v_dual_mov_b32 v4, s43
	ds_load_2addr_b64 v[87:90], v165 offset1:1
	ds_load_2addr_b64 v[91:94], v3 offset1:1
	;; [unrolled: 1-line block ×3, first 2 shown]
	s_waitcnt lgkmcnt(7)
	v_fma_f64 v[23:24], -v[39:40], v[23:24], v[141:142]
	v_fma_f64 v[125:126], -v[27:28], v[125:126], v[149:150]
	;; [unrolled: 1-line block ×4, first 2 shown]
	s_waitcnt lgkmcnt(6)
	v_fma_f64 v[3:4], -v[41:42], v[54:55], v[145:146]
	s_sub_i32 s37, s21, 24
	v_fma_f64 v[121:122], -v[11:12], v[121:122], v[153:154]
	v_fma_f64 v[117:118], -v[13:14], v[117:118], v[155:156]
	v_mov_b32_e32 v144, s59
	v_mov_b32_e32 v114, s36
	s_sub_i32 s43, s21, 40
	s_waitcnt lgkmcnt(5)
	v_fma_f64 v[54:55], -v[45:46], v[58:59], v[64:65]
	v_fma_f64 v[58:59], -v[47:48], v[133:134], v[139:140]
	s_waitcnt lgkmcnt(4)
	v_fma_f64 v[129:130], -v[9:10], v[62:63], v[151:152]
	s_waitcnt lgkmcnt(3)
	v_fma_f64 v[85:86], -v[17:18], v[85:86], v[101:102]
	v_mov_b32_e32 v62, s58
	v_fma_f64 v[101:102], -v[1:2], v[109:110], v[103:104]
	ds_load_b64 v[103:104], v51
	v_dual_mov_b32 v142, s56 :: v_dual_mov_b32 v109, s38
	ds_load_2addr_b64 v[62:65], v62 offset1:1
	v_dual_mov_b32 v133, s40 :: v_dual_mov_b32 v134, s41
	v_dual_mov_b32 v137, s44 :: v_dual_mov_b32 v138, s45
	;; [unrolled: 1-line block ×3, first 2 shown]
	v_mov_b32_e32 v113, s48
	v_dual_mov_b32 v141, s49 :: v_dual_mov_b32 v110, s50
	v_fma_f64 v[167:168], -v[45:46], v[135:136], v[19:20]
	v_mov_b32_e32 v143, s52
	v_mov_b32_e32 v149, s55
	;; [unrolled: 1-line block ×4, first 2 shown]
	v_lshlrev_b32_e32 v51, 3, v161
	s_add_i32 s49, s13, -8
	s_waitcnt lgkmcnt(1)
	v_fma_f64 v[165:166], -v[41:42], v[103:104], v[147:148]
	v_fma_f64 v[23:24], -v[43:44], v[21:22], v[23:24]
	;; [unrolled: 1-line block ×6, first 2 shown]
	s_add_i32 s48, s15, -16
	v_fma_f64 v[179:180], -v[13:14], v[119:120], v[121:122]
	v_fma_f64 v[181:182], -v[15:16], v[115:116], v[117:118]
	s_sub_i32 s45, s20, 32
	s_add_i32 s36, s24, 0xffffffb0
	s_sub_i32 s46, s20, 48
	v_fma_f64 v[169:170], -v[47:48], v[56:57], v[54:55]
	v_fma_f64 v[171:172], -v[49:50], v[131:132], v[58:59]
	;; [unrolled: 1-line block ×4, first 2 shown]
	v_mov_b32_e32 v58, s37
	v_mul_f64 v[3:4], v[107:108], v[101:102]
	ds_load_2addr_b64 v[19:22], v144 offset1:1
	ds_load_2addr_b64 v[54:57], v114 offset1:1
	;; [unrolled: 1-line block ×20, first 2 shown]
	s_waitcnt lgkmcnt(19)
	v_fma_f64 v[163:164], -v[41:42], v[21:22], v[163:164]
	v_dual_mov_b32 v22, s48 :: v_dual_lshlrev_b32 v21, 3, v189
	s_sub_i32 s47, s14, 40
	s_sub_i32 s50, s13, 24
	s_add_i32 s37, s23, 0xffffffb8
	s_add_i32 s38, s23, 0xffffffa8
	s_sub_i32 s40, s22, 64
	s_add_i32 s41, s22, 0xffffffb0
	s_sub_i32 s43, s21, 56
	s_add_i32 s44, s21, 0xffffffb8
	s_waitcnt lgkmcnt(18)
	v_fma_f64 v[56:57], -v[47:48], v[56:57], v[167:168]
	s_sub_i32 s48, s14, 56
	s_sub_i32 s52, s13, 40
	v_fma_f64 v[64:65], -v[39:40], v[64:65], v[165:166]
	s_waitcnt lgkmcnt(16)
	v_fma_f64 v[85:86], -v[45:46], v[85:86], v[23:24]
	s_waitcnt lgkmcnt(11)
	v_fma_f64 v[117:118], -v[11:12], v[117:118], v[175:176]
	v_fma_f64 v[101:102], -v[1:2], v[101:102], v[183:184]
	;; [unrolled: 1-line block ×4, first 2 shown]
	ds_load_b64 v[165:166], v66
	ds_load_b64 v[167:168], v51 offset:8192
	s_waitcnt lgkmcnt(12)
	v_fma_f64 v[121:122], -v[15:16], v[121:122], v[179:180]
	s_waitcnt lgkmcnt(11)
	v_fma_f64 v[125:126], -v[17:18], v[125:126], v[181:182]
	v_lshlrev_b32_e32 v52, 3, v187
	v_dual_mov_b32 v66, s49 :: v_dual_lshlrev_b32 v53, 3, v188
	v_fma_f64 v[97:98], -v[49:50], v[97:98], v[169:170]
	v_fma_f64 v[109:110], -v[27:28], v[109:110], v[171:172]
	;; [unrolled: 1-line block ×3, first 2 shown]
	ds_load_b64 v[169:170], v52 offset:8192
	ds_load_b64 v[171:172], v53 offset:8192
	;; [unrolled: 1-line block ×3, first 2 shown]
	ds_load_2addr_b64 v[21:24], v22 offset1:1
	s_sub_i32 s49, s15, 48
	v_fma_f64 v[89:90], -v[3:4], v[89:90], v[185:186]
	v_fma_f64 v[163:164], -v[39:40], v[19:20], v[163:164]
	s_waitcnt lgkmcnt(4)
	v_fma_f64 v[165:166], -v[41:42], v[165:166], v[167:168]
	v_fma_f64 v[179:180], -v[49:50], v[54:55], v[56:57]
	ds_load_2addr_b64 v[54:57], v66 offset1:1
	v_mov_b32_e32 v66, s39
	s_add_i32 s39, s12, -16
	v_fma_f64 v[167:168], -v[43:44], v[62:63], v[64:65]
	v_fma_f64 v[177:178], -v[47:48], v[83:84], v[85:86]
	v_mov_b32_e32 v62, s54
	v_fma_f64 v[99:100], -v[3:4], v[99:100], v[101:102]
	ds_load_2addr_b64 v[83:86], v66 offset1:1
	v_fma_f64 v[173:174], -v[45:46], v[58:59], v[60:61]
	v_dual_mov_b32 v58, s45 :: v_dual_mov_b32 v101, s12
	ds_load_2addr_b64 v[62:65], v62 offset1:1
	v_mov_b32_e32 v66, s42
	s_sub_i32 s45, s15, 32
	ds_load_2addr_b64 v[58:61], v58 offset1:1
	v_fma_f64 v[181:182], -v[27:28], v[95:96], v[97:98]
	v_fma_f64 v[107:108], -v[9:10], v[107:108], v[109:110]
	;; [unrolled: 1-line block ×7, first 2 shown]
	v_mul_f64 v[19:20], v[87:88], v[89:90]
	s_waitcnt lgkmcnt(3)
	v_fma_f64 v[56:57], -v[41:42], v[56:57], v[169:170]
	v_fma_f64 v[119:120], -v[43:44], v[161:162], v[163:164]
	v_mov_b32_e32 v91, s36
	v_mov_b32_e32 v95, s46
	ds_load_2addr_b64 v[87:90], v66 offset1:1
	ds_load_2addr_b64 v[91:94], v91 offset1:1
	;; [unrolled: 1-line block ×3, first 2 shown]
	v_fma_f64 v[23:24], -v[39:40], v[23:24], v[165:166]
	s_add_i32 s54, s9, -8
	s_sub_i32 s36, s9, 24
	v_mov_b32_e32 v161, s48
	v_fma_f64 v[125:126], -v[27:28], v[149:150], v[179:180]
	v_dual_mov_b32 v149, s41 :: v_dual_mov_b32 v150, s45
	v_dual_mov_b32 v163, s49 :: v_dual_mov_b32 v66, s31
	s_add_i32 s31, s4, 0xffffeb60
	s_sub_i32 s41, s15, 64
	s_waitcnt lgkmcnt(3)
	v_fma_f64 v[60:61], -v[45:46], v[60:61], v[167:168]
	v_fma_f64 v[123:124], -v[49:50], v[153:154], v[177:178]
	v_dual_mov_b32 v154, s50 :: v_dual_mov_b32 v153, s44
	v_mov_b32_e32 v167, s52
	v_fma_f64 v[121:122], -v[47:48], v[157:158], v[173:174]
	v_mov_b32_e32 v157, s54
	s_add_i32 s42, s15, 0xffffffb0
	s_add_i32 s44, s13, 0xffffffb8
	s_sub_i32 s45, s9, 40
	s_sub_i32 s46, s9, 56
	v_fma_f64 v[64:65], -v[9:10], v[64:65], v[181:182]
	v_fma_f64 v[107:108], -v[11:12], v[145:146], v[107:108]
	;; [unrolled: 1-line block ×8, first 2 shown]
	ds_load_b64 v[117:118], v101
	v_fma_f64 v[179:180], -v[39:40], v[54:55], v[56:57]
	v_fma_f64 v[181:182], -v[45:46], v[159:160], v[119:120]
	v_dual_mov_b32 v99, s39 :: v_dual_mov_b32 v146, s47
	v_mov_b32_e32 v129, s33
	v_mov_b32_e32 v133, s34
	v_fma_f64 v[23:24], -v[43:44], v[21:22], v[23:24]
	ds_load_2addr_b64 v[99:102], v99 offset1:1
	v_dual_mov_b32 v137, s35 :: v_dual_mov_b32 v130, s51
	v_fma_f64 v[189:190], -v[9:10], v[147:148], v[125:126]
	v_dual_mov_b32 v141, s53 :: v_dual_mov_b32 v134, s37
	v_dual_mov_b32 v145, s38 :: v_dual_mov_b32 v138, s40
	v_mov_b32_e32 v142, s43
	s_sub_i32 s35, s12, 32
	v_fma_f64 v[183:184], -v[47:48], v[58:59], v[60:61]
	v_fma_f64 v[187:188], -v[27:28], v[151:152], v[123:124]
	s_waitcnt lgkmcnt(1)
	v_fma_f64 v[177:178], -v[41:42], v[117:118], v[171:172]
	v_mov_b32_e32 v171, s36
	s_add_i32 s34, s24, 0xffffffa0
	v_fma_f64 v[185:186], -v[49:50], v[155:156], v[121:122]
	s_add_i32 s36, s24, 0xffffff90
	s_sub_i32 s40, s12, 48
	s_sub_i32 s43, s13, 56
	s_add_i32 s33, s25, 0xffffff78
	s_add_i32 s37, s23, 0xffffff98
	;; [unrolled: 1-line block ×3, first 2 shown]
	v_fma_f64 v[191:192], -v[11:12], v[62:63], v[64:65]
	v_fma_f64 v[193:194], -v[13:14], v[143:144], v[107:108]
	;; [unrolled: 1-line block ×7, first 2 shown]
	v_mul_f64 v[21:22], v[103:104], v[105:106]
	ds_load_2addr_b64 v[54:57], v206 offset1:1
	ds_load_2addr_b64 v[58:61], v205 offset1:1
	;; [unrolled: 1-line block ×22, first 2 shown]
	v_mov_b32_e32 v66, s19
	s_waitcnt lgkmcnt(18)
	v_fma_f64 v[85:86], -v[43:44], v[85:86], v[179:180]
	v_fma_f64 v[64:65], -v[47:48], v[64:65], v[181:182]
	s_add_i32 s19, s26, 0xffffff80
	v_mov_b32_e32 v181, s35
	s_sub_i32 s35, s20, 64
	s_waitcnt lgkmcnt(17)
	v_fma_f64 v[23:24], -v[45:46], v[105:106], v[23:24]
	s_add_i32 s26, s30, 0xffffff78
	s_add_i32 s30, s27, 0xffffff80
	s_addk_i32 s27, 0xff70
	s_add_i32 s39, s21, 0xffffffa8
	v_fma_f64 v[97:98], -v[49:50], v[97:98], v[183:184]
	v_fma_f64 v[101:102], -v[39:40], v[101:102], v[177:178]
	s_waitcnt lgkmcnt(14)
	v_fma_f64 v[105:106], -v[27:28], v[117:118], v[185:186]
	s_waitcnt lgkmcnt(13)
	;; [unrolled: 2-line block ×3, first 2 shown]
	v_fma_f64 v[121:122], -v[11:12], v[125:126], v[189:190]
	v_fma_f64 v[93:94], -v[13:14], v[93:94], v[191:192]
	s_waitcnt lgkmcnt(11)
	v_fma_f64 v[125:126], -v[15:16], v[129:130], v[193:194]
	s_waitcnt lgkmcnt(10)
	v_fma_f64 v[129:130], -v[17:18], v[133:134], v[195:196]
	v_fma_f64 v[109:110], -v[1:2], v[109:110], v[197:198]
	;; [unrolled: 1-line block ×4, first 2 shown]
	s_waitcnt lgkmcnt(4)
	v_fma_f64 v[133:134], -v[41:42], v[157:158], v[175:176]
	v_fma_f64 v[7:8], -v[21:22], v[7:8], v[203:204]
	v_mov_b32_e32 v193, s31
	s_add_i32 s31, s25, 0xffffff88
	v_fma_f64 v[175:176], -v[45:46], v[83:84], v[85:86]
	v_fma_f64 v[177:178], -v[49:50], v[62:63], v[64:65]
	v_dual_mov_b32 v62, s35 :: v_dual_mov_b32 v83, s34
	s_add_i32 s35, s23, 0xffffff88
	v_fma_f64 v[23:24], -v[47:48], v[103:104], v[23:24]
	v_mov_b32_e32 v103, s40
	ds_load_2addr_b64 v[62:65], v62 offset1:1
	ds_load_2addr_b64 v[83:86], v83 offset1:1
	s_add_i32 s34, s22, 0xffffff90
	s_add_i32 s40, s14, 0xffffffa8
	v_fma_f64 v[179:180], -v[27:28], v[95:96], v[97:98]
	v_mov_b32_e32 v95, s36
	v_fma_f64 v[157:158], -v[43:44], v[99:100], v[101:102]
	s_add_i32 s36, s14, 0xffffffb8
	v_fma_f64 v[115:116], -v[9:10], v[115:116], v[105:106]
	v_fma_f64 v[117:118], -v[11:12], v[119:120], v[117:118]
	;; [unrolled: 1-line block ×9, first 2 shown]
	v_mov_b32_e32 v87, s19
	v_mul_f64 v[5:6], v[5:6], v[7:8]
	v_fma_f64 v[7:8], -v[39:40], v[155:156], v[133:134]
	ds_load_2addr_b64 v[54:57], v181 offset1:1
	s_waitcnt lgkmcnt(4)
	v_fma_f64 v[129:130], -v[47:48], v[169:170], v[175:176]
	ds_load_2addr_b64 v[87:90], v87 offset1:1
	v_fma_f64 v[131:132], -v[27:28], v[161:162], v[177:178]
	s_add_i32 s19, s20, 0xffffffb0
	v_mov_b32_e32 v134, s36
	v_fma_f64 v[23:24], -v[49:50], v[165:166], v[23:24]
	v_mov_b32_e32 v99, s19
	ds_load_2addr_b64 v[91:94], v66 offset1:1
	ds_load_2addr_b64 v[95:98], v95 offset1:1
	ds_load_2addr_b64 v[99:102], v99 offset1:1
	ds_load_2addr_b64 v[103:106], v103 offset1:1
	s_add_i32 s19, s21, 0xffffff98
	v_dual_mov_b32 v66, s26 :: v_dual_mov_b32 v133, s33
	v_mov_b32_e32 v155, s42
	s_add_i32 s26, s24, 0xffffff70
	s_add_i32 s36, s15, 0xffffffa0
	s_waitcnt lgkmcnt(7)
	v_fma_f64 v[64:65], -v[9:10], v[64:65], v[179:180]
	s_add_i32 s33, s21, 0xffffff78
	s_waitcnt lgkmcnt(5)
	v_fma_f64 v[56:57], -v[45:46], v[56:57], v[157:158]
	v_fma_f64 v[115:116], -v[11:12], v[153:154], v[115:116]
	;; [unrolled: 1-line block ×4, first 2 shown]
	v_mov_b32_e32 v145, s34
	v_mov_b32_e32 v149, s19
	;; [unrolled: 1-line block ×3, first 2 shown]
	s_sub_i32 s19, s12, 64
	v_fma_f64 v[85:86], -v[17:18], v[85:86], v[121:122]
	v_fma_f64 v[121:122], -v[1:2], v[141:142], v[123:124]
	;; [unrolled: 1-line block ×4, first 2 shown]
	s_waitcnt lgkmcnt(4)
	v_fma_f64 v[89:90], -v[21:22], v[89:90], v[109:110]
	v_dual_mov_b32 v138, s41 :: v_dual_mov_b32 v125, s30
	v_fma_f64 v[60:61], -v[5:6], v[60:61], v[127:128]
	v_fma_f64 v[109:110], -v[43:44], v[173:174], v[7:8]
	v_mov_b32_e32 v127, s27
	v_fma_f64 v[167:168], -v[49:50], v[167:168], v[129:130]
	v_mov_b32_e32 v126, s31
	v_fma_f64 v[173:174], -v[9:10], v[159:160], v[131:132]
	v_dual_mov_b32 v128, s37 :: v_dual_mov_b32 v137, s35
	v_fma_f64 v[23:24], -v[27:28], v[163:164], v[23:24]
	v_dual_mov_b32 v113, s38 :: v_dual_mov_b32 v114, s39
	v_mov_b32_e32 v159, s44
	v_mov_b32_e32 v163, s46
	s_add_i32 s27, s20, 0xffffff90
	s_add_i32 s30, s12, 0xffffffb0
	;; [unrolled: 1-line block ×6, first 2 shown]
	v_fma_f64 v[175:176], -v[11:12], v[62:63], v[64:65]
	s_add_i32 s35, s14, 0xffffff88
	s_add_i32 s37, s15, 0xffffff90
	v_fma_f64 v[169:170], -v[47:48], v[54:55], v[56:57]
	s_add_i32 s39, s13, 0xffffff98
	v_fma_f64 v[177:178], -v[13:14], v[151:152], v[115:116]
	v_fma_f64 v[179:180], -v[15:16], v[147:148], v[117:118]
	;; [unrolled: 1-line block ×3, first 2 shown]
	s_add_i32 s41, s9, 0xffffffa8
	v_fma_f64 v[183:184], -v[1:2], v[83:84], v[85:86]
	v_fma_f64 v[185:186], -v[3:4], v[139:140], v[121:122]
	v_fma_f64 v[187:188], -v[19:20], v[135:136], v[123:124]
	v_fma_f64 v[189:190], -v[21:22], v[111:112], v[107:108]
	v_fma_f64 v[191:192], -v[5:6], v[87:88], v[89:90]
	v_mov_b32_e32 v139, s45
	v_mul_f64 v[7:8], v[58:59], v[60:61]
	v_fma_f64 v[171:172], -v[45:46], v[171:172], v[109:110]
	v_mov_b32_e32 v58, s43
	ds_load_2addr_b64 v[54:57], v134 offset1:1
	ds_load_2addr_b64 v[58:61], v58 offset1:1
	;; [unrolled: 1-line block ×20, first 2 shown]
	s_waitcnt lgkmcnt(19)
	v_fma_f64 v[56:57], -v[11:12], v[56:57], v[173:174]
	s_waitcnt lgkmcnt(18)
	v_fma_f64 v[60:61], -v[27:28], v[60:61], v[167:168]
	;; [unrolled: 2-line block ×3, first 2 shown]
	v_mov_b32_e32 v66, s26
	s_add_i32 s26, s23, 0xffffff68
	v_fma_f64 v[64:65], -v[13:14], v[101:102], v[175:176]
	v_fma_f64 v[105:106], -v[49:50], v[105:106], v[169:170]
	s_waitcnt lgkmcnt(14)
	v_fma_f64 v[101:102], -v[15:16], v[109:110], v[177:178]
	s_waitcnt lgkmcnt(13)
	;; [unrolled: 2-line block ×3, first 2 shown]
	v_fma_f64 v[113:114], -v[1:2], v[117:118], v[181:182]
	v_fma_f64 v[97:98], -v[3:4], v[97:98], v[183:184]
	s_waitcnt lgkmcnt(11)
	v_fma_f64 v[117:118], -v[19:20], v[121:122], v[185:186]
	s_waitcnt lgkmcnt(10)
	v_fma_f64 v[121:122], -v[21:22], v[125:126], v[187:188]
	v_fma_f64 v[85:86], -v[5:6], v[85:86], v[189:190]
	;; [unrolled: 1-line block ×3, first 2 shown]
	s_waitcnt lgkmcnt(6)
	v_fma_f64 v[125:126], -v[47:48], v[141:142], v[171:172]
	v_fma_f64 v[167:168], -v[13:14], v[54:55], v[56:57]
	v_mov_b32_e32 v54, s19
	v_fma_f64 v[141:142], -v[11:12], v[62:63], v[23:24]
	s_add_i32 s19, s20, 0xffffffa0
	ds_load_2addr_b64 v[54:57], v54 offset1:1
	v_fma_f64 v[99:100], -v[15:16], v[99:100], v[64:65]
	v_fma_f64 v[103:104], -v[27:28], v[103:104], v[105:106]
	;; [unrolled: 1-line block ×6, first 2 shown]
	v_mov_b32_e32 v58, s19
	s_add_i32 s19, s24, 0xffffff80
	s_delay_alu instid0(SALU_CYCLE_1)
	v_mov_b32_e32 v62, s19
	v_fma_f64 v[111:112], -v[19:20], v[95:96], v[97:98]
	ds_load_2addr_b64 v[58:61], v58 offset1:1
	v_fma_f64 v[113:114], -v[21:22], v[119:120], v[117:118]
	v_fma_f64 v[115:116], -v[5:6], v[123:124], v[121:122]
	;; [unrolled: 1-line block ×3, first 2 shown]
	ds_load_2addr_b64 v[62:65], v62 offset1:1
	s_add_i32 s19, s4, 0xffffea58
	v_mul_f64 v[23:24], v[91:92], v[93:94]
	v_fma_f64 v[119:120], -v[49:50], v[139:140], v[125:126]
	v_mov_b32_e32 v91, s27
	v_mov_b32_e32 v95, s30
	;; [unrolled: 1-line block ×3, first 2 shown]
	s_add_i32 s19, s4, 0xffffe950
	ds_load_2addr_b64 v[83:86], v66 offset1:1
	ds_load_2addr_b64 v[91:94], v91 offset1:1
	;; [unrolled: 1-line block ×3, first 2 shown]
	s_waitcnt lgkmcnt(9)
	v_fma_f64 v[121:122], -v[15:16], v[153:154], v[167:168]
	v_mov_b32_e32 v66, s19
	s_add_i32 s19, s25, 0xffffff68
	s_add_i32 s27, s22, 0xffffff80
	;; [unrolled: 1-line block ×4, first 2 shown]
	v_mov_b32_e32 v139, s37
	s_waitcnt lgkmcnt(4)
	v_fma_f64 v[60:61], -v[17:18], v[60:61], v[99:100]
	v_fma_f64 v[56:57], -v[9:10], v[56:57], v[103:104]
	;; [unrolled: 1-line block ×7, first 2 shown]
	ds_load_2addr_b64 v[99:102], v125 offset1:1
	v_mov_b32_e32 v125, s26
	s_add_i32 s26, s14, 0xffffff78
	s_waitcnt lgkmcnt(4)
	v_fma_f64 v[64:65], -v[21:22], v[64:65], v[111:112]
	v_fma_f64 v[111:112], -v[5:6], v[133:134], v[113:114]
	;; [unrolled: 1-line block ×3, first 2 shown]
	v_mov_b32_e32 v129, s30
	s_add_i32 s30, s15, 0xffffff80
	v_fma_f64 v[89:90], -v[23:24], v[89:90], v[117:118]
	v_fma_f64 v[115:116], -v[27:28], v[165:166], v[119:120]
	v_mov_b32_e32 v117, s19
	v_dual_mov_b32 v119, s27 :: v_dual_mov_b32 v118, s25
	s_add_i32 s19, s12, 0xffffffa0
	s_add_i32 s25, s21, 0xffffff58
	v_fma_f64 v[151:152], -v[17:18], v[151:152], v[121:122]
	s_add_i32 s27, s14, 0xffffff68
	v_fma_f64 v[153:154], -v[11:12], v[54:55], v[56:57]
	v_fma_f64 v[157:158], -v[13:14], v[159:160], v[103:104]
	v_fma_f64 v[155:156], -v[15:16], v[155:156], v[105:106]
	v_fma_f64 v[159:160], -v[1:2], v[58:59], v[60:61]
	v_fma_f64 v[161:162], -v[3:4], v[147:148], v[123:124]
	v_fma_f64 v[165:166], -v[19:20], v[143:144], v[107:108]
	v_fma_f64 v[167:168], -v[21:22], v[135:136], v[109:110]
	v_mov_b32_e32 v54, s38
	v_mov_b32_e32 v58, s36
	v_fma_f64 v[169:170], -v[5:6], v[62:63], v[64:65]
	v_mov_b32_e32 v62, s34
	v_fma_f64 v[171:172], -v[7:8], v[131:132], v[111:112]
	v_fma_f64 v[173:174], -v[23:24], v[127:128], v[113:114]
	ds_load_2addr_b64 v[54:57], v54 offset1:1
	ds_load_2addr_b64 v[58:61], v58 offset1:1
	ds_load_2addr_b64 v[62:65], v62 offset1:1
	v_mov_b32_e32 v131, s33
	v_mov_b32_e32 v135, s35
	v_mul_f64 v[175:176], v[87:88], v[89:90]
	v_fma_f64 v[163:164], -v[9:10], v[163:164], v[115:116]
	v_mov_b32_e32 v87, s31
	ds_load_2addr_b64 v[87:90], v87 offset1:1
	ds_load_2addr_b64 v[103:106], v119 offset1:1
	;; [unrolled: 1-line block ×4, first 2 shown]
	v_mov_b32_e32 v115, s40
	v_mov_b32_e32 v143, s39
	v_mov_b32_e32 v147, s41
	ds_load_2addr_b64 v[115:118], v115 offset1:1
	ds_load_2addr_b64 v[119:122], v66 offset1:1
	;; [unrolled: 1-line block ×9, first 2 shown]
	s_add_i32 s33, s13, 0xffffff88
	s_add_i32 s35, s9, 0xffffff98
	s_waitcnt lgkmcnt(13)
	v_fma_f64 v[64:65], -v[1:2], v[64:65], v[151:152]
	s_add_i32 s31, s15, 0xffffff70
	s_add_i32 s34, s13, 0xffffff78
	;; [unrolled: 1-line block ×3, first 2 shown]
	v_fma_f64 v[97:98], -v[13:14], v[97:98], v[153:154]
	v_fma_f64 v[56:57], -v[15:16], v[56:57], v[157:158]
	;; [unrolled: 1-line block ×4, first 2 shown]
	s_waitcnt lgkmcnt(12)
	v_fma_f64 v[89:90], -v[19:20], v[89:90], v[161:162]
	s_waitcnt lgkmcnt(11)
	v_fma_f64 v[105:106], -v[21:22], v[105:106], v[165:166]
	;; [unrolled: 2-line block ×3, first 2 shown]
	v_fma_f64 v[85:86], -v[7:8], v[85:86], v[169:170]
	s_waitcnt lgkmcnt(9)
	v_fma_f64 v[113:114], -v[23:24], v[113:114], v[171:172]
	v_fma_f64 v[101:102], -v[175:176], v[101:102], v[173:174]
	s_waitcnt lgkmcnt(8)
	v_fma_f64 v[117:118], -v[11:12], v[117:118], v[163:164]
	v_fma_f64 v[153:154], -v[3:4], v[62:63], v[64:65]
	;; [unrolled: 1-line block ×9, first 2 shown]
	v_mov_b32_e32 v54, s19
	s_add_i32 s19, s20, 0xffffff80
	v_fma_f64 v[107:108], -v[23:24], v[83:84], v[85:86]
	v_mov_b32_e32 v58, s19
	v_fma_f64 v[109:110], -v[175:176], v[111:112], v[113:114]
	s_add_i32 s19, s24, 0xffffff60
	ds_load_2addr_b64 v[54:57], v54 offset1:1
	v_mov_b32_e32 v62, s19
	ds_load_2addr_b64 v[58:61], v58 offset1:1
	v_mul_f64 v[159:160], v[99:100], v[101:102]
	v_fma_f64 v[99:100], -v[13:14], v[115:116], v[117:118]
	s_add_i32 s19, s4, 0xffffe848
	ds_load_2addr_b64 v[62:65], v62 offset1:1
	v_mov_b32_e32 v66, s19
	s_add_i32 s19, s20, 0xffffff70
	s_add_i32 s24, s12, 0xffffff90
	v_mov_b32_e32 v87, s19
	v_mov_b32_e32 v91, s24
	s_add_i32 s19, s4, 0xffffe740
	s_add_i32 s24, s21, 0xffffff68
	ds_load_2addr_b64 v[83:86], v66 offset1:1
	ds_load_2addr_b64 v[87:90], v87 offset1:1
	;; [unrolled: 1-line block ×3, first 2 shown]
	v_mov_b32_e32 v66, s19
	s_add_i32 s19, s23, 0xffffff58
	s_add_i32 s23, s22, 0xffffff60
	s_addk_i32 s22, 0xff50
	s_addk_i32 s21, 0xff48
	s_waitcnt lgkmcnt(9)
	v_fma_f64 v[101:102], -v[19:20], v[137:138], v[153:154]
	v_mov_b32_e32 v115, s22
	s_add_i32 s22, s12, 0xffffff70
	s_waitcnt lgkmcnt(5)
	v_fma_f64 v[56:57], -v[17:18], v[56:57], v[95:96]
	v_fma_f64 v[95:96], -v[1:2], v[145:146], v[97:98]
	;; [unrolled: 1-line block ×3, first 2 shown]
	s_waitcnt lgkmcnt(4)
	v_fma_f64 v[60:61], -v[21:22], v[60:61], v[155:156]
	v_fma_f64 v[111:112], -v[5:6], v[133:134], v[157:158]
	;; [unrolled: 1-line block ×4, first 2 shown]
	s_waitcnt lgkmcnt(3)
	v_fma_f64 v[64:65], -v[175:176], v[64:65], v[107:108]
	v_fma_f64 v[107:108], -v[159:160], v[121:122], v[109:110]
	;; [unrolled: 1-line block ×4, first 2 shown]
	v_mov_b32_e32 v135, s36
	v_fma_f64 v[141:142], -v[1:2], v[54:55], v[56:57]
	v_fma_f64 v[143:144], -v[3:4], v[143:144], v[95:96]
	;; [unrolled: 1-line block ×7, first 2 shown]
	v_dual_mov_b32 v54, s33 :: v_dual_mov_b32 v95, s24
	v_fma_f64 v[157:158], -v[159:160], v[62:63], v[64:65]
	v_dual_mov_b32 v58, s30 :: v_dual_mov_b32 v103, s19
	v_mov_b32_e32 v62, s26
	ds_load_2addr_b64 v[54:57], v54 offset1:1
	ds_load_2addr_b64 v[58:61], v58 offset1:1
	;; [unrolled: 1-line block ×3, first 2 shown]
	v_mul_f64 v[161:162], v[119:120], v[107:108]
	v_fma_f64 v[147:148], -v[17:18], v[147:148], v[99:100]
	v_mov_b32_e32 v107, s35
	v_mov_b32_e32 v99, s23
	ds_load_2addr_b64 v[95:98], v95 offset1:1
	ds_load_2addr_b64 v[99:102], v99 offset1:1
	;; [unrolled: 1-line block ×4, first 2 shown]
	s_add_i32 s19, s12, 0xffffff80
	v_mov_b32_e32 v119, s25
	v_mov_b32_e32 v123, s27
	;; [unrolled: 1-line block ×4, first 2 shown]
	ds_load_2addr_b64 v[111:114], v66 offset1:1
	ds_load_2addr_b64 v[115:118], v115 offset1:1
	;; [unrolled: 1-line block ×7, first 2 shown]
	v_mov_b32_e32 v66, s22
	s_add_i32 s24, s13, 0xffffff68
	s_add_i32 s25, s9, 0xffffff78
	;; [unrolled: 1-line block ×3, first 2 shown]
	s_waitcnt lgkmcnt(11)
	v_fma_f64 v[64:65], -v[5:6], v[64:65], v[145:146]
	s_add_i32 s22, s14, 0xffffff58
	v_fma_f64 v[93:94], -v[3:4], v[93:94], v[141:142]
	v_fma_f64 v[56:57], -v[19:20], v[56:57], v[143:144]
	;; [unrolled: 1-line block ×4, first 2 shown]
	s_waitcnt lgkmcnt(10)
	v_fma_f64 v[97:98], -v[23:24], v[97:98], v[151:152]
	s_waitcnt lgkmcnt(9)
	v_fma_f64 v[101:102], -v[175:176], v[101:102], v[153:154]
	;; [unrolled: 2-line block ×3, first 2 shown]
	v_fma_f64 v[85:86], -v[161:162], v[85:86], v[157:158]
	s_waitcnt lgkmcnt(7)
	v_fma_f64 v[109:110], -v[1:2], v[109:110], v[147:148]
	v_fma_f64 v[141:142], -v[7:8], v[62:63], v[64:65]
	;; [unrolled: 1-line block ×9, first 2 shown]
	v_mov_b32_e32 v54, s19
	s_add_i32 s19, s20, 0xffffff60
	s_delay_alu instid0(SALU_CYCLE_1)
	v_mov_b32_e32 v58, s19
	ds_load_2addr_b64 v[54:57], v54 offset1:1
	ds_load_2addr_b64 v[58:61], v58 offset1:1
	s_add_i32 s19, s20, 0xffffff50
	v_mul_f64 v[143:144], v[83:84], v[85:86]
	v_fma_f64 v[99:100], -v[3:4], v[107:108], v[109:110]
	v_mov_b32_e32 v62, s19
	s_add_i32 s19, s4, 0xffffe638
	ds_load_2addr_b64 v[62:65], v62 offset1:1
	ds_load_2addr_b64 v[83:86], v66 offset1:1
	v_mov_b32_e32 v66, s19
	s_add_i32 s19, s4, 0xffffe530
	s_waitcnt lgkmcnt(7)
	v_fma_f64 v[101:102], -v[23:24], v[125:126], v[141:142]
	s_waitcnt lgkmcnt(3)
	v_fma_f64 v[56:57], -v[21:22], v[56:57], v[91:92]
	v_fma_f64 v[91:92], -v[5:6], v[133:134], v[93:94]
	;; [unrolled: 1-line block ×3, first 2 shown]
	s_waitcnt lgkmcnt(2)
	v_fma_f64 v[60:61], -v[175:176], v[60:61], v[87:88]
	v_fma_f64 v[103:104], -v[159:160], v[121:122], v[89:90]
	v_fma_f64 v[95:96], -v[161:162], v[117:118], v[95:96]
	ds_load_2addr_b64 v[87:90], v66 offset1:1
	v_mov_b32_e32 v66, s22
	s_add_i32 s22, s13, 0xffffff58
	v_fma_f64 v[97:98], -v[143:144], v[113:114], v[97:98]
	v_fma_f64 v[99:100], -v[19:20], v[137:138], v[99:100]
	;; [unrolled: 1-line block ×9, first 2 shown]
	v_dual_mov_b32 v54, s24 :: v_dual_mov_b32 v95, s21
	v_mov_b32_e32 v58, s23
	ds_load_2addr_b64 v[54:57], v54 offset1:1
	ds_load_2addr_b64 v[58:61], v58 offset1:1
	;; [unrolled: 1-line block ×3, first 2 shown]
	v_mov_b32_e32 v66, s19
	s_add_i32 s19, s14, 0xffffff48
	s_add_i32 s21, s15, 0xffffff50
	v_mul_f64 v[139:140], v[111:112], v[97:98]
	v_fma_f64 v[135:136], -v[21:22], v[135:136], v[99:100]
	v_mov_b32_e32 v99, s25
	ds_load_2addr_b64 v[95:98], v95 offset1:1
	v_mov_b32_e32 v107, s19
	s_add_i32 s19, s12, 0xffffff60
	s_add_i32 s23, s9, 0xffffff68
	ds_load_2addr_b64 v[99:102], v99 offset1:1
	v_mov_b32_e32 v111, s21
	v_mov_b32_e32 v115, s22
	;; [unrolled: 1-line block ×3, first 2 shown]
	ds_load_2addr_b64 v[103:106], v66 offset1:1
	ds_load_2addr_b64 v[107:110], v107 offset1:1
	;; [unrolled: 1-line block ×5, first 2 shown]
	s_addk_i32 s14, 0xff38
	s_add_i32 s21, s9, 0xffffff58
	s_waitcnt lgkmcnt(7)
	v_fma_f64 v[93:94], -v[159:160], v[93:94], v[123:124]
	v_fma_f64 v[85:86], -v[7:8], v[85:86], v[125:126]
	;; [unrolled: 1-line block ×5, first 2 shown]
	s_waitcnt lgkmcnt(6)
	v_fma_f64 v[97:98], -v[143:144], v[97:98], v[133:134]
	v_fma_f64 v[89:90], -v[139:140], v[89:90], v[137:138]
	s_waitcnt lgkmcnt(5)
	v_fma_f64 v[101:102], -v[5:6], v[101:102], v[135:136]
	v_fma_f64 v[91:92], -v[161:162], v[91:92], v[93:94]
	v_fma_f64 v[123:124], -v[23:24], v[83:84], v[85:86]
	v_fma_f64 v[125:126], -v[175:176], v[54:55], v[56:57]
	v_fma_f64 v[127:128], -v[159:160], v[58:59], v[60:61]
	v_fma_f64 v[93:94], -v[143:144], v[62:63], v[64:65]
	v_fma_f64 v[95:96], -v[139:140], v[95:96], v[97:98]
	v_mov_b32_e32 v54, s19
	s_add_i32 s19, s20, 0xffffff40
	s_add_i32 s20, s12, 0xffffff50
	v_mov_b32_e32 v58, s19
	ds_load_2addr_b64 v[54:57], v54 offset1:1
	ds_load_2addr_b64 v[58:61], v58 offset1:1
	s_add_i32 s19, s4, 0xffffe428
	v_mov_b32_e32 v66, s20
	v_mov_b32_e32 v62, s19
	v_mul_f64 v[129:130], v[87:88], v[89:90]
	v_fma_f64 v[87:88], -v[7:8], v[99:100], v[101:102]
	s_add_i32 s20, s13, 0xffffff48
	s_add_i32 s19, s15, 0xffffff40
	ds_load_2addr_b64 v[62:65], v62 offset1:1
	ds_load_2addr_b64 v[83:86], v66 offset1:1
	v_mov_b32_e32 v66, s14
	s_add_i32 s14, s4, 0xffffe320
	s_waitcnt lgkmcnt(7)
	v_fma_f64 v[91:92], -v[143:144], v[109:110], v[91:92]
	s_waitcnt lgkmcnt(3)
	v_fma_f64 v[56:57], -v[175:176], v[56:57], v[123:124]
	v_fma_f64 v[89:90], -v[159:160], v[117:118], v[125:126]
	;; [unrolled: 1-line block ×3, first 2 shown]
	s_waitcnt lgkmcnt(2)
	v_fma_f64 v[60:61], -v[139:140], v[60:61], v[93:94]
	v_fma_f64 v[93:94], -v[129:130], v[105:106], v[95:96]
	;; [unrolled: 1-line block ×4, first 2 shown]
	v_mov_b32_e32 v91, s21
	v_fma_f64 v[113:114], -v[159:160], v[54:55], v[56:57]
	v_fma_f64 v[115:116], -v[161:162], v[115:116], v[89:90]
	;; [unrolled: 1-line block ×4, first 2 shown]
	v_mov_b32_e32 v54, s20
	v_mov_b32_e32 v58, s19
	s_add_i32 s19, s9, 0xffffff48
	s_delay_alu instid0(SALU_CYCLE_1)
	v_mov_b32_e32 v107, s19
	v_mul_f64 v[123:124], v[103:104], v[93:94]
	v_fma_f64 v[119:120], -v[175:176], v[119:120], v[87:88]
	ds_load_2addr_b64 v[54:57], v54 offset1:1
	ds_load_2addr_b64 v[58:61], v58 offset1:1
	;; [unrolled: 1-line block ×4, first 2 shown]
	v_mov_b32_e32 v66, s14
	s_add_i32 s14, s15, 0xffffff30
	s_add_i32 s15, s13, 0xffffff38
	v_mov_b32_e32 v99, s14
	s_add_i32 s14, s12, 0xffffff40
	v_mov_b32_e32 v103, s15
	ds_load_2addr_b64 v[95:98], v66 offset1:1
	ds_load_2addr_b64 v[99:102], v99 offset1:1
	;; [unrolled: 1-line block ×4, first 2 shown]
	s_addk_i32 s13, 0xff28
	s_add_i32 s15, s9, 0xffffff38
	s_delay_alu instid0(SALU_CYCLE_1)
	v_mov_b32_e32 v66, s15
	s_waitcnt lgkmcnt(5)
	v_fma_f64 v[89:90], -v[129:130], v[89:90], v[117:118]
	v_fma_f64 v[85:86], -v[161:162], v[85:86], v[113:114]
	;; [unrolled: 1-line block ×5, first 2 shown]
	s_waitcnt lgkmcnt(4)
	v_fma_f64 v[93:94], -v[159:160], v[93:94], v[119:120]
	v_fma_f64 v[87:88], -v[123:124], v[87:88], v[89:90]
	;; [unrolled: 1-line block ×5, first 2 shown]
	v_mov_b32_e32 v54, s14
	s_add_i32 s14, s12, 0xffffff30
	s_addk_i32 s12, 0xff20
	v_mov_b32_e32 v58, s14
	s_add_i32 s14, s4, 0xffffe218
	ds_load_2addr_b64 v[54:57], v54 offset1:1
	ds_load_2addr_b64 v[58:61], v58 offset1:1
	v_mul_f64 v[113:114], v[62:63], v[64:65]
	v_fma_f64 v[62:63], -v[161:162], v[91:92], v[93:94]
	s_waitcnt lgkmcnt(1)
	v_fma_f64 v[56:57], -v[139:140], v[56:57], v[83:84]
	v_fma_f64 v[64:65], -v[129:130], v[105:106], v[85:86]
	;; [unrolled: 1-line block ×8, first 2 shown]
	v_mov_b32_e32 v54, s13
	s_add_i32 s13, s4, 0xffffe110
	v_mul_f64 v[95:96], v[95:96], v[85:86]
	v_fma_f64 v[103:104], -v[139:140], v[107:108], v[62:63]
	v_mov_b32_e32 v62, s14
	ds_load_2addr_b64 v[54:57], v54 offset1:1
	ds_load_2addr_b64 v[62:65], v62 offset1:1
	;; [unrolled: 1-line block ×3, first 2 shown]
	s_add_i32 s14, s9, 0xffffff28
	s_delay_alu instid0(SALU_CYCLE_1)
	v_dual_mov_b32 v66, s13 :: v_dual_mov_b32 v91, s14
	ds_load_2addr_b64 v[87:90], v66 offset1:1
	ds_load_2addr_b64 v[91:94], v91 offset1:1
	s_addk_i32 s9, 0xff18
	s_waitcnt lgkmcnt(5)
	v_fma_f64 v[60:61], -v[123:124], v[60:61], v[97:98]
	s_waitcnt lgkmcnt(4)
	v_fma_f64 v[56:57], -v[113:114], v[56:57], v[101:102]
	;; [unrolled: 2-line block ×4, first 2 shown]
	s_delay_alu instid0(VALU_DEP_4) | instskip(NEXT) | instid1(VALU_DEP_4)
	v_fma_f64 v[97:98], -v[113:114], v[58:59], v[60:61]
	v_fma_f64 v[99:100], -v[95:96], v[54:55], v[56:57]
	v_mov_b32_e32 v54, s12
	s_add_i32 s12, s4, 0xffffe008
	s_addk_i32 s4, 0xdf00
	v_mov_b32_e32 v58, s12
	ds_load_2addr_b64 v[54:57], v54 offset1:1
	ds_load_2addr_b64 v[58:61], v58 offset1:1
	v_mul_f64 v[101:102], v[62:63], v[64:65]
	v_fma_f64 v[62:63], -v[123:124], v[83:84], v[85:86]
	s_waitcnt lgkmcnt(1)
	v_fma_f64 v[56:57], -v[95:96], v[56:57], v[97:98]
	s_delay_alu instid0(VALU_DEP_3) | instskip(NEXT) | instid1(VALU_DEP_3)
	v_fma_f64 v[64:65], -v[101:102], v[89:90], v[99:100]
	v_fma_f64 v[62:63], -v[113:114], v[93:94], v[62:63]
	s_delay_alu instid0(VALU_DEP_3)
	v_fma_f64 v[83:84], -v[101:102], v[54:55], v[56:57]
	v_mov_b32_e32 v54, s9
	ds_load_2addr_b64 v[54:57], v54 offset1:1
	v_mul_f64 v[85:86], v[87:88], v[64:65]
	v_fma_f64 v[87:88], -v[95:96], v[91:92], v[62:63]
	v_mov_b32_e32 v62, s4
	s_lshl_b32 s4, s28, 8
	s_delay_alu instid0(SALU_CYCLE_1)
	s_addk_i32 s4, 0xfe00
	ds_load_2addr_b64 v[62:65], v62 offset1:1
	ds_store_b64 v68, v[41:42] offset:8192
	ds_store_b64 v69, v[43:44] offset:8192
	;; [unrolled: 1-line block ×24, first 2 shown]
	v_or_b32_e32 v1, s8, v0
	ds_store_b64 v36, v[123:124] offset:8192
	ds_store_b64 v37, v[113:114] offset:8192
	;; [unrolled: 1-line block ×4, first 2 shown]
	v_lshlrev_b32_e32 v1, 3, v1
	s_waitcnt lgkmcnt(30)
	v_fma_f64 v[60:61], -v[85:86], v[60:61], v[83:84]
	s_waitcnt lgkmcnt(29)
	v_fma_f64 v[56:57], -v[101:102], v[56:57], v[87:88]
	s_delay_alu instid0(VALU_DEP_2) | instskip(NEXT) | instid1(VALU_DEP_2)
	v_mul_f64 v[58:59], v[58:59], v[60:61]
	v_fma_f64 v[54:55], -v[85:86], v[54:55], v[56:57]
	v_or_b32_e32 v56, s4, v67
	s_sub_i32 s4, s28, 33
	ds_store_b64 v52, v[85:86] offset:8192
	ds_store_b64 v53, v[58:59] offset:8192
	s_waitcnt lgkmcnt(30)
	v_fma_f64 v[54:55], -v[58:59], v[64:65], v[54:55]
	s_delay_alu instid0(VALU_DEP_1)
	v_mul_f64 v[54:55], v[62:63], v[54:55]
	ds_store_b64 v56, v[39:40] offset:8192
	ds_store_b64 v1, v[54:55] offset:8192
.LBB104_20:
	s_cmp_gt_i32 s4, -1
	s_cbranch_scc0 .LBB104_39
; %bb.21:
	s_cmp_lt_u32 s4, 27
	s_cbranch_scc1 .LBB104_26
; %bb.22:
	s_lshl_b32 s8, s4, 5
	s_delay_alu instid0(SALU_CYCLE_1)
	s_sub_i32 s9, s8, 32
	v_or_b32_e32 v1, s8, v0
	s_sub_i32 s41, s8, 64
	v_or_b32_e32 v2, s9, v0
	s_add_i32 s40, s8, 0xffffffa0
	v_or_b32_e32 v3, s41, v0
	v_or_b32_e32 v4, s40, v0
	v_lshlrev_b32_e32 v43, 3, v1
	v_lshlrev_b32_e32 v1, 3, v2
	s_add_i32 s36, s8, 0xffffff20
	v_lshlrev_b32_e32 v117, 3, v3
	v_lshlrev_b32_e32 v118, 3, v4
	s_add_i32 s39, s8, 0xffffff80
	s_add_i32 s38, s8, 0xffffff60
	ds_load_b64 v[41:42], v43 offset:8192
	ds_load_b64 v[39:40], v1 offset:8192
	;; [unrolled: 1-line block ×4, first 2 shown]
	v_or_b32_e32 v1, s36, v0
	v_or_b32_e32 v2, s39, v0
	s_add_i32 s37, s8, 0xffffff40
	v_or_b32_e32 v3, s38, v0
	v_or_b32_e32 v4, s37, v0
	s_add_i32 s35, s8, 0xffffff00
	s_add_i32 s34, s8, 0xfffffee0
	v_lshlrev_b32_e32 v122, 3, v1
	v_or_b32_e32 v1, s35, v0
	s_add_i32 s33, s8, 0xfffffec0
	v_lshlrev_b32_e32 v119, 3, v2
	v_or_b32_e32 v2, s34, v0
	s_add_i32 s30, s8, 0xfffffea0
	s_add_i32 s23, s8, 0xfffffd80
	v_lshlrev_b32_e32 v120, 3, v3
	v_or_b32_e32 v3, s33, v0
	s_add_i32 s19, s8, 0xfffffd60
	v_lshlrev_b32_e32 v121, 3, v4
	v_or_b32_e32 v4, s30, v0
	s_add_i32 s31, s8, 0xfffffe80
	s_add_i32 s25, s8, 0xfffffe00
	v_or_b32_e32 v33, s23, v0
	s_add_i32 s15, s8, 0xfffffd40
	s_add_i32 s27, s8, 0xfffffe60
	;; [unrolled: 1-line block ×3, first 2 shown]
	v_or_b32_e32 v34, s19, v0
	v_lshlrev_b32_e32 v123, 3, v1
	v_or_b32_e32 v1, s31, v0
	s_add_i32 s20, s8, 0xfffffe40
	v_or_b32_e32 v17, s25, v0
	s_add_i32 s24, s8, 0xfffffdc0
	v_or_b32_e32 v44, s15, v0
	v_lshlrev_b32_e32 v124, 3, v2
	v_or_b32_e32 v2, s27, v0
	s_add_i32 s21, s8, 0xfffffe20
	v_or_b32_e32 v18, s22, v0
	s_add_i32 s26, s8, 0xfffffda0
	s_add_i32 s14, s8, 0xfffffd20
	v_lshlrev_b32_e32 v125, 3, v3
	v_or_b32_e32 v3, s20, v0
	v_or_b32_e32 v19, s24, v0
	s_add_i32 s13, s8, 0xfffffd00
	v_lshlrev_b32_e32 v126, 3, v4
	v_or_b32_e32 v4, s21, v0
	v_or_b32_e32 v20, s26, v0
	v_lshlrev_b32_e32 v135, 3, v33
	v_or_b32_e32 v33, s14, v0
	s_add_i32 s12, s8, 0xfffffce0
	s_add_i32 s9, s8, 0xfffffcc0
	s_addk_i32 s8, 0xfca0
	v_lshlrev_b32_e32 v136, 3, v34
	v_or_b32_e32 v34, s13, v0
	v_lshlrev_b32_e32 v127, 3, v1
	v_lshlrev_b32_e32 v132, 3, v17
	;; [unrolled: 1-line block ×3, first 2 shown]
	v_or_b32_e32 v44, s12, v0
	v_or_b32_e32 v45, s9, v0
	;; [unrolled: 1-line block ×3, first 2 shown]
	v_lshlrev_b32_e32 v128, 3, v2
	v_lshlrev_b32_e32 v133, 3, v18
	v_lshlrev_b32_e32 v129, 3, v3
	v_lshlrev_b32_e32 v131, 3, v19
	v_lshlrev_b32_e32 v130, 3, v4
	v_lshlrev_b32_e32 v134, 3, v20
	v_lshlrev_b32_e32 v138, 3, v33
	v_lshlrev_b32_e32 v139, 3, v34
	ds_load_b64 v[31:32], v119 offset:8192
	ds_load_b64 v[27:28], v120 offset:8192
	;; [unrolled: 1-line block ×16, first 2 shown]
	v_lshlrev_b32_e32 v140, 3, v44
	v_lshlrev_b32_e32 v141, 3, v45
	;; [unrolled: 1-line block ×3, first 2 shown]
	ds_load_b64 v[33:34], v135 offset:8192
	ds_load_b64 v[45:46], v136 offset:8192
	;; [unrolled: 1-line block ×8, first 2 shown]
	s_cmp_le_i32 s29, s4
	s_cbranch_scc1 .LBB104_25
; %bb.23:
	v_lshlrev_b32_e32 v44, 3, v0
	s_lshl_b32 s8, s4, 8
	s_lshl_b32 s42, s28, 3
	s_delay_alu instid0(SALU_CYCLE_1) | instskip(NEXT) | instid1(VALU_DEP_1)
	s_add_i32 s8, s8, s42
	v_lshl_or_b32 v44, s28, 8, v44
	s_addk_i32 s8, 0xe4f8
	s_mov_b32 s42, s29
	s_delay_alu instid0(VALU_DEP_1)
	v_add_nc_u32_e32 v44, 0x1f00, v44
.LBB104_24:                             ; =>This Inner Loop Header: Depth=1
	v_add_nc_u32_e64 v55, 0x1800, s8
	v_add_nc_u32_e64 v71, 0x1000, s8
	ds_load_b64 v[47:48], v44
	v_dual_mov_b32 v87, s8 :: v_dual_add_nc_u32 v44, 0xffffff00, v44
	v_add_nc_u32_e64 v88, 0x800, s8
	ds_load_2addr_b64 v[51:54], v55 offset0:64 offset1:96
	ds_load_2addr_b64 v[55:58], v55 offset1:32
	ds_load_2addr_b64 v[59:62], v71 offset0:192 offset1:224
	ds_load_2addr_b64 v[63:66], v71 offset0:128 offset1:160
	ds_load_2addr_b64 v[67:70], v71 offset0:64 offset1:96
	ds_load_2addr_b64 v[71:74], v71 offset1:32
	ds_load_2addr_b64 v[75:78], v88 offset0:192 offset1:224
	ds_load_2addr_b64 v[79:82], v88 offset0:128 offset1:160
	;; [unrolled: 4-line block ×3, first 2 shown]
	ds_load_2addr_b64 v[142:145], v87 offset0:64 offset1:96
	ds_load_2addr_b64 v[146:149], v87 offset1:32
	s_add_i32 s42, s42, -1
	s_add_i32 s8, s8, -8
	s_cmp_gt_i32 s42, s4
	s_waitcnt lgkmcnt(13)
	v_fma_f64 v[41:42], -v[47:48], v[53:54], v[41:42]
	v_fma_f64 v[39:40], -v[47:48], v[51:52], v[39:40]
	s_waitcnt lgkmcnt(12)
	v_fma_f64 v[37:38], -v[47:48], v[57:58], v[37:38]
	v_fma_f64 v[29:30], -v[47:48], v[55:56], v[29:30]
	;; [unrolled: 3-line block ×14, first 2 shown]
	s_cbranch_scc1 .LBB104_24
.LBB104_25:
	s_mul_i32 s8, s4, 0x108
	s_delay_alu instid0(SALU_CYCLE_1)
	v_dual_mov_b32 v43, s8 :: v_dual_add_nc_u32 v142, 0x2000, v43
	s_add_i32 s42, s8, 0xfffffef8
	s_add_i32 s41, s41, s4
	v_mov_b32_e32 v47, s42
	s_lshl_b32 s41, s41, 3
	ds_load_b64 v[43:44], v43
	s_add_i32 s40, s40, s4
	s_add_i32 s39, s39, s4
	ds_load_2addr_b64 v[51:54], v47 offset1:1
	s_lshl_b32 s40, s40, 3
	s_lshl_b32 s39, s39, 3
	s_add_i32 s40, s40, -8
	s_add_i32 s38, s38, s4
	s_add_i32 s37, s37, s4
	s_lshl_b32 s38, s38, 3
	s_lshl_b32 s37, s37, 3
	s_add_i32 s36, s36, s4
	s_add_i32 s35, s35, s4
	s_lshl_b32 s36, s36, 3
	s_add_i32 s14, s14, s4
	s_lshl_b32 s35, s35, 3
	s_lshl_b32 s14, s14, 3
	s_add_i32 s34, s34, s4
	s_add_i32 s44, s14, -8
	s_lshl_b32 s34, s34, 3
	s_waitcnt lgkmcnt(1)
	v_mul_f64 v[83:84], v[43:44], v[41:42]
	s_add_i32 s33, s33, s4
	s_add_i32 s30, s30, s4
	s_lshl_b32 s33, s33, 3
	s_lshl_b32 s30, s30, 3
	s_add_i32 s31, s31, s4
	s_add_i32 s27, s27, s4
	s_lshl_b32 s31, s31, 3
	s_lshl_b32 s27, s27, 3
	;; [unrolled: 4-line block ×4, first 2 shown]
	s_add_i32 s26, s26, s4
	s_add_i32 s24, s24, s4
	;; [unrolled: 1-line block ×3, first 2 shown]
	s_lshl_b32 s24, s24, 3
	s_lshl_b32 s19, s19, 3
	s_add_i32 s15, s15, s4
	s_sub_i32 s45, s14, 24
	s_lshl_b32 s15, s15, 3
	s_add_i32 s13, s13, s4
	s_add_i32 s12, s12, s4
	s_lshl_b32 s13, s13, 3
	s_add_i32 s9, s9, s4
	s_waitcnt lgkmcnt(0)
	s_delay_alu instid0(VALU_DEP_1)
	v_fma_f64 v[43:44], -v[83:84], v[53:54], v[39:40]
	v_mov_b32_e32 v39, s41
	s_add_i32 s41, s8, 0xfffffdf0
	ds_load_b64 v[47:48], v39
	v_mul_f64 v[81:82], v[51:52], v[43:44]
	v_mov_b32_e32 v43, s40
	s_add_i32 s40, s8, 0xfffffce8
	ds_load_2addr_b64 v[51:54], v43 offset1:1
	s_waitcnt lgkmcnt(1)
	v_fma_f64 v[37:38], -v[83:84], v[47:48], v[37:38]
	v_mov_b32_e32 v39, s41
	v_mov_b32_e32 v43, s40
	s_sub_i32 s40, s22, 24
	s_sub_i32 s41, s22, 40
	ds_load_2addr_b64 v[39:42], v39 offset1:1
	ds_load_2addr_b64 v[55:58], v43 offset1:1
	s_waitcnt lgkmcnt(2)
	v_fma_f64 v[29:30], -v[83:84], v[53:54], v[29:30]
	s_waitcnt lgkmcnt(1)
	v_fma_f64 v[37:38], -v[81:82], v[41:42], v[37:38]
	v_mov_b32_e32 v41, s39
	s_add_i32 s39, s39, -16
	ds_load_b64 v[47:48], v41
	v_mov_b32_e32 v41, s39
	s_add_i32 s39, s38, -8
	s_sub_i32 s38, s38, 24
	ds_load_2addr_b64 v[41:44], v41 offset1:1
	v_fma_f64 v[51:52], -v[81:82], v[51:52], v[29:30]
	v_mov_b32_e32 v29, s39
	s_add_i32 s39, s37, -8
	s_waitcnt lgkmcnt(1)
	v_fma_f64 v[47:48], -v[83:84], v[47:48], v[31:32]
	ds_load_2addr_b64 v[29:32], v29 offset1:1
	v_mul_f64 v[85:86], v[39:40], v[37:38]
	v_mov_b32_e32 v37, s39
	s_sub_i32 s39, s37, 24
	s_sub_i32 s37, s37, 40
	ds_load_2addr_b64 v[37:40], v37 offset1:1
	s_waitcnt lgkmcnt(1)
	v_fma_f64 v[27:28], -v[83:84], v[31:32], v[27:28]
	v_fma_f64 v[31:32], -v[81:82], v[43:44], v[47:48]
	v_mov_b32_e32 v47, s39
	s_add_i32 s39, s8, 0xfffffbe0
	v_fma_f64 v[43:44], -v[85:86], v[57:58], v[51:52]
	ds_load_2addr_b64 v[51:54], v47 offset1:1
	s_waitcnt lgkmcnt(1)
	v_fma_f64 v[47:48], -v[83:84], v[39:40], v[25:26]
	v_dual_mov_b32 v25, s36 :: v_dual_mov_b32 v26, s38
	s_add_i32 s38, s8, 0xfffffad8
	s_delay_alu instid0(SALU_CYCLE_1)
	v_mov_b32_e32 v39, s38
	s_add_i32 s38, s35, -8
	v_fma_f64 v[59:60], -v[81:82], v[29:30], v[27:28]
	v_mov_b32_e32 v29, s39
	s_add_i32 s39, s36, -16
	v_fma_f64 v[61:62], -v[85:86], v[41:42], v[31:32]
	v_mul_f64 v[87:88], v[55:56], v[43:44]
	ds_load_b64 v[43:44], v25
	ds_load_2addr_b64 v[25:28], v26 offset1:1
	ds_load_2addr_b64 v[29:32], v29 offset1:1
	v_fma_f64 v[37:38], -v[81:82], v[37:38], v[47:48]
	v_mov_b32_e32 v55, s39
	ds_load_2addr_b64 v[39:42], v39 offset1:1
	ds_load_2addr_b64 v[55:58], v55 offset1:1
	s_sub_i32 s39, s25, 32
	s_waitcnt lgkmcnt(4)
	v_fma_f64 v[15:16], -v[83:84], v[43:44], v[15:16]
	s_waitcnt lgkmcnt(3)
	v_fma_f64 v[27:28], -v[85:86], v[27:28], v[59:60]
	v_mov_b32_e32 v43, s38
	s_sub_i32 s38, s35, 24
	s_waitcnt lgkmcnt(2)
	v_fma_f64 v[31:32], -v[87:88], v[31:32], v[61:62]
	ds_load_2addr_b64 v[59:62], v43 offset1:1
	v_mov_b32_e32 v43, s38
	v_fma_f64 v[37:38], -v[85:86], v[53:54], v[37:38]
	s_add_i32 s38, s34, -16
	ds_load_2addr_b64 v[63:66], v43 offset1:1
	s_waitcnt lgkmcnt(2)
	v_fma_f64 v[47:48], -v[81:82], v[57:58], v[15:16]
	v_fma_f64 v[25:26], -v[87:88], v[25:26], v[27:28]
	s_waitcnt lgkmcnt(1)
	v_fma_f64 v[43:44], -v[83:84], v[61:62], v[13:14]
	v_mov_b32_e32 v13, s34
	ds_load_b64 v[27:28], v13
	v_mov_b32_e32 v13, s38
	s_sub_i32 s38, s36, 32
	s_sub_i32 s36, s36, 48
	ds_load_2addr_b64 v[13:16], v13 offset1:1
	v_mul_f64 v[91:92], v[29:30], v[31:32]
	v_mov_b32_e32 v29, s37
	s_add_i32 s37, s33, -16
	v_fma_f64 v[37:38], -v[87:88], v[51:52], v[37:38]
	v_mov_b32_e32 v51, s37
	s_sub_i32 s37, s34, 32
	s_waitcnt lgkmcnt(1)
	v_fma_f64 v[11:12], -v[83:84], v[27:28], v[11:12]
	v_fma_f64 v[47:48], -v[85:86], v[55:56], v[47:48]
	;; [unrolled: 1-line block ×4, first 2 shown]
	v_dual_mov_b32 v25, s33 :: v_dual_mov_b32 v26, s38
	ds_load_b64 v[59:60], v25
	ds_load_2addr_b64 v[25:28], v26 offset1:1
	ds_load_2addr_b64 v[29:32], v29 offset1:1
	v_mov_b32_e32 v41, s36
	s_add_i32 s36, s30, -8
	s_waitcnt lgkmcnt(3)
	v_fma_f64 v[15:16], -v[81:82], v[15:16], v[11:12]
	ds_load_2addr_b64 v[41:44], v41 offset1:1
	ds_load_2addr_b64 v[51:54], v51 offset1:1
	s_sub_i32 s38, s35, 40
	s_sub_i32 s35, s35, 56
	v_fma_f64 v[57:58], -v[85:86], v[65:66], v[57:58]
	s_waitcnt lgkmcnt(4)
	v_fma_f64 v[59:60], -v[83:84], v[59:60], v[9:10]
	v_mov_b32_e32 v9, s36
	s_waitcnt lgkmcnt(3)
	v_fma_f64 v[27:28], -v[87:88], v[27:28], v[47:48]
	s_waitcnt lgkmcnt(2)
	v_fma_f64 v[31:32], -v[91:92], v[31:32], v[37:38]
	s_sub_i32 s36, s30, 24
	ds_load_2addr_b64 v[9:12], v9 offset1:1
	v_mov_b32_e32 v37, s36
	s_add_i32 s36, s8, 0xfffff9d0
	v_mul_f64 v[99:100], v[39:40], v[55:56]
	ds_load_2addr_b64 v[37:40], v37 offset1:1
	v_fma_f64 v[15:16], -v[85:86], v[13:14], v[15:16]
	s_waitcnt lgkmcnt(1)
	v_fma_f64 v[7:8], -v[83:84], v[11:12], v[7:8]
	v_dual_mov_b32 v11, s31 :: v_dual_mov_b32 v12, s37
	s_add_i32 s37, s31, -16
	ds_load_b64 v[67:68], v11
	v_fma_f64 v[61:62], -v[87:88], v[63:64], v[57:58]
	v_mov_b32_e32 v57, s37
	s_sub_i32 s37, s27, 24
	v_fma_f64 v[47:48], -v[81:82], v[53:54], v[59:60]
	v_fma_f64 v[63:64], -v[91:92], v[25:26], v[27:28]
	v_mov_b32_e32 v25, s38
	s_sub_i32 s38, s21, 24
	s_waitcnt lgkmcnt(0)
	v_fma_f64 v[67:68], -v[83:84], v[67:68], v[5:6]
	v_fma_f64 v[65:66], -v[99:100], v[29:30], v[31:32]
	v_mov_b32_e32 v29, s36
	ds_load_2addr_b64 v[11:14], v12 offset1:1
	ds_load_2addr_b64 v[25:28], v25 offset1:1
	ds_load_b64 v[69:70], v29
	v_mov_b32_e32 v29, s35
	s_add_i32 s35, s27, -8
	s_sub_i32 s36, s34, 48
	v_mov_b32_e32 v5, s35
	s_sub_i32 s35, s33, 32
	v_mov_b32_e32 v53, s36
	v_fma_f64 v[9:10], -v[81:82], v[9:10], v[7:8]
	ds_load_2addr_b64 v[29:32], v29 offset1:1
	ds_load_2addr_b64 v[53:56], v53 offset1:1
	;; [unrolled: 1-line block ×3, first 2 shown]
	s_add_i32 s36, s21, -8
	s_sub_i32 s34, s34, 64
	s_waitcnt lgkmcnt(4)
	v_fma_f64 v[27:28], -v[91:92], v[27:28], v[61:62]
	v_fma_f64 v[47:48], -v[85:86], v[51:52], v[47:48]
	;; [unrolled: 1-line block ×3, first 2 shown]
	v_mov_b32_e32 v13, s35
	v_fma_f64 v[43:44], -v[99:100], v[43:44], v[63:64]
	ds_load_2addr_b64 v[5:8], v5 offset1:1
	ds_load_2addr_b64 v[13:16], v13 offset1:1
	s_sub_i32 s35, s33, 48
	s_sub_i32 s33, s33, 64
	v_mov_b32_e32 v61, s35
	s_add_i32 s35, s8, 0xfffff8c8
	s_waitcnt lgkmcnt(5)
	v_mul_f64 v[101:102], v[69:70], v[65:66]
	ds_load_2addr_b64 v[61:64], v61 offset1:1
	s_waitcnt lgkmcnt(2)
	v_fma_f64 v[3:4], -v[83:84], v[7:8], v[3:4]
	v_fma_f64 v[7:8], -v[81:82], v[59:60], v[67:68]
	;; [unrolled: 1-line block ×4, first 2 shown]
	v_mov_b32_e32 v25, s20
	v_fma_f64 v[11:12], -v[91:92], v[11:12], v[51:52]
	s_waitcnt lgkmcnt(1)
	v_fma_f64 v[15:16], -v[87:88], v[15:16], v[47:48]
	v_fma_f64 v[41:42], -v[101:102], v[41:42], v[43:44]
	ds_load_b64 v[43:44], v25
	v_mov_b32_e32 v25, s35
	s_add_i32 s35, s20, -16
	ds_load_b64 v[47:48], v25
	v_mov_b32_e32 v25, s35
	s_sub_i32 s35, s30, 40
	v_fma_f64 v[59:60], -v[81:82], v[5:6], v[3:4]
	v_fma_f64 v[69:70], -v[85:86], v[57:58], v[7:8]
	v_fma_f64 v[71:72], -v[87:88], v[37:38], v[9:10]
	v_mov_b32_e32 v4, s35
	ds_load_2addr_b64 v[25:28], v25 offset1:1
	s_sub_i32 s35, s30, 56
	s_waitcnt lgkmcnt(2)
	v_fma_f64 v[51:52], -v[83:84], v[43:44], v[1:2]
	v_mov_b32_e32 v1, s36
	s_sub_i32 s36, s31, 32
	s_delay_alu instid0(SALU_CYCLE_1)
	v_dual_mov_b32 v2, s37 :: v_dual_mov_b32 v3, s36
	v_fma_f64 v[75:76], -v[99:100], v[55:56], v[11:12]
	v_fma_f64 v[31:32], -v[101:102], v[31:32], v[39:40]
	;; [unrolled: 1-line block ×3, first 2 shown]
	s_sub_i32 s36, s31, 48
	s_sub_i32 s37, s27, 40
	v_mov_b32_e32 v5, s36
	v_mov_b32_e32 v9, s37
	;; [unrolled: 1-line block ×3, first 2 shown]
	s_add_i32 s38, s24, -16
	s_sub_i32 s36, s21, 40
	s_sub_i32 s37, s21, 56
	s_waitcnt lgkmcnt(1)
	v_mul_f64 v[103:104], v[47:48], v[41:42]
	ds_load_2addr_b64 v[37:40], v1 offset1:1
	ds_load_2addr_b64 v[41:44], v2 offset1:1
	;; [unrolled: 1-line block ×4, first 2 shown]
	v_mov_b32_e32 v1, s35
	s_add_i32 s35, s8, 0xfffff7c0
	ds_load_2addr_b64 v[1:4], v1 offset1:1
	ds_load_2addr_b64 v[5:8], v5 offset1:1
	;; [unrolled: 1-line block ×4, first 2 shown]
	s_waitcnt lgkmcnt(7)
	v_fma_f64 v[23:24], -v[83:84], v[39:40], v[23:24]
	s_waitcnt lgkmcnt(6)
	v_fma_f64 v[43:44], -v[85:86], v[43:44], v[59:60]
	;; [unrolled: 2-line block ×4, first 2 shown]
	v_fma_f64 v[39:40], -v[81:82], v[27:28], v[51:52]
	v_mov_b32_e32 v27, s25
	v_mov_b32_e32 v51, s35
	s_add_i32 s35, s8, 0xfffff4a8
	s_delay_alu instid0(SALU_CYCLE_1)
	v_mov_b32_e32 v153, s35
	v_fma_f64 v[59:60], -v[99:100], v[63:64], v[73:74]
	v_fma_f64 v[63:64], -v[101:102], v[53:54], v[75:76]
	ds_load_b64 v[67:68], v27
	v_mov_b32_e32 v27, s34
	s_add_i32 s34, s25, -16
	s_add_i32 s35, s27, 0xffffffb8
	v_fma_f64 v[31:32], -v[103:104], v[29:30], v[31:32]
	ds_load_2addr_b64 v[27:30], v27 offset1:1
	ds_load_b64 v[69:70], v51
	v_mov_b32_e32 v51, s34
	s_add_i32 s34, s22, -8
	ds_load_2addr_b64 v[51:54], v51 offset1:1
	s_waitcnt lgkmcnt(3)
	v_fma_f64 v[67:68], -v[83:84], v[67:68], v[21:22]
	v_mov_b32_e32 v21, s34
	s_sub_i32 s34, s20, 32
	v_fma_f64 v[71:72], -v[81:82], v[37:38], v[23:24]
	ds_load_2addr_b64 v[21:24], v21 offset1:1
	v_fma_f64 v[41:42], -v[87:88], v[41:42], v[43:44]
	v_fma_f64 v[43:44], -v[91:92], v[55:56], v[47:48]
	;; [unrolled: 1-line block ×4, first 2 shown]
	v_mov_b32_e32 v37, s33
	s_add_i32 s33, s8, 0xfffff5b0
	s_delay_alu instid0(SALU_CYCLE_1)
	v_mov_b32_e32 v55, s33
	v_fma_f64 v[65:66], -v[101:102], v[61:62], v[59:60]
	s_waitcnt lgkmcnt(3)
	v_fma_f64 v[63:64], -v[103:104], v[29:30], v[63:64]
	v_mov_b32_e32 v29, s34
	s_add_i32 s33, s23, s4
	s_lshl_b32 s23, s26, 3
	s_sub_i32 s34, s20, 48
	s_add_i32 s42, s23, -8
	v_mov_b32_e32 v59, s34
	s_add_i32 s34, s8, 0xfffff6b8
	s_add_i32 s26, s30, 0xffffffb8
	s_waitcnt lgkmcnt(2)
	v_mul_f64 v[107:108], v[69:70], v[31:32]
	ds_load_2addr_b64 v[29:32], v29 offset1:1
	ds_load_2addr_b64 v[37:40], v37 offset1:1
	s_waitcnt lgkmcnt(2)
	v_fma_f64 v[19:20], -v[83:84], v[23:24], v[19:20]
	ds_load_2addr_b64 v[55:58], v55 offset1:1
	ds_load_2addr_b64 v[59:62], v59 offset1:1
	s_sub_i32 s30, s31, 64
	s_addk_i32 s31, 0xffb0
	s_sub_i32 s43, s23, 24
	v_fma_f64 v[23:24], -v[81:82], v[53:54], v[67:68]
	v_fma_f64 v[15:16], -v[85:86], v[15:16], v[71:72]
	;; [unrolled: 1-line block ×5, first 2 shown]
	s_waitcnt lgkmcnt(3)
	v_fma_f64 v[25:26], -v[87:88], v[31:32], v[25:26]
	s_waitcnt lgkmcnt(2)
	v_fma_f64 v[31:32], -v[103:104], v[39:40], v[65:66]
	v_mov_b32_e32 v39, s24
	ds_load_b64 v[43:44], v39
	v_fma_f64 v[27:28], -v[107:108], v[27:28], v[63:64]
	v_fma_f64 v[79:80], -v[81:82], v[21:22], v[19:20]
	;; [unrolled: 1-line block ×4, first 2 shown]
	v_mov_b32_e32 v13, s35
	v_fma_f64 v[147:148], -v[99:100], v[9:10], v[11:12]
	v_fma_f64 v[149:150], -v[101:102], v[5:6], v[7:8]
	;; [unrolled: 1-line block ×3, first 2 shown]
	v_mov_b32_e32 v1, s42
	v_fma_f64 v[145:146], -v[91:92], v[29:30], v[25:26]
	v_dual_mov_b32 v7, s40 :: v_dual_mov_b32 v6, s30
	v_mov_b32_e32 v8, s39
	ds_load_2addr_b64 v[1:4], v1 offset1:1
	v_mov_b32_e32 v39, s34
	v_fma_f64 v[37:38], -v[107:108], v[37:38], v[31:32]
	s_waitcnt lgkmcnt(1)
	v_fma_f64 v[43:44], -v[83:84], v[43:44], v[17:18]
	s_sub_i32 s34, s27, 56
	v_mov_b32_e32 v5, s26
	ds_load_b64 v[47:48], v39
	v_mov_b32_e32 v39, s38
	v_dual_mov_b32 v11, s34 :: v_dual_mov_b32 v10, s36
	s_lshl_b32 s26, s33, 3
	v_mov_b32_e32 v9, s31
	ds_load_2addr_b64 v[39:42], v39 offset1:1
	ds_load_2addr_b64 v[51:54], v7 offset1:1
	ds_load_2addr_b64 v[63:66], v8 offset1:1
	ds_load_2addr_b64 v[67:70], v10 offset1:1
	ds_load_2addr_b64 v[71:74], v11 offset1:1
	ds_load_2addr_b64 v[75:78], v6 offset1:1
	ds_load_2addr_b64 v[111:114], v5 offset1:1
	s_sub_i32 s38, s25, 48
	v_mov_b32_e32 v17, s37
	v_mov_b32_e32 v21, s38
	;; [unrolled: 1-line block ×4, first 2 shown]
	s_waitcnt lgkmcnt(8)
	v_fma_f64 v[3:4], -v[83:84], v[3:4], v[35:36]
	s_add_i32 s30, s26, -16
	s_add_i32 s31, s8, 0xfffff3a0
	s_sub_i32 s33, s24, 48
	s_addk_i32 s27, 0xffa8
	s_sub_i32 s35, s22, 56
	s_waitcnt lgkmcnt(7)
	v_mul_f64 v[109:110], v[47:48], v[27:28]
	ds_load_2addr_b64 v[5:8], v153 offset1:1
	ds_load_2addr_b64 v[9:12], v9 offset1:1
	;; [unrolled: 1-line block ×7, first 2 shown]
	s_sub_i32 s41, s19, 24
	s_add_i32 s43, s15, -16
	s_sub_i32 s39, s26, 32
	s_waitcnt lgkmcnt(12)
	v_fma_f64 v[47:48], -v[85:86], v[53:54], v[79:80]
	s_waitcnt lgkmcnt(11)
	v_fma_f64 v[53:54], -v[87:88], v[65:66], v[115:116]
	;; [unrolled: 2-line block ×6, first 2 shown]
	v_fma_f64 v[61:62], -v[99:100], v[61:62], v[145:146]
	s_sub_i32 s37, s23, 40
	s_add_i32 s34, s25, 0xffffffb0
	s_add_i32 s36, s22, 0xffffffb8
	v_fma_f64 v[35:36], -v[81:82], v[41:42], v[43:44]
	v_mov_b32_e32 v41, s26
	s_sub_i32 s38, s23, 56
	s_sub_i32 s40, s26, 48
	;; [unrolled: 1-line block ×3, first 2 shown]
	v_mov_b32_e32 v168, s34
	s_add_i32 s34, s22, 0xffffff98
	v_fma_f64 v[113:114], -v[81:82], v[1:2], v[3:4]
	v_mov_b32_e32 v2, s31
	s_add_i32 s31, s20, 0xffffffb0
	v_fma_f64 v[37:38], -v[109:110], v[57:58], v[37:38]
	ds_load_b64 v[57:58], v41
	v_mov_b32_e32 v41, s30
	s_add_i32 s30, s19, -8
	v_fma_f64 v[47:48], -v[87:88], v[51:52], v[47:48]
	v_fma_f64 v[63:64], -v[91:92], v[63:64], v[53:54]
	;; [unrolled: 1-line block ×7, first 2 shown]
	v_mov_b32_e32 v1, s30
	s_sub_i32 s30, s24, 32
	ds_load_2addr_b64 v[41:44], v41 offset1:1
	v_fma_f64 v[115:116], -v[85:86], v[39:40], v[35:36]
	v_mov_b32_e32 v3, s30
	ds_load_2addr_b64 v[51:54], v1 offset1:1
	s_sub_i32 s30, s20, 64
	s_addk_i32 s20, 0xffa0
	s_waitcnt lgkmcnt(2)
	v_fma_f64 v[79:80], -v[83:84], v[57:58], v[33:34]
	v_mov_b32_e32 v33, s30
	s_add_i32 s30, s8, 0xfffff298
	v_fma_f64 v[31:32], -v[85:86], v[31:32], v[113:114]
	s_waitcnt lgkmcnt(0)
	v_fma_f64 v[53:54], -v[83:84], v[53:54], v[45:46]
	v_mul_f64 v[111:112], v[55:56], v[37:38]
	ds_load_2addr_b64 v[55:58], v3 offset1:1
	ds_load_2addr_b64 v[1:4], v2 offset1:1
	;; [unrolled: 1-line block ×3, first 2 shown]
	v_mov_b32_e32 v33, s31
	v_mov_b32_e32 v45, s15
	v_fma_f64 v[27:28], -v[91:92], v[27:28], v[47:48]
	v_fma_f64 v[23:24], -v[99:100], v[23:24], v[63:64]
	;; [unrolled: 1-line block ×5, first 2 shown]
	v_mov_b32_e32 v37, s33
	ds_load_2addr_b64 v[33:36], v33 offset1:1
	ds_load_2addr_b64 v[37:40], v37 offset1:1
	ds_load_b64 v[63:64], v45
	s_sub_i32 s33, s25, 64
	s_add_i32 s31, s21, 0xffffffa8
	s_delay_alu instid0(SALU_CYCLE_1)
	v_dual_mov_b32 v167, s33 :: v_dual_mov_b32 v166, s31
	s_waitcnt lgkmcnt(5)
	v_fma_f64 v[57:58], -v[87:88], v[57:58], v[115:116]
	v_fma_f64 v[43:44], -v[81:82], v[43:44], v[79:80]
	s_waitcnt lgkmcnt(3)
	v_fma_f64 v[61:62], -v[103:104], v[61:62], v[67:68]
	v_mov_b32_e32 v115, s30
	s_add_i32 s30, s21, 0xffffffb8
	s_delay_alu instid0(SALU_CYCLE_1)
	v_dual_mov_b32 v116, s27 :: v_dual_mov_b32 v165, s30
	s_add_i32 s33, s8, 0xfffff088
	s_lshl_b32 s27, s12, 3
	s_add_i32 s31, s8, 0xfffff190
	s_lshl_b32 s12, s9, 3
	s_sub_i32 s30, s4, 27
	v_fma_f64 v[149:150], -v[87:88], v[29:30], v[31:32]
	v_mov_b32_e32 v29, s42
	s_lshl_b32 s9, s30, 5
	s_addk_i32 s21, 0xff98
	s_add_i32 s46, s9, s4
	v_fma_f64 v[145:146], -v[81:82], v[51:52], v[53:54]
	v_fma_f64 v[7:8], -v[111:112], v[7:8], v[73:74]
	s_add_i32 s30, s25, 0xffffffa0
	s_addk_i32 s25, 0xff90
	s_sub_i32 s42, s14, 56
	v_fma_f64 v[153:154], -v[99:100], v[25:26], v[27:28]
	v_fma_f64 v[155:156], -v[101:102], v[21:22], v[23:24]
	;; [unrolled: 1-line block ×5, first 2 shown]
	v_mov_b32_e32 v9, s37
	v_mov_b32_e32 v17, s36
	;; [unrolled: 1-line block ×4, first 2 shown]
	s_add_i32 s37, s27, -8
	s_add_i32 s36, s23, 0xffffffb8
	s_add_i32 s38, s23, 0xffffffa8
	;; [unrolled: 1-line block ×3, first 2 shown]
	v_fma_f64 v[151:152], -v[91:92], v[55:56], v[57:58]
	v_fma_f64 v[147:148], -v[85:86], v[41:42], v[43:44]
	;; [unrolled: 1-line block ×3, first 2 shown]
	v_mov_b32_e32 v41, s45
	s_add_i32 s45, s12, -16
	v_mul_f64 v[113:114], v[5:6], v[7:8]
	v_dual_mov_b32 v6, s44 :: v_dual_mov_b32 v5, s35
	v_dual_mov_b32 v7, s41 :: v_dual_mov_b32 v8, s39
	s_add_i32 s35, s24, 0xffffffb0
	ds_load_2addr_b64 v[77:80], v6 offset1:1
	s_waitcnt lgkmcnt(1)
	v_fma_f64 v[143:144], -v[83:84], v[63:64], v[49:50]
	v_mov_b32_e32 v45, s43
	s_sub_i32 s41, s14, 40
	s_sub_i32 s43, s13, 32
	s_add_i32 s39, s26, 0xffffffb0
	s_sub_i32 s44, s27, 40
	ds_load_2addr_b64 v[45:48], v45 offset1:1
	ds_load_2addr_b64 v[73:76], v7 offset1:1
	;; [unrolled: 1-line block ×16, first 2 shown]
	s_waitcnt lgkmcnt(16)
	v_fma_f64 v[115:116], -v[83:84], v[79:80], v[105:106]
	s_waitcnt lgkmcnt(14)
	v_fma_f64 v[79:80], -v[85:86], v[75:76], v[145:146]
	;; [unrolled: 2-line block ×4, first 2 shown]
	v_fma_f64 v[67:68], -v[99:100], v[39:40], v[151:152]
	s_waitcnt lgkmcnt(11)
	v_fma_f64 v[63:64], -v[101:102], v[63:64], v[153:154]
	s_waitcnt lgkmcnt(10)
	v_fma_f64 v[59:60], -v[103:104], v[59:60], v[155:156]
	v_fma_f64 v[39:40], -v[109:110], v[35:36], v[159:160]
	s_waitcnt lgkmcnt(8)
	v_fma_f64 v[35:36], -v[111:112], v[51:52], v[161:162]
	v_fma_f64 v[3:4], -v[113:114], v[3:4], v[163:164]
	v_mov_b32_e32 v51, s13
	v_mov_b32_e32 v149, s33
	s_add_i32 s33, s13, -16
	v_mov_b32_e32 v150, s12
	v_fma_f64 v[105:106], -v[81:82], v[47:48], v[143:144]
	v_fma_f64 v[47:48], -v[107:108], v[55:56], v[157:158]
	ds_load_b64 v[51:52], v51
	v_mov_b32_e32 v56, s33
	s_sub_i32 s33, s24, 64
	v_mov_b32_e32 v55, s31
	s_add_i32 s31, s22, 0xffffffa8
	v_mov_b32_e32 v151, s44
	ds_load_2addr_b64 v[143:146], v56 offset1:1
	s_addk_i32 s22, 0xff88
	v_fma_f64 v[77:78], -v[81:82], v[77:78], v[115:116]
	s_waitcnt lgkmcnt(1)
	v_fma_f64 v[97:98], -v[83:84], v[51:52], v[97:98]
	v_fma_f64 v[73:74], -v[87:88], v[73:74], v[79:80]
	;; [unrolled: 1-line block ×9, first 2 shown]
	v_mul_f64 v[1:2], v[1:2], v[3:4]
	v_mov_b32_e32 v3, s37
	s_sub_i32 s37, s15, 32
	s_delay_alu instid0(SALU_CYCLE_1)
	v_mov_b32_e32 v4, s37
	v_fma_f64 v[105:106], -v[85:86], v[45:46], v[105:106]
	v_fma_f64 v[79:80], -v[109:110], v[53:54], v[47:48]
	ds_load_2addr_b64 v[33:36], v3 offset1:1
	s_sub_i32 s37, s26, 64
	ds_load_2addr_b64 v[37:40], v4 offset1:1
	v_dual_mov_b32 v3, s33 :: v_dual_mov_b32 v4, s20
	s_sub_i32 s20, s15, 48
	s_sub_i32 s33, s19, 56
	ds_load_2addr_b64 v[45:48], v3 offset1:1
	ds_load_2addr_b64 v[49:52], v4 offset1:1
	v_dual_mov_b32 v3, s35 :: v_dual_mov_b32 v4, s20
	ds_load_2addr_b64 v[53:56], v55 offset1:1
	ds_load_2addr_b64 v[57:60], v3 offset1:1
	;; [unrolled: 1-line block ×3, first 2 shown]
	s_sub_i32 s20, s13, 48
	s_sub_i32 s35, s27, 24
	v_fma_f64 v[43:44], -v[85:86], v[43:44], v[77:78]
	v_dual_mov_b32 v77, s38 :: v_dual_mov_b32 v78, s37
	s_waitcnt lgkmcnt(6)
	v_fma_f64 v[3:4], -v[83:84], v[35:36], v[95:96]
	v_fma_f64 v[35:36], -v[81:82], v[145:146], v[97:98]
	v_mov_b32_e32 v96, s41
	v_fma_f64 v[31:32], -v[91:92], v[31:32], v[73:74]
	v_fma_f64 v[27:28], -v[99:100], v[27:28], v[69:70]
	;; [unrolled: 1-line block ×3, first 2 shown]
	ds_load_b64 v[69:70], v150
	v_fma_f64 v[19:20], -v[107:108], v[19:20], v[71:72]
	s_waitcnt lgkmcnt(5)
	v_fma_f64 v[47:48], -v[103:104], v[47:48], v[67:68]
	v_fma_f64 v[15:16], -v[109:110], v[15:16], v[75:76]
	s_waitcnt lgkmcnt(4)
	v_fma_f64 v[51:52], -v[113:114], v[51:52], v[115:116]
	v_fma_f64 v[7:8], -v[1:2], v[7:8], v[147:148]
	v_mov_b32_e32 v65, s45
	v_mov_b32_e32 v147, s20
	s_lshl_b32 s20, s46, 3
	v_mov_b32_e32 v148, s35
	v_fma_f64 v[39:40], -v[87:88], v[39:40], v[105:106]
	ds_load_2addr_b64 v[65:68], v65 offset1:1
	v_fma_f64 v[11:12], -v[111:112], v[11:12], v[79:80]
	v_mov_b32_e32 v71, s21
	v_dual_mov_b32 v73, s25 :: v_dual_mov_b32 v146, s43
	s_add_i32 s21, s20, -8
	s_sub_i32 s25, s20, 24
	v_mov_b32_e32 v72, s30
	v_mov_b32_e32 v74, s31
	s_waitcnt lgkmcnt(1)
	v_fma_f64 v[97:98], -v[83:84], v[69:70], v[93:94]
	v_dual_mov_b32 v75, s34 :: v_dual_mov_b32 v76, s36
	v_dual_mov_b32 v79, s39 :: v_dual_mov_b32 v80, s33
	v_mov_b32_e32 v95, s40
	v_mov_b32_e32 v145, s42
	;; [unrolled: 1-line block ×4, first 2 shown]
	v_fma_f64 v[159:160], -v[87:88], v[41:42], v[43:44]
	s_sub_i32 s21, s12, 32
	s_add_i32 s30, s15, 0xffffffb0
	v_fma_f64 v[105:106], -v[81:82], v[33:34], v[3:4]
	v_fma_f64 v[115:116], -v[85:86], v[143:144], v[35:36]
	s_add_i32 s25, s24, 0xffffff90
	v_fma_f64 v[163:164], -v[99:100], v[29:30], v[31:32]
	v_fma_f64 v[165:166], -v[101:102], v[25:26], v[27:28]
	;; [unrolled: 1-line block ×3, first 2 shown]
	s_add_i32 s33, s19, 0xffffffa8
	v_fma_f64 v[171:172], -v[109:110], v[17:18], v[19:20]
	v_fma_f64 v[169:170], -v[107:108], v[45:46], v[47:48]
	;; [unrolled: 1-line block ×4, first 2 shown]
	v_mul_f64 v[3:4], v[5:6], v[7:8]
	s_sub_i32 s39, s27, 56
	s_sub_i32 s37, s13, 64
	s_sub_i32 s31, s12, 48
	s_add_i32 s35, s14, 0xffffffb8
	v_fma_f64 v[161:162], -v[91:92], v[37:38], v[39:40]
	s_add_i32 s34, s19, 0xffffff98
	v_fma_f64 v[175:176], -v[113:114], v[9:10], v[11:12]
	ds_load_2addr_b64 v[5:8], v96 offset1:1
	ds_load_2addr_b64 v[9:12], v148 offset1:1
	;; [unrolled: 1-line block ×20, first 2 shown]
	s_add_i32 s36, s14, 0xffffffa8
	s_add_i32 s38, s13, 0xffffffb0
	;; [unrolled: 1-line block ×3, first 2 shown]
	s_waitcnt lgkmcnt(20)
	v_fma_f64 v[67:68], -v[81:82], v[67:68], v[97:98]
	s_waitcnt lgkmcnt(6)
	v_fma_f64 v[75:76], -v[83:84], v[75:76], v[89:90]
	v_fma_f64 v[7:8], -v[91:92], v[7:8], v[159:160]
	;; [unrolled: 1-line block ×15, first 2 shown]
	v_mov_b32_e32 v7, s21
	s_sub_i32 s21, s15, 64
	v_fma_f64 v[67:68], -v[87:88], v[9:10], v[11:12]
	v_fma_f64 v[89:90], -v[91:92], v[13:14], v[15:16]
	v_mov_b32_e32 v11, s21
	s_add_i32 s21, s24, 0xffffffa0
	v_fma_f64 v[105:106], -v[107:108], v[29:30], v[31:32]
	v_fma_f64 v[115:116], -v[109:110], v[33:34], v[35:36]
	v_mov_b32_e32 v15, s21
	v_fma_f64 v[37:38], -v[113:114], v[37:38], v[39:40]
	v_fma_f64 v[57:58], -v[111:112], v[57:58], v[59:60]
	;; [unrolled: 1-line block ×4, first 2 shown]
	v_mul_f64 v[5:6], v[53:54], v[55:56]
	ds_load_2addr_b64 v[7:10], v7 offset1:1
	ds_load_2addr_b64 v[11:14], v11 offset1:1
	s_add_i32 s21, s8, 0xffffef80
	v_mov_b32_e32 v29, s30
	v_fma_f64 v[61:62], -v[101:102], v[61:62], v[63:64]
	v_fma_f64 v[63:64], -v[103:104], v[25:26], v[27:28]
	;; [unrolled: 1-line block ×3, first 2 shown]
	ds_load_2addr_b64 v[15:18], v15 offset1:1
	v_mov_b32_e32 v73, s21
	s_add_i32 s21, s8, 0xffffee78
	s_add_i32 s30, s26, 0xffffffa0
	v_mov_b32_e32 v25, s25
	v_mov_b32_e32 v33, s31
	ds_load_2addr_b64 v[25:28], v25 offset1:1
	ds_load_2addr_b64 v[29:32], v29 offset1:1
	;; [unrolled: 1-line block ×3, first 2 shown]
	s_add_i32 s25, s23, 0xffffff88
	s_add_i32 s31, s26, 0xffffff90
	s_waitcnt lgkmcnt(5)
	v_fma_f64 v[9:10], -v[87:88], v[9:10], v[65:66]
	v_mov_b32_e32 v65, s21
	s_add_i32 s21, s23, 0xffffff98
	v_fma_f64 v[55:56], -v[101:102], v[145:146], v[97:98]
	v_mov_b32_e32 v66, s25
	s_add_i32 s25, s19, 0xffffff78
	v_fma_f64 v[43:44], -v[91:92], v[153:154], v[67:68]
	v_fma_f64 v[53:54], -v[99:100], v[149:150], v[89:90]
	v_mov_b32_e32 v67, s31
	s_add_i32 s31, s13, 0xffffffa0
	v_fma_f64 v[37:38], -v[1:2], v[51:52], v[37:38]
	s_waitcnt lgkmcnt(3)
	v_fma_f64 v[57:58], -v[113:114], v[17:18], v[57:58]
	v_fma_f64 v[39:40], -v[3:4], v[47:48], v[39:40]
	;; [unrolled: 1-line block ×3, first 2 shown]
	v_dual_mov_b32 v51, s22 :: v_dual_mov_b32 v52, s33
	v_dual_mov_b32 v48, s30 :: v_dual_mov_b32 v47, s21
	s_sub_i32 s21, s20, 40
	v_fma_f64 v[13:14], -v[103:104], v[13:14], v[61:62]
	v_fma_f64 v[59:60], -v[107:108], v[95:96], v[63:64]
	;; [unrolled: 1-line block ×5, first 2 shown]
	ds_load_2addr_b64 v[17:20], v73 offset1:1
	v_mov_b32_e32 v71, s34
	v_mov_b32_e32 v73, s36
	s_add_i32 s22, s12, 0xffffffb0
	s_add_i32 s34, s27, 0xffffffa8
	;; [unrolled: 1-line block ×4, first 2 shown]
	v_fma_f64 v[89:90], -v[91:92], v[7:8], v[9:10]
	v_mov_b32_e32 v7, s39
	v_fma_f64 v[115:116], -v[103:104], v[143:144], v[55:56]
	v_fma_f64 v[97:98], -v[99:100], v[151:152], v[43:44]
	;; [unrolled: 1-line block ×3, first 2 shown]
	v_mov_b32_e32 v53, s21
	s_sub_i32 s21, s20, 56
	s_delay_alu instid0(SALU_CYCLE_1)
	v_mov_b32_e32 v143, s21
	s_sub_i32 s21, s12, 64
	v_fma_f64 v[157:158], -v[3:4], v[49:50], v[37:38]
	v_fma_f64 v[15:16], -v[1:2], v[15:16], v[57:58]
	;; [unrolled: 1-line block ×8, first 2 shown]
	v_mul_f64 v[161:162], v[21:22], v[23:24]
	v_mov_b32_e32 v11, s37
	v_mov_b32_e32 v21, s35
	ds_load_2addr_b64 v[7:10], v7 offset1:1
	ds_load_2addr_b64 v[11:14], v11 offset1:1
	ds_load_2addr_b64 v[21:24], v21 offset1:1
	ds_load_2addr_b64 v[37:40], v52 offset1:1
	ds_load_2addr_b64 v[41:44], v48 offset1:1
	ds_load_2addr_b64 v[45:48], v47 offset1:1
	ds_load_2addr_b64 v[49:52], v51 offset1:1
	v_mov_b32_e32 v77, s38
	v_mov_b32_e32 v93, s40
	ds_load_2addr_b64 v[53:56], v53 offset1:1
	ds_load_2addr_b64 v[57:60], v65 offset1:1
	;; [unrolled: 1-line block ×9, first 2 shown]
	s_add_i32 s35, s27, 0xffffff98
	s_waitcnt lgkmcnt(17)
	v_fma_f64 v[35:36], -v[99:100], v[35:36], v[89:90]
	s_waitcnt lgkmcnt(15)
	v_fma_f64 v[9:10], -v[101:102], v[9:10], v[97:98]
	;; [unrolled: 2-line block ×4, first 2 shown]
	v_fma_f64 v[15:16], -v[3:4], v[27:28], v[15:16]
	s_waitcnt lgkmcnt(9)
	v_fma_f64 v[27:28], -v[5:6], v[51:52], v[157:158]
	s_waitcnt lgkmcnt(8)
	v_fma_f64 v[51:52], -v[91:92], v[55:56], v[155:156]
	v_fma_f64 v[31:32], -v[109:110], v[31:32], v[147:148]
	;; [unrolled: 1-line block ×10, first 2 shown]
	v_mov_b32_e32 v7, s21
	s_add_i32 s21, s15, 0xffffffa0
	s_delay_alu instid0(SALU_CYCLE_1)
	v_mov_b32_e32 v11, s21
	s_add_i32 s21, s24, 0xffffff80
	ds_load_2addr_b64 v[7:10], v7 offset1:1
	s_add_i32 s24, s19, 0xffffff88
	s_addk_i32 s19, 0xff68
	ds_load_2addr_b64 v[11:14], v11 offset1:1
	v_fma_f64 v[31:32], -v[111:112], v[29:30], v[31:32]
	v_fma_f64 v[37:38], -v[113:114], v[37:38], v[39:40]
	;; [unrolled: 1-line block ×6, first 2 shown]
	v_mul_f64 v[97:98], v[17:18], v[19:20]
	v_fma_f64 v[47:48], -v[99:100], v[53:54], v[51:52]
	v_mov_b32_e32 v15, s21
	s_add_i32 s21, s8, 0xffffed70
	v_mov_b32_e32 v27, s22
	v_mov_b32_e32 v19, s21
	s_add_i32 s21, s15, 0xffffff90
	ds_load_2addr_b64 v[15:18], v15 offset1:1
	v_mov_b32_e32 v23, s21
	s_add_i32 s21, s8, 0xffffec68
	s_waitcnt lgkmcnt(2)
	v_fma_f64 v[9:10], -v[103:104], v[9:10], v[33:34]
	s_add_i32 s22, s23, 0xffffff78
	s_add_i32 s23, s26, 0xffffff70
	ds_load_2addr_b64 v[19:22], v19 offset1:1
	ds_load_2addr_b64 v[23:26], v23 offset1:1
	;; [unrolled: 1-line block ×3, first 2 shown]
	v_mov_b32_e32 v51, s23
	s_add_i32 s23, s13, 0xffffff80
	v_fma_f64 v[33:34], -v[107:108], v[95:96], v[35:36]
	v_fma_f64 v[35:36], -v[109:110], v[79:80], v[55:56]
	v_fma_f64 v[49:50], -v[111:112], v[75:76], v[89:90]
	v_mov_b32_e32 v55, s25
	s_waitcnt lgkmcnt(4)
	v_fma_f64 v[13:14], -v[113:114], v[13:14], v[31:32]
	v_fma_f64 v[31:32], -v[1:2], v[71:72], v[37:38]
	;; [unrolled: 1-line block ×4, first 2 shown]
	s_waitcnt lgkmcnt(3)
	v_fma_f64 v[17:18], -v[161:162], v[17:18], v[43:44]
	v_mov_b32_e32 v63, s33
	v_fma_f64 v[41:42], -v[97:98], v[59:60], v[45:46]
	v_fma_f64 v[43:44], -v[101:102], v[145:146], v[47:48]
	v_mov_b32_e32 v47, s21
	s_add_i32 s21, s26, 0xffffff80
	s_add_i32 s26, s14, 0xffffff98
	v_mov_b32_e32 v45, s22
	v_mov_b32_e32 v59, s30
	;; [unrolled: 1-line block ×3, first 2 shown]
	s_add_i32 s22, s12, 0xffffff90
	v_fma_f64 v[75:76], -v[107:108], v[7:8], v[9:10]
	v_mov_b32_e32 v7, s34
	v_fma_f64 v[79:80], -v[109:110], v[93:94], v[33:34]
	v_fma_f64 v[77:78], -v[111:112], v[77:78], v[35:36]
	;; [unrolled: 1-line block ×3, first 2 shown]
	v_mov_b32_e32 v35, s21
	s_add_i32 s21, s20, 0xffffffb8
	v_fma_f64 v[93:94], -v[1:2], v[11:12], v[13:14]
	v_fma_f64 v[95:96], -v[3:4], v[69:70], v[31:32]
	;; [unrolled: 1-line block ×5, first 2 shown]
	v_mov_b32_e32 v31, s24
	v_mul_f64 v[147:148], v[57:58], v[41:42]
	v_fma_f64 v[143:144], -v[103:104], v[143:144], v[43:44]
	v_mov_b32_e32 v43, s21
	v_mov_b32_e32 v11, s31
	;; [unrolled: 1-line block ×3, first 2 shown]
	ds_load_2addr_b64 v[7:10], v7 offset1:1
	ds_load_2addr_b64 v[11:14], v11 offset1:1
	;; [unrolled: 1-line block ×7, first 2 shown]
	s_waitcnt lgkmcnt(7)
	v_fma_f64 v[29:30], -v[109:110], v[29:30], v[75:76]
	s_add_i32 s21, s20, 0xffffffa8
	s_add_i32 s24, s27, 0xffffff88
	v_mov_b32_e32 v71, s21
	s_add_i32 s21, s12, 0xffffffa0
	ds_load_2addr_b64 v[47:50], v47 offset1:1
	ds_load_2addr_b64 v[51:54], v51 offset1:1
	;; [unrolled: 1-line block ×7, first 2 shown]
	s_waitcnt lgkmcnt(13)
	v_fma_f64 v[9:10], -v[111:112], v[9:10], v[79:80]
	s_waitcnt lgkmcnt(12)
	v_fma_f64 v[13:14], -v[113:114], v[13:14], v[77:78]
	;; [unrolled: 2-line block ×3, first 2 shown]
	v_fma_f64 v[25:26], -v[3:4], v[25:26], v[93:94]
	s_waitcnt lgkmcnt(10)
	v_fma_f64 v[33:34], -v[5:6], v[33:34], v[95:96]
	s_waitcnt lgkmcnt(9)
	;; [unrolled: 2-line block ×3, first 2 shown]
	v_fma_f64 v[41:42], -v[97:98], v[41:42], v[115:116]
	v_fma_f64 v[21:22], -v[147:148], v[21:22], v[145:146]
	s_waitcnt lgkmcnt(7)
	v_fma_f64 v[45:46], -v[107:108], v[45:46], v[143:144]
	v_fma_f64 v[27:28], -v[111:112], v[27:28], v[29:30]
	;; [unrolled: 1-line block ×5, first 2 shown]
	v_mov_b32_e32 v7, s21
	s_add_i32 s21, s15, 0xffffff80
	s_delay_alu instid0(SALU_CYCLE_1)
	v_mov_b32_e32 v11, s21
	v_fma_f64 v[23:24], -v[5:6], v[23:24], v[25:26]
	v_fma_f64 v[25:26], -v[161:162], v[31:32], v[33:34]
	;; [unrolled: 1-line block ×4, first 2 shown]
	ds_load_2addr_b64 v[7:10], v7 offset1:1
	ds_load_2addr_b64 v[11:14], v11 offset1:1
	s_add_i32 s21, s15, 0xffffff70
	v_mul_f64 v[79:80], v[19:20], v[21:22]
	v_fma_f64 v[35:36], -v[109:110], v[43:44], v[45:46]
	v_mov_b32_e32 v19, s22
	s_add_i32 s22, s14, 0xffffff78
	v_mov_b32_e32 v15, s21
	s_add_i32 s21, s8, 0xffffeb60
	ds_load_2addr_b64 v[15:18], v15 offset1:1
	ds_load_2addr_b64 v[19:22], v19 offset1:1
	s_addk_i32 s15, 0xff60
	s_waitcnt lgkmcnt(3)
	v_fma_f64 v[9:10], -v[113:114], v[9:10], v[27:28]
	v_fma_f64 v[27:28], -v[1:2], v[69:70], v[29:30]
	;; [unrolled: 1-line block ×4, first 2 shown]
	s_waitcnt lgkmcnt(2)
	v_fma_f64 v[13:14], -v[161:162], v[13:14], v[23:24]
	v_fma_f64 v[39:40], -v[97:98], v[57:58], v[25:26]
	;; [unrolled: 1-line block ×3, first 2 shown]
	v_mov_b32_e32 v23, s21
	s_add_i32 s21, s8, 0xffffea58
	v_fma_f64 v[33:34], -v[79:80], v[49:50], v[33:34]
	v_fma_f64 v[35:36], -v[111:112], v[73:74], v[35:36]
	ds_load_2addr_b64 v[23:26], v23 offset1:1
	v_fma_f64 v[61:62], -v[1:2], v[7:8], v[9:10]
	v_mov_b32_e32 v7, s24
	v_fma_f64 v[65:66], -v[3:4], v[67:68], v[27:28]
	v_fma_f64 v[63:64], -v[5:6], v[63:64], v[29:30]
	;; [unrolled: 1-line block ×3, first 2 shown]
	v_mov_b32_e32 v27, s22
	s_add_i32 s22, s20, 0xffffff98
	v_fma_f64 v[67:68], -v[97:98], v[11:12], v[13:14]
	v_fma_f64 v[69:70], -v[147:148], v[55:56], v[39:40]
	;; [unrolled: 1-line block ×3, first 2 shown]
	v_mov_b32_e32 v31, s19
	v_mov_b32_e32 v11, s23
	ds_load_2addr_b64 v[7:10], v7 offset1:1
	ds_load_2addr_b64 v[11:14], v11 offset1:1
	;; [unrolled: 1-line block ×3, first 2 shown]
	v_mul_f64 v[75:76], v[47:48], v[33:34]
	v_fma_f64 v[71:72], -v[113:114], v[71:72], v[35:36]
	v_mov_b32_e32 v35, s22
	ds_load_2addr_b64 v[31:34], v31 offset1:1
	s_add_i32 s19, s14, 0xffffff68
	v_mov_b32_e32 v39, s21
	v_mov_b32_e32 v43, s19
	ds_load_2addr_b64 v[35:38], v35 offset1:1
	s_add_i32 s19, s20, 0xffffff88
	s_add_i32 s21, s13, 0xffffff70
	v_mov_b32_e32 v55, s19
	s_add_i32 s19, s12, 0xffffff80
	s_add_i32 s22, s27, 0xffffff78
	v_mov_b32_e32 v47, s21
	s_waitcnt lgkmcnt(6)
	v_fma_f64 v[21:22], -v[3:4], v[21:22], v[61:62]
	v_mov_b32_e32 v51, s22
	ds_load_2addr_b64 v[39:42], v39 offset1:1
	ds_load_2addr_b64 v[43:46], v43 offset1:1
	;; [unrolled: 1-line block ×5, first 2 shown]
	s_addk_i32 s14, 0xff58
	s_waitcnt lgkmcnt(9)
	v_fma_f64 v[9:10], -v[5:6], v[9:10], v[65:66]
	s_waitcnt lgkmcnt(8)
	v_fma_f64 v[13:14], -v[161:162], v[13:14], v[63:64]
	;; [unrolled: 2-line block ×3, first 2 shown]
	v_fma_f64 v[17:18], -v[147:148], v[17:18], v[67:68]
	s_waitcnt lgkmcnt(6)
	v_fma_f64 v[33:34], -v[79:80], v[33:34], v[69:70]
	v_fma_f64 v[25:26], -v[75:76], v[25:26], v[73:74]
	s_waitcnt lgkmcnt(5)
	v_fma_f64 v[37:38], -v[1:2], v[37:38], v[71:72]
	v_fma_f64 v[59:60], -v[5:6], v[19:20], v[21:22]
	;; [unrolled: 1-line block ×5, first 2 shown]
	v_mov_b32_e32 v7, s19
	v_mov_b32_e32 v11, s15
	ds_load_2addr_b64 v[7:10], v7 offset1:1
	ds_load_2addr_b64 v[11:14], v11 offset1:1
	v_fma_f64 v[29:30], -v[79:80], v[15:16], v[17:18]
	v_fma_f64 v[31:32], -v[75:76], v[31:32], v[33:34]
	s_add_i32 s19, s12, 0xffffff70
	s_add_i32 s15, s8, 0xffffe950
	v_mov_b32_e32 v19, s19
	s_add_i32 s19, s27, 0xffffff68
	v_mov_b32_e32 v15, s15
	v_mul_f64 v[65:66], v[23:24], v[25:26]
	v_fma_f64 v[23:24], -v[3:4], v[35:36], v[37:38]
	s_add_i32 s15, s13, 0xffffff60
	ds_load_2addr_b64 v[15:18], v15 offset1:1
	ds_load_2addr_b64 v[19:22], v19 offset1:1
	s_addk_i32 s13, 0xff50
	s_delay_alu instid0(SALU_CYCLE_1)
	v_mov_b32_e32 v35, s13
	s_add_i32 s13, s20, 0xffffff68
	s_waitcnt lgkmcnt(3)
	v_fma_f64 v[9:10], -v[161:162], v[9:10], v[59:60]
	v_fma_f64 v[25:26], -v[97:98], v[53:54], v[61:62]
	;; [unrolled: 1-line block ×4, first 2 shown]
	s_waitcnt lgkmcnt(2)
	v_fma_f64 v[13:14], -v[75:76], v[13:14], v[29:30]
	v_fma_f64 v[29:30], -v[65:66], v[41:42], v[31:32]
	;; [unrolled: 1-line block ×4, first 2 shown]
	v_mov_b32_e32 v7, s19
	v_fma_f64 v[51:52], -v[147:148], v[51:52], v[25:26]
	v_fma_f64 v[47:48], -v[79:80], v[47:48], v[33:34]
	;; [unrolled: 1-line block ×3, first 2 shown]
	v_mov_b32_e32 v43, s13
	s_add_i32 s13, s12, 0xffffff60
	v_fma_f64 v[57:58], -v[65:66], v[11:12], v[13:14]
	v_mov_b32_e32 v11, s15
	v_mul_f64 v[59:60], v[39:40], v[29:30]
	v_fma_f64 v[55:56], -v[161:162], v[55:56], v[23:24]
	v_mov_b32_e32 v23, s14
	s_add_i32 s14, s20, 0xffffff78
	s_delay_alu instid0(SALU_CYCLE_1)
	v_mov_b32_e32 v27, s14
	ds_load_2addr_b64 v[7:10], v7 offset1:1
	ds_load_2addr_b64 v[11:14], v11 offset1:1
	;; [unrolled: 1-line block ×4, first 2 shown]
	s_add_i32 s14, s8, 0xffffe848
	s_delay_alu instid0(SALU_CYCLE_1) | instskip(SKIP_1) | instid1(SALU_CYCLE_1)
	v_mov_b32_e32 v31, s14
	s_add_i32 s14, s27, 0xffffff58
	v_mov_b32_e32 v39, s14
	s_waitcnt lgkmcnt(4)
	v_fma_f64 v[21:22], -v[147:148], v[21:22], v[49:50]
	ds_load_2addr_b64 v[31:34], v31 offset1:1
	ds_load_2addr_b64 v[35:38], v35 offset1:1
	;; [unrolled: 1-line block ×4, first 2 shown]
	s_add_i32 s14, s8, 0xffffe740
	s_waitcnt lgkmcnt(7)
	v_fma_f64 v[9:10], -v[79:80], v[9:10], v[51:52]
	s_waitcnt lgkmcnt(6)
	v_fma_f64 v[13:14], -v[75:76], v[13:14], v[47:48]
	;; [unrolled: 2-line block ×3, first 2 shown]
	v_fma_f64 v[17:18], -v[59:60], v[17:18], v[57:58]
	s_waitcnt lgkmcnt(4)
	v_fma_f64 v[29:30], -v[97:98], v[29:30], v[55:56]
	v_fma_f64 v[19:20], -v[79:80], v[19:20], v[21:22]
	;; [unrolled: 1-line block ×5, first 2 shown]
	v_mov_b32_e32 v7, s13
	s_add_i32 s13, s12, 0xffffff50
	s_addk_i32 s12, 0xff40
	v_mov_b32_e32 v11, s13
	s_add_i32 s13, s27, 0xffffff48
	ds_load_2addr_b64 v[7:10], v7 offset1:1
	ds_load_2addr_b64 v[11:14], v11 offset1:1
	v_mul_f64 v[49:50], v[15:16], v[17:18]
	v_fma_f64 v[15:16], -v[147:148], v[27:28], v[29:30]
	s_waitcnt lgkmcnt(1)
	v_fma_f64 v[9:10], -v[75:76], v[9:10], v[19:20]
	v_fma_f64 v[17:18], -v[65:66], v[41:42], v[21:22]
	;; [unrolled: 1-line block ×6, first 2 shown]
	v_mov_b32_e32 v7, s13
	s_add_i32 s13, s20, 0xffffff58
	v_fma_f64 v[37:38], -v[59:60], v[39:40], v[17:18]
	v_fma_f64 v[35:36], -v[49:50], v[35:36], v[19:20]
	v_mov_b32_e32 v19, s13
	s_add_i32 s13, s8, 0xffffe638
	s_delay_alu instid0(SALU_CYCLE_1)
	v_mov_b32_e32 v23, s13
	v_mul_f64 v[31:32], v[31:32], v[21:22]
	v_fma_f64 v[39:40], -v[75:76], v[43:44], v[15:16]
	v_mov_b32_e32 v15, s14
	ds_load_2addr_b64 v[7:10], v7 offset1:1
	ds_load_2addr_b64 v[15:18], v15 offset1:1
	;; [unrolled: 1-line block ×3, first 2 shown]
	s_add_i32 s14, s20, 0xffffff48
	s_delay_alu instid0(SALU_CYCLE_1)
	v_mov_b32_e32 v27, s14
	ds_load_2addr_b64 v[23:26], v23 offset1:1
	ds_load_2addr_b64 v[27:30], v27 offset1:1
	s_waitcnt lgkmcnt(5)
	v_fma_f64 v[13:14], -v[59:60], v[13:14], v[33:34]
	ds_store_b64 v142, v[83:84]
	s_waitcnt lgkmcnt(5)
	v_fma_f64 v[9:10], -v[49:50], v[9:10], v[37:38]
	s_waitcnt lgkmcnt(4)
	v_fma_f64 v[17:18], -v[31:32], v[17:18], v[35:36]
	;; [unrolled: 2-line block ×3, first 2 shown]
	v_fma_f64 v[33:34], -v[49:50], v[11:12], v[13:14]
	s_delay_alu instid0(VALU_DEP_4)
	v_fma_f64 v[35:36], -v[31:32], v[7:8], v[9:10]
	v_mov_b32_e32 v7, s12
	s_add_i32 s12, s8, 0xffffe530
	s_addk_i32 s8, 0xe428
	v_mov_b32_e32 v11, s12
	s_add_i32 s12, s20, 0xffffff38
	ds_load_2addr_b64 v[7:10], v7 offset1:1
	ds_load_2addr_b64 v[11:14], v11 offset1:1
	v_mul_f64 v[37:38], v[15:16], v[17:18]
	v_fma_f64 v[15:16], -v[59:60], v[19:20], v[21:22]
	s_waitcnt lgkmcnt(1)
	v_fma_f64 v[9:10], -v[31:32], v[9:10], v[33:34]
	s_delay_alu instid0(VALU_DEP_3) | instskip(NEXT) | instid1(VALU_DEP_3)
	v_fma_f64 v[17:18], -v[37:38], v[25:26], v[35:36]
	v_fma_f64 v[15:16], -v[49:50], v[29:30], v[15:16]
	s_delay_alu instid0(VALU_DEP_3)
	v_fma_f64 v[19:20], -v[37:38], v[7:8], v[9:10]
	v_mov_b32_e32 v7, s12
	ds_load_2addr_b64 v[7:10], v7 offset1:1
	v_mul_f64 v[21:22], v[23:24], v[17:18]
	v_fma_f64 v[23:24], -v[31:32], v[27:28], v[15:16]
	v_mov_b32_e32 v15, s8
	s_lshl_b32 s8, s4, 8
	s_sub_i32 s4, s4, 28
	s_addk_i32 s8, 0xff00
	ds_load_2addr_b64 v[15:18], v15 offset1:1
	ds_store_b64 v117, v[85:86] offset:8192
	ds_store_b64 v118, v[87:88] offset:8192
	;; [unrolled: 1-line block ×16, first 2 shown]
	v_or_b32_e32 v1, s9, v0
	ds_store_b64 v131, v[79:80] offset:8192
	ds_store_b64 v134, v[75:76] offset:8192
	;; [unrolled: 1-line block ×4, first 2 shown]
	v_lshlrev_b32_e32 v1, 3, v1
	s_waitcnt lgkmcnt(22)
	v_fma_f64 v[13:14], -v[21:22], v[13:14], v[19:20]
	s_waitcnt lgkmcnt(21)
	v_fma_f64 v[9:10], -v[37:38], v[9:10], v[23:24]
	s_delay_alu instid0(VALU_DEP_2) | instskip(NEXT) | instid1(VALU_DEP_2)
	v_mul_f64 v[11:12], v[11:12], v[13:14]
	v_fma_f64 v[7:8], -v[21:22], v[7:8], v[9:10]
	v_lshl_or_b32 v9, v0, 3, s8
	ds_store_b64 v137, v[49:50] offset:8192
	ds_store_b64 v138, v[31:32] offset:8192
	;; [unrolled: 1-line block ×5, first 2 shown]
	s_waitcnt lgkmcnt(25)
	v_fma_f64 v[7:8], -v[11:12], v[17:18], v[7:8]
	s_delay_alu instid0(VALU_DEP_1)
	v_mul_f64 v[7:8], v[15:16], v[7:8]
	ds_store_b64 v9, v[81:82] offset:8192
	ds_store_b64 v1, v[7:8] offset:8192
.LBB104_26:
	s_cmp_lt_i32 s4, 0
	s_cbranch_scc1 .LBB104_39
; %bb.27:
	s_bitcmp1_b32 s4, 0
	s_cselect_b32 s8, -1, 0
	s_delay_alu instid0(SALU_CYCLE_1)
	s_and_b32 vcc_lo, exec_lo, s8
	s_mov_b32 s8, s4
	s_cbranch_vccnz .LBB104_32
; %bb.28:
	v_lshlrev_b32_e32 v4, 3, v0
	s_cmp_le_i32 s29, s4
	s_delay_alu instid0(VALU_DEP_1)
	v_lshl_or_b32 v3, s4, 8, v4
	ds_load_b64 v[1:2], v3 offset:8192
	s_cbranch_scc1 .LBB104_31
; %bb.29:
	v_lshl_or_b32 v4, s28, 8, v4
	s_lshl_b32 s8, s4, 8
	s_lshl_b32 s9, s28, 3
	s_delay_alu instid0(SALU_CYCLE_1) | instskip(NEXT) | instid1(VALU_DEP_1)
	s_add_i32 s8, s8, s9
	v_add_nc_u32_e32 v4, 0x1f00, v4
	s_add_i32 s8, s8, -8
	s_mov_b32 s9, s29
.LBB104_30:                             ; =>This Inner Loop Header: Depth=1
	v_mov_b32_e32 v7, s8
	s_add_i32 s9, s9, -1
	s_add_i32 s8, s8, -8
	s_cmp_gt_i32 s9, s4
	ds_load_b64 v[5:6], v4
	ds_load_b64 v[7:8], v7
	v_add_nc_u32_e32 v4, 0xffffff00, v4
	s_waitcnt lgkmcnt(0)
	v_fma_f64 v[1:2], -v[5:6], v[7:8], v[1:2]
	s_cbranch_scc1 .LBB104_30
.LBB104_31:
	s_mul_i32 s8, s4, 0x108
	s_delay_alu instid0(SALU_CYCLE_1)
	v_dual_mov_b32 v4, s8 :: v_dual_add_nc_u32 v3, 0x2000, v3
	s_add_i32 s8, s4, -1
	ds_load_b64 v[4:5], v4
	s_waitcnt lgkmcnt(0)
	v_mul_f64 v[1:2], v[4:5], v[1:2]
	ds_store_b64 v3, v[1:2]
.LBB104_32:
	s_cmp_eq_u32 s4, 0
	s_cbranch_scc1 .LBB104_39
; %bb.33:
	v_lshlrev_b32_e32 v5, 3, v0
	s_lshl_b32 s4, s8, 8
	s_lshl_b32 s9, s28, 3
	s_delay_alu instid0(SALU_CYCLE_1) | instskip(NEXT) | instid1(VALU_DEP_1)
	s_add_i32 s9, s4, s9
	v_lshl_or_b32 v1, s28, 8, v5
	s_add_i32 s4, s9, -8
	s_addk_i32 s9, 0xfef8
	s_delay_alu instid0(VALU_DEP_1)
	v_add_nc_u32_e32 v6, 0x1f00, v1
	s_branch .LBB104_35
.LBB104_34:                             ;   in Loop: Header=BB104_35 Depth=1
	s_addk_i32 s12, 0xfef8
	s_delay_alu instid0(SALU_CYCLE_1)
	v_dual_mov_b32 v2, s12 :: v_dual_add_nc_u32 v1, 0x2000, v7
	s_add_i32 s12, s8, -2
	s_addk_i32 s4, 0xfe00
	s_addk_i32 s9, 0xfe00
	s_cmp_lt_i32 s8, 2
	ds_load_b64 v[7:8], v2
	s_mov_b32 s8, s12
	s_waitcnt lgkmcnt(0)
	v_mul_f64 v[2:3], v[7:8], v[3:4]
	ds_store_b64 v1, v[2:3]
	s_cbranch_scc1 .LBB104_39
.LBB104_35:                             ; =>This Loop Header: Depth=1
                                        ;     Child Loop BB104_36 Depth 2
                                        ;     Child Loop BB104_38 Depth 2
	v_lshl_or_b32 v3, s8, 8, v5
	s_delay_alu instid0(VALU_DEP_2)
	v_mov_b32_e32 v4, v6
	s_cmp_le_i32 s29, s8
	s_mov_b32 s12, s4
	s_mov_b32 s13, s29
	ds_load_b64 v[1:2], v3 offset:8192
	s_cbranch_scc1 .LBB104_37
.LBB104_36:                             ;   Parent Loop BB104_35 Depth=1
                                        ; =>  This Inner Loop Header: Depth=2
	v_mov_b32_e32 v9, s12
	s_add_i32 s13, s13, -1
	s_add_i32 s12, s12, -8
	s_cmp_gt_i32 s13, s8
	ds_load_b64 v[7:8], v4
	ds_load_b64 v[9:10], v9
	v_add_nc_u32_e32 v4, 0xffffff00, v4
	s_waitcnt lgkmcnt(0)
	v_fma_f64 v[1:2], -v[7:8], v[9:10], v[1:2]
	s_cbranch_scc1 .LBB104_36
.LBB104_37:                             ;   in Loop: Header=BB104_35 Depth=1
	s_mul_i32 s12, s8, 0x108
	s_delay_alu instid0(SALU_CYCLE_1)
	v_dual_mov_b32 v3, s12 :: v_dual_add_nc_u32 v8, 0x2000, v3
	s_lshl_b32 s13, s8, 8
	s_mov_b32 s14, s28
	s_addk_i32 s13, 0xff00
	s_cmp_lt_i32 s29, s8
	ds_load_b64 v[9:10], v3
	v_lshl_or_b32 v7, v0, 3, s13
	s_mov_b32 s13, s9
	ds_load_b64 v[3:4], v7 offset:8192
	s_waitcnt lgkmcnt(1)
	v_mul_f64 v[9:10], v[9:10], v[1:2]
	v_mov_b32_e32 v1, v6
	ds_store_b64 v8, v[9:10]
	s_cbranch_scc1 .LBB104_34
.LBB104_38:                             ;   Parent Loop BB104_35 Depth=1
                                        ; =>  This Inner Loop Header: Depth=2
	v_mov_b32_e32 v2, s13
	s_add_i32 s14, s14, -1
	s_add_i32 s13, s13, -8
	s_cmp_gt_i32 s14, s8
	ds_load_b64 v[8:9], v1
	ds_load_b64 v[10:11], v2
	v_add_nc_u32_e32 v1, 0xffffff00, v1
	s_waitcnt lgkmcnt(0)
	v_fma_f64 v[3:4], -v[8:9], v[10:11], v[3:4]
	s_cbranch_scc1 .LBB104_38
	s_branch .LBB104_34
.LBB104_39:
	s_mov_b32 s4, 0
.LBB104_40:
	s_delay_alu instid0(SALU_CYCLE_1)
	s_and_b32 vcc_lo, exec_lo, s4
	s_cbranch_vccz .LBB104_60
; %bb.41:
	s_cmp_gt_i32 s6, 31
	s_mov_b32 s8, 0
	s_cselect_b32 s4, -1, 0
	s_delay_alu instid0(SALU_CYCLE_1)
	s_and_b32 vcc_lo, exec_lo, s4
	s_cbranch_vccz .LBB104_43
; %bb.42:
	v_dual_mov_b32 v44, 0 :: v_dual_lshlrev_b32 v37, 3, v0
	v_mov_b32_e32 v42, 0x948
	s_mov_b32 s8, 32
	s_delay_alu instid0(VALU_DEP_2)
	v_add_nc_u32_e32 v43, 0x2000, v37
	v_add_nc_u32_e32 v45, 0x2800, v37
	ds_load_2addr_b64 v[1:4], v43 offset1:32
	ds_load_b128 v[5:8], v44
	ds_load_b128 v[9:12], v44 offset:16
	s_waitcnt lgkmcnt(1)
	v_mul_f64 v[25:26], v[5:6], v[1:2]
	s_delay_alu instid0(VALU_DEP_1)
	v_fma_f64 v[17:18], -v[25:26], v[7:8], v[3:4]
	ds_load_2addr_b64 v[5:8], v43 offset0:64 offset1:96
	ds_load_2addr_b64 v[13:16], v44 offset0:33 offset1:34
	;; [unrolled: 1-line block ×3, first 2 shown]
	s_waitcnt lgkmcnt(2)
	v_fma_f64 v[5:6], -v[25:26], v[9:10], v[5:6]
	v_fma_f64 v[31:32], -v[25:26], v[11:12], v[7:8]
	s_waitcnt lgkmcnt(1)
	v_mul_f64 v[27:28], v[13:14], v[17:18]
	s_delay_alu instid0(VALU_DEP_1)
	v_fma_f64 v[29:30], -v[27:28], v[15:16], v[5:6]
	ds_load_2addr_b64 v[9:12], v43 offset0:128 offset1:160
	ds_load_b128 v[13:16], v44 offset:32
	ds_load_b128 v[5:8], v44 offset:528
	;; [unrolled: 1-line block ×3, first 2 shown]
	ds_load_2addr_b64 v[21:24], v44 offset0:61 offset1:62
	s_waitcnt lgkmcnt(5)
	v_fma_f64 v[1:2], -v[27:28], v[1:2], v[31:32]
	s_waitcnt lgkmcnt(3)
	v_fma_f64 v[13:14], -v[25:26], v[13:14], v[9:10]
	v_fma_f64 v[15:16], -v[25:26], v[15:16], v[11:12]
	s_waitcnt lgkmcnt(2)
	v_mul_f64 v[9:10], v[5:6], v[29:30]
	s_delay_alu instid0(VALU_DEP_3) | instskip(NEXT) | instid1(VALU_DEP_2)
	v_fma_f64 v[50:51], -v[27:28], v[3:4], v[13:14]
	v_fma_f64 v[52:53], -v[9:10], v[7:8], v[1:2]
	ds_load_2addr_b64 v[1:4], v43 offset0:192 offset1:224
	ds_load_2addr_b64 v[5:8], v44 offset0:37 offset1:38
	ds_load_b128 v[11:14], v44 offset:544
	ds_load_2addr_b64 v[29:32], v44 offset0:99 offset1:100
	ds_load_2addr_b64 v[33:36], v44 offset0:101 offset1:102
	ds_load_b128 v[38:41], v44 offset:560
	ds_load_2addr_b64 v[46:49], v44 offset0:39 offset1:40
	s_waitcnt lgkmcnt(6)
	v_fma_f64 v[1:2], -v[25:26], v[17:18], v[1:2]
	s_waitcnt lgkmcnt(5)
	v_fma_f64 v[5:6], -v[27:28], v[5:6], v[15:16]
	;; [unrolled: 2-line block ×3, first 2 shown]
	v_fma_f64 v[50:51], -v[25:26], v[19:20], v[3:4]
	s_waitcnt lgkmcnt(3)
	v_mul_f64 v[11:12], v[29:30], v[52:53]
	v_fma_f64 v[52:53], -v[27:28], v[7:8], v[1:2]
	v_fma_f64 v[54:55], -v[9:10], v[13:14], v[5:6]
	s_delay_alu instid0(VALU_DEP_3)
	v_fma_f64 v[56:57], -v[11:12], v[31:32], v[15:16]
	ds_load_b128 v[1:4], v44 offset:64
	ds_load_2addr_b64 v[5:8], v45 offset1:32
	ds_load_b128 v[13:16], v44 offset:1056
	ds_load_b128 v[17:20], v44 offset:1072
	ds_load_b128 v[29:32], v44 offset:80
	s_waitcnt lgkmcnt(6)
	v_fma_f64 v[38:39], -v[9:10], v[38:39], v[52:53]
	v_fma_f64 v[33:34], -v[11:12], v[33:34], v[54:55]
	s_waitcnt lgkmcnt(3)
	v_fma_f64 v[1:2], -v[25:26], v[1:2], v[5:6]
	v_fma_f64 v[5:6], -v[27:28], v[46:47], v[50:51]
	v_fma_f64 v[66:67], -v[25:26], v[3:4], v[7:8]
	s_waitcnt lgkmcnt(2)
	v_mul_f64 v[13:14], v[13:14], v[56:57]
	v_fma_f64 v[72:73], -v[11:12], v[35:36], v[38:39]
	v_fma_f64 v[68:69], -v[27:28], v[48:49], v[1:2]
	;; [unrolled: 1-line block ×3, first 2 shown]
	s_delay_alu instid0(VALU_DEP_4)
	v_fma_f64 v[15:16], -v[13:14], v[15:16], v[33:34]
	ds_load_2addr_b64 v[1:4], v45 offset0:64 offset1:96
	ds_load_2addr_b64 v[5:8], v44 offset0:41 offset1:42
	ds_load_b128 v[33:36], v44 offset:576
	ds_load_2addr_b64 v[38:41], v44 offset0:103 offset1:104
	ds_load_2addr_b64 v[46:49], v44 offset0:165 offset1:166
	;; [unrolled: 1-line block ×4, first 2 shown]
	ds_load_b128 v[58:61], v44 offset:592
	ds_load_2addr_b64 v[62:65], v44 offset0:43 offset1:44
	s_waitcnt lgkmcnt(8)
	v_fma_f64 v[1:2], -v[25:26], v[29:30], v[1:2]
	s_waitcnt lgkmcnt(7)
	v_fma_f64 v[5:6], -v[27:28], v[5:6], v[66:67]
	v_fma_f64 v[17:18], -v[13:14], v[17:18], v[72:73]
	;; [unrolled: 1-line block ×3, first 2 shown]
	s_waitcnt lgkmcnt(6)
	v_fma_f64 v[29:30], -v[9:10], v[33:34], v[68:69]
	s_waitcnt lgkmcnt(5)
	v_fma_f64 v[33:34], -v[11:12], v[38:39], v[70:71]
	s_waitcnt lgkmcnt(4)
	v_mul_f64 v[15:16], v[46:47], v[15:16]
	v_fma_f64 v[68:69], -v[27:28], v[7:8], v[1:2]
	v_fma_f64 v[70:71], -v[9:10], v[35:36], v[5:6]
	s_waitcnt lgkmcnt(0)
	v_fma_f64 v[62:63], -v[27:28], v[62:63], v[66:67]
	v_fma_f64 v[72:73], -v[11:12], v[40:41], v[29:30]
	v_fma_f64 v[74:75], -v[13:14], v[19:20], v[33:34]
	v_fma_f64 v[76:77], -v[15:16], v[48:49], v[17:18]
	ds_load_b128 v[5:8], v44 offset:96
	ds_load_2addr_b64 v[17:20], v45 offset0:128 offset1:160
	ds_load_b128 v[29:32], v44 offset:1088
	ds_load_b128 v[33:36], v44 offset:1584
	;; [unrolled: 1-line block ×4, first 2 shown]
	ds_load_2addr_b64 v[1:4], v44 offset0:189 offset1:190
	v_fma_f64 v[58:59], -v[9:10], v[58:59], v[68:69]
	v_fma_f64 v[54:55], -v[11:12], v[54:55], v[70:71]
	s_waitcnt lgkmcnt(5)
	v_fma_f64 v[5:6], -v[25:26], v[5:6], v[17:18]
	v_fma_f64 v[19:20], -v[25:26], v[7:8], v[19:20]
	s_waitcnt lgkmcnt(4)
	v_fma_f64 v[29:30], -v[13:14], v[29:30], v[72:73]
	v_fma_f64 v[50:51], -v[15:16], v[50:51], v[74:75]
	;; [unrolled: 1-line block ×3, first 2 shown]
	s_waitcnt lgkmcnt(3)
	v_mul_f64 v[17:18], v[33:34], v[76:77]
	v_fma_f64 v[94:95], -v[11:12], v[56:57], v[58:59]
	v_fma_f64 v[96:97], -v[13:14], v[31:32], v[54:55]
	;; [unrolled: 1-line block ×5, first 2 shown]
	ds_load_2addr_b64 v[5:8], v45 offset0:192 offset1:224
	ds_load_2addr_b64 v[29:32], v44 offset0:45 offset1:46
	ds_load_b128 v[33:36], v44 offset:608
	ds_load_2addr_b64 v[50:53], v44 offset0:107 offset1:108
	ds_load_2addr_b64 v[54:57], v44 offset0:169 offset1:170
	ds_load_b128 v[58:61], v44 offset:1600
	;; [unrolled: 3-line block ×4, first 2 shown]
	ds_load_2addr_b64 v[86:89], v44 offset0:47 offset1:48
	s_waitcnt lgkmcnt(12)
	v_fma_f64 v[5:6], -v[25:26], v[46:47], v[5:6]
	s_waitcnt lgkmcnt(11)
	v_fma_f64 v[29:30], -v[27:28], v[29:30], v[19:20]
	;; [unrolled: 2-line block ×3, first 2 shown]
	v_fma_f64 v[38:39], -v[13:14], v[38:39], v[94:95]
	s_waitcnt lgkmcnt(8)
	v_fma_f64 v[50:51], -v[15:16], v[54:55], v[96:97]
	v_fma_f64 v[33:34], -v[9:10], v[33:34], v[90:91]
	s_waitcnt lgkmcnt(7)
	v_fma_f64 v[54:55], -v[17:18], v[58:59], v[98:99]
	s_waitcnt lgkmcnt(6)
	v_mul_f64 v[19:20], v[62:63], v[100:101]
	v_fma_f64 v[62:63], -v[25:26], v[48:49], v[7:8]
	v_fma_f64 v[90:91], -v[27:28], v[31:32], v[5:6]
	;; [unrolled: 1-line block ×6, first 2 shown]
	v_add_nc_u32_e32 v46, 0x3000, v37
	v_fma_f64 v[94:95], -v[11:12], v[52:53], v[33:34]
	v_fma_f64 v[64:65], -v[19:20], v[64:65], v[54:55]
	ds_load_b128 v[5:8], v44 offset:128
	ds_load_2addr_b64 v[29:32], v46 offset1:32
	ds_load_b128 v[33:36], v44 offset:1120
	ds_load_b128 v[38:41], v44 offset:2112
	;; [unrolled: 1-line block ×5, first 2 shown]
	s_waitcnt lgkmcnt(7)
	v_fma_f64 v[61:62], -v[27:28], v[86:87], v[62:63]
	v_fma_f64 v[82:83], -v[9:10], v[82:83], v[90:91]
	;; [unrolled: 1-line block ×6, first 2 shown]
	s_waitcnt lgkmcnt(5)
	v_fma_f64 v[5:6], -v[25:26], v[5:6], v[29:30]
	s_waitcnt lgkmcnt(4)
	v_fma_f64 v[33:34], -v[13:14], v[33:34], v[94:95]
	v_fma_f64 v[107:108], -v[25:26], v[7:8], v[31:32]
	s_waitcnt lgkmcnt(3)
	v_mul_f64 v[29:30], v[38:39], v[64:65]
	v_fma_f64 v[111:112], -v[9:10], v[84:85], v[61:62]
	v_fma_f64 v[113:114], -v[11:12], v[80:81], v[82:83]
	v_fma_f64 v[35:36], -v[13:14], v[35:36], v[78:79]
	v_mov_b32_e32 v79, 0x958
	v_fma_f64 v[117:118], -v[17:18], v[72:73], v[74:75]
	v_fma_f64 v[119:120], -v[19:20], v[68:69], v[70:71]
	;; [unrolled: 1-line block ×5, first 2 shown]
	ds_load_2addr_b64 v[5:8], v46 offset0:64 offset1:96
	ds_load_2addr_b64 v[31:34], v44 offset0:49 offset1:50
	ds_load_b128 v[38:41], v44 offset:640
	ds_load_2addr_b64 v[59:62], v44 offset0:111 offset1:112
	ds_load_2addr_b64 v[63:66], v44 offset0:173 offset1:174
	ds_load_b128 v[67:70], v44 offset:1632
	ds_load_2addr_b64 v[71:74], v44 offset0:235 offset1:236
	ds_load_2addr_b64 v[75:78], v42 offset1:1
	ds_load_2addr_b64 v[79:82], v79 offset1:1
	ds_load_2addr_b64 v[83:86], v44 offset0:237 offset1:238
	ds_load_b128 v[87:90], v44 offset:1648
	ds_load_2addr_b64 v[91:94], v44 offset0:175 offset1:176
	ds_load_2addr_b64 v[95:98], v44 offset0:113 offset1:114
	ds_load_b128 v[99:102], v44 offset:656
	ds_load_2addr_b64 v[103:106], v44 offset0:51 offset1:52
	v_mov_b32_e32 v42, 0xb58
	s_waitcnt lgkmcnt(16)
	v_fma_f64 v[51:52], -v[13:14], v[51:52], v[113:114]
	v_fma_f64 v[47:48], -v[29:30], v[47:48], v[119:120]
	s_waitcnt lgkmcnt(14)
	v_fma_f64 v[5:6], -v[25:26], v[55:56], v[5:6]
	s_waitcnt lgkmcnt(13)
	;; [unrolled: 2-line block ×7, first 2 shown]
	v_fma_f64 v[67:68], -v[19:20], v[71:72], v[117:118]
	v_fma_f64 v[71:72], -v[25:26], v[57:58], v[7:8]
	s_waitcnt lgkmcnt(7)
	v_mul_f64 v[31:32], v[75:76], v[121:122]
	v_fma_f64 v[113:114], -v[15:16], v[65:66], v[51:52]
	v_fma_f64 v[75:76], -v[27:28], v[33:34], v[5:6]
	;; [unrolled: 1-line block ×8, first 2 shown]
	s_waitcnt lgkmcnt(0)
	v_fma_f64 v[71:72], -v[27:28], v[103:104], v[71:72]
	v_fma_f64 v[77:78], -v[31:32], v[77:78], v[47:48]
	ds_load_b128 v[5:8], v44 offset:160
	ds_load_2addr_b64 v[33:36], v46 offset0:128 offset1:160
	ds_load_b128 v[38:41], v44 offset:1152
	ds_load_b128 v[47:50], v44 offset:2144
	;; [unrolled: 1-line block ×7, first 2 shown]
	v_fma_f64 v[87:88], -v[17:18], v[87:88], v[113:114]
	s_waitcnt lgkmcnt(7)
	v_fma_f64 v[5:6], -v[25:26], v[5:6], v[33:34]
	v_fma_f64 v[35:36], -v[25:26], v[7:8], v[35:36]
	;; [unrolled: 1-line block ×4, first 2 shown]
	s_waitcnt lgkmcnt(6)
	v_fma_f64 v[38:39], -v[13:14], v[38:39], v[109:110]
	v_fma_f64 v[91:92], -v[15:16], v[91:92], v[111:112]
	;; [unrolled: 1-line block ×3, first 2 shown]
	s_waitcnt lgkmcnt(5)
	v_fma_f64 v[47:48], -v[29:30], v[47:48], v[73:74]
	v_fma_f64 v[73:74], -v[31:32], v[79:80], v[117:118]
	;; [unrolled: 1-line block ×3, first 2 shown]
	s_waitcnt lgkmcnt(4)
	v_mul_f64 v[33:34], v[51:52], v[77:78]
	v_fma_f64 v[127:128], -v[19:20], v[85:86], v[87:88]
	v_fma_f64 v[115:116], -v[27:28], v[105:106], v[5:6]
	;; [unrolled: 1-line block ×8, first 2 shown]
	v_mov_b32_e32 v83, 0x968
	v_fma_f64 v[133:134], -v[33:34], v[53:54], v[73:74]
	ds_load_2addr_b64 v[5:8], v46 offset0:192 offset1:224
	ds_load_2addr_b64 v[38:41], v44 offset0:53 offset1:54
	ds_load_b128 v[47:50], v44 offset:672
	ds_load_2addr_b64 v[51:54], v44 offset0:115 offset1:116
	ds_load_2addr_b64 v[71:74], v44 offset0:177 offset1:178
	ds_load_b128 v[75:78], v44 offset:1664
	ds_load_2addr_b64 v[79:82], v44 offset0:239 offset1:240
	ds_load_2addr_b64 v[83:86], v83 offset1:1
	ds_load_2addr_b64 v[87:90], v42 offset1:1
	ds_load_2addr_b64 v[91:94], v44 offset0:241 offset1:242
	ds_load_b128 v[95:98], v44 offset:1680
	ds_load_2addr_b64 v[99:102], v44 offset0:179 offset1:180
	ds_load_2addr_b64 v[103:106], v44 offset0:117 offset1:118
	ds_load_b128 v[107:110], v44 offset:688
	ds_load_2addr_b64 v[111:114], v44 offset0:55 offset1:56
	s_waitcnt lgkmcnt(17)
	v_fma_f64 v[59:60], -v[29:30], v[59:60], v[127:128]
	s_waitcnt lgkmcnt(14)
	v_fma_f64 v[5:6], -v[25:26], v[67:68], v[5:6]
	;; [unrolled: 2-line block ×5, first 2 shown]
	v_fma_f64 v[63:64], -v[13:14], v[63:64], v[119:120]
	s_waitcnt lgkmcnt(10)
	v_fma_f64 v[67:68], -v[15:16], v[71:72], v[121:122]
	s_waitcnt lgkmcnt(9)
	;; [unrolled: 2-line block ×4, first 2 shown]
	v_fma_f64 v[79:80], -v[31:32], v[83:84], v[129:130]
	v_fma_f64 v[55:56], -v[33:34], v[55:56], v[131:132]
	;; [unrolled: 1-line block ×3, first 2 shown]
	v_mov_b32_e32 v7, 0xd68
	v_mov_b32_e32 v8, 0xb78
	s_waitcnt lgkmcnt(6)
	v_mul_f64 v[35:36], v[87:88], v[133:134]
	v_fma_f64 v[143:144], -v[31:32], v[85:86], v[59:60]
	v_fma_f64 v[41:42], -v[27:28], v[40:41], v[5:6]
	;; [unrolled: 1-line block ×10, first 2 shown]
	v_add_nc_u32_e32 v47, 0x3800, v37
	ds_load_b128 v[37:40], v44 offset:192
	ds_load_2addr_b64 v[48:51], v47 offset1:32
	v_mov_b32_e32 v5, 0x978
	v_mov_b32_e32 v6, 0xb68
	s_waitcnt lgkmcnt(2)
	v_fma_f64 v[111:112], -v[27:28], v[111:112], v[127:128]
	v_fma_f64 v[88:89], -v[35:36], v[89:90], v[55:56]
	ds_load_b128 v[52:55], v44 offset:1184
	ds_load_b128 v[56:59], v44 offset:2176
	ds_load_2addr_b64 v[60:63], v5 offset1:1
	ds_load_b128 v[64:67], v44 offset:2672
	ds_load_2addr_b64 v[68:71], v6 offset1:1
	;; [unrolled: 2-line block ×3, first 2 shown]
	ds_load_2addr_b64 v[80:83], v8 offset1:1
	ds_load_b128 v[84:87], v44 offset:2688
	ds_load_b128 v[115:118], v44 offset:2192
	;; [unrolled: 1-line block ×5, first 2 shown]
	s_waitcnt lgkmcnt(13)
	v_fma_f64 v[48:49], -v[25:26], v[37:38], v[48:49]
	s_waitcnt lgkmcnt(9)
	v_fma_f64 v[64:65], -v[33:34], v[64:65], v[143:144]
	v_fma_f64 v[41:42], -v[9:10], v[107:108], v[41:42]
	;; [unrolled: 1-line block ×9, first 2 shown]
	s_waitcnt lgkmcnt(8)
	v_fma_f64 v[68:69], -v[35:36], v[68:69], v[145:146]
	v_fma_f64 v[139:140], -v[25:26], v[39:40], v[50:51]
	;; [unrolled: 1-line block ×3, first 2 shown]
	s_waitcnt lgkmcnt(7)
	v_mul_f64 v[37:38], v[72:73], v[88:89]
	v_mov_b32_e32 v72, 0x988
	v_fma_f64 v[113:114], -v[27:28], v[113:114], v[48:49]
	v_fma_f64 v[159:160], -v[35:36], v[70:71], v[64:65]
	;; [unrolled: 1-line block ×10, first 2 shown]
	ds_load_2addr_b64 v[39:42], v47 offset0:64 offset1:96
	ds_load_2addr_b64 v[48:51], v44 offset0:57 offset1:58
	ds_load_b128 v[52:55], v44 offset:704
	ds_load_2addr_b64 v[56:59], v44 offset0:119 offset1:120
	v_mov_b32_e32 v96, 0xb88
	v_fma_f64 v[161:162], -v[37:38], v[74:75], v[68:69]
	ds_load_2addr_b64 v[60:63], v44 offset0:181 offset1:182
	ds_load_b128 v[64:67], v44 offset:1696
	ds_load_2addr_b64 v[68:71], v44 offset0:243 offset1:244
	ds_load_2addr_b64 v[72:75], v72 offset1:1
	ds_load_b128 v[88:91], v44 offset:3184
	ds_load_b128 v[92:95], v44 offset:3200
	ds_load_2addr_b64 v[96:99], v96 offset1:1
	ds_load_2addr_b64 v[100:103], v44 offset0:245 offset1:246
	ds_load_b128 v[104:107], v44 offset:1712
	ds_load_2addr_b64 v[108:111], v44 offset0:183 offset1:184
	ds_load_2addr_b64 v[127:130], v44 offset0:121 offset1:122
	ds_load_b128 v[131:134], v44 offset:720
	ds_load_2addr_b64 v[135:138], v44 offset0:59 offset1:60
	s_waitcnt lgkmcnt(16)
	v_fma_f64 v[123:124], -v[25:26], v[123:124], v[39:40]
	s_waitcnt lgkmcnt(15)
	v_fma_f64 v[48:49], -v[27:28], v[48:49], v[139:140]
	v_fma_f64 v[41:42], -v[25:26], v[125:126], v[41:42]
	s_waitcnt lgkmcnt(13)
	v_fma_f64 v[56:57], -v[11:12], v[56:57], v[141:142]
	;; [unrolled: 3-line block ×3, first 2 shown]
	v_fma_f64 v[112:113], -v[13:14], v[119:120], v[143:144]
	v_fma_f64 v[60:61], -v[15:16], v[60:61], v[145:146]
	;; [unrolled: 1-line block ×8, first 2 shown]
	v_mul_f64 v[39:40], v[76:77], v[161:162]
	v_mov_b32_e32 v76, 0xd78
	v_fma_f64 v[124:125], -v[27:28], v[50:51], v[123:124]
	v_fma_f64 v[139:140], -v[9:10], v[54:55], v[48:49]
	;; [unrolled: 1-line block ×4, first 2 shown]
	ds_load_b128 v[48:51], v44 offset:224
	ds_load_2addr_b64 v[52:55], v47 offset0:128 offset1:160
	ds_load_b128 v[56:59], v44 offset:1216
	v_fma_f64 v[145:146], -v[15:16], v[62:63], v[112:113]
	v_fma_f64 v[147:148], -v[17:18], v[66:67], v[60:61]
	;; [unrolled: 1-line block ×8, first 2 shown]
	v_mov_b32_e32 v64, 0x998
	v_mov_b32_e32 v80, 0xf78
	s_waitcnt lgkmcnt(1)
	v_fma_f64 v[48:49], -v[25:26], v[48:49], v[52:53]
	v_fma_f64 v[52:53], -v[27:28], v[135:136], v[41:42]
	;; [unrolled: 1-line block ×3, first 2 shown]
	ds_load_b128 v[60:63], v44 offset:2208
	ds_load_2addr_b64 v[64:67], v64 offset1:1
	ds_load_b128 v[68:71], v44 offset:2704
	ds_load_b128 v[72:75], v44 offset:3696
	ds_load_2addr_b64 v[76:79], v76 offset1:1
	ds_load_2addr_b64 v[80:83], v80 offset1:1
	ds_load_b128 v[84:87], v44 offset:2720
	ds_load_b128 v[88:91], v44 offset:2224
	;; [unrolled: 1-line block ×5, first 2 shown]
	v_fma_f64 v[124:125], -v[9:10], v[131:132], v[124:125]
	v_fma_f64 v[126:127], -v[11:12], v[127:128], v[139:140]
	v_mov_b32_e32 v128, 0xb98
	v_fma_f64 v[108:109], -v[15:16], v[108:109], v[143:144]
	s_waitcnt lgkmcnt(11)
	v_fma_f64 v[56:57], -v[13:14], v[56:57], v[141:142]
	v_fma_f64 v[104:105], -v[17:18], v[104:105], v[145:146]
	v_fma_f64 v[100:101], -v[19:20], v[100:101], v[147:148]
	s_waitcnt lgkmcnt(10)
	v_fma_f64 v[60:61], -v[29:30], v[60:61], v[149:150]
	s_waitcnt lgkmcnt(9)
	v_fma_f64 v[64:65], -v[31:32], v[64:65], v[151:152]
	;; [unrolled: 2-line block ×3, first 2 shown]
	v_fma_f64 v[96:97], -v[35:36], v[96:97], v[155:156]
	v_fma_f64 v[92:93], -v[37:38], v[92:93], v[157:158]
	s_waitcnt lgkmcnt(6)
	v_fma_f64 v[76:77], -v[39:40], v[76:77], v[159:160]
	v_fma_f64 v[152:153], -v[25:26], v[50:51], v[54:55]
	;; [unrolled: 1-line block ×4, first 2 shown]
	v_mul_f64 v[41:42], v[72:73], v[161:162]
	v_mov_b32_e32 v72, 0xd88
	v_mov_b32_e32 v73, 0xf88
	v_fma_f64 v[158:159], -v[11:12], v[129:130], v[124:125]
	v_fma_f64 v[160:161], -v[13:14], v[58:59], v[126:127]
	v_mov_b32_e32 v124, 0xd98
	v_fma_f64 v[164:165], -v[17:18], v[106:107], v[108:109]
	v_fma_f64 v[162:163], -v[15:16], v[110:111], v[56:57]
	;; [unrolled: 1-line block ×9, first 2 shown]
	v_mov_b32_e32 v96, 0x9a8
	v_fma_f64 v[180:181], -v[41:42], v[74:75], v[76:77]
	ds_load_2addr_b64 v[48:51], v47 offset0:192 offset1:224
	ds_load_2addr_b64 v[52:55], v44 offset0:123 offset1:124
	ds_load_b128 v[56:59], v44 offset:736
	ds_load_2addr_b64 v[60:63], v72 offset1:1
	ds_load_2addr_b64 v[64:67], v73 offset1:1
	ds_load_2addr_b64 v[68:71], v44 offset0:185 offset1:186
	ds_load_b128 v[72:75], v44 offset:1728
	ds_load_2addr_b64 v[76:79], v44 offset0:247 offset1:248
	ds_load_b128 v[92:95], v44 offset:3216
	ds_load_2addr_b64 v[96:99], v96 offset1:1
	ds_load_2addr_b64 v[100:103], v128 offset1:1
	ds_load_b128 v[104:107], v44 offset:3712
	ds_load_b128 v[108:111], v44 offset:3728
	ds_load_2addr_b64 v[124:127], v124 offset1:1
	ds_load_b128 v[128:131], v44 offset:3232
	ds_load_2addr_b64 v[132:135], v44 offset0:249 offset1:250
	ds_load_b128 v[136:139], v44 offset:1744
	ds_load_2addr_b64 v[140:143], v44 offset0:187 offset1:188
	ds_load_2addr_b64 v[144:147], v44 offset0:125 offset1:126
	ds_load_b128 v[148:151], v44 offset:752
	s_waitcnt lgkmcnt(19)
	v_fma_f64 v[48:49], -v[25:26], v[116:117], v[48:49]
	v_fma_f64 v[116:117], -v[27:28], v[21:22], v[152:153]
	s_waitcnt lgkmcnt(17)
	v_fma_f64 v[56:57], -v[9:10], v[56:57], v[154:155]
	v_fma_f64 v[52:53], -v[11:12], v[52:53], v[156:157]
	v_fma_f64 v[112:113], -v[13:14], v[112:113], v[158:159]
	s_waitcnt lgkmcnt(14)
	v_fma_f64 v[68:69], -v[15:16], v[68:69], v[160:161]
	v_fma_f64 v[118:119], -v[25:26], v[118:119], v[50:51]
	s_waitcnt lgkmcnt(12)
	v_fma_f64 v[76:77], -v[19:20], v[76:77], v[164:165]
	v_fma_f64 v[72:73], -v[17:18], v[72:73], v[162:163]
	v_fma_f64 v[88:89], -v[29:30], v[88:89], v[166:167]
	;; [unrolled: 7-line block ×3, first 2 shown]
	s_waitcnt lgkmcnt(8)
	v_fma_f64 v[104:105], -v[41:42], v[104:105], v[178:179]
	v_mul_f64 v[21:22], v[80:81], v[180:181]
	v_mov_b32_e32 v80, 0xda8
	v_fma_f64 v[23:24], -v[27:28], v[23:24], v[48:49]
	v_fma_f64 v[116:117], -v[9:10], v[58:59], v[116:117]
	;; [unrolled: 1-line block ×6, first 2 shown]
	v_mov_b32_e32 v56, 0x9b8
	v_fma_f64 v[158:159], -v[29:30], v[90:91], v[76:77]
	v_mov_b32_e32 v68, 0xba8
	ds_load_b128 v[48:51], v44 offset:1248
	v_fma_f64 v[156:157], -v[19:20], v[78:79], v[72:73]
	v_fma_f64 v[160:161], -v[31:32], v[98:99], v[88:89]
	v_fma_f64 v[162:163], -v[33:34], v[86:87], v[96:97]
	v_mov_b32_e32 v88, 0xbb8
	v_fma_f64 v[164:165], -v[35:36], v[102:103], v[84:85]
	v_fma_f64 v[166:167], -v[37:38], v[94:95], v[100:101]
	;; [unrolled: 1-line block ×4, first 2 shown]
	ds_load_b128 v[52:55], v44 offset:2240
	ds_load_2addr_b64 v[56:59], v56 offset1:1
	ds_load_b128 v[60:63], v44 offset:2736
	ds_load_2addr_b64 v[68:71], v68 offset1:1
	v_fma_f64 v[104:105], -v[21:22], v[82:83], v[104:105]
	ds_load_b128 v[72:75], v44 offset:4224
	ds_load_b128 v[76:79], v44 offset:4240
	ds_load_2addr_b64 v[80:83], v80 offset1:1
	ds_load_2addr_b64 v[84:87], v44 offset0:63 offset1:127
	ds_load_2addr_b64 v[88:91], v88 offset1:1
	ds_load_b128 v[92:95], v44 offset:2752
	ds_load_b128 v[96:99], v44 offset:2256
	ds_load_b128 v[100:103], v44 offset:1264
	s_waitcnt lgkmcnt(13)
	v_fma_f64 v[23:24], -v[9:10], v[148:149], v[23:24]
	v_fma_f64 v[116:117], -v[11:12], v[144:145], v[116:117]
	s_waitcnt lgkmcnt(12)
	v_fma_f64 v[48:49], -v[13:14], v[48:49], v[152:153]
	v_fma_f64 v[114:115], -v[15:16], v[140:141], v[114:115]
	;; [unrolled: 1-line block ×4, first 2 shown]
	s_waitcnt lgkmcnt(10)
	v_fma_f64 v[56:57], -v[31:32], v[56:57], v[158:159]
	v_fma_f64 v[52:53], -v[29:30], v[52:53], v[156:157]
	s_waitcnt lgkmcnt(9)
	v_fma_f64 v[60:61], -v[33:34], v[60:61], v[160:161]
	s_waitcnt lgkmcnt(8)
	v_fma_f64 v[68:69], -v[35:36], v[68:69], v[162:163]
	v_fma_f64 v[128:129], -v[37:38], v[128:129], v[164:165]
	;; [unrolled: 1-line block ×5, first 2 shown]
	s_waitcnt lgkmcnt(7)
	v_mul_f64 v[136:137], v[72:73], v[104:105]
	s_waitcnt lgkmcnt(4)
	v_fma_f64 v[72:73], -v[27:28], v[84:85], v[118:119]
	v_fma_f64 v[23:24], -v[11:12], v[146:147], v[23:24]
	;; [unrolled: 1-line block ×7, first 2 shown]
	v_mov_b32_e32 v104, 0x1198
	v_fma_f64 v[144:145], -v[33:34], v[62:63], v[56:57]
	v_mov_b32_e32 v56, 0x9c8
	v_mov_b32_e32 v116, 0xbc8
	v_fma_f64 v[142:143], -v[31:32], v[58:59], v[52:53]
	ds_load_b128 v[48:51], v44 offset:1760
	ds_load_2addr_b64 v[52:55], v44 offset0:251 offset1:252
	ds_load_2addr_b64 v[56:59], v56 offset1:1
	v_fma_f64 v[146:147], -v[35:36], v[70:71], v[60:61]
	v_fma_f64 v[148:149], -v[37:38], v[130:131], v[68:69]
	v_mov_b32_e32 v68, 0xf98
	v_fma_f64 v[152:153], -v[39:40], v[126:127], v[128:129]
	v_fma_f64 v[154:155], -v[41:42], v[110:111], v[124:125]
	;; [unrolled: 1-line block ×3, first 2 shown]
	ds_load_b128 v[60:63], v44 offset:3248
	v_fma_f64 v[158:159], -v[136:137], v[74:75], v[64:65]
	v_fma_f64 v[150:151], -v[9:10], v[150:151], v[72:73]
	ds_load_b128 v[64:67], v44 offset:3744
	ds_load_2addr_b64 v[68:71], v68 offset1:1
	v_mov_b32_e32 v72, 0x1188
	s_waitcnt lgkmcnt(6)
	v_fma_f64 v[23:24], -v[13:14], v[100:101], v[23:24]
	ds_load_2addr_b64 v[72:75], v72 offset1:1
	ds_load_2addr_b64 v[104:107], v104 offset1:1
	ds_load_b128 v[108:111], v44 offset:3760
	ds_load_b128 v[112:115], v44 offset:3264
	ds_load_2addr_b64 v[116:119], v116 offset1:1
	ds_load_2addr_b64 v[124:127], v44 offset0:253 offset1:254
	ds_load_b128 v[128:131], v44 offset:1776
	v_fma_f64 v[1:2], -v[15:16], v[1:2], v[84:85]
	s_waitcnt lgkmcnt(12)
	v_fma_f64 v[48:49], -v[17:18], v[48:49], v[140:141]
	s_waitcnt lgkmcnt(11)
	v_fma_f64 v[52:53], -v[19:20], v[52:53], v[138:139]
	v_fma_f64 v[84:85], -v[29:30], v[96:97], v[134:135]
	s_waitcnt lgkmcnt(10)
	v_fma_f64 v[56:57], -v[31:32], v[56:57], v[132:133]
	v_fma_f64 v[92:93], -v[33:34], v[92:93], v[142:143]
	;; [unrolled: 1-line block ×3, first 2 shown]
	s_waitcnt lgkmcnt(9)
	v_fma_f64 v[60:61], -v[37:38], v[60:61], v[146:147]
	v_fma_f64 v[80:81], -v[39:40], v[80:81], v[148:149]
	s_waitcnt lgkmcnt(8)
	v_fma_f64 v[64:65], -v[41:42], v[64:65], v[152:153]
	s_waitcnt lgkmcnt(7)
	v_fma_f64 v[68:69], -v[21:22], v[68:69], v[154:155]
	v_fma_f64 v[76:77], -v[136:137], v[76:77], v[156:157]
	s_waitcnt lgkmcnt(6)
	v_mul_f64 v[132:133], v[72:73], v[158:159]
	v_fma_f64 v[72:73], -v[11:12], v[86:87], v[150:151]
	v_fma_f64 v[23:24], -v[15:16], v[3:4], v[23:24]
	;; [unrolled: 1-line block ×9, first 2 shown]
	v_mov_b32_e32 v48, 0x9d8
	v_mov_b32_e32 v56, 0xdb8
	v_fma_f64 v[148:149], -v[39:40], v[82:83], v[60:61]
	v_fma_f64 v[150:151], -v[41:42], v[66:67], v[80:81]
	v_mov_b32_e32 v60, 0xfa8
	v_fma_f64 v[152:153], -v[21:22], v[70:71], v[64:65]
	v_fma_f64 v[154:155], -v[136:137], v[78:79], v[68:69]
	ds_load_b128 v[1:4], v44 offset:2272
	ds_load_2addr_b64 v[48:51], v48 offset1:1
	ds_load_b128 v[52:55], v44 offset:2768
	ds_load_2addr_b64 v[56:59], v56 offset1:1
	ds_load_2addr_b64 v[60:63], v60 offset1:1
	ds_load_b128 v[64:67], v44 offset:4256
	v_mov_b32_e32 v80, 0x11a8
	v_mov_b32_e32 v88, 0xfb8
	v_fma_f64 v[156:157], -v[132:133], v[74:75], v[76:77]
	v_fma_f64 v[102:103], -v[13:14], v[102:103], v[72:73]
	ds_load_b128 v[68:71], v44 offset:4752
	ds_load_2addr_b64 v[72:75], v44 offset0:191 offset1:255
	ds_load_b128 v[76:79], v44 offset:4768
	ds_load_2addr_b64 v[80:83], v80 offset1:1
	ds_load_b128 v[84:87], v44 offset:4272
	ds_load_2addr_b64 v[88:91], v88 offset1:1
	ds_load_b128 v[92:95], v44 offset:2784
	ds_load_b128 v[96:99], v44 offset:2288
	s_waitcnt lgkmcnt(14)
	v_fma_f64 v[23:24], -v[17:18], v[128:129], v[23:24]
	v_fma_f64 v[100:101], -v[19:20], v[124:125], v[100:101]
	s_waitcnt lgkmcnt(13)
	v_fma_f64 v[1:2], -v[29:30], v[1:2], v[134:135]
	s_waitcnt lgkmcnt(12)
	;; [unrolled: 2-line block ×3, first 2 shown]
	v_fma_f64 v[52:53], -v[33:34], v[52:53], v[140:141]
	v_fma_f64 v[116:117], -v[35:36], v[116:117], v[142:143]
	;; [unrolled: 1-line block ×3, first 2 shown]
	s_waitcnt lgkmcnt(10)
	v_fma_f64 v[56:57], -v[39:40], v[56:57], v[146:147]
	v_fma_f64 v[108:109], -v[41:42], v[108:109], v[148:149]
	s_waitcnt lgkmcnt(9)
	v_fma_f64 v[60:61], -v[21:22], v[60:61], v[150:151]
	v_add_nc_u32_e64 v150, 0x1f8, 0
	s_waitcnt lgkmcnt(8)
	v_fma_f64 v[64:65], -v[136:137], v[64:65], v[152:153]
	v_fma_f64 v[104:105], -v[132:133], v[104:105], v[154:155]
	s_waitcnt lgkmcnt(7)
	v_mul_f64 v[124:125], v[68:69], v[156:157]
	s_waitcnt lgkmcnt(6)
	v_fma_f64 v[68:69], -v[15:16], v[72:73], v[102:103]
	v_fma_f64 v[23:24], -v[19:20], v[126:127], v[23:24]
	;; [unrolled: 1-line block ×9, first 2 shown]
	v_mov_b32_e32 v1, 0x9e8
	v_mov_b32_e32 v48, 0xbd8
	v_fma_f64 v[134:135], -v[21:22], v[62:63], v[108:109]
	v_fma_f64 v[138:139], -v[136:137], v[66:67], v[60:61]
	v_mov_b32_e32 v56, 0xdc8
	v_fma_f64 v[140:141], -v[132:133], v[106:107], v[64:65]
	v_mov_b32_e32 v64, 0x1398
	ds_load_2addr_b64 v[1:4], v1 offset1:1
	ds_load_2addr_b64 v[48:51], v48 offset1:1
	ds_load_b128 v[52:55], v44 offset:3280
	ds_load_2addr_b64 v[56:59], v56 offset1:1
	ds_load_b128 v[60:63], v44 offset:3776
	ds_load_2addr_b64 v[64:67], v64 offset1:1
	v_fma_f64 v[142:143], -v[124:125], v[70:71], v[104:105]
	v_fma_f64 v[130:131], -v[17:18], v[130:131], v[68:69]
	v_mov_b32_e32 v68, 0xfc8
	v_mov_b32_e32 v104, 0xdd8
	s_waitcnt lgkmcnt(6)
	v_fma_f64 v[23:24], -v[29:30], v[96:97], v[23:24]
	ds_load_2addr_b64 v[68:71], v68 offset1:1
	ds_load_b128 v[100:103], v44 offset:3792
	ds_load_2addr_b64 v[104:107], v104 offset1:1
	ds_load_b128 v[108:111], v44 offset:3296
	s_waitcnt lgkmcnt(9)
	v_fma_f64 v[1:2], -v[31:32], v[1:2], v[72:73]
	v_fma_f64 v[72:73], -v[33:34], v[92:93], v[126:127]
	s_waitcnt lgkmcnt(8)
	v_fma_f64 v[48:49], -v[35:36], v[48:49], v[128:129]
	s_waitcnt lgkmcnt(7)
	;; [unrolled: 2-line block ×4, first 2 shown]
	v_fma_f64 v[60:61], -v[41:42], v[60:61], v[112:113]
	v_fma_f64 v[88:89], -v[21:22], v[88:89], v[116:117]
	v_mov_b32_e32 v92, 0xde8
	v_fma_f64 v[84:85], -v[136:137], v[84:85], v[134:135]
	v_fma_f64 v[80:81], -v[132:133], v[80:81], v[138:139]
	;; [unrolled: 1-line block ×3, first 2 shown]
	s_waitcnt lgkmcnt(4)
	v_mul_f64 v[116:117], v[64:65], v[142:143]
	v_fma_f64 v[64:65], -v[19:20], v[74:75], v[130:131]
	v_fma_f64 v[23:24], -v[31:32], v[3:4], v[23:24]
	v_fma_f64 v[118:119], -v[33:34], v[94:95], v[1:2]
	v_fma_f64 v[126:127], -v[35:36], v[50:51], v[72:73]
	v_fma_f64 v[128:129], -v[37:38], v[54:55], v[48:49]
	v_fma_f64 v[130:131], -v[39:40], v[58:59], v[52:53]
	v_fma_f64 v[134:135], -v[41:42], v[62:63], v[56:57]
	v_fma_f64 v[138:139], -v[21:22], v[90:91], v[60:61]
	v_fma_f64 v[140:141], -v[136:137], v[86:87], v[88:89]
	v_mov_b32_e32 v1, 0xbe8
	v_mov_b32_e32 v52, 0x11b8
	v_fma_f64 v[142:143], -v[132:133], v[82:83], v[84:85]
	v_fma_f64 v[144:145], -v[124:125], v[78:79], v[80:81]
	v_mov_b32_e32 v60, 0x13a8
	ds_load_2addr_b64 v[1:4], v1 offset1:1
	v_mov_b32_e32 v80, 0x13b8
	v_fma_f64 v[146:147], -v[116:117], v[66:67], v[76:77]
	v_fma_f64 v[148:149], -v[29:30], v[98:99], v[64:65]
	ds_load_b128 v[48:51], v44 offset:4288
	ds_load_2addr_b64 v[52:55], v52 offset1:1
	ds_load_b128 v[56:59], v44 offset:4784
	ds_load_2addr_b64 v[60:63], v60 offset1:1
	ds_load_b128 v[64:67], v44 offset:5280
	ds_load_2addr_stride64_b64 v[72:75], v150 offset0:4 offset1:5
	v_mov_b32_e32 v76, 0x15a8
	v_fma_f64 v[5:6], -v[33:34], v[5:6], v[23:24]
	ds_load_2addr_b64 v[76:79], v76 offset1:1
	ds_load_2addr_b64 v[80:83], v80 offset1:1
	ds_load_b128 v[84:87], v44 offset:4800
	ds_load_b128 v[88:91], v44 offset:4304
	ds_load_2addr_b64 v[92:95], v92 offset1:1
	ds_load_b128 v[96:99], v44 offset:4848
	ds_load_2addr_stride64_b64 v[112:115], v150 offset0:6 offset1:7
	s_waitcnt lgkmcnt(13)
	v_fma_f64 v[1:2], -v[35:36], v[1:2], v[118:119]
	v_fma_f64 v[23:24], -v[37:38], v[108:109], v[126:127]
	v_fma_f64 v[104:105], -v[39:40], v[104:105], v[128:129]
	v_fma_f64 v[100:101], -v[41:42], v[100:101], v[130:131]
	v_fma_f64 v[68:69], -v[21:22], v[68:69], v[134:135]
	s_waitcnt lgkmcnt(12)
	v_fma_f64 v[48:49], -v[136:137], v[48:49], v[138:139]
	s_waitcnt lgkmcnt(11)
	v_fma_f64 v[52:53], -v[132:133], v[52:53], v[140:141]
	;; [unrolled: 2-line block ×4, first 2 shown]
	s_waitcnt lgkmcnt(8)
	v_mul_f64 v[108:109], v[64:65], v[146:147]
	s_waitcnt lgkmcnt(7)
	v_fma_f64 v[64:65], -v[31:32], v[72:73], v[148:149]
	v_fma_f64 v[72:73], -v[35:36], v[3:4], v[5:6]
	v_mov_b32_e32 v5, 0xfd8
	v_fma_f64 v[110:111], -v[37:38], v[110:111], v[1:2]
	v_fma_f64 v[23:24], -v[39:40], v[106:107], v[23:24]
	;; [unrolled: 1-line block ×8, first 2 shown]
	v_mov_b32_e32 v48, 0x11c8
	v_fma_f64 v[128:129], -v[108:109], v[66:67], v[60:61]
	v_fma_f64 v[130:131], -v[33:34], v[7:8], v[64:65]
	ds_load_b128 v[1:4], v44 offset:3808
	ds_load_2addr_b64 v[5:8], v5 offset1:1
	ds_load_2addr_b64 v[48:51], v48 offset1:1
	ds_load_b128 v[52:55], v44 offset:5296
	v_mov_b32_e32 v60, 0x13c8
	v_fma_f64 v[72:73], -v[37:38], v[120:121], v[72:73]
	v_mov_b32_e32 v64, 0x11d8
	ds_load_b128 v[56:59], v44 offset:5312
	ds_load_2addr_b64 v[60:63], v60 offset1:1
	ds_load_2addr_b64 v[64:67], v64 offset1:1
	ds_load_b128 v[68:71], v44 offset:3824
	s_waitcnt lgkmcnt(10)
	v_fma_f64 v[92:93], -v[39:40], v[92:93], v[110:111]
	v_fma_f64 v[84:85], -v[124:125], v[84:85], v[106:107]
	;; [unrolled: 1-line block ×3, first 2 shown]
	s_waitcnt lgkmcnt(7)
	v_fma_f64 v[1:2], -v[41:42], v[1:2], v[23:24]
	s_waitcnt lgkmcnt(6)
	v_fma_f64 v[5:6], -v[21:22], v[5:6], v[102:103]
	v_fma_f64 v[23:24], -v[136:137], v[88:89], v[100:101]
	s_waitcnt lgkmcnt(5)
	v_fma_f64 v[48:49], -v[132:133], v[48:49], v[104:105]
	s_waitcnt lgkmcnt(4)
	v_fma_f64 v[52:53], -v[108:109], v[52:53], v[126:127]
	v_mul_f64 v[100:101], v[76:77], v[128:129]
	v_fma_f64 v[74:75], -v[35:36], v[74:75], v[130:131]
	v_mov_b32_e32 v76, 0x17b8
	v_fma_f64 v[102:103], -v[39:40], v[94:95], v[72:73]
	v_fma_f64 v[104:105], -v[41:42], v[3:4], v[92:93]
	;; [unrolled: 1-line block ×8, first 2 shown]
	v_mov_b32_e32 v1, 0xfe8
	v_mov_b32_e32 v84, 0x11e8
	v_fma_f64 v[128:129], -v[100:101], v[78:79], v[52:53]
	v_fma_f64 v[122:123], -v[37:38], v[122:123], v[74:75]
	v_mov_b32_e32 v52, 0x15b8
	ds_load_2addr_b64 v[1:4], v1 offset1:1
	ds_load_b128 v[5:8], v44 offset:4320
	ds_load_b128 v[48:51], v44 offset:4816
	ds_load_2addr_b64 v[52:55], v52 offset1:1
	ds_load_b128 v[72:75], v44 offset:5808
	s_waitcnt lgkmcnt(5)
	v_fma_f64 v[68:69], -v[41:42], v[68:69], v[102:103]
	ds_load_2addr_b64 v[76:79], v76 offset1:1
	ds_load_b128 v[80:83], v44 offset:4832
	ds_load_2addr_b64 v[84:87], v84 offset1:1
	ds_load_b128 v[88:91], v44 offset:4336
	ds_load_b128 v[92:95], v44 offset:5360
	v_fma_f64 v[56:57], -v[108:109], v[56:57], v[120:121]
	s_waitcnt lgkmcnt(9)
	v_fma_f64 v[1:2], -v[21:22], v[1:2], v[104:105]
	s_waitcnt lgkmcnt(8)
	v_fma_f64 v[5:6], -v[136:137], v[5:6], v[106:107]
	v_fma_f64 v[64:65], -v[132:133], v[64:65], v[110:111]
	s_waitcnt lgkmcnt(7)
	v_fma_f64 v[23:24], -v[124:125], v[48:49], v[23:24]
	;; [unrolled: 3-line block ×3, first 2 shown]
	s_waitcnt lgkmcnt(5)
	v_mul_f64 v[102:103], v[72:73], v[128:129]
	v_fma_f64 v[60:61], -v[39:40], v[112:113], v[122:123]
	v_fma_f64 v[72:73], -v[21:22], v[3:4], v[68:69]
	;; [unrolled: 1-line block ×3, first 2 shown]
	v_mov_b32_e32 v56, 0x17c8
	v_fma_f64 v[104:105], -v[136:137], v[7:8], v[1:2]
	v_fma_f64 v[106:107], -v[132:133], v[66:67], v[5:6]
	;; [unrolled: 1-line block ×5, first 2 shown]
	v_mov_b32_e32 v1, 0x13d8
	v_mov_b32_e32 v48, 0x15c8
	;; [unrolled: 1-line block ×3, first 2 shown]
	v_fma_f64 v[74:75], -v[102:103], v[74:75], v[52:53]
	v_fma_f64 v[120:121], -v[41:42], v[70:71], v[60:61]
	ds_load_2addr_b64 v[1:4], v1 offset1:1
	ds_load_b128 v[5:8], v44 offset:5328
	ds_load_2addr_b64 v[48:51], v48 offset1:1
	ds_load_b128 v[52:55], v44 offset:5824
	;; [unrolled: 2-line block ×4, first 2 shown]
	s_waitcnt lgkmcnt(9)
	v_fma_f64 v[72:73], -v[136:137], v[88:89], v[72:73]
	v_fma_f64 v[84:85], -v[132:133], v[84:85], v[104:105]
	v_fma_f64 v[80:81], -v[124:125], v[80:81], v[106:107]
	s_waitcnt lgkmcnt(7)
	v_fma_f64 v[1:2], -v[116:117], v[1:2], v[110:111]
	s_waitcnt lgkmcnt(6)
	v_fma_f64 v[5:6], -v[108:109], v[5:6], v[23:24]
	;; [unrolled: 2-line block ×4, first 2 shown]
	v_mul_f64 v[88:89], v[76:77], v[74:75]
	v_fma_f64 v[52:53], -v[21:22], v[114:115], v[120:121]
	v_fma_f64 v[86:87], -v[132:133], v[86:87], v[72:73]
	v_mov_b32_e32 v72, 0x15e8
	v_fma_f64 v[82:83], -v[124:125], v[82:83], v[84:85]
	v_fma_f64 v[80:81], -v[116:117], v[3:4], v[80:81]
	;; [unrolled: 1-line block ×5, first 2 shown]
	v_mov_b32_e32 v1, 0x13e8
	v_fma_f64 v[106:107], -v[88:89], v[78:79], v[48:49]
	v_fma_f64 v[90:91], -v[136:137], v[90:91], v[52:53]
	ds_load_2addr_b64 v[1:4], v1 offset1:1
	ds_load_b128 v[5:8], v44 offset:6336
	ds_load_2addr_stride64_b64 v[48:51], v150 offset0:8 offset1:9
	ds_load_b128 v[52:55], v44 offset:6352
	ds_load_2addr_b64 v[72:75], v72 offset1:1
	ds_load_2addr_stride64_b64 v[76:79], v150 offset0:10 offset1:11
	v_fma_f64 v[86:87], -v[124:125], v[96:97], v[86:87]
	s_waitcnt lgkmcnt(5)
	v_fma_f64 v[1:2], -v[116:117], v[1:2], v[82:83]
	v_fma_f64 v[68:69], -v[108:109], v[68:69], v[80:81]
	;; [unrolled: 1-line block ×5, first 2 shown]
	v_mov_b32_e32 v56, 0x19c8
	s_waitcnt lgkmcnt(4)
	v_mul_f64 v[80:81], v[5:6], v[106:107]
	s_waitcnt lgkmcnt(3)
	v_fma_f64 v[5:6], -v[132:133], v[48:49], v[90:91]
	v_fma_f64 v[48:49], -v[116:117], v[3:4], v[86:87]
	;; [unrolled: 1-line block ×6, first 2 shown]
	v_mov_b32_e32 v60, 0x19d8
	v_fma_f64 v[23:24], -v[80:81], v[7:8], v[23:24]
	v_fma_f64 v[86:87], -v[124:125], v[98:99], v[5:6]
	v_mov_b32_e32 v5, 0x17d8
	ds_load_b128 v[1:4], v44 offset:5856
	ds_load_2addr_b64 v[5:8], v5 offset1:1
	ds_load_2addr_b64 v[56:59], v56 offset1:1
	v_fma_f64 v[48:49], -v[108:109], v[92:93], v[48:49]
	ds_load_2addr_b64 v[60:63], v60 offset1:1
	ds_load_b128 v[64:67], v44 offset:5872
	s_waitcnt lgkmcnt(6)
	v_fma_f64 v[70:71], -v[100:101], v[72:73], v[70:71]
	v_fma_f64 v[52:53], -v[80:81], v[52:53], v[84:85]
	s_waitcnt lgkmcnt(4)
	v_fma_f64 v[1:2], -v[102:103], v[1:2], v[68:69]
	s_waitcnt lgkmcnt(3)
	;; [unrolled: 2-line block ×3, first 2 shown]
	v_mul_f64 v[23:24], v[56:57], v[23:24]
	v_fma_f64 v[50:51], -v[116:117], v[50:51], v[86:87]
	v_mov_b32_e32 v56, 0x19e8
	v_fma_f64 v[72:73], -v[100:101], v[74:75], v[48:49]
	v_fma_f64 v[74:75], -v[102:103], v[3:4], v[70:71]
	;; [unrolled: 1-line block ×4, first 2 shown]
	v_mov_b32_e32 v1, 0x17e8
	v_fma_f64 v[86:87], -v[23:24], v[58:59], v[52:53]
	v_fma_f64 v[90:91], -v[108:109], v[94:95], v[50:51]
	ds_load_2addr_b64 v[1:4], v1 offset1:1
	ds_load_b128 v[5:8], v44 offset:6368
	ds_load_b128 v[48:51], v44 offset:6864
	;; [unrolled: 1-line block ×3, first 2 shown]
	ds_load_2addr_b64 v[56:59], v56 offset1:1
	ds_load_b128 v[68:71], v44 offset:6384
	s_waitcnt lgkmcnt(6)
	v_fma_f64 v[64:65], -v[102:103], v[64:65], v[72:73]
	s_waitcnt lgkmcnt(5)
	v_fma_f64 v[1:2], -v[88:89], v[1:2], v[74:75]
	;; [unrolled: 2-line block ×3, first 2 shown]
	v_fma_f64 v[60:61], -v[23:24], v[60:61], v[84:85]
	s_waitcnt lgkmcnt(3)
	v_mul_f64 v[72:73], v[48:49], v[86:87]
	v_fma_f64 v[48:49], -v[100:101], v[76:77], v[90:91]
	v_fma_f64 v[64:65], -v[88:89], v[3:4], v[64:65]
	;; [unrolled: 1-line block ×3, first 2 shown]
	v_mov_b32_e32 v1, 0x1bd8
	v_fma_f64 v[5:6], -v[23:24], v[62:63], v[5:6]
	ds_load_2addr_b64 v[1:4], v1 offset1:1
	v_fma_f64 v[50:51], -v[72:73], v[50:51], v[60:61]
	v_fma_f64 v[48:49], -v[102:103], v[66:67], v[48:49]
	s_waitcnt lgkmcnt(1)
	v_fma_f64 v[60:61], -v[80:81], v[68:69], v[64:65]
	v_fma_f64 v[7:8], -v[23:24], v[56:57], v[7:8]
	v_mov_b32_e32 v56, 0x1de8
	v_fma_f64 v[5:6], -v[72:73], v[52:53], v[5:6]
	s_waitcnt lgkmcnt(0)
	v_mul_f64 v[64:65], v[1:2], v[50:51]
	v_fma_f64 v[1:2], -v[88:89], v[78:79], v[48:49]
	v_fma_f64 v[66:67], -v[23:24], v[58:59], v[60:61]
	;; [unrolled: 1-line block ×3, first 2 shown]
	s_delay_alu instid0(VALU_DEP_4) | instskip(NEXT) | instid1(VALU_DEP_4)
	v_fma_f64 v[74:75], -v[64:65], v[3:4], v[5:6]
	v_fma_f64 v[70:71], -v[80:81], v[70:71], v[1:2]
	v_mov_b32_e32 v5, 0x1be8
	ds_load_b128 v[1:4], v44 offset:6896
	ds_load_2addr_b64 v[5:8], v5 offset1:1
	ds_load_b128 v[48:51], v44 offset:7392
	ds_load_2addr_stride64_b64 v[52:55], v150 offset0:12 offset1:13
	ds_load_2addr_b64 v[56:59], v56 offset1:1
	ds_load_2addr_stride64_b64 v[60:63], v150 offset0:14 offset1:15
	s_waitcnt lgkmcnt(5)
	v_fma_f64 v[1:2], -v[72:73], v[1:2], v[66:67]
	s_waitcnt lgkmcnt(4)
	v_fma_f64 v[5:6], -v[64:65], v[5:6], v[68:69]
	s_waitcnt lgkmcnt(3)
	v_mul_f64 v[48:49], v[48:49], v[74:75]
	s_waitcnt lgkmcnt(2)
	v_fma_f64 v[52:53], -v[23:24], v[52:53], v[70:71]
	s_delay_alu instid0(VALU_DEP_4) | instskip(NEXT) | instid1(VALU_DEP_3)
	v_fma_f64 v[66:67], -v[64:65], v[7:8], v[1:2]
	v_fma_f64 v[50:51], -v[48:49], v[50:51], v[5:6]
	s_delay_alu instid0(VALU_DEP_3)
	v_fma_f64 v[52:53], -v[72:73], v[3:4], v[52:53]
	ds_load_b128 v[1:4], v44 offset:7408
	ds_load_b128 v[5:8], v44 offset:7920
	s_waitcnt lgkmcnt(1)
	v_fma_f64 v[1:2], -v[48:49], v[1:2], v[66:67]
	v_mul_f64 v[50:51], v[56:57], v[50:51]
	v_fma_f64 v[52:53], -v[64:65], v[54:55], v[52:53]
	ds_store_2addr_b64 v43, v[25:26], v[27:28] offset1:32
	ds_store_2addr_b64 v43, v[9:10], v[11:12] offset0:64 offset1:96
	ds_store_2addr_b64 v43, v[13:14], v[15:16] offset0:128 offset1:160
	ds_store_2addr_b64 v43, v[17:18], v[19:20] offset0:192 offset1:224
	ds_store_2addr_b64 v45, v[29:30], v[31:32] offset1:32
	ds_store_2addr_b64 v45, v[33:34], v[35:36] offset0:64 offset1:96
	ds_store_2addr_b64 v45, v[37:38], v[39:40] offset0:128 offset1:160
	ds_store_2addr_b64 v45, v[41:42], v[21:22] offset0:192 offset1:224
	ds_store_2addr_b64 v46, v[136:137], v[132:133] offset1:32
	ds_store_2addr_b64 v46, v[124:125], v[116:117] offset0:64 offset1:96
	ds_store_2addr_b64 v46, v[108:109], v[100:101] offset0:128 offset1:160
	ds_store_2addr_b64 v46, v[102:103], v[88:89] offset0:192 offset1:224
	ds_store_2addr_b64 v47, v[80:81], v[23:24] offset1:32
	ds_store_2addr_b64 v47, v[72:73], v[64:65] offset0:64 offset1:96
	ds_store_2addr_b64 v47, v[48:49], v[50:51] offset0:128 offset1:160
	v_fma_f64 v[1:2], -v[50:51], v[58:59], v[1:2]
	v_fma_f64 v[3:4], -v[48:49], v[3:4], v[52:53]
	s_waitcnt lgkmcnt(15)
	s_delay_alu instid0(VALU_DEP_2) | instskip(NEXT) | instid1(VALU_DEP_2)
	v_mul_f64 v[1:2], v[5:6], v[1:2]
	v_fma_f64 v[3:4], -v[50:51], v[60:61], v[3:4]
	s_delay_alu instid0(VALU_DEP_1) | instskip(NEXT) | instid1(VALU_DEP_1)
	v_fma_f64 v[3:4], -v[1:2], v[7:8], v[3:4]
	v_mul_f64 v[3:4], v[62:63], v[3:4]
	ds_store_2addr_b64 v47, v[1:2], v[3:4] offset0:192 offset1:224
.LBB104_43:
	s_cmp_lt_i32 s8, s28
	s_cbranch_scc0 .LBB104_60
; %bb.44:
	s_or_b32 s9, s8, 27
	s_delay_alu instid0(SALU_CYCLE_1)
	s_cmp_ge_u32 s9, s28
	s_cbranch_scc1 .LBB104_49
; %bb.45:
	s_lshl_b32 s12, s8, 5
	v_lshlrev_b32_e32 v77, 3, v0
	v_or_b32_e32 v1, s12, v0
	s_and_not1_b32 vcc_lo, exec_lo, s4
	s_delay_alu instid0(VALU_DEP_2) | instskip(NEXT) | instid1(VALU_DEP_2)
	v_lshl_or_b32 v50, s9, 8, v77
	v_lshlrev_b32_e32 v49, 3, v1
	s_delay_alu instid0(VALU_DEP_1)
	v_add_nc_u32_e32 v1, 0x2000, v49
	v_add_nc_u32_e32 v2, 0x2800, v49
	;; [unrolled: 1-line block ×4, first 2 shown]
	ds_load_2addr_b64 v[41:44], v1 offset1:32
	ds_load_2addr_b64 v[45:48], v1 offset0:64 offset1:96
	ds_load_2addr_b64 v[57:60], v1 offset0:128 offset1:160
	ds_load_2addr_b64 v[37:40], v1 offset0:192 offset1:224
	ds_load_2addr_b64 v[33:36], v2 offset1:32
	ds_load_2addr_b64 v[29:32], v2 offset0:64 offset1:96
	ds_load_2addr_b64 v[25:28], v2 offset0:128 offset1:160
	ds_load_2addr_b64 v[21:24], v2 offset0:192 offset1:224
	;; [unrolled: 4-line block ×3, first 2 shown]
	ds_load_2addr_b64 v[1:4], v4 offset1:32
	ds_load_b64 v[65:66], v49 offset:14848
	ds_load_b64 v[63:64], v50 offset:8192
	s_cbranch_vccnz .LBB104_48
; %bb.46:
	v_lshl_or_b32 v51, v0, 3, 0x2000
	s_lshl_b32 s4, s8, 3
	s_mov_b32 s13, 0
.LBB104_47:                             ; =>This Inner Loop Header: Depth=1
	v_mov_b32_e32 v56, s4
	s_add_i32 s13, s13, 1
	s_addk_i32 s4, 0x100
	s_cmp_lt_u32 s13, s8
	ds_load_b64 v[61:62], v51
	ds_load_b128 v[52:55], v56
	ds_load_b128 v[67:70], v56 offset:16
	ds_load_b128 v[71:74], v56 offset:32
	;; [unrolled: 1-line block ×13, first 2 shown]
	v_add_nc_u32_e32 v51, 0x100, v51
	s_waitcnt lgkmcnt(13)
	v_fma_f64 v[41:42], -v[61:62], v[52:53], v[41:42]
	v_fma_f64 v[43:44], -v[61:62], v[54:55], v[43:44]
	s_waitcnt lgkmcnt(12)
	v_fma_f64 v[45:46], -v[61:62], v[67:68], v[45:46]
	v_fma_f64 v[47:48], -v[61:62], v[69:70], v[47:48]
	;; [unrolled: 3-line block ×14, first 2 shown]
	s_cbranch_scc1 .LBB104_47
.LBB104_48:
	s_mul_i32 s4, s8, 0x108
	s_delay_alu instid0(SALU_CYCLE_1)
	v_dual_mov_b32 v80, s4 :: v_dual_add_nc_u32 v79, 0x2000, v49
	s_or_b32 s4, s12, 32
	s_add_i32 s19, s8, s12
	s_add_i32 s13, s8, s4
	s_lshl_b32 s19, s19, 3
	s_lshl_b32 s13, s13, 3
	s_delay_alu instid0(SALU_CYCLE_1)
	v_dual_mov_b32 v81, s13 :: v_dual_add_nc_u32 v78, 0x2000, v50
	ds_load_b128 v[49:52], v80
	ds_load_b128 v[53:56], v80 offset:16
	s_or_b32 s13, s12, 64
	v_mov_b32_e32 v139, s19
	s_add_i32 s14, s8, s13
	s_mulk_i32 s9, 0x108
	s_lshl_b32 s14, s14, 3
	s_waitcnt lgkmcnt(1)
	v_mul_f64 v[61:62], v[49:50], v[41:42]
	s_delay_alu instid0(VALU_DEP_1)
	v_fma_f64 v[67:68], -v[61:62], v[51:52], v[43:44]
	ds_load_2addr_b64 v[49:52], v80 offset0:33 offset1:34
	ds_load_b128 v[41:44], v80 offset:64
	s_waitcnt lgkmcnt(2)
	v_fma_f64 v[45:46], -v[61:62], v[53:54], v[45:46]
	v_fma_f64 v[73:74], -v[61:62], v[55:56], v[47:48]
	s_waitcnt lgkmcnt(0)
	v_fma_f64 v[41:42], -v[61:62], v[41:42], v[33:34]
	v_fma_f64 v[35:36], -v[61:62], v[43:44], v[35:36]
	v_mul_f64 v[67:68], v[49:50], v[67:68]
	s_delay_alu instid0(VALU_DEP_1)
	v_fma_f64 v[75:76], -v[67:68], v[51:52], v[45:46]
	ds_load_b128 v[69:72], v80 offset:32
	ds_load_2addr_b64 v[82:85], v81 offset0:3 offset1:4
	ds_load_b128 v[86:89], v80 offset:528
	ds_load_2addr_b64 v[45:48], v80 offset0:99 offset1:100
	ds_load_b128 v[53:56], v80 offset:48
	ds_load_2addr_b64 v[49:52], v81 offset0:5 offset1:6
	s_waitcnt lgkmcnt(5)
	v_fma_f64 v[57:58], -v[61:62], v[69:70], v[57:58]
	s_waitcnt lgkmcnt(4)
	v_fma_f64 v[82:83], -v[67:68], v[82:83], v[73:74]
	;; [unrolled: 2-line block ×3, first 2 shown]
	v_fma_f64 v[39:40], -v[61:62], v[55:56], v[39:40]
	v_mul_f64 v[69:70], v[86:87], v[75:76]
	v_fma_f64 v[75:76], -v[61:62], v[71:72], v[59:60]
	v_fma_f64 v[73:74], -v[67:68], v[84:85], v[57:58]
	s_delay_alu instid0(VALU_DEP_3) | instskip(SKIP_3) | instid1(VALU_DEP_4)
	v_fma_f64 v[71:72], -v[69:70], v[88:89], v[82:83]
	v_mov_b32_e32 v82, s14
	s_or_b32 s14, s12, 0x60
	s_waitcnt lgkmcnt(0)
	v_fma_f64 v[49:50], -v[67:68], v[49:50], v[75:76]
	s_add_i32 s15, s8, s14
	v_fma_f64 v[75:76], -v[67:68], v[51:52], v[53:54]
	s_lshl_b32 s15, s15, 3
	s_delay_alu instid0(SALU_CYCLE_1) | instskip(SKIP_3) | instid1(SALU_CYCLE_1)
	v_mov_b32_e32 v159, s15
	ds_load_b128 v[57:60], v82 offset:32
	ds_load_b64 v[155:156], v81 offset:216
	s_or_b32 s15, s12, 0x80
	s_add_i32 s20, s8, s15
	s_delay_alu instid0(SALU_CYCLE_1) | instskip(NEXT) | instid1(SALU_CYCLE_1)
	s_lshl_b32 s19, s20, 3
	v_mov_b32_e32 v160, s19
	s_or_b32 s19, s12, 0xa0
	s_delay_alu instid0(SALU_CYCLE_1) | instskip(NEXT) | instid1(SALU_CYCLE_1)
	s_add_i32 s20, s8, s19
	s_lshl_b32 s20, s20, 3
	s_delay_alu instid0(SALU_CYCLE_1) | instskip(SKIP_1) | instid1(SALU_CYCLE_1)
	v_mov_b32_e32 v161, s20
	s_or_b32 s20, s12, 0xc0
	s_add_i32 s21, s8, s20
	s_waitcnt lgkmcnt(1)
	v_fma_f64 v[57:58], -v[69:70], v[57:58], v[73:74]
	s_lshl_b32 s21, s21, 3
	s_delay_alu instid0(SALU_CYCLE_1) | instskip(SKIP_3) | instid1(SALU_CYCLE_1)
	v_mov_b32_e32 v162, s21
	s_or_b32 s21, s12, 0xe0
	s_bitset1_b32 s12, 8
	s_add_i32 s22, s8, s21
	s_lshl_b32 s22, s22, 3
	v_mul_f64 v[37:38], v[45:46], v[71:72]
	v_mov_b32_e32 v163, s22
	s_add_i32 s22, s8, s12
	v_fma_f64 v[95:96], -v[69:70], v[59:60], v[49:50]
	s_lshl_b32 s22, s22, 3
	s_delay_alu instid0(SALU_CYCLE_1) | instskip(SKIP_1) | instid1(SALU_CYCLE_1)
	v_mov_b32_e32 v164, s22
	s_or_b32 s22, s8, 9
	s_mul_i32 s23, s22, 0x108
	s_lshl_b32 s22, s22, 5
	s_delay_alu instid0(SALU_CYCLE_1) | instskip(NEXT) | instid1(VALU_DEP_4)
	s_add_i32 s25, s8, s22
	v_fma_f64 v[97:98], -v[37:38], v[47:48], v[57:58]
	ds_load_2addr_b64 v[45:48], v81 offset0:7 offset1:8
	ds_load_b128 v[49:52], v82 offset:48
	ds_load_2addr_b64 v[53:56], v159 offset0:5 offset1:6
	ds_load_b128 v[57:60], v80 offset:1056
	;; [unrolled: 2-line block ×4, first 2 shown]
	s_waitcnt lgkmcnt(7)
	v_fma_f64 v[39:40], -v[67:68], v[45:46], v[39:40]
	s_waitcnt lgkmcnt(6)
	v_fma_f64 v[45:46], -v[69:70], v[49:50], v[75:76]
	;; [unrolled: 2-line block ×4, first 2 shown]
	v_mul_f64 v[33:34], v[57:58], v[97:98]
	v_fma_f64 v[57:58], -v[67:68], v[47:48], v[41:42]
	v_fma_f64 v[75:76], -v[69:70], v[51:52], v[39:40]
	;; [unrolled: 1-line block ×5, first 2 shown]
	ds_load_b128 v[39:42], v139 offset:80
	ds_load_2addr_b64 v[43:46], v159 offset0:7 offset1:8
	ds_load_b128 v[47:50], v160 offset:48
	ds_load_2addr_b64 v[51:54], v159 offset0:9 offset1:10
	ds_load_b64 v[157:158], v159 offset:216
	v_fma_f64 v[57:58], -v[69:70], v[83:84], v[57:58]
	s_waitcnt lgkmcnt(4)
	v_fma_f64 v[39:40], -v[61:62], v[39:40], v[29:30]
	s_waitcnt lgkmcnt(3)
	;; [unrolled: 2-line block ×3, first 2 shown]
	v_fma_f64 v[47:48], -v[33:34], v[47:48], v[55:56]
	v_fma_f64 v[31:32], -v[61:62], v[41:42], v[31:32]
	s_waitcnt lgkmcnt(1)
	v_fma_f64 v[35:36], -v[37:38], v[51:52], v[35:36]
	v_mul_f64 v[29:30], v[71:72], v[59:60]
	v_fma_f64 v[75:76], -v[37:38], v[45:46], v[57:58]
	v_fma_f64 v[59:60], -v[67:68], v[89:90], v[39:40]
	;; [unrolled: 1-line block ×3, first 2 shown]
	s_delay_alu instid0(VALU_DEP_4)
	v_fma_f64 v[113:114], -v[29:30], v[73:74], v[47:48]
	ds_load_b128 v[39:42], v139 offset:96
	ds_load_2addr_b64 v[43:46], v81 offset0:11 offset1:12
	ds_load_b128 v[47:50], v82 offset:80
	ds_load_b128 v[55:58], v160 offset:64
	ds_load_2addr_b64 v[71:74], v161 offset0:7 offset1:8
	ds_load_2addr_b64 v[83:86], v80 offset0:198 offset1:231
	ds_load_b128 v[87:90], v139 offset:112
	ds_load_2addr_b64 v[95:98], v161 offset0:9 offset1:10
	ds_load_b128 v[99:102], v160 offset:80
	ds_load_b128 v[103:106], v82 offset:96
	ds_load_2addr_b64 v[107:110], v81 offset0:13 offset1:14
	s_waitcnt lgkmcnt(10)
	v_fma_f64 v[39:40], -v[61:62], v[39:40], v[25:26]
	s_waitcnt lgkmcnt(9)
	v_fma_f64 v[31:32], -v[67:68], v[43:44], v[31:32]
	v_fma_f64 v[27:28], -v[61:62], v[41:42], v[27:28]
	s_waitcnt lgkmcnt(7)
	v_fma_f64 v[35:36], -v[33:34], v[57:58], v[35:36]
	v_fma_f64 v[43:44], -v[69:70], v[47:48], v[59:60]
	;; [unrolled: 1-line block ×3, first 2 shown]
	s_waitcnt lgkmcnt(6)
	v_fma_f64 v[51:52], -v[29:30], v[71:72], v[111:112]
	s_waitcnt lgkmcnt(4)
	v_fma_f64 v[75:76], -v[61:62], v[87:88], v[21:22]
	v_fma_f64 v[23:24], -v[61:62], v[89:90], v[23:24]
	v_mul_f64 v[25:26], v[83:84], v[113:114]
	ds_load_2addr_b64 v[111:114], v162 offset0:7 offset1:8
	ds_load_b64 v[59:60], v161 offset:216
	v_fma_f64 v[55:56], -v[67:68], v[45:46], v[39:40]
	v_fma_f64 v[31:32], -v[69:70], v[49:50], v[31:32]
	s_waitcnt lgkmcnt(2)
	v_fma_f64 v[27:28], -v[67:68], v[107:108], v[27:28]
	v_fma_f64 v[35:36], -v[29:30], v[95:96], v[35:36]
	;; [unrolled: 1-line block ×4, first 2 shown]
	ds_load_2addr_b64 v[39:42], v159 offset0:11 offset1:12
	ds_load_2addr_b64 v[43:46], v159 offset0:13 offset1:14
	v_fma_f64 v[75:76], -v[67:68], v[109:110], v[75:76]
	s_waitcnt lgkmcnt(3)
	v_fma_f64 v[51:52], -v[25:26], v[111:112], v[51:52]
	v_fma_f64 v[83:84], -v[69:70], v[103:104], v[55:56]
	s_waitcnt lgkmcnt(1)
	v_fma_f64 v[31:32], -v[37:38], v[39:40], v[31:32]
	v_fma_f64 v[27:28], -v[69:70], v[105:106], v[27:28]
	;; [unrolled: 1-line block ×4, first 2 shown]
	v_mul_f64 v[21:22], v[85:86], v[51:52]
	ds_load_2addr_b64 v[47:50], v162 offset0:9 offset1:10
	ds_load_b128 v[51:54], v163 offset:64
	ds_load_b128 v[55:58], v163 offset:80
	ds_load_2addr_b64 v[71:74], v162 offset0:11 offset1:12
	v_fma_f64 v[123:124], -v[37:38], v[41:42], v[83:84]
	v_fma_f64 v[31:32], -v[33:34], v[101:102], v[31:32]
	s_waitcnt lgkmcnt(4)
	v_fma_f64 v[27:28], -v[37:38], v[43:44], v[27:28]
	v_fma_f64 v[125:126], -v[29:30], v[97:98], v[39:40]
	s_waitcnt lgkmcnt(3)
	v_fma_f64 v[35:36], -v[25:26], v[47:48], v[35:36]
	s_waitcnt lgkmcnt(2)
	v_fma_f64 v[47:48], -v[21:22], v[51:52], v[87:88]
	ds_load_b128 v[39:42], v139 offset:128
	ds_load_2addr_b64 v[83:86], v81 offset0:15 offset1:16
	ds_load_b128 v[87:90], v82 offset:112
	ds_load_b128 v[95:98], v160 offset:96
	ds_load_2addr_b64 v[99:102], v161 offset0:11 offset1:12
	ds_load_b64 v[51:52], v80 offset:2112
	ds_load_b128 v[103:106], v139 offset:144
	ds_load_2addr_b64 v[107:110], v161 offset0:13 offset1:14
	ds_load_b128 v[111:114], v160 offset:112
	ds_load_b128 v[115:118], v82 offset:128
	ds_load_2addr_b64 v[119:122], v81 offset0:17 offset1:18
	s_waitcnt lgkmcnt(10)
	v_fma_f64 v[39:40], -v[61:62], v[39:40], v[17:18]
	s_waitcnt lgkmcnt(9)
	v_fma_f64 v[23:24], -v[67:68], v[83:84], v[23:24]
	;; [unrolled: 2-line block ×5, first 2 shown]
	v_fma_f64 v[19:20], -v[61:62], v[41:42], v[19:20]
	v_fma_f64 v[83:84], -v[25:26], v[49:50], v[125:126]
	;; [unrolled: 1-line block ×4, first 2 shown]
	s_waitcnt lgkmcnt(4)
	v_fma_f64 v[95:96], -v[61:62], v[103:104], v[13:14]
	v_fma_f64 v[15:16], -v[61:62], v[105:106], v[15:16]
	v_mul_f64 v[17:18], v[51:52], v[47:48]
	ds_load_2addr_b64 v[47:50], v164 offset0:9 offset1:10
	ds_load_2addr_b64 v[51:54], v164 offset0:11 offset1:12
	v_fma_f64 v[87:88], -v[67:68], v[85:86], v[39:40]
	v_fma_f64 v[23:24], -v[69:70], v[89:90], v[23:24]
	;; [unrolled: 1-line block ×5, first 2 shown]
	v_mov_b32_e32 v43, s23
	v_fma_f64 v[55:56], -v[21:22], v[55:56], v[83:84]
	ds_load_2addr_b64 v[39:42], v159 offset0:15 offset1:16
	ds_load_2addr_b64 v[43:46], v43 offset1:1
	ds_load_2addr_b64 v[83:86], v159 offset0:17 offset1:18
	s_waitcnt lgkmcnt(5)
	v_fma_f64 v[19:20], -v[67:68], v[119:120], v[19:20]
	v_fma_f64 v[27:28], -v[29:30], v[107:108], v[27:28]
	s_or_b32 s23, s8, 10
	s_delay_alu instid0(SALU_CYCLE_1)
	s_mul_i32 s24, s23, 0x108
	s_lshl_b32 s23, s23, 5
	s_waitcnt lgkmcnt(4)
	v_fma_f64 v[35:36], -v[17:18], v[47:48], v[35:36]
	v_fma_f64 v[97:98], -v[69:70], v[115:116], v[87:88]
	s_waitcnt lgkmcnt(2)
	v_fma_f64 v[23:24], -v[37:38], v[39:40], v[23:24]
	v_fma_f64 v[39:40], -v[33:34], v[111:112], v[75:76]
	;; [unrolled: 1-line block ×5, first 2 shown]
	ds_load_2addr_b64 v[47:50], v162 offset0:13 offset1:14
	ds_load_b128 v[55:58], v163 offset:96
	ds_load_b128 v[71:74], v163 offset:112
	ds_load_2addr_b64 v[87:90], v162 offset0:15 offset1:16
	v_fma_f64 v[19:20], -v[69:70], v[117:118], v[19:20]
	s_waitcnt lgkmcnt(3)
	v_fma_f64 v[27:28], -v[25:26], v[47:48], v[27:28]
	v_mul_f64 v[13:14], v[43:44], v[35:36]
	v_fma_f64 v[35:36], -v[67:68], v[121:122], v[95:96]
	v_fma_f64 v[135:136], -v[37:38], v[41:42], v[97:98]
	;; [unrolled: 1-line block ×4, first 2 shown]
	s_waitcnt lgkmcnt(2)
	v_fma_f64 v[47:48], -v[21:22], v[55:56], v[75:76]
	v_fma_f64 v[31:32], -v[17:18], v[51:52], v[31:32]
	v_mov_b32_e32 v55, s24
	s_lshl_b32 s24, s25, 3
	s_or_b32 s25, s8, 11
	v_mov_b32_e32 v165, s24
	s_mul_i32 s26, s25, 0x108
	s_add_i32 s24, s8, s23
	v_mov_b32_e32 v80, s26
	v_fma_f64 v[19:20], -v[37:38], v[83:84], v[19:20]
	s_lshl_b32 s24, s24, 3
	s_or_b32 s26, s8, 12
	v_mov_b32_e32 v166, s24
	s_lshl_b32 s24, s25, 5
	s_mul_i32 s25, s26, 0x108
	s_add_i32 s27, s8, s24
	v_fma_f64 v[27:28], -v[21:22], v[57:58], v[27:28]
	v_fma_f64 v[51:52], -v[13:14], v[45:46], v[99:100]
	ds_load_b128 v[39:42], v139 offset:160
	ds_load_2addr_b64 v[43:46], v81 offset0:19 offset1:20
	ds_load_b128 v[95:98], v82 offset:144
	ds_load_b128 v[99:102], v160 offset:128
	ds_load_2addr_b64 v[103:106], v161 offset0:15 offset1:16
	ds_load_2addr_b64 v[107:110], v165 offset0:11 offset1:12
	ds_load_b128 v[111:114], v55
	ds_load_b128 v[115:118], v139 offset:176
	ds_load_2addr_b64 v[119:122], v161 offset0:17 offset1:18
	ds_load_b128 v[123:126], v160 offset:144
	ds_load_b128 v[127:130], v82 offset:160
	ds_load_2addr_b64 v[131:134], v81 offset0:21 offset1:22
	v_fma_f64 v[55:56], -v[25:26], v[49:50], v[137:138]
	v_fma_f64 v[57:58], -v[17:18], v[53:54], v[47:48]
	s_waitcnt lgkmcnt(7)
	v_fma_f64 v[23:24], -v[29:30], v[103:104], v[23:24]
	s_waitcnt lgkmcnt(6)
	;; [unrolled: 2-line block ×3, first 2 shown]
	v_fma_f64 v[107:108], -v[61:62], v[115:116], v[5:6]
	v_fma_f64 v[39:40], -v[61:62], v[39:40], v[9:10]
	;; [unrolled: 1-line block ×8, first 2 shown]
	v_mul_f64 v[9:10], v[111:112], v[51:52]
	ds_load_2addr_b64 v[47:50], v164 offset0:13 offset1:14
	ds_load_2addr_b64 v[51:54], v164 offset0:15 offset1:16
	v_fma_f64 v[71:72], -v[21:22], v[71:72], v[55:56]
	v_fma_f64 v[23:24], -v[25:26], v[87:88], v[23:24]
	;; [unrolled: 1-line block ×5, first 2 shown]
	s_waitcnt lgkmcnt(1)
	v_fma_f64 v[27:28], -v[17:18], v[47:48], v[27:28]
	v_fma_f64 v[47:48], -v[13:14], v[109:110], v[57:58]
	ds_load_2addr_b64 v[39:42], v159 offset0:19 offset1:20
	v_fma_f64 v[35:36], -v[37:38], v[85:86], v[35:36]
	ds_load_2addr_b64 v[43:46], v165 offset0:13 offset1:14
	ds_load_b128 v[55:58], v166 offset:96
	ds_load_2addr_b64 v[83:86], v80 offset1:1
	ds_load_2addr_b64 v[95:98], v159 offset0:21 offset1:22
	ds_load_2addr_b64 v[99:102], v165 offset0:15 offset1:16
	v_mov_b32_e32 v80, s25
	v_fma_f64 v[19:20], -v[29:30], v[119:120], v[19:20]
	v_fma_f64 v[11:12], -v[67:68], v[131:132], v[11:12]
	s_lshl_b32 s25, s27, 3
	s_or_b32 s27, s8, 13
	v_mov_b32_e32 v167, s25
	s_lshl_b32 s25, s26, 5
	s_mul_i32 s29, s27, 0x108
	s_add_i32 s26, s8, s25
	s_delay_alu instid0(SALU_CYCLE_1) | instskip(SKIP_4) | instid1(SALU_CYCLE_1)
	s_lshl_b32 s26, s26, 3
	v_fma_f64 v[31:32], -v[9:10], v[113:114], v[31:32]
	v_mov_b32_e32 v168, s26
	s_lshl_b32 s26, s27, 5
	s_or_b32 s27, s8, 14
	s_mul_i32 s30, s27, 0x108
	s_lshl_b32 s27, s27, 5
	v_fma_f64 v[109:110], -v[17:18], v[49:50], v[71:72]
	v_fma_f64 v[23:24], -v[21:22], v[73:74], v[23:24]
	;; [unrolled: 1-line block ×3, first 2 shown]
	s_waitcnt lgkmcnt(5)
	v_fma_f64 v[15:16], -v[37:38], v[39:40], v[15:16]
	v_fma_f64 v[39:40], -v[25:26], v[89:90], v[103:104]
	s_waitcnt lgkmcnt(4)
	v_fma_f64 v[27:28], -v[13:14], v[43:44], v[27:28]
	s_waitcnt lgkmcnt(3)
	v_fma_f64 v[43:44], -v[9:10], v[55:56], v[47:48]
	ds_load_2addr_b64 v[47:50], v162 offset0:17 offset1:18
	ds_load_b128 v[71:74], v163 offset:128
	ds_load_b128 v[87:90], v163 offset:144
	ds_load_2addr_b64 v[103:106], v162 offset0:19 offset1:20
	v_fma_f64 v[35:36], -v[33:34], v[123:124], v[35:36]
	v_fma_f64 v[11:12], -v[69:70], v[129:130], v[11:12]
	s_waitcnt lgkmcnt(6)
	v_mul_f64 v[5:6], v[83:84], v[31:32]
	v_fma_f64 v[31:32], -v[67:68], v[133:134], v[107:108]
	s_waitcnt lgkmcnt(3)
	v_fma_f64 v[19:20], -v[25:26], v[47:48], v[19:20]
	v_fma_f64 v[23:24], -v[17:18], v[51:52], v[23:24]
	v_fma_f64 v[51:52], -v[13:14], v[45:46], v[109:110]
	v_fma_f64 v[75:76], -v[37:38], v[41:42], v[75:76]
	v_fma_f64 v[15:16], -v[33:34], v[125:126], v[15:16]
	s_waitcnt lgkmcnt(2)
	v_fma_f64 v[47:48], -v[21:22], v[71:72], v[39:40]
	v_fma_f64 v[27:28], -v[9:10], v[57:58], v[27:28]
	;; [unrolled: 1-line block ×5, first 2 shown]
	ds_load_b128 v[39:42], v139 offset:192
	ds_load_2addr_b64 v[43:46], v81 offset0:23 offset1:24
	ds_load_b128 v[55:58], v82 offset:176
	ds_load_b128 v[83:86], v160 offset:160
	ds_load_2addr_b64 v[107:110], v161 offset0:19 offset1:20
	ds_load_b128 v[111:114], v80
	ds_load_b128 v[115:118], v166 offset:112
	ds_load_2addr_b64 v[119:122], v167 offset0:13 offset1:14
	ds_load_b128 v[123:126], v139 offset:208
	ds_load_2addr_b64 v[127:130], v161 offset0:21 offset1:22
	ds_load_b128 v[131:134], v160 offset:176
	ds_load_b128 v[135:138], v82 offset:192
	ds_load_2addr_b64 v[139:142], v81 offset0:25 offset1:26
	ds_load_2addr_b64 v[143:146], v167 offset0:15 offset1:16
	ds_load_b128 v[147:150], v166 offset:128
	ds_load_b128 v[151:154], v166 offset:208
	v_fma_f64 v[19:20], -v[21:22], v[73:74], v[19:20]
	v_fma_f64 v[23:24], -v[13:14], v[99:100], v[23:24]
	s_waitcnt lgkmcnt(7)
	v_fma_f64 v[65:66], -v[61:62], v[123:124], v[65:66]
	v_fma_f64 v[1:2], -v[61:62], v[39:40], v[1:2]
	;; [unrolled: 1-line block ×10, first 2 shown]
	ds_load_2addr_b64 v[47:50], v164 offset0:17 offset1:18
	ds_load_2addr_b64 v[51:54], v164 offset0:19 offset1:20
	v_fma_f64 v[11:12], -v[33:34], v[85:86], v[11:12]
	v_fma_f64 v[95:96], -v[61:62], v[41:42], v[3:4]
	v_mul_f64 v[75:76], v[111:112], v[71:72]
	s_waitcnt lgkmcnt(1)
	v_fma_f64 v[19:20], -v[17:18], v[47:48], v[19:20]
	v_fma_f64 v[23:24], -v[9:10], v[117:118], v[23:24]
	;; [unrolled: 1-line block ×10, first 2 shown]
	ds_load_2addr_b64 v[1:4], v159 offset0:23 offset1:24
	v_mov_b32_e32 v55, s29
	ds_load_2addr_b64 v[39:42], v165 offset0:17 offset1:18
	ds_load_b128 v[43:46], v168 offset:112
	ds_load_2addr_b64 v[55:58], v55 offset1:1
	ds_load_2addr_b64 v[71:74], v159 offset0:25 offset1:26
	ds_load_2addr_b64 v[80:83], v165 offset0:19 offset1:20
	v_fma_f64 v[103:104], -v[67:68], v[139:140], v[95:96]
	v_fma_f64 v[11:12], -v[29:30], v[127:128], v[11:12]
	s_add_i32 s29, s8, s26
	s_delay_alu instid0(SALU_CYCLE_1) | instskip(SKIP_3) | instid1(SALU_CYCLE_1)
	s_lshl_b32 s29, s29, 3
	v_fma_f64 v[27:28], -v[75:76], v[113:114], v[27:28]
	v_mov_b32_e32 v139, s29
	s_add_i32 s29, s8, s27
	s_lshl_b32 s29, s29, 3
	s_waitcnt lgkmcnt(4)
	v_fma_f64 v[19:20], -v[13:14], v[39:40], v[19:20]
	v_fma_f64 v[23:24], -v[5:6], v[143:144], v[23:24]
	;; [unrolled: 1-line block ×9, first 2 shown]
	s_waitcnt lgkmcnt(3)
	v_fma_f64 v[43:44], -v[75:76], v[43:44], v[86:87]
	v_fma_f64 v[88:89], -v[61:62], v[125:126], v[63:64]
	ds_load_2addr_b64 v[47:50], v162 offset0:21 offset1:22
	ds_load_b128 v[84:87], v163 offset:160
	ds_load_b128 v[95:98], v163 offset:176
	ds_load_2addr_b64 v[99:102], v162 offset0:23 offset1:24
	v_fma_f64 v[131:132], -v[67:68], v[141:142], v[65:66]
	v_fma_f64 v[135:136], -v[69:70], v[137:138], v[103:104]
	s_waitcnt lgkmcnt(6)
	v_mul_f64 v[27:28], v[55:56], v[27:28]
	s_waitcnt lgkmcnt(3)
	v_fma_f64 v[11:12], -v[25:26], v[47:48], v[11:12]
	v_fma_f64 v[19:20], -v[9:10], v[149:150], v[19:20]
	;; [unrolled: 1-line block ×7, first 2 shown]
	s_waitcnt lgkmcnt(2)
	v_fma_f64 v[31:32], -v[21:22], v[84:85], v[31:32]
	v_mov_b32_e32 v84, s30
	v_fma_f64 v[35:36], -v[13:14], v[41:42], v[35:36]
	v_fma_f64 v[47:48], -v[5:6], v[145:146], v[39:40]
	ds_load_b128 v[1:4], v160 offset:192
	ds_load_2addr_b64 v[39:42], v161 offset0:23 offset1:24
	s_or_b32 s30, s8, 15
	s_delay_alu instid0(SALU_CYCLE_1) | instskip(SKIP_4) | instid1(SALU_CYCLE_1)
	s_mul_i32 s31, s30, 0x108
	v_fma_f64 v[71:72], -v[37:38], v[71:72], v[135:136]
	v_mov_b32_e32 v135, s29
	s_lshl_b32 s29, s30, 5
	s_or_b32 s30, s8, 16
	s_mul_i32 s33, s30, 0x108
	v_fma_f64 v[51:52], -v[27:28], v[57:58], v[43:44]
	ds_load_b128 v[43:46], v166 offset:144
	ds_load_2addr_b64 v[55:58], v167 offset0:17 offset1:18
	ds_load_b128 v[63:66], v168 offset:128
	ds_load_2addr_b64 v[103:106], v139 offset0:15 offset1:16
	ds_load_b128 v[107:110], v84
	ds_load_2addr_b64 v[111:114], v161 offset0:25 offset1:26
	ds_load_b128 v[115:118], v160 offset:208
	ds_load_b128 v[119:122], v168 offset:144
	ds_load_2addr_b64 v[123:126], v167 offset0:19 offset1:20
	ds_load_b128 v[127:130], v166 offset:160
	v_fma_f64 v[84:85], -v[67:68], v[155:156], v[88:89]
	v_fma_f64 v[88:89], -v[69:70], v[91:92], v[131:132]
	s_lshl_b32 s30, s30, 5
	v_fma_f64 v[11:12], -v[21:22], v[86:87], v[11:12]
	s_waitcnt lgkmcnt(8)
	v_fma_f64 v[19:20], -v[5:6], v[55:56], v[19:20]
	v_mov_b32_e32 v55, s31
	s_waitcnt lgkmcnt(6)
	v_fma_f64 v[23:24], -v[27:28], v[103:104], v[23:24]
	s_add_i32 s31, s8, s29
	s_delay_alu instid0(SALU_CYCLE_1)
	s_lshl_b32 s31, s31, 3
	v_fma_f64 v[1:2], -v[33:34], v[1:2], v[137:138]
	v_fma_f64 v[39:40], -v[29:30], v[39:40], v[133:134]
	;; [unrolled: 1-line block ×8, first 2 shown]
	s_waitcnt lgkmcnt(5)
	v_mul_f64 v[131:132], v[107:108], v[51:52]
	ds_load_2addr_b64 v[47:50], v164 offset0:21 offset1:22
	ds_load_2addr_b64 v[51:54], v164 offset0:23 offset1:24
	v_fma_f64 v[80:81], -v[69:70], v[93:94], v[84:85]
	v_fma_f64 v[84:85], -v[37:38], v[73:74], v[88:89]
	v_fma_f64 v[19:20], -v[75:76], v[65:66], v[19:20]
	v_fma_f64 v[88:89], -v[29:30], v[41:42], v[1:2]
	s_waitcnt lgkmcnt(1)
	v_fma_f64 v[11:12], -v[17:18], v[47:48], v[11:12]
	v_fma_f64 v[90:91], -v[25:26], v[99:100], v[39:40]
	;; [unrolled: 1-line block ×7, first 2 shown]
	ds_load_2addr_b64 v[1:4], v165 offset0:21 offset1:22
	v_fma_f64 v[99:100], -v[29:30], v[111:112], v[86:87]
	v_fma_f64 v[23:24], -v[131:132], v[109:110], v[23:24]
	;; [unrolled: 1-line block ×5, first 2 shown]
	s_waitcnt lgkmcnt(0)
	v_fma_f64 v[1:2], -v[13:14], v[1:2], v[11:12]
	v_fma_f64 v[90:91], -v[21:22], v[97:98], v[90:91]
	;; [unrolled: 1-line block ×7, first 2 shown]
	v_mov_b32_e32 v92, s33
	v_fma_f64 v[133:134], -v[29:30], v[113:114], v[94:95]
	s_or_b32 s33, s8, 17
	s_delay_alu instid0(SALU_CYCLE_1)
	s_mul_i32 s34, s33, 0x108
	v_fma_f64 v[129:130], -v[9:10], v[129:130], v[1:2]
	v_fma_f64 v[51:52], -v[17:18], v[51:52], v[90:91]
	;; [unrolled: 1-line block ×3, first 2 shown]
	v_mov_b32_e32 v122, s31
	ds_load_2addr_b64 v[39:42], v139 offset0:17 offset1:18
	ds_load_b128 v[43:46], v135 offset:128
	ds_load_2addr_b64 v[55:58], v55 offset1:1
	ds_load_2addr_b64 v[63:66], v139 offset0:19 offset1:20
	ds_load_2addr_b64 v[71:74], v165 offset0:23 offset1:24
	v_fma_f64 v[7:8], -v[13:14], v[3:4], v[7:8]
	v_fma_f64 v[11:12], -v[5:6], v[125:126], v[11:12]
	s_add_i32 s31, s8, s30
	s_delay_alu instid0(SALU_CYCLE_1)
	s_lshl_b32 s31, s31, 3
	s_waitcnt lgkmcnt(4)
	v_fma_f64 v[19:20], -v[27:28], v[39:40], v[19:20]
	s_waitcnt lgkmcnt(3)
	v_fma_f64 v[35:36], -v[131:132], v[43:44], v[47:48]
	s_waitcnt lgkmcnt(2)
	v_mul_f64 v[23:24], v[55:56], v[23:24]
	ds_load_2addr_b64 v[47:50], v162 offset0:25 offset1:26
	ds_load_b128 v[80:83], v163 offset:192
	ds_load_b128 v[84:87], v163 offset:208
	ds_load_b64 v[123:124], v162 offset:216
	v_fma_f64 v[31:32], -v[27:28], v[41:42], v[31:32]
	v_fma_f64 v[59:60], -v[29:30], v[59:60], v[127:128]
	s_waitcnt lgkmcnt(4)
	v_fma_f64 v[51:52], -v[13:14], v[71:72], v[51:52]
	s_waitcnt lgkmcnt(3)
	;; [unrolled: 2-line block ×3, first 2 shown]
	v_fma_f64 v[80:81], -v[21:22], v[80:81], v[88:89]
	v_fma_f64 v[120:121], -v[25:26], v[49:50], v[133:134]
	;; [unrolled: 1-line block ×5, first 2 shown]
	ds_load_b128 v[1:4], v166 offset:176
	ds_load_2addr_b64 v[39:42], v167 offset0:21 offset1:22
	ds_load_b128 v[43:46], v168 offset:160
	ds_load_b128 v[55:58], v135 offset:144
	ds_load_2addr_b64 v[88:91], v122 offset0:17 offset1:18
	ds_load_b128 v[92:95], v92
	ds_load_2addr_b64 v[96:99], v122 offset0:19 offset1:20
	ds_load_b128 v[100:103], v135 offset:160
	ds_load_b128 v[104:107], v168 offset:176
	ds_load_2addr_b64 v[108:111], v167 offset0:23 offset1:24
	ds_load_b128 v[112:115], v166 offset:192
	ds_load_b128 v[116:119], v135 offset:208
	s_waitcnt lgkmcnt(12)
	v_fma_f64 v[59:60], -v[25:26], v[123:124], v[59:60]
	v_mov_b32_e32 v123, s31
	s_lshl_b32 s31, s33, 5
	s_delay_alu instid0(SALU_CYCLE_1) | instskip(NEXT) | instid1(SALU_CYCLE_1)
	s_add_i32 s33, s8, s31
	s_lshl_b32 s33, s33, 3
	s_waitcnt lgkmcnt(11)
	v_fma_f64 v[1:2], -v[9:10], v[1:2], v[7:8]
	s_waitcnt lgkmcnt(10)
	v_fma_f64 v[7:8], -v[5:6], v[39:40], v[129:130]
	s_waitcnt lgkmcnt(9)
	v_fma_f64 v[11:12], -v[75:76], v[43:44], v[11:12]
	s_waitcnt lgkmcnt(8)
	v_fma_f64 v[31:32], -v[131:132], v[55:56], v[31:32]
	v_fma_f64 v[82:83], -v[21:22], v[82:83], v[47:48]
	v_fma_f64 v[53:54], -v[17:18], v[53:54], v[80:81]
	ds_load_2addr_b64 v[47:50], v164 offset0:25 offset1:26
	ds_load_b64 v[63:64], v164 offset:216
	v_fma_f64 v[71:72], -v[21:22], v[84:85], v[120:121]
	v_fma_f64 v[80:81], -v[9:10], v[3:4], v[51:52]
	;; [unrolled: 1-line block ×3, first 2 shown]
	v_mov_b32_e32 v51, s34
	s_or_b32 s34, s8, 18
	s_delay_alu instid0(SALU_CYCLE_1)
	s_mul_i32 s35, s34, 0x108
	s_waitcnt lgkmcnt(9)
	v_fma_f64 v[19:20], -v[23:24], v[88:89], v[19:20]
	s_waitcnt lgkmcnt(8)
	v_mul_f64 v[35:36], v[92:93], v[35:36]
	v_fma_f64 v[59:60], -v[21:22], v[86:87], v[59:60]
	v_fma_f64 v[7:8], -v[75:76], v[45:46], v[7:8]
	;; [unrolled: 1-line block ×4, first 2 shown]
	s_waitcnt lgkmcnt(1)
	v_fma_f64 v[47:48], -v[17:18], v[47:48], v[82:83]
	v_fma_f64 v[73:74], -v[13:14], v[73:74], v[53:54]
	;; [unrolled: 1-line block ×3, first 2 shown]
	ds_load_2addr_b64 v[1:4], v165 offset0:25 offset1:26
	ds_load_2addr_b64 v[39:42], v139 offset0:21 offset1:22
	ds_load_b128 v[43:46], v123 offset:144
	ds_load_2addr_b64 v[51:54], v51 offset1:1
	ds_load_2addr_b64 v[55:58], v139 offset0:23 offset1:24
	ds_load_b64 v[120:121], v165 offset:216
	v_fma_f64 v[49:50], -v[17:18], v[49:50], v[71:72]
	v_fma_f64 v[65:66], -v[5:6], v[108:109], v[80:81]
	;; [unrolled: 1-line block ×4, first 2 shown]
	s_waitcnt lgkmcnt(6)
	v_fma_f64 v[59:60], -v[17:18], v[63:64], v[59:60]
	s_waitcnt lgkmcnt(4)
	v_fma_f64 v[7:8], -v[27:28], v[39:40], v[7:8]
	v_fma_f64 v[11:12], -v[131:132], v[100:101], v[11:12]
	s_waitcnt lgkmcnt(3)
	v_fma_f64 v[31:32], -v[35:36], v[43:44], v[31:32]
	v_fma_f64 v[1:2], -v[13:14], v[1:2], v[47:48]
	v_fma_f64 v[47:48], -v[9:10], v[112:113], v[73:74]
	v_fma_f64 v[71:72], -v[75:76], v[104:105], v[82:83]
	v_fma_f64 v[96:97], -v[13:14], v[3:4], v[49:50]
	v_fma_f64 v[106:107], -v[75:76], v[106:107], v[65:66]
	v_fma_f64 v[15:16], -v[35:36], v[45:46], v[15:16]
	s_waitcnt lgkmcnt(2)
	v_mul_f64 v[19:20], v[51:52], v[19:20]
	s_waitcnt lgkmcnt(0)
	v_fma_f64 v[59:60], -v[13:14], v[120:121], v[59:60]
	v_fma_f64 v[7:8], -v[131:132], v[102:103], v[7:8]
	;; [unrolled: 1-line block ×3, first 2 shown]
	v_mov_b32_e32 v102, s33
	s_lshl_b32 s33, s34, 5
	s_delay_alu instid0(SALU_CYCLE_1)
	s_add_i32 s34, s8, s33
	v_fma_f64 v[100:101], -v[9:10], v[114:115], v[1:2]
	v_fma_f64 v[104:105], -v[5:6], v[110:111], v[47:48]
	;; [unrolled: 1-line block ×3, first 2 shown]
	ds_load_2addr_b64 v[1:4], v167 offset0:25 offset1:26
	ds_load_b128 v[39:42], v168 offset:192
	v_mov_b32_e32 v71, s35
	v_fma_f64 v[96:97], -v[9:10], v[151:152], v[96:97]
	v_fma_f64 v[55:56], -v[27:28], v[55:56], v[106:107]
	s_or_b32 s35, s8, 19
	s_lshl_b32 s34, s34, 3
	s_mul_i32 s36, s35, 0x108
	v_mov_b32_e32 v103, s34
	s_lshl_b32 s34, s35, 5
	s_or_b32 s35, s8, 20
	s_delay_alu instid0(SALU_CYCLE_1)
	s_mul_i32 s37, s35, 0x108
	s_lshl_b32 s35, s35, 5
	v_fma_f64 v[31:32], -v[19:20], v[53:54], v[31:32]
	ds_load_b128 v[43:46], v135 offset:176
	ds_load_2addr_b64 v[47:50], v122 offset0:21 offset1:22
	ds_load_b128 v[51:54], v123 offset:160
	ds_load_2addr_b64 v[63:66], v102 offset0:19 offset1:20
	ds_load_b128 v[71:74], v71
	ds_load_b128 v[80:83], v123 offset:176
	ds_load_2addr_b64 v[84:87], v122 offset0:23 offset1:24
	ds_load_b128 v[88:91], v135 offset:192
	ds_load_b128 v[92:95], v168 offset:208
	ds_load_b64 v[98:99], v167 offset:216
	v_fma_f64 v[59:60], -v[9:10], v[153:154], v[59:60]
	s_waitcnt lgkmcnt(8)
	v_fma_f64 v[7:8], -v[23:24], v[47:48], v[7:8]
	s_waitcnt lgkmcnt(7)
	;; [unrolled: 2-line block ×3, first 2 shown]
	v_fma_f64 v[15:16], -v[19:20], v[63:64], v[15:16]
	v_mov_b32_e32 v47, s36
	s_add_i32 s36, s8, s34
	v_fma_f64 v[1:2], -v[5:6], v[1:2], v[100:101]
	v_fma_f64 v[39:40], -v[75:76], v[39:40], v[104:105]
	;; [unrolled: 1-line block ×3, first 2 shown]
	s_lshl_b32 s36, s36, 3
	v_fma_f64 v[63:64], -v[5:6], v[3:4], v[96:97]
	v_fma_f64 v[55:56], -v[131:132], v[45:46], v[55:56]
	v_mov_b32_e32 v104, s36
	s_add_i32 s36, s8, s35
	s_delay_alu instid0(SALU_CYCLE_1)
	s_lshl_b32 s36, s36, 3
	s_waitcnt lgkmcnt(5)
	v_mul_f64 v[31:32], v[71:72], v[31:32]
	s_waitcnt lgkmcnt(0)
	v_fma_f64 v[59:60], -v[5:6], v[98:99], v[59:60]
	v_fma_f64 v[7:8], -v[35:36], v[53:54], v[7:8]
	;; [unrolled: 1-line block ×6, first 2 shown]
	ds_load_2addr_b64 v[1:4], v139 offset0:25 offset1:26
	ds_load_2addr_b64 v[39:42], v102 offset0:21 offset1:22
	ds_load_b128 v[43:46], v103 offset:160
	ds_load_2addr_b64 v[47:50], v47 offset1:1
	ds_load_2addr_b64 v[51:54], v102 offset0:23 offset1:24
	ds_load_b64 v[100:101], v139 offset:216
	v_fma_f64 v[63:64], -v[75:76], v[92:93], v[63:64]
	v_fma_f64 v[55:56], -v[23:24], v[84:85], v[55:56]
	;; [unrolled: 1-line block ×4, first 2 shown]
	s_waitcnt lgkmcnt(4)
	v_fma_f64 v[7:8], -v[19:20], v[39:40], v[7:8]
	s_waitcnt lgkmcnt(3)
	v_fma_f64 v[11:12], -v[31:32], v[43:44], v[11:12]
	v_fma_f64 v[1:2], -v[27:28], v[1:2], v[71:72]
	;; [unrolled: 1-line block ×6, first 2 shown]
	v_mov_b32_e32 v55, s37
	s_or_b32 s37, s8, 21
	s_delay_alu instid0(SALU_CYCLE_1)
	s_mul_i32 s38, s37, 0x108
	s_waitcnt lgkmcnt(2)
	v_mul_f64 v[15:16], v[47:48], v[15:16]
	s_waitcnt lgkmcnt(0)
	v_fma_f64 v[59:60], -v[27:28], v[100:101], v[59:60]
	v_fma_f64 v[7:8], -v[31:32], v[45:46], v[7:8]
	;; [unrolled: 1-line block ×8, first 2 shown]
	ds_load_2addr_b64 v[1:4], v122 offset0:25 offset1:26
	ds_load_b128 v[39:42], v123 offset:192
	ds_load_b128 v[43:46], v103 offset:176
	ds_load_2addr_b64 v[47:50], v104 offset0:21 offset1:22
	ds_load_b128 v[55:58], v55
	ds_load_2addr_b64 v[63:66], v104 offset0:23 offset1:24
	ds_load_b128 v[71:74], v103 offset:192
	ds_load_b128 v[80:83], v123 offset:208
	;; [unrolled: 1-line block ×3, first 2 shown]
	ds_load_b64 v[98:99], v122 offset:216
	s_waitcnt lgkmcnt(6)
	v_fma_f64 v[7:8], -v[15:16], v[47:48], v[7:8]
	v_fma_f64 v[47:48], -v[131:132], v[118:119], v[59:60]
	;; [unrolled: 1-line block ×6, first 2 shown]
	s_waitcnt lgkmcnt(5)
	v_mul_f64 v[11:12], v[55:56], v[11:12]
	v_fma_f64 v[55:56], -v[23:24], v[3:4], v[88:89]
	v_mov_b32_e32 v88, s36
	s_lshl_b32 s36, s37, 5
	s_delay_alu instid0(SALU_CYCLE_1) | instskip(NEXT) | instid1(SALU_CYCLE_1)
	s_add_i32 s37, s8, s36
	s_lshl_b32 s37, s37, 3
	s_waitcnt lgkmcnt(0)
	v_fma_f64 v[47:48], -v[23:24], v[98:99], v[47:48]
	v_fma_f64 v[59:60], -v[35:36], v[41:42], v[1:2]
	;; [unrolled: 1-line block ×4, first 2 shown]
	v_mov_b32_e32 v43, s38
	s_or_b32 s38, s8, 22
	v_fma_f64 v[51:52], -v[15:16], v[63:64], v[51:52]
	s_mul_i32 s39, s38, 0x108
	v_fma_f64 v[7:8], -v[11:12], v[57:58], v[7:8]
	ds_load_2addr_b64 v[1:4], v102 offset0:25 offset1:26
	ds_load_b128 v[39:42], v88 offset:176
	ds_load_2addr_b64 v[43:46], v43 offset1:1
	ds_load_b64 v[57:58], v102 offset:216
	v_fma_f64 v[55:56], -v[35:36], v[80:81], v[55:56]
	s_waitcnt lgkmcnt(3)
	v_fma_f64 v[1:2], -v[19:20], v[1:2], v[59:60]
	v_fma_f64 v[53:54], -v[31:32], v[71:72], v[53:54]
	s_waitcnt lgkmcnt(2)
	v_fma_f64 v[39:40], -v[11:12], v[39:40], v[49:50]
	v_fma_f64 v[59:60], -v[35:36], v[82:83], v[47:48]
	v_dual_mov_b32 v82, s37 :: v_dual_mov_b32 v47, s39
	v_fma_f64 v[71:72], -v[11:12], v[41:42], v[51:52]
	s_lshl_b32 s37, s38, 5
	s_or_b32 s39, s8, 23
	s_add_i32 s38, s8, s37
	s_mul_i32 s40, s39, 0x108
	s_lshl_b32 s38, s38, 3
	s_waitcnt lgkmcnt(1)
	v_mul_f64 v[7:8], v[43:44], v[7:8]
	v_fma_f64 v[55:56], -v[19:20], v[3:4], v[55:56]
	v_fma_f64 v[63:64], -v[31:32], v[73:74], v[1:2]
	;; [unrolled: 1-line block ×3, first 2 shown]
	s_waitcnt lgkmcnt(0)
	v_fma_f64 v[57:58], -v[19:20], v[57:58], v[59:60]
	v_fma_f64 v[73:74], -v[7:8], v[45:46], v[39:40]
	ds_load_2addr_b64 v[1:4], v104 offset0:25 offset1:26
	ds_load_b128 v[39:42], v88 offset:192
	ds_load_2addr_b64 v[43:46], v82 offset0:23 offset1:24
	ds_load_b128 v[47:50], v47
	ds_load_b128 v[51:54], v88 offset:208
	ds_load_b64 v[80:81], v104 offset:216
	v_fma_f64 v[55:56], -v[31:32], v[84:85], v[55:56]
	s_waitcnt lgkmcnt(5)
	v_fma_f64 v[1:2], -v[15:16], v[1:2], v[63:64]
	s_waitcnt lgkmcnt(4)
	v_fma_f64 v[39:40], -v[11:12], v[39:40], v[65:66]
	s_waitcnt lgkmcnt(3)
	v_fma_f64 v[43:44], -v[7:8], v[43:44], v[71:72]
	v_fma_f64 v[57:58], -v[31:32], v[86:87], v[57:58]
	v_mov_b32_e32 v71, s38
	s_lshl_b32 s38, s39, 5
	s_delay_alu instid0(SALU_CYCLE_1) | instskip(NEXT) | instid1(SALU_CYCLE_1)
	s_add_i32 s39, s8, s38
	s_lshl_b32 s39, s39, 3
	s_waitcnt lgkmcnt(2)
	v_mul_f64 v[47:48], v[47:48], v[73:74]
	v_fma_f64 v[55:56], -v[15:16], v[3:4], v[55:56]
	v_fma_f64 v[59:60], -v[11:12], v[41:42], v[1:2]
	;; [unrolled: 1-line block ×3, first 2 shown]
	s_waitcnt lgkmcnt(0)
	v_fma_f64 v[57:58], -v[15:16], v[80:81], v[57:58]
	v_fma_f64 v[49:50], -v[47:48], v[49:50], v[43:44]
	v_mov_b32_e32 v43, s40
	ds_load_2addr_b64 v[1:4], v82 offset0:25 offset1:26
	ds_load_b128 v[39:42], v71 offset:192
	ds_load_2addr_b64 v[43:46], v43 offset1:1
	ds_load_b64 v[65:66], v82 offset:216
	v_fma_f64 v[51:52], -v[11:12], v[51:52], v[55:56]
	s_or_b32 s40, s8, 24
	s_delay_alu instid0(SALU_CYCLE_1)
	s_mul_i32 s41, s40, 0x108
	v_fma_f64 v[53:54], -v[11:12], v[53:54], v[57:58]
	s_waitcnt lgkmcnt(3)
	v_fma_f64 v[1:2], -v[7:8], v[1:2], v[59:60]
	s_waitcnt lgkmcnt(2)
	v_fma_f64 v[39:40], -v[47:48], v[39:40], v[63:64]
	v_or_b32_e32 v63, s27, v0
	v_mov_b32_e32 v59, s39
	s_lshl_b32 s39, s40, 5
	v_or_b32_e32 v64, s29, v0
	s_add_i32 s40, s8, s39
	s_delay_alu instid0(SALU_CYCLE_1) | instskip(SKIP_4) | instid1(SALU_CYCLE_1)
	s_lshl_b32 s40, s40, 3
	s_waitcnt lgkmcnt(1)
	v_mul_f64 v[49:50], v[43:44], v[49:50]
	v_mov_b32_e32 v43, s41
	s_or_b32 s41, s8, 25
	s_mul_i32 s42, s41, 0x108
	v_fma_f64 v[51:52], -v[7:8], v[3:4], v[51:52]
	s_waitcnt lgkmcnt(0)
	v_fma_f64 v[53:54], -v[7:8], v[65:66], v[53:54]
	v_fma_f64 v[55:56], -v[47:48], v[41:42], v[1:2]
	v_or_b32_e32 v65, s30, v0
	v_fma_f64 v[57:58], -v[49:50], v[45:46], v[39:40]
	ds_load_b128 v[1:4], v71 offset:208
	ds_load_2addr_b64 v[39:42], v59 offset0:25 offset1:26
	ds_load_b128 v[43:46], v43
	ds_load_b64 v[59:60], v59 offset:216
	s_waitcnt lgkmcnt(3)
	v_fma_f64 v[1:2], -v[47:48], v[1:2], v[51:52]
	v_fma_f64 v[51:52], -v[47:48], v[3:4], v[53:54]
	s_waitcnt lgkmcnt(2)
	v_fma_f64 v[39:40], -v[49:50], v[39:40], v[55:56]
	v_or_b32_e32 v55, s21, v0
	v_or_b32_e32 v56, s22, v0
	s_delay_alu instid0(VALU_DEP_2)
	v_lshlrev_b32_e32 v55, 3, v55
	s_waitcnt lgkmcnt(1)
	v_mul_f64 v[43:44], v[43:44], v[57:58]
	v_or_b32_e32 v57, s23, v0
	v_or_b32_e32 v58, s24, v0
	v_fma_f64 v[53:54], -v[49:50], v[41:42], v[1:2]
	v_mov_b32_e32 v1, s40
	s_lshl_b32 s40, s41, 5
	s_waitcnt lgkmcnt(0)
	v_fma_f64 v[51:52], -v[49:50], v[59:60], v[51:52]
	s_add_i32 s41, s8, s40
	v_or_b32_e32 v59, s25, v0
	s_lshl_b32 s41, s41, 3
	v_or_b32_e32 v60, s26, v0
	v_fma_f64 v[45:46], -v[43:44], v[45:46], v[39:40]
	v_mov_b32_e32 v39, s42
	ds_load_b128 v[1:4], v1 offset:208
	ds_load_2addr_b64 v[39:42], v39 offset1:1
	s_or_b32 s42, s8, 26
	s_or_b32 s8, s8, 28
	s_mul_i32 s43, s42, 0x108
	s_waitcnt lgkmcnt(1)
	v_fma_f64 v[1:2], -v[43:44], v[1:2], v[53:54]
	v_or_b32_e32 v53, s19, v0
	v_or_b32_e32 v54, s20, v0
	s_delay_alu instid0(VALU_DEP_2) | instskip(NEXT) | instid1(VALU_DEP_2)
	v_lshlrev_b32_e32 v53, 3, v53
	v_lshlrev_b32_e32 v54, 3, v54
	s_waitcnt lgkmcnt(0)
	v_mul_f64 v[39:40], v[39:40], v[45:46]
	v_fma_f64 v[45:46], -v[43:44], v[3:4], v[51:52]
	s_delay_alu instid0(VALU_DEP_2)
	v_fma_f64 v[41:42], -v[39:40], v[41:42], v[1:2]
	v_dual_mov_b32 v1, s41 :: v_dual_mov_b32 v2, s43
	ds_load_b64 v[51:52], v1 offset:216
	ds_load_b128 v[1:4], v2
	s_waitcnt lgkmcnt(1)
	v_fma_f64 v[45:46], -v[39:40], v[51:52], v[45:46]
	v_or_b32_e32 v52, s15, v0
	v_or_b32_e32 v51, s14, v0
	s_delay_alu instid0(VALU_DEP_2) | instskip(NEXT) | instid1(VALU_DEP_2)
	v_lshlrev_b32_e32 v52, 3, v52
	v_lshlrev_b32_e32 v51, 3, v51
	s_waitcnt lgkmcnt(0)
	v_mul_f64 v[1:2], v[1:2], v[41:42]
	v_or_b32_e32 v41, s4, v0
	v_or_b32_e32 v42, s13, v0
	s_delay_alu instid0(VALU_DEP_2) | instskip(NEXT) | instid1(VALU_DEP_2)
	v_lshlrev_b32_e32 v66, 3, v41
	v_lshlrev_b32_e32 v71, 3, v42
	v_fma_f64 v[3:4], -v[1:2], v[3:4], v[45:46]
	v_mov_b32_e32 v46, s9
	v_or_b32_e32 v45, s12, v0
	ds_load_b64 v[41:42], v46
	v_lshlrev_b32_e32 v45, 3, v45
	v_lshlrev_b32_e32 v46, 3, v56
	;; [unrolled: 1-line block ×4, first 2 shown]
	ds_store_b64 v79, v[61:62]
	ds_store_b64 v52, v[33:34] offset:8192
	ds_store_b64 v53, v[29:30] offset:8192
	;; [unrolled: 1-line block ×10, first 2 shown]
	v_or_b32_e32 v5, s31, v0
	v_or_b32_e32 v6, s33, v0
	;; [unrolled: 1-line block ×3, first 2 shown]
	v_lshlrev_b32_e32 v58, 3, v59
	v_lshlrev_b32_e32 v10, 3, v65
	;; [unrolled: 1-line block ×8, first 2 shown]
	v_or_b32_e32 v13, s35, v0
	ds_store_b64 v58, v[75:76] offset:8192
	ds_store_b64 v59, v[27:28] offset:8192
	;; [unrolled: 1-line block ×8, first 2 shown]
	v_or_b32_e32 v6, s36, v0
	v_or_b32_e32 v9, s37, v0
	;; [unrolled: 1-line block ×3, first 2 shown]
	v_lshlrev_b32_e32 v5, 3, v13
	v_or_b32_e32 v13, s39, v0
	v_lshlrev_b32_e32 v6, 3, v6
	v_or_b32_e32 v14, s40, v0
	v_lshlrev_b32_e32 v9, 3, v9
	v_lshlrev_b32_e32 v10, 3, v10
	;; [unrolled: 1-line block ×3, first 2 shown]
	v_lshl_or_b32 v15, s42, 8, v77
	v_lshlrev_b32_e32 v14, 3, v14
	s_waitcnt lgkmcnt(19)
	v_mul_f64 v[3:4], v[41:42], v[3:4]
	ds_store_b64 v5, v[11:12] offset:8192
	ds_store_b64 v6, v[7:8] offset:8192
	;; [unrolled: 1-line block ×8, first 2 shown]
	ds_store_b64 v78, v[3:4]
.LBB104_49:
	s_cmp_ge_i32 s8, s28
	s_cbranch_scc1 .LBB104_60
; %bb.50:
	v_lshl_or_b32 v3, v0, 3, 0x2000
	v_lshlrev_b32_e32 v4, 3, v0
	s_add_i32 s4, s8, -1
	s_lshl_b32 s9, s8, 3
	s_mov_b32 s12, 0
	s_mov_b32 s13, s8
	s_branch .LBB104_52
.LBB104_51:                             ;   in Loop: Header=BB104_52 Depth=1
	s_mul_i32 s14, s8, 0x108
	s_delay_alu instid0(SALU_CYCLE_1)
	v_dual_mov_b32 v6, s14 :: v_dual_add_nc_u32 v5, 0x2000, v5
	s_add_i32 s8, s8, 1
	s_add_i32 s12, s12, 1
	;; [unrolled: 1-line block ×3, first 2 shown]
	s_cmp_ge_i32 s8, s28
	ds_load_b64 v[6:7], v6
	s_waitcnt lgkmcnt(0)
	v_mul_f64 v[1:2], v[6:7], v[1:2]
	v_add_nc_u16 v6, s13, 1
	s_delay_alu instid0(VALU_DEP_1)
	v_readfirstlane_b32 s13, v6
	ds_store_b64 v5, v[1:2]
	s_cbranch_scc1 .LBB104_60
.LBB104_52:                             ; =>This Loop Header: Depth=1
                                        ;     Child Loop BB104_55 Depth 2
                                        ;     Child Loop BB104_59 Depth 2
	v_lshl_or_b32 v5, s8, 8, v4
	s_cmp_eq_u32 s8, 0
	ds_load_b64 v[1:2], v5 offset:8192
	s_cbranch_scc1 .LBB104_51
; %bb.53:                               ;   in Loop: Header=BB104_52 Depth=1
	s_add_i32 s14, s4, s12
	s_delay_alu instid0(SALU_CYCLE_1)
	s_cmp_lt_u32 s14, 7
	s_cbranch_scc1 .LBB104_57
; %bb.54:                               ;   in Loop: Header=BB104_52 Depth=1
	v_mov_b32_e32 v6, v3
	s_and_b32 s14, s8, -8
	s_mov_b32 s15, 0
	s_mov_b32 s19, s9
	s_set_inst_prefetch_distance 0x1
	.p2align	6
.LBB104_55:                             ;   Parent Loop BB104_52 Depth=1
                                        ; =>  This Inner Loop Header: Depth=2
	v_mov_b32_e32 v15, s19
	s_add_i32 s15, s15, 8
	s_addk_i32 s19, 0x800
	s_cmp_lg_u32 s14, s15
	ds_load_2addr_b64 v[7:10], v6 offset1:32
	ds_load_2addr_b64 v[11:14], v15 offset1:32
	s_waitcnt lgkmcnt(0)
	v_fma_f64 v[1:2], -v[7:8], v[11:12], v[1:2]
	s_delay_alu instid0(VALU_DEP_1) | instskip(SKIP_4) | instid1(VALU_DEP_1)
	v_fma_f64 v[1:2], -v[9:10], v[13:14], v[1:2]
	ds_load_2addr_b64 v[7:10], v6 offset0:64 offset1:96
	ds_load_2addr_b64 v[11:14], v15 offset0:64 offset1:96
	s_waitcnt lgkmcnt(0)
	v_fma_f64 v[1:2], -v[7:8], v[11:12], v[1:2]
	v_fma_f64 v[1:2], -v[9:10], v[13:14], v[1:2]
	ds_load_2addr_b64 v[7:10], v6 offset0:128 offset1:160
	ds_load_2addr_b64 v[11:14], v15 offset0:128 offset1:160
	s_waitcnt lgkmcnt(0)
	v_fma_f64 v[1:2], -v[7:8], v[11:12], v[1:2]
	s_delay_alu instid0(VALU_DEP_1)
	v_fma_f64 v[1:2], -v[9:10], v[13:14], v[1:2]
	ds_load_2addr_b64 v[7:10], v6 offset0:192 offset1:224
	ds_load_2addr_b64 v[11:14], v15 offset0:192 offset1:224
	v_add_nc_u32_e32 v6, 0x800, v6
	s_waitcnt lgkmcnt(0)
	v_fma_f64 v[1:2], -v[7:8], v[11:12], v[1:2]
	s_delay_alu instid0(VALU_DEP_1)
	v_fma_f64 v[1:2], -v[9:10], v[13:14], v[1:2]
	s_cbranch_scc1 .LBB104_55
; %bb.56:                               ;   in Loop: Header=BB104_52 Depth=1
	s_set_inst_prefetch_distance 0x2
	s_and_b32 s15, s8, 7
	s_delay_alu instid0(SALU_CYCLE_1)
	s_cmp_eq_u32 s15, 0
	s_cbranch_scc0 .LBB104_58
	s_branch .LBB104_51
.LBB104_57:                             ;   in Loop: Header=BB104_52 Depth=1
	s_mov_b32 s14, 0
	s_and_b32 s15, s8, 7
	s_delay_alu instid0(SALU_CYCLE_1)
	s_cmp_eq_u32 s15, 0
	s_cbranch_scc1 .LBB104_51
.LBB104_58:                             ;   in Loop: Header=BB104_52 Depth=1
	s_and_b32 s15, s13, 7
	s_lshl_b32 s14, s14, 8
.LBB104_59:                             ;   Parent Loop BB104_52 Depth=1
                                        ; =>  This Inner Loop Header: Depth=2
	s_delay_alu instid0(SALU_CYCLE_1)
	s_add_i32 s19, s9, s14
	v_add_nc_u32_e32 v6, s14, v3
	v_mov_b32_e32 v8, s19
	s_add_i32 s15, s15, -1
	s_addk_i32 s14, 0x100
	s_cmp_lg_u32 s15, 0
	ds_load_b64 v[6:7], v6
	ds_load_b64 v[8:9], v8
	s_waitcnt lgkmcnt(0)
	v_fma_f64 v[1:2], -v[6:7], v[8:9], v[1:2]
	s_cbranch_scc1 .LBB104_59
	s_branch .LBB104_51
.LBB104_60:
	s_waitcnt vmcnt(0) lgkmcnt(0)
	s_waitcnt_vscnt null, 0x0
	; wave barrier
	s_waitcnt lgkmcnt(0)
	buffer_gl0_inv
	s_and_saveexec_b32 s4, s18
	s_cbranch_execz .LBB104_67
; %bb.61:
	s_cmp_lt_i32 s6, 8
	s_mov_b32 s4, 0
	s_cbranch_scc1 .LBB104_64
; %bb.62:
	v_mad_i64_i32 v[1:2], null, s16, v0, 0
	v_lshl_or_b32 v3, v0, 3, 0x2000
	s_lshl_b32 s4, s28, 3
	s_delay_alu instid0(VALU_DEP_2) | instskip(NEXT) | instid1(VALU_DEP_1)
	v_lshlrev_b64 v[1:2], 3, v[1:2]
	v_add_co_u32 v1, vcc_lo, s5, v1
	s_delay_alu instid0(VALU_DEP_2)
	v_add_co_ci_u32_e32 v2, vcc_lo, s7, v2, vcc_lo
	s_and_b32 s5, s4, 0x1c0
	s_mov_b32 s4, 0
	s_mov_b64 s[6:7], 0
	.p2align	6
.LBB104_63:                             ; =>This Inner Loop Header: Depth=1
	ds_load_2addr_b64 v[4:7], v3 offset1:32
	ds_load_2addr_b64 v[8:11], v3 offset0:64 offset1:96
	ds_load_2addr_b64 v[12:15], v3 offset0:128 offset1:160
	;; [unrolled: 1-line block ×3, first 2 shown]
	v_add_co_u32 v20, vcc_lo, v1, s6
	v_add_co_ci_u32_e32 v21, vcc_lo, s7, v2, vcc_lo
	s_add_i32 s4, s4, 8
	v_add_nc_u32_e32 v3, 0x800, v3
	s_add_u32 s6, s6, 64
	s_addc_u32 s7, s7, 0
	s_cmp_lg_u32 s5, s6
	s_waitcnt lgkmcnt(3)
	global_store_b128 v[20:21], v[4:7], off
	s_waitcnt lgkmcnt(2)
	global_store_b128 v[20:21], v[8:11], off offset:16
	s_waitcnt lgkmcnt(1)
	global_store_b128 v[20:21], v[12:15], off offset:32
	;; [unrolled: 2-line block ×3, first 2 shown]
	s_cbranch_scc1 .LBB104_63
.LBB104_64:
	s_and_b32 s6, s28, 7
	s_mov_b32 s5, 0
	s_cmp_eq_u32 s6, 0
	s_cbranch_scc1 .LBB104_67
; %bb.65:
	v_lshlrev_b32_e32 v2, 3, v0
	s_lshl_b64 s[8:9], s[10:11], 3
	s_lshl_b64 s[10:11], s[4:5], 3
	s_delay_alu instid0(SALU_CYCLE_1) | instskip(NEXT) | instid1(VALU_DEP_1)
	s_add_u32 s2, s2, s10
	v_add_co_u32 v3, s5, s8, v2
	s_delay_alu instid0(VALU_DEP_1) | instskip(SKIP_3) | instid1(VALU_DEP_1)
	v_add_co_ci_u32_e64 v4, null, s9, 0, s5
	s_addc_u32 s3, s3, s11
	s_add_u32 s0, s2, s0
	s_addc_u32 s1, s3, s1
	v_mul_lo_u32 v4, v4, s16
	v_mad_u64_u32 v[0:1], null, v3, s16, s[0:1]
	v_mul_lo_u32 v3, v3, s17
	v_lshl_or_b32 v2, s4, 8, v2
	s_delay_alu instid0(VALU_DEP_1) | instskip(NEXT) | instid1(VALU_DEP_3)
	v_add_nc_u32_e32 v2, 0x2000, v2
	v_add3_u32 v1, v4, v1, v3
.LBB104_66:                             ; =>This Inner Loop Header: Depth=1
	ds_load_b64 v[3:4], v2
	v_add_nc_u32_e32 v2, 0x100, v2
	s_add_i32 s6, s6, -1
	s_delay_alu instid0(SALU_CYCLE_1)
	s_cmp_lg_u32 s6, 0
	s_waitcnt lgkmcnt(0)
	global_store_b64 v[0:1], v[3:4], off
	v_add_co_u32 v0, vcc_lo, v0, 8
	v_add_co_ci_u32_e32 v1, vcc_lo, 0, v1, vcc_lo
	s_cbranch_scc1 .LBB104_66
.LBB104_67:
	s_nop 0
	s_sendmsg sendmsg(MSG_DEALLOC_VGPRS)
	s_endpgm
	.section	.rodata,"a",@progbits
	.p2align	6, 0x0
	.amdhsa_kernel _ZL38rocblas_trsm_small_left_device_sharedBILi32ELi32ELb1EddPKPKdPKPdEv13rocblas_fill_18rocblas_operation_17rocblas_diagonal_iiT3_T4_lilT5_lili
		.amdhsa_group_segment_fixed_size 16384
		.amdhsa_private_segment_fixed_size 0
		.amdhsa_kernarg_size 360
		.amdhsa_user_sgpr_count 14
		.amdhsa_user_sgpr_dispatch_ptr 0
		.amdhsa_user_sgpr_queue_ptr 0
		.amdhsa_user_sgpr_kernarg_segment_ptr 1
		.amdhsa_user_sgpr_dispatch_id 0
		.amdhsa_user_sgpr_private_segment_size 0
		.amdhsa_wavefront_size32 1
		.amdhsa_uses_dynamic_stack 0
		.amdhsa_enable_private_segment 0
		.amdhsa_system_sgpr_workgroup_id_x 1
		.amdhsa_system_sgpr_workgroup_id_y 0
		.amdhsa_system_sgpr_workgroup_id_z 1
		.amdhsa_system_sgpr_workgroup_info 0
		.amdhsa_system_vgpr_workitem_id 0
		.amdhsa_next_free_vgpr 207
		.amdhsa_next_free_sgpr 61
		.amdhsa_reserve_vcc 1
		.amdhsa_float_round_mode_32 0
		.amdhsa_float_round_mode_16_64 0
		.amdhsa_float_denorm_mode_32 3
		.amdhsa_float_denorm_mode_16_64 3
		.amdhsa_dx10_clamp 1
		.amdhsa_ieee_mode 1
		.amdhsa_fp16_overflow 0
		.amdhsa_workgroup_processor_mode 1
		.amdhsa_memory_ordered 1
		.amdhsa_forward_progress 0
		.amdhsa_shared_vgpr_count 0
		.amdhsa_exception_fp_ieee_invalid_op 0
		.amdhsa_exception_fp_denorm_src 0
		.amdhsa_exception_fp_ieee_div_zero 0
		.amdhsa_exception_fp_ieee_overflow 0
		.amdhsa_exception_fp_ieee_underflow 0
		.amdhsa_exception_fp_ieee_inexact 0
		.amdhsa_exception_int_div_zero 0
	.end_amdhsa_kernel
	.section	.text._ZL38rocblas_trsm_small_left_device_sharedBILi32ELi32ELb1EddPKPKdPKPdEv13rocblas_fill_18rocblas_operation_17rocblas_diagonal_iiT3_T4_lilT5_lili,"axG",@progbits,_ZL38rocblas_trsm_small_left_device_sharedBILi32ELi32ELb1EddPKPKdPKPdEv13rocblas_fill_18rocblas_operation_17rocblas_diagonal_iiT3_T4_lilT5_lili,comdat
.Lfunc_end104:
	.size	_ZL38rocblas_trsm_small_left_device_sharedBILi32ELi32ELb1EddPKPKdPKPdEv13rocblas_fill_18rocblas_operation_17rocblas_diagonal_iiT3_T4_lilT5_lili, .Lfunc_end104-_ZL38rocblas_trsm_small_left_device_sharedBILi32ELi32ELb1EddPKPKdPKPdEv13rocblas_fill_18rocblas_operation_17rocblas_diagonal_iiT3_T4_lilT5_lili
                                        ; -- End function
	.section	.AMDGPU.csdata,"",@progbits
; Kernel info:
; codeLenInByte = 38204
; NumSgprs: 63
; NumVgprs: 207
; ScratchSize: 0
; MemoryBound: 0
; FloatMode: 240
; IeeeMode: 1
; LDSByteSize: 16384 bytes/workgroup (compile time only)
; SGPRBlocks: 7
; VGPRBlocks: 25
; NumSGPRsForWavesPerEU: 63
; NumVGPRsForWavesPerEU: 207
; Occupancy: 2
; WaveLimiterHint : 1
; COMPUTE_PGM_RSRC2:SCRATCH_EN: 0
; COMPUTE_PGM_RSRC2:USER_SGPR: 14
; COMPUTE_PGM_RSRC2:TRAP_HANDLER: 0
; COMPUTE_PGM_RSRC2:TGID_X_EN: 1
; COMPUTE_PGM_RSRC2:TGID_Y_EN: 0
; COMPUTE_PGM_RSRC2:TGID_Z_EN: 1
; COMPUTE_PGM_RSRC2:TIDIG_COMP_CNT: 0
	.section	.text._ZL30rocblas_trsm_small_left_deviceILi32ELi32ELb1EddPKPKdPKPdEv13rocblas_fill_18rocblas_operation_17rocblas_diagonal_iiT3_T4_lilT5_lili,"axG",@progbits,_ZL30rocblas_trsm_small_left_deviceILi32ELi32ELb1EddPKPKdPKPdEv13rocblas_fill_18rocblas_operation_17rocblas_diagonal_iiT3_T4_lilT5_lili,comdat
	.globl	_ZL30rocblas_trsm_small_left_deviceILi32ELi32ELb1EddPKPKdPKPdEv13rocblas_fill_18rocblas_operation_17rocblas_diagonal_iiT3_T4_lilT5_lili ; -- Begin function _ZL30rocblas_trsm_small_left_deviceILi32ELi32ELb1EddPKPKdPKPdEv13rocblas_fill_18rocblas_operation_17rocblas_diagonal_iiT3_T4_lilT5_lili
	.p2align	8
	.type	_ZL30rocblas_trsm_small_left_deviceILi32ELi32ELb1EddPKPKdPKPdEv13rocblas_fill_18rocblas_operation_17rocblas_diagonal_iiT3_T4_lilT5_lili,@function
_ZL30rocblas_trsm_small_left_deviceILi32ELi32ELb1EddPKPKdPKPdEv13rocblas_fill_18rocblas_operation_17rocblas_diagonal_iiT3_T4_lilT5_lili: ; @_ZL30rocblas_trsm_small_left_deviceILi32ELi32ELb1EddPKPKdPKPdEv13rocblas_fill_18rocblas_operation_17rocblas_diagonal_iiT3_T4_lilT5_lili
; %bb.0:
	s_load_b128 s[16:19], s[0:1], 0x40
	s_mov_b32 s2, s15
	s_mov_b32 s3, 0
	s_clause 0x1
	s_load_b128 s[8:11], s[0:1], 0x4
	s_load_b64 s[20:21], s[0:1], 0x28
	s_lshl_b64 s[24:25], s[2:3], 3
	s_mov_b32 s15, exec_lo
	s_waitcnt lgkmcnt(0)
	s_add_u32 s12, s16, s24
	s_addc_u32 s13, s17, s25
	s_load_b128 s[4:7], s[0:1], 0x18
	s_load_b64 s[12:13], s[12:13], 0x0
	s_min_i32 s2, s10, 32
	s_delay_alu instid0(SALU_CYCLE_1)
	s_add_i32 s16, s2, -1
	v_cmpx_gt_i32_e64 s2, v0
	s_cbranch_execz .LBB105_10
; %bb.1:
	s_load_b32 s22, s[0:1], 0x30
	v_lshlrev_b32_e32 v3, 3, v0
	s_waitcnt lgkmcnt(0)
	s_ashr_i32 s23, s22, 31
	s_add_u32 s6, s6, s24
	s_addc_u32 s7, s7, s25
	s_cmp_lt_u32 s16, 3
	s_load_b64 s[6:7], s[6:7], 0x0
	s_cbranch_scc1 .LBB105_4
; %bb.2:
	s_lshl_b64 s[24:25], s[20:21], 3
	v_mov_b32_e32 v4, v3
	s_waitcnt lgkmcnt(0)
	s_add_u32 s3, s6, s24
	s_addc_u32 s17, s7, s25
	v_add_co_u32 v1, s3, s3, v3
	s_delay_alu instid0(VALU_DEP_1)
	v_add_co_ci_u32_e64 v2, null, s17, 0, s3
	s_and_b32 s3, s2, -4
	s_mul_hi_i32 s17, s22, 24
	s_mul_i32 s30, s22, 24
	s_lshl_b64 s[24:25], s[22:23], 5
	s_lshl_b64 s[26:27], s[22:23], 4
	;; [unrolled: 1-line block ×3, first 2 shown]
	s_mov_b32 s31, 0
	.p2align	6
.LBB105_3:                              ; =>This Inner Loop Header: Depth=1
	v_add_co_u32 v5, vcc_lo, v1, s28
	v_add_co_ci_u32_e32 v6, vcc_lo, s29, v2, vcc_lo
	v_add_co_u32 v7, vcc_lo, v1, s26
	v_add_co_ci_u32_e32 v8, vcc_lo, s27, v2, vcc_lo
	;; [unrolled: 2-line block ×3, first 2 shown]
	s_clause 0x3
	global_load_b64 v[11:12], v[1:2], off
	global_load_b64 v[5:6], v[5:6], off
	;; [unrolled: 1-line block ×4, first 2 shown]
	v_add_co_u32 v1, vcc_lo, v1, s24
	v_add_co_ci_u32_e32 v2, vcc_lo, s25, v2, vcc_lo
	s_add_i32 s31, s31, 4
	s_waitcnt vmcnt(2)
	ds_store_2addr_b64 v4, v[11:12], v[5:6] offset1:32
	s_waitcnt vmcnt(0)
	ds_store_2addr_b64 v4, v[7:8], v[9:10] offset0:64 offset1:96
	v_add_nc_u32_e32 v4, 0x400, v4
	s_cmp_eq_u32 s3, s31
	s_cbranch_scc0 .LBB105_3
.LBB105_4:
	s_and_b32 s17, s2, 3
	s_delay_alu instid0(SALU_CYCLE_1)
	s_cmp_eq_u32 s17, 0
	s_cbranch_scc1 .LBB105_7
; %bb.5:
	s_mul_i32 s25, s23, s3
	s_mul_hi_u32 s26, s22, s3
	s_mul_i32 s24, s22, s3
	s_add_i32 s25, s26, s25
	s_lshl_b64 s[20:21], s[20:21], 3
	s_lshl_b64 s[24:25], s[24:25], 3
	v_lshl_or_b32 v4, s3, 8, v3
	s_add_u32 s3, s24, s20
	s_addc_u32 s20, s25, s21
	s_waitcnt lgkmcnt(0)
	s_add_u32 s3, s6, s3
	s_addc_u32 s6, s7, s20
	v_add_co_u32 v1, s3, s3, v3
	s_delay_alu instid0(VALU_DEP_1)
	v_add_co_ci_u32_e64 v2, null, s6, 0, s3
	s_lshl_b64 s[6:7], s[22:23], 3
.LBB105_6:                              ; =>This Inner Loop Header: Depth=1
	global_load_b64 v[5:6], v[1:2], off
	v_add_co_u32 v1, vcc_lo, v1, s6
	v_add_co_ci_u32_e32 v2, vcc_lo, s7, v2, vcc_lo
	s_add_i32 s17, s17, -1
	s_delay_alu instid0(SALU_CYCLE_1)
	s_cmp_lg_u32 s17, 0
	s_waitcnt vmcnt(0)
	ds_store_b64 v4, v[5:6]
	v_add_nc_u32_e32 v4, 0x100, v4
	s_cbranch_scc1 .LBB105_6
.LBB105_7:
	v_mul_u32_u24_e32 v3, 33, v0
	v_mov_b32_e32 v1, 0
	v_mov_b32_e32 v2, 0x3ff00000
	s_cmpk_lg_i32 s9, 0x84
	s_delay_alu instid0(VALU_DEP_3)
	v_lshlrev_b32_e32 v3, 3, v3
	s_cbranch_scc0 .LBB105_9
; %bb.8:
	ds_load_b64 v[1:2], v3
	s_waitcnt lgkmcnt(0)
	v_div_scale_f64 v[4:5], null, v[1:2], v[1:2], 1.0
	s_delay_alu instid0(VALU_DEP_1) | instskip(SKIP_2) | instid1(VALU_DEP_1)
	v_rcp_f64_e32 v[6:7], v[4:5]
	s_waitcnt_depctr 0xfff
	v_fma_f64 v[8:9], -v[4:5], v[6:7], 1.0
	v_fma_f64 v[6:7], v[6:7], v[8:9], v[6:7]
	s_delay_alu instid0(VALU_DEP_1) | instskip(NEXT) | instid1(VALU_DEP_1)
	v_fma_f64 v[8:9], -v[4:5], v[6:7], 1.0
	v_fma_f64 v[6:7], v[6:7], v[8:9], v[6:7]
	v_div_scale_f64 v[8:9], vcc_lo, 1.0, v[1:2], 1.0
	s_delay_alu instid0(VALU_DEP_1) | instskip(NEXT) | instid1(VALU_DEP_1)
	v_mul_f64 v[10:11], v[8:9], v[6:7]
	v_fma_f64 v[4:5], -v[4:5], v[10:11], v[8:9]
	s_delay_alu instid0(VALU_DEP_1) | instskip(NEXT) | instid1(VALU_DEP_1)
	v_div_fmas_f64 v[4:5], v[4:5], v[6:7], v[10:11]
	v_div_fixup_f64 v[1:2], v[4:5], v[1:2], 1.0
.LBB105_9:
	ds_store_b64 v3, v[1:2]
.LBB105_10:
	s_or_b32 exec_lo, exec_lo, s15
	s_load_b32 s3, s[0:1], 0x68
	s_waitcnt lgkmcnt(0)
	s_lshl_b32 s6, s14, 5
	s_delay_alu instid0(SALU_CYCLE_1) | instskip(SKIP_2) | instid1(SALU_CYCLE_1)
	s_sub_i32 s7, s11, s6
	; wave barrier
	buffer_gl0_inv
	s_add_i32 s3, s3, -1
	s_cmp_ge_u32 s14, s3
	s_cselect_b32 s3, s7, 32
	s_delay_alu instid0(SALU_CYCLE_1)
	v_cmp_gt_i32_e32 vcc_lo, s3, v0
	s_mov_b32 s3, -1
	s_and_saveexec_b32 s7, vcc_lo
	s_cbranch_execz .LBB105_54
; %bb.11:
	s_load_b32 s0, s[0:1], 0x50
	v_add_nc_u32_e32 v2, s6, v0
	s_waitcnt lgkmcnt(0)
	s_delay_alu instid0(VALU_DEP_1) | instskip(SKIP_1) | instid1(SALU_CYCLE_1)
	v_mad_i64_i32 v[0:1], null, s0, v2, 0
	s_lshl_b64 s[0:1], s[18:19], 3
	s_add_u32 s6, s12, s0
	s_addc_u32 s7, s13, s1
	s_cmpk_eq_i32 s8, 0x6f
	s_delay_alu instid0(VALU_DEP_1) | instskip(NEXT) | instid1(VALU_DEP_1)
	v_lshlrev_b64 v[112:113], 3, v[0:1]
	v_add_co_u32 v110, vcc_lo, s6, v112
	s_delay_alu instid0(VALU_DEP_2)
	v_add_co_ci_u32_e32 v111, vcc_lo, s7, v113, vcc_lo
	s_cbranch_scc1 .LBB105_34
; %bb.12:
	s_cmp_gt_i32 s10, 31
	s_mov_b32 s6, s16
	s_cbranch_scc0 .LBB105_14
; %bb.13:
	s_ashr_i32 s17, s16, 31
	s_mov_b32 s3, 0
	s_lshl_b64 s[6:7], s[16:17], 3
	s_delay_alu instid0(SALU_CYCLE_1) | instskip(SKIP_2) | instid1(SALU_CYCLE_1)
	v_add_co_u32 v114, vcc_lo, v110, s6
	v_add_co_ci_u32_e32 v115, vcc_lo, s7, v111, vcc_lo
	s_lshl_b64 s[6:7], s[2:3], 3
	v_add_co_u32 v92, vcc_lo, v110, s6
	global_load_b64 v[12:13], v[114:115], off
	v_add_co_ci_u32_e32 v93, vcc_lo, s7, v111, vcc_lo
	s_clause 0x4
	global_load_b64 v[20:21], v[92:93], off offset:-16
	global_load_b128 v[0:3], v[92:93], off offset:-32
	global_load_b128 v[4:7], v[92:93], off offset:-48
	;; [unrolled: 1-line block ×4, first 2 shown]
	s_mul_i32 s7, s16, 0x108
	s_delay_alu instid0(SALU_CYCLE_1)
	s_add_i32 s3, s7, 0xfffffef8
	s_add_i32 s8, s7, 0xfffffbe0
	s_waitcnt vmcnt(5)
	v_mul_f64 v[22:23], v[12:13], s[4:5]
	v_mov_b32_e32 v12, s7
	ds_load_b64 v[24:25], v12
	v_mov_b32_e32 v12, s3
	s_lshl_b32 s3, s2, 5
	s_delay_alu instid0(SALU_CYCLE_1) | instskip(SKIP_2) | instid1(SALU_CYCLE_1)
	s_add_i32 s3, s3, s16
	ds_load_2addr_b64 v[12:15], v12 offset1:1
	s_lshl_b32 s3, s3, 3
	s_add_i32 s6, s3, 0xfffffd00
	s_add_i32 s17, s3, 0xfffff2c0
	;; [unrolled: 1-line block ×20, first 2 shown]
	v_mov_b32_e32 v164, s29
	s_add_i32 s29, s3, 0xfffff0a0
	s_add_i32 s31, s3, 0xffffe8d0
	s_waitcnt lgkmcnt(1)
	v_mul_f64 v[116:117], v[24:25], v[22:23]
	v_mov_b32_e32 v22, s6
	global_load_b128 v[24:27], v[92:93], off offset:-80
	s_add_i32 s6, s7, 0xfffffdf0
	s_add_i32 s33, s3, 0xffffe4f0
	v_mov_b32_e32 v28, s6
	ds_load_b64 v[22:23], v22
	s_add_i32 s6, s3, 0xfffffbf8
	ds_load_2addr_b64 v[28:31], v28 offset1:1
	s_waitcnt lgkmcnt(2)
	v_mul_f64 v[14:15], v[116:117], v[14:15]
	s_waitcnt lgkmcnt(1)
	v_mul_f64 v[40:41], v[116:117], v[22:23]
	s_waitcnt vmcnt(5)
	s_delay_alu instid0(VALU_DEP_2) | instskip(SKIP_2) | instid1(VALU_DEP_3)
	v_fma_f64 v[14:15], v[20:21], s[4:5], -v[14:15]
	v_mov_b32_e32 v20, s6
	s_waitcnt vmcnt(4)
	v_fma_f64 v[2:3], v[2:3], s[4:5], -v[40:41]
	s_add_i32 s6, s7, 0xfffffce8
	s_delay_alu instid0(SALU_CYCLE_1)
	v_mov_b32_e32 v36, s6
	ds_load_2addr_b64 v[32:35], v20 offset1:1
	global_load_b128 v[20:23], v[92:93], off offset:-96
	s_add_i32 s6, s3, 0xfffffb00
	ds_load_2addr_b64 v[36:39], v36 offset1:1
	s_waitcnt lgkmcnt(1)
	v_mul_f64 v[34:35], v[116:117], v[34:35]
	v_mul_f64 v[118:119], v[12:13], v[14:15]
	v_mov_b32_e32 v12, s6
	s_add_i32 s6, s3, 0xfffffaf0
	s_delay_alu instid0(SALU_CYCLE_1)
	v_mov_b32_e32 v14, s6
	s_add_i32 s6, s3, 0xfffff9f8
	ds_load_b64 v[12:13], v12
	ds_load_2addr_b64 v[40:43], v14 offset1:1
	v_fma_f64 v[34:35], v[0:1], s[4:5], -v[34:35]
	v_mov_b32_e32 v0, s6
	s_add_i32 s6, s3, 0xfffff8f8
	v_fma_f64 v[30:31], -v[118:119], v[30:31], v[2:3]
	ds_load_2addr_b64 v[0:3], v0 offset1:1
	s_waitcnt lgkmcnt(2)
	v_mul_f64 v[44:45], v[116:117], v[12:13]
	s_waitcnt lgkmcnt(0)
	v_mul_f64 v[48:49], v[116:117], v[2:3]
	v_fma_f64 v[50:51], -v[118:119], v[32:33], v[34:35]
	v_mul_f64 v[2:3], v[28:29], v[30:31]
	v_mov_b32_e32 v28, s6
	s_add_i32 s6, s3, 0xfffff8e8
	s_waitcnt vmcnt(4)
	v_fma_f64 v[6:7], v[6:7], s[4:5], -v[44:45]
	ds_load_2addr_b64 v[32:35], v28 offset1:1
	v_mov_b32_e32 v28, s6
	s_add_i32 s6, s3, 0xfffff800
	ds_load_2addr_b64 v[44:47], v28 offset1:1
	v_fma_f64 v[48:49], v[4:5], s[4:5], -v[48:49]
	v_mov_b32_e32 v4, s6
	s_add_i32 s6, s3, 0xfffff7f0
	s_waitcnt lgkmcnt(1)
	v_mul_f64 v[34:35], v[116:117], v[34:35]
	v_fma_f64 v[38:39], -v[2:3], v[38:39], v[50:51]
	ds_load_b64 v[50:51], v4
	global_load_b128 v[12:15], v[92:93], off offset:-112
	v_fma_f64 v[42:43], -v[118:119], v[42:43], v[6:7]
	v_mov_b32_e32 v4, s6
	s_add_i32 s6, s3, 0xfffff6f8
	ds_load_2addr_b64 v[4:7], v4 offset1:1
	global_load_b128 v[28:31], v[92:93], off offset:-128
	v_fma_f64 v[62:63], -v[118:119], v[0:1], v[48:49]
	v_mov_b32_e32 v48, s8
	s_waitcnt lgkmcnt(1)
	v_mul_f64 v[60:61], v[116:117], v[50:51]
	s_add_i32 s8, s3, 0xfffff6e8
	s_waitcnt vmcnt(5)
	v_fma_f64 v[18:19], v[18:19], s[4:5], -v[34:35]
	v_mov_b32_e32 v34, s6
	s_add_i32 s6, s3, 0xfffff9e8
	v_mov_b32_e32 v56, s8
	s_add_i32 s8, s3, 0xfffff7e0
	v_mul_f64 v[0:1], v[36:37], v[38:39]
	v_mov_b32_e32 v38, s6
	s_add_i32 s6, s7, 0xfffffad8
	v_fma_f64 v[42:43], -v[2:3], v[40:41], v[42:43]
	ds_load_2addr_b64 v[34:37], v34 offset1:1
	ds_load_2addr_b64 v[38:41], v38 offset1:1
	;; [unrolled: 1-line block ×3, first 2 shown]
	v_mov_b32_e32 v52, s6
	s_add_i32 s6, s3, 0xfffff600
	ds_load_2addr_b64 v[52:55], v52 offset1:1
	ds_load_2addr_b64 v[56:59], v56 offset1:1
	v_fma_f64 v[60:61], v[16:17], s[4:5], -v[60:61]
	s_waitcnt lgkmcnt(4)
	v_mul_f64 v[36:37], v[116:117], v[36:37]
	s_waitcnt lgkmcnt(3)
	v_fma_f64 v[62:63], -v[2:3], v[40:41], v[62:63]
	v_fma_f64 v[32:33], -v[118:119], v[32:33], v[18:19]
	v_mov_b32_e32 v16, s6
	s_add_i32 s6, s3, 0xfffff5f0
	s_delay_alu instid0(SALU_CYCLE_1)
	v_mov_b32_e32 v40, s6
	s_add_i32 s6, s3, 0xfffff4f8
	ds_load_b64 v[64:65], v16
	s_waitcnt lgkmcnt(3)
	v_fma_f64 v[50:51], -v[0:1], v[50:51], v[42:43]
	ds_load_2addr_b64 v[40:43], v40 offset1:1
	v_fma_f64 v[60:61], -v[118:119], v[6:7], v[60:61]
	s_waitcnt vmcnt(3)
	v_fma_f64 v[26:27], v[26:27], s[4:5], -v[36:37]
	v_mov_b32_e32 v36, s6
	v_fma_f64 v[62:63], -v[0:1], v[38:39], v[62:63]
	v_fma_f64 v[32:33], -v[2:3], v[46:47], v[32:33]
	s_add_i32 s6, s3, 0xfffff4e8
	ds_load_2addr_b64 v[36:39], v36 offset1:1
	global_load_b128 v[16:19], v[92:93], off offset:-144
	s_waitcnt lgkmcnt(2)
	v_mul_f64 v[64:65], v[116:117], v[64:65]
	v_mov_b32_e32 v46, s6
	s_add_i32 s6, s3, 0xfffff3f8
	v_mul_f64 v[6:7], v[48:49], v[50:51]
	ds_load_2addr_b64 v[46:49], v46 offset1:1
	s_waitcnt lgkmcnt(1)
	v_mul_f64 v[38:39], v[116:117], v[38:39]
	v_fma_f64 v[4:5], -v[2:3], v[4:5], v[60:61]
	v_fma_f64 v[76:77], -v[118:119], v[34:35], v[26:27]
	v_mov_b32_e32 v60, s8
	s_add_i32 s8, s3, 0xfffff3e8
	v_fma_f64 v[44:45], -v[0:1], v[44:45], v[32:33]
	v_mov_b32_e32 v72, s8
	s_add_i32 s8, s7, 0xfffff9d0
	v_fma_f64 v[50:51], v[24:25], s[4:5], -v[64:65]
	v_mov_b32_e32 v24, s6
	s_add_i32 s6, s3, 0xfffff8d8
	s_delay_alu instid0(SALU_CYCLE_1)
	v_mov_b32_e32 v64, s6
	s_add_i32 s6, s3, 0xfffff7d0
	ds_load_2addr_b64 v[32:35], v24 offset1:1
	global_load_b128 v[24:27], v[92:93], off offset:-160
	v_mov_b32_e32 v68, s6
	v_fma_f64 v[54:55], -v[6:7], v[54:55], v[62:63]
	ds_load_2addr_b64 v[60:63], v60 offset1:1
	ds_load_2addr_b64 v[64:67], v64 offset1:1
	s_add_i32 s6, s3, 0xfffff300
	ds_load_2addr_b64 v[68:71], v68 offset1:1
	ds_load_2addr_b64 v[72:75], v72 offset1:1
	s_waitcnt lgkmcnt(4)
	v_mul_f64 v[34:35], v[116:117], v[34:35]
	s_waitcnt vmcnt(4)
	v_fma_f64 v[22:23], v[22:23], s[4:5], -v[38:39]
	s_waitcnt lgkmcnt(2)
	v_fma_f64 v[44:45], -v[6:7], v[66:67], v[44:45]
	v_fma_f64 v[38:39], -v[118:119], v[42:43], v[50:51]
	;; [unrolled: 1-line block ×4, first 2 shown]
	v_mov_b32_e32 v50, s6
	s_add_i32 s6, s3, 0xfffff2f0
	v_mul_f64 v[4:5], v[52:53], v[54:55]
	ds_load_b64 v[54:55], v50
	v_mov_b32_e32 v50, s6
	s_add_i32 s6, s3, 0xfffff1f8
	ds_load_2addr_b64 v[50:53], v50 offset1:1
	v_fma_f64 v[66:67], v[20:21], s[4:5], -v[34:35]
	v_mov_b32_e32 v20, s6
	s_add_i32 s6, s3, 0xfffff6d8
	v_fma_f64 v[80:81], -v[118:119], v[36:37], v[22:23]
	s_waitcnt lgkmcnt(1)
	v_mul_f64 v[62:63], v[116:117], v[54:55]
	v_mov_b32_e32 v54, s8
	ds_load_2addr_b64 v[34:37], v20 offset1:1
	global_load_b128 v[20:23], v[92:93], off offset:-176
	s_add_i32 s8, s3, 0xfffff5d0
	s_delay_alu instid0(SALU_CYCLE_1)
	v_mov_b32_e32 v76, s8
	s_add_i32 s8, s7, 0xfffff8c8
	v_fma_f64 v[82:83], -v[2:3], v[40:41], v[38:39]
	v_fma_f64 v[84:85], -v[0:1], v[56:57], v[42:43]
	;; [unrolled: 1-line block ×3, first 2 shown]
	v_mov_b32_e32 v38, s9
	v_mov_b32_e32 v42, s6
	s_add_i32 s6, s3, 0xfffff6c8
	s_add_i32 s9, s3, 0xfffff2e0
	v_fma_f64 v[60:61], -v[4:5], v[64:65], v[44:45]
	ds_load_2addr_b64 v[38:41], v38 offset1:1
	ds_load_2addr_b64 v[42:45], v42 offset1:1
	ds_load_b64 v[64:65], v54
	v_mov_b32_e32 v54, s6
	s_add_i32 s6, s3, 0xfffff100
	ds_load_2addr_b64 v[54:57], v54 offset1:1
	ds_load_2addr_b64 v[76:79], v76 offset1:1
	s_waitcnt lgkmcnt(5)
	v_mul_f64 v[36:37], v[116:117], v[36:37]
	v_fma_f64 v[32:33], -v[118:119], v[32:33], v[66:67]
	v_fma_f64 v[48:49], -v[2:3], v[48:49], v[80:81]
	s_waitcnt lgkmcnt(4)
	v_fma_f64 v[40:41], -v[0:1], v[40:41], v[82:83]
	s_waitcnt lgkmcnt(3)
	v_fma_f64 v[44:45], -v[6:7], v[44:45], v[84:85]
	v_fma_f64 v[58:59], -v[4:5], v[70:71], v[58:59]
	v_fma_f64 v[32:33], -v[2:3], v[74:75], v[32:33]
	v_fma_f64 v[48:49], -v[0:1], v[46:47], v[48:49]
	s_waitcnt vmcnt(4)
	v_fma_f64 v[62:63], v[14:15], s[4:5], -v[62:63]
	s_waitcnt lgkmcnt(2)
	v_mul_f64 v[14:15], v[64:65], v[60:61]
	v_mov_b32_e32 v60, s6
	s_add_i32 s6, s3, 0xfffff0f0
	v_fma_f64 v[12:13], v[12:13], s[4:5], -v[36:37]
	v_mov_b32_e32 v64, s6
	s_add_i32 s6, s3, 0xffffeff8
	ds_load_b64 v[60:61], v60
	v_mov_b32_e32 v36, s6
	s_add_i32 s6, s3, 0xfffff4d8
	ds_load_2addr_b64 v[80:83], v64 offset1:1
	v_fma_f64 v[64:65], -v[4:5], v[42:43], v[44:45]
	v_dual_mov_b32 v44, s6 :: v_dual_mov_b32 v45, s8
	v_fma_f64 v[96:97], -v[0:1], v[72:73], v[32:33]
	s_add_i32 s8, s3, 0xffffefe8
	s_add_i32 s6, s3, 0xfffff4c8
	v_fma_f64 v[52:53], -v[118:119], v[52:53], v[62:63]
	v_fma_f64 v[62:63], -v[6:7], v[38:39], v[40:41]
	;; [unrolled: 1-line block ×3, first 2 shown]
	ds_load_2addr_b64 v[36:39], v36 offset1:1
	s_waitcnt lgkmcnt(2)
	v_mul_f64 v[60:61], v[116:117], v[60:61]
	global_load_b128 v[40:43], v[92:93], off offset:-192
	ds_load_2addr_b64 v[68:71], v44 offset1:1
	ds_load_b64 v[66:67], v45
	v_fma_f64 v[34:35], -v[118:119], v[34:35], v[12:13]
	v_mov_b32_e32 v45, s8
	s_add_i32 s8, s3, 0xffffef00
	v_mov_b32_e32 v44, s6
	v_fma_f64 v[98:99], -v[14:15], v[56:57], v[64:65]
	s_add_i32 s6, s3, 0xfffff3d8
	ds_load_2addr_b64 v[84:87], v44 offset1:1
	ds_load_2addr_b64 v[44:47], v45 offset1:1
	v_mov_b32_e32 v64, s11
	s_add_i32 s11, s3, 0xffffebf8
	s_waitcnt lgkmcnt(4)
	v_mul_f64 v[38:39], v[116:117], v[38:39]
	s_waitcnt lgkmcnt(3)
	v_fma_f64 v[70:71], -v[6:7], v[70:71], v[48:49]
	v_dual_mov_b32 v49, s9 :: v_dual_mov_b32 v48, s6
	s_add_i32 s6, s3, 0xfffff3c8
	s_add_i32 s9, s3, 0xfffff1d8
	v_fma_f64 v[52:53], -v[2:3], v[50:51], v[52:53]
	v_fma_f64 v[78:79], -v[4:5], v[78:79], v[62:63]
	s_waitcnt lgkmcnt(2)
	v_mul_f64 v[12:13], v[66:67], v[58:59]
	s_waitcnt vmcnt(4)
	v_fma_f64 v[94:95], v[30:31], s[4:5], -v[60:61]
	v_mov_b32_e32 v30, s8
	s_add_i32 s8, s3, 0xfffff1e8
	s_delay_alu instid0(SALU_CYCLE_1)
	v_dual_mov_b32 v60, s9 :: v_dual_mov_b32 v31, s8
	ds_load_b64 v[100:101], v30
	ds_load_2addr_b64 v[30:33], v31 offset1:1
	ds_load_2addr_b64 v[72:75], v49 offset1:1
	ds_load_2addr_b64 v[88:91], v48 offset1:1
	v_mov_b32_e32 v48, s6
	s_add_i32 s6, s3, 0xffffedf8
	s_add_i32 s8, s3, 0xfffff2d0
	s_delay_alu instid0(SALU_CYCLE_1)
	v_mov_b32_e32 v56, s8
	s_add_i32 s8, s7, 0xfffff7c0
	ds_load_2addr_b64 v[48:51], v48 offset1:1
	ds_load_2addr_b64 v[56:59], v56 offset1:1
	;; [unrolled: 1-line block ×4, first 2 shown]
	v_fma_f64 v[28:29], v[28:29], s[4:5], -v[38:39]
	s_waitcnt lgkmcnt(7)
	v_mul_f64 v[100:101], v[116:117], v[100:101]
	s_waitcnt lgkmcnt(4)
	v_fma_f64 v[90:91], -v[6:7], v[90:91], v[96:97]
	v_mov_b32_e32 v96, s8
	s_add_i32 s8, s3, 0xffffecf0
	v_fma_f64 v[74:75], -v[0:1], v[74:75], v[52:53]
	v_fma_f64 v[76:77], -v[14:15], v[76:77], v[78:79]
	;; [unrolled: 1-line block ×6, first 2 shown]
	v_mov_b32_e32 v32, s6
	s_add_i32 s6, s3, 0xfffff5c0
	s_delay_alu instid0(SALU_CYCLE_1)
	v_mov_b32_e32 v52, s6
	s_add_i32 s6, s3, 0xffffed00
	ds_load_2addr_b64 v[68:71], v32 offset1:1
	global_load_b128 v[32:35], v[92:93], off offset:-208
	ds_load_2addr_b64 v[52:55], v52 offset1:1
	ds_load_b64 v[96:97], v96
	v_fma_f64 v[36:37], -v[118:119], v[36:37], v[28:29]
	v_mov_b32_e32 v28, s6
	s_add_i32 s6, s3, 0xfffff0e0
	s_delay_alu instid0(SALU_CYCLE_1)
	v_mov_b32_e32 v29, s6
	s_add_i32 s6, s3, 0xfffff0d0
	s_waitcnt vmcnt(4)
	v_fma_f64 v[100:101], v[18:19], s[4:5], -v[100:101]
	s_waitcnt lgkmcnt(2)
	v_mul_f64 v[98:99], v[116:117], v[70:71]
	v_fma_f64 v[74:75], -v[6:7], v[72:73], v[74:75]
	s_waitcnt lgkmcnt(1)
	v_fma_f64 v[54:55], -v[12:13], v[54:55], v[76:77]
	s_waitcnt lgkmcnt(0)
	v_mul_f64 v[18:19], v[96:97], v[78:79]
	ds_load_b64 v[76:77], v28
	ds_load_2addr_b64 v[70:73], v29 offset1:1
	v_fma_f64 v[38:39], -v[2:3], v[80:81], v[38:39]
	v_fma_f64 v[80:81], -v[0:1], v[30:31], v[82:83]
	v_fma_f64 v[82:83], -v[4:5], v[88:89], v[90:91]
	v_fma_f64 v[86:87], -v[14:15], v[86:87], v[94:95]
	v_mov_b32_e32 v28, s6
	v_mov_b32_e32 v78, s8
	ds_load_2addr_b64 v[28:31], v28 offset1:1
	ds_load_2addr_b64 v[88:91], v78 offset1:1
	s_add_i32 s8, s7, 0xfffff6b8
	s_mul_i32 s6, s2, 0x108
	s_addk_i32 s7, 0xf5b0
	s_add_i32 s9, s6, 0xfffff3a0
	s_waitcnt lgkmcnt(3)
	v_mul_f64 v[76:77], v[116:117], v[76:77]
	v_fma_f64 v[46:47], -v[2:3], v[46:47], v[36:37]
	v_mov_b32_e32 v36, s11
	s_add_i32 s11, s3, 0xfffff1c8
	v_fma_f64 v[66:67], -v[118:119], v[66:67], v[100:101]
	ds_load_2addr_b64 v[94:97], v36 offset1:1
	v_fma_f64 v[16:17], v[16:17], s[4:5], -v[98:99]
	v_fma_f64 v[58:59], -v[4:5], v[58:59], v[74:75]
	v_fma_f64 v[78:79], -v[18:19], v[52:53], v[54:55]
	v_mov_b32_e32 v52, s8
	s_waitcnt lgkmcnt(3)
	v_fma_f64 v[72:73], -v[0:1], v[72:73], v[38:39]
	v_fma_f64 v[62:63], -v[6:7], v[62:63], v[80:81]
	;; [unrolled: 1-line block ×4, first 2 shown]
	s_add_i32 s8, s3, 0xfffff4b8
	global_load_b128 v[36:39], v[92:93], off offset:-224
	v_mov_b32_e32 v53, s8
	ds_load_2addr_b64 v[84:87], v53 offset1:1
	ds_load_b64 v[80:81], v52
	s_waitcnt lgkmcnt(2)
	v_mul_f64 v[108:109], v[116:117], v[96:97]
	v_mov_b32_e32 v52, s21
	v_mov_b32_e32 v82, s9
	s_add_i32 s8, s3, 0xffffefc8
	s_add_i32 s9, s3, 0xffffeed0
	;; [unrolled: 1-line block ×3, first 2 shown]
	s_waitcnt vmcnt(4)
	v_fma_f64 v[26:27], v[26:27], s[4:5], -v[76:77]
	v_fma_f64 v[44:45], -v[0:1], v[44:45], v[46:47]
	ds_load_2addr_b64 v[52:55], v52 offset1:1
	v_mov_b32_e32 v76, s21
	s_add_i32 s21, s3, 0xffffe9e8
	v_fma_f64 v[130:131], -v[2:3], v[64:65], v[66:67]
	v_mov_b32_e32 v64, s14
	s_add_i32 s14, s3, 0xfffff0b0
	v_fma_f64 v[128:129], -v[118:119], v[68:69], v[16:17]
	;; [unrolled: 3-line block ×3, first 2 shown]
	v_mov_b32_e32 v57, s17
	s_waitcnt lgkmcnt(1)
	v_mul_f64 v[16:17], v[80:81], v[78:79]
	v_mov_b32_e32 v59, s20
	v_fma_f64 v[46:47], -v[6:7], v[70:71], v[72:73]
	v_fma_f64 v[132:133], -v[4:5], v[60:61], v[62:63]
	;; [unrolled: 1-line block ×4, first 2 shown]
	v_dual_mov_b32 v48, s23 :: v_dual_mov_b32 v49, s22
	v_dual_mov_b32 v61, s11 :: v_dual_mov_b32 v56, s15
	v_mov_b32_e32 v58, s19
	ds_load_b64 v[138:139], v48
	ds_load_2addr_b64 v[48:51], v49 offset1:1
	ds_load_2addr_b64 v[96:99], v59 offset1:1
	;; [unrolled: 1-line block ×6, first 2 shown]
	v_fma_f64 v[108:109], v[24:25], s[4:5], -v[108:109]
	v_mov_b32_e32 v24, s25
	v_mov_b32_e32 v60, s18
	;; [unrolled: 1-line block ×4, first 2 shown]
	v_fma_f64 v[90:91], -v[118:119], v[90:91], v[26:27]
	ds_load_2addr_b64 v[56:59], v82 offset1:1
	ds_load_2addr_b64 v[60:63], v60 offset1:1
	;; [unrolled: 1-line block ×7, first 2 shown]
	s_add_i32 s11, s3, 0xfffff0c0
	s_add_i32 s15, s3, 0xffffecd0
	;; [unrolled: 1-line block ×9, first 2 shown]
	s_waitcnt lgkmcnt(13)
	v_mul_f64 v[138:139], v[116:117], v[138:139]
	s_waitcnt lgkmcnt(12)
	v_fma_f64 v[50:51], -v[2:3], v[50:51], v[128:129]
	s_waitcnt lgkmcnt(11)
	v_fma_f64 v[98:99], -v[0:1], v[98:99], v[130:131]
	;; [unrolled: 2-line block ×3, first 2 shown]
	v_mov_b32_e32 v44, s7
	s_waitcnt lgkmcnt(8)
	v_fma_f64 v[122:123], -v[12:13], v[122:123], v[134:135]
	s_add_i32 s7, s6, 0xfffff298
	s_add_i32 s20, s3, 0xffffebc8
	;; [unrolled: 1-line block ×3, first 2 shown]
	v_fma_f64 v[30:31], -v[4:5], v[30:31], v[46:47]
	v_fma_f64 v[106:107], -v[14:15], v[106:107], v[132:133]
	s_waitcnt lgkmcnt(7)
	v_fma_f64 v[126:127], -v[18:19], v[126:127], v[136:137]
	v_fma_f64 v[128:129], -v[16:17], v[84:85], v[86:87]
	ds_load_2addr_b64 v[84:87], v24 offset1:1
	global_load_b128 v[24:27], v[92:93], off offset:-240
	ds_load_b64 v[92:93], v44
	v_mov_b32_e32 v44, s7
	s_add_i32 s7, s6, 0xffffee78
	v_mov_b32_e32 v162, s23
	v_mov_b32_e32 v140, s7
	s_add_i32 s7, s3, 0xffffe900
	ds_load_2addr_b64 v[44:47], v44 offset1:1
	v_fma_f64 v[134:135], -v[118:119], v[94:95], v[108:109]
	v_mov_b32_e32 v94, s17
	s_add_i32 s17, s3, 0xffffeae0
	v_mov_b32_e32 v163, s25
	s_add_i32 s23, s3, 0xffffecc0
	v_fma_f64 v[136:137], -v[2:3], v[88:89], v[90:91]
	v_mov_b32_e32 v90, s15
	s_add_i32 s15, s3, 0xffffe7f8
	s_add_i32 s25, s3, 0xffffe7d8
	s_waitcnt lgkmcnt(2)
	v_mul_f64 v[130:131], v[116:117], v[86:87]
	v_dual_mov_b32 v86, s7 :: v_dual_mov_b32 v87, s8
	s_add_i32 s7, s6, 0xfffff088
	s_add_i32 s8, s6, 0xffffef80
	s_waitcnt vmcnt(4)
	v_fma_f64 v[132:133], v[22:23], s[4:5], -v[138:139]
	v_fma_f64 v[48:49], -v[0:1], v[48:49], v[50:51]
	v_fma_f64 v[50:51], -v[6:7], v[96:97], v[98:99]
	v_fma_f64 v[98:99], -v[4:5], v[100:101], v[102:103]
	v_fma_f64 v[121:122], -v[18:19], v[120:121], v[122:123]
	v_mov_b32_e32 v120, s9
	s_add_i32 s9, s3, 0xfffff1a8
	v_fma_f64 v[100:101], -v[14:15], v[28:29], v[30:31]
	v_fma_f64 v[138:139], -v[12:13], v[104:105], v[106:107]
	;; [unrolled: 1-line block ×3, first 2 shown]
	ds_load_b64 v[125:126], v86
	s_waitcnt lgkmcnt(2)
	v_mul_f64 v[22:23], v[92:93], v[128:129]
	v_mov_b32_e32 v86, s11
	ds_load_2addr_b64 v[106:109], v87 offset1:1
	ds_load_2addr_b64 v[28:31], v140 offset1:1
	s_add_i32 s11, s3, 0xffffefb8
	v_mov_b32_e32 v127, s24
	ds_load_2addr_b64 v[102:105], v86 offset1:1
	v_mov_b32_e32 v86, s14
	ds_load_2addr_b64 v[86:89], v86 offset1:1
	ds_load_2addr_b64 v[90:93], v90 offset1:1
	;; [unrolled: 1-line block ×3, first 2 shown]
	v_fma_f64 v[54:55], -v[2:3], v[54:55], v[134:135]
	v_mov_b32_e32 v129, s22
	s_add_i32 s14, s3, 0xffffefa8
	s_add_i32 s24, s3, 0xffffe500
	v_mov_b32_e32 v161, s14
	s_add_i32 s14, s3, 0xffffeda8
	s_waitcnt lgkmcnt(6)
	v_mul_f64 v[125:126], v[116:117], v[125:126]
	v_fma_f64 v[20:21], v[20:21], s[4:5], -v[130:131]
	s_add_i32 s22, s3, 0xffffe9b8
	s_waitcnt lgkmcnt(5)
	v_fma_f64 v[108:109], -v[0:1], v[108:109], v[136:137]
	v_mov_b32_e32 v137, s9
	s_add_i32 s9, s6, 0xffffed70
	v_fma_f64 v[82:83], -v[118:119], v[82:83], v[132:133]
	v_fma_f64 v[78:79], -v[6:7], v[78:79], v[48:49]
	;; [unrolled: 1-line block ×4, first 2 shown]
	v_mov_b32_e32 v48, s15
	v_fma_f64 v[62:63], -v[16:17], v[62:63], v[121:122]
	v_mov_b32_e32 v133, s11
	s_add_i32 s15, s3, 0xffffead0
	s_add_i32 s11, s3, 0xffffee90
	s_waitcnt lgkmcnt(3)
	v_fma_f64 v[104:105], -v[12:13], v[104:105], v[100:101]
	v_fma_f64 v[66:67], -v[18:19], v[66:67], v[138:139]
	ds_load_2addr_b64 v[98:101], v48 offset1:1
	v_mov_b32_e32 v181, s22
	v_fma_f64 v[58:59], -v[22:23], v[58:59], v[123:124]
	s_add_i32 s22, s3, 0xffffe6b0
	v_fma_f64 v[145:146], -v[0:1], v[52:53], v[54:55]
	v_mov_b32_e32 v52, s27
	v_dual_mov_b32 v54, s21 :: v_dual_mov_b32 v55, s17
	v_mov_b32_e32 v53, s19
	s_add_i32 s27, s3, 0xffffe8e0
	ds_load_b64 v[159:160], v52
	s_waitcnt lgkmcnt(1)
	v_mul_f64 v[141:142], v[116:117], v[100:101]
	s_waitcnt vmcnt(3)
	v_fma_f64 v[42:43], v[42:43], s[4:5], -v[125:126]
	v_fma_f64 v[84:85], -v[118:119], v[84:85], v[20:21]
	v_fma_f64 v[108:109], -v[6:7], v[106:107], v[108:109]
	v_mov_b32_e32 v48, s26
	v_fma_f64 v[143:144], -v[2:3], v[80:81], v[82:83]
	v_fma_f64 v[147:148], -v[4:5], v[76:77], v[78:79]
	;; [unrolled: 1-line block ×4, first 2 shown]
	ds_load_2addr_b64 v[48:51], v48 offset1:1
	v_fma_f64 v[157:158], -v[22:23], v[60:61], v[62:63]
	v_mov_b32_e32 v68, s20
	v_mov_b32_e32 v72, s15
	;; [unrolled: 1-line block ×3, first 2 shown]
	v_fma_f64 v[153:154], -v[18:19], v[102:103], v[104:105]
	v_fma_f64 v[155:156], -v[16:17], v[64:65], v[66:67]
	ds_load_2addr_b64 v[100:103], v54 offset1:1
	ds_load_2addr_b64 v[104:107], v55 offset1:1
	;; [unrolled: 1-line block ×6, first 2 shown]
	v_mul_f64 v[20:21], v[56:57], v[58:59]
	v_mov_b32_e32 v80, s28
	ds_load_2addr_b64 v[137:140], v137 offset1:1
	ds_load_2addr_b64 v[52:55], v120 offset1:1
	;; [unrolled: 1-line block ×9, first 2 shown]
	s_waitcnt lgkmcnt(16)
	v_mul_f64 v[159:160], v[116:117], v[159:160]
	s_add_i32 s28, s3, 0xffffe5e8
	s_add_i32 s17, s3, 0xffffebb8
	;; [unrolled: 1-line block ×8, first 2 shown]
	v_dual_mov_b32 v178, s15 :: v_dual_mov_b32 v179, s18
	v_mov_b32_e32 v180, s20
	v_mov_b32_e32 v182, s26
	s_add_i32 s26, s3, 0xffffe8c0
	s_add_i32 s15, s3, 0xffffe9a8
	s_waitcnt lgkmcnt(12)
	v_fma_f64 v[123:124], -v[6:7], v[123:124], v[145:146]
	s_add_i32 s20, s3, 0xffffe7a8
	v_fma_f64 v[141:142], v[40:41], s[4:5], -v[141:142]
	v_fma_f64 v[96:97], -v[118:119], v[96:97], v[42:43]
	v_fma_f64 v[84:85], -v[2:3], v[102:103], v[84:85]
	;; [unrolled: 1-line block ×3, first 2 shown]
	ds_load_2addr_b64 v[40:43], v164 offset1:1
	v_fma_f64 v[102:103], -v[0:1], v[106:107], v[143:144]
	s_waitcnt lgkmcnt(12)
	v_fma_f64 v[107:108], -v[14:15], v[127:128], v[147:148]
	s_waitcnt lgkmcnt(11)
	;; [unrolled: 2-line block ×3, first 2 shown]
	v_fma_f64 v[131:132], -v[18:19], v[135:136], v[151:152]
	v_mov_b32_e32 v109, s24
	s_add_i32 s24, s3, 0xffffe6e0
	v_mov_b32_e32 v106, s9
	s_add_i32 s9, s3, 0xffffeea0
	s_add_i32 s18, s3, 0xffffe5b8
	v_fma_f64 v[88:89], -v[16:17], v[88:89], v[153:154]
	s_waitcnt lgkmcnt(9)
	v_fma_f64 v[135:136], -v[22:23], v[139:140], v[155:156]
	v_fma_f64 v[139:140], -v[20:21], v[46:47], v[157:158]
	v_dual_mov_b32 v47, s7 :: v_dual_mov_b32 v46, s8
	s_add_i32 s8, s3, 0xffffef98
	s_add_i32 s7, s3, 0xffffed88
	s_waitcnt lgkmcnt(0)
	v_mul_f64 v[143:144], v[116:117], v[42:43]
	v_dual_mov_b32 v42, s27 :: v_dual_mov_b32 v43, s23
	s_add_i32 s23, s3, 0xffffe5d8
	s_add_i32 s27, s3, 0xffffe6d0
	s_delay_alu instid0(SALU_CYCLE_1)
	v_mov_b32_e32 v183, s27
	s_add_i32 s27, s3, 0xffffe100
	v_fma_f64 v[151:152], -v[4:5], v[121:122], v[123:124]
	v_fma_f64 v[141:142], -v[118:119], v[98:99], v[141:142]
	s_waitcnt vmcnt(2)
	v_fma_f64 v[145:146], v[34:35], s[4:5], -v[159:160]
	v_fma_f64 v[147:148], -v[2:3], v[94:95], v[96:97]
	v_fma_f64 v[149:150], -v[0:1], v[100:101], v[84:85]
	;; [unrolled: 1-line block ×7, first 2 shown]
	ds_load_2addr_b64 v[96:99], v42 offset1:1
	ds_load_2addr_b64 v[100:103], v43 offset1:1
	v_mov_b32_e32 v42, s29
	ds_load_b64 v[132:133], v109
	v_mov_b32_e32 v84, s30
	v_fma_f64 v[128:129], -v[22:23], v[86:87], v[88:89]
	v_fma_f64 v[130:131], -v[20:21], v[137:138], v[135:136]
	ds_load_2addr_b64 v[120:123], v42 offset1:1
	v_mov_b32_e32 v109, s34
	v_mul_f64 v[34:35], v[44:45], v[139:140]
	v_mov_b32_e32 v88, s31
	v_mov_b32_e32 v92, s33
	ds_load_2addr_b64 v[42:45], v47 offset1:1
	ds_load_2addr_b64 v[84:87], v84 offset1:1
	;; [unrolled: 1-line block ×4, first 2 shown]
	s_add_i32 s29, s3, 0xffffe3e8
	v_fma_f64 v[32:33], v[32:33], s[4:5], -v[143:144]
	s_add_i32 s31, s3, 0xffffe300
	v_mov_b32_e32 v47, s8
	s_add_i32 s30, s3, 0xffffe2f0
	v_mov_b32_e32 v136, s17
	v_mov_b32_e32 v144, s19
	v_dual_mov_b32 v140, s21 :: v_dual_mov_b32 v137, s25
	s_waitcnt lgkmcnt(5)
	v_mul_f64 v[132:133], v[116:117], v[132:133]
	s_add_i32 s33, s3, 0xffffe1f8
	s_add_i32 s34, s3, 0xffffe4d0
	v_mov_b32_e32 v184, s33
	v_fma_f64 v[70:71], -v[14:15], v[70:71], v[151:152]
	v_mov_b32_e32 v152, s11
	v_fma_f64 v[50:51], -v[2:3], v[50:51], v[141:142]
	v_fma_f64 v[82:83], -v[118:119], v[82:83], v[145:146]
	;; [unrolled: 1-line block ×9, first 2 shown]
	v_dual_mov_b32 v102, s29 :: v_dual_mov_b32 v127, s31
	v_dual_mov_b32 v126, s28 :: v_dual_mov_b32 v153, s14
	s_add_i32 s31, s3, 0xffffeca0
	s_waitcnt lgkmcnt(4)
	v_fma_f64 v[107:108], -v[20:21], v[122:123], v[128:129]
	ds_load_2addr_b64 v[122:125], v109 offset1:1
	ds_load_2addr_b64 v[102:105], v102 offset1:1
	v_mov_b32_e32 v128, s24
	v_fma_f64 v[54:55], -v[34:35], v[54:55], v[130:131]
	v_mov_b32_e32 v109, s9
	s_add_i32 s24, s3, 0xffffe4e0
	s_add_i32 s33, s3, 0xffffe8b0
	;; [unrolled: 1-line block ×4, first 2 shown]
	v_fma_f64 v[160:161], -v[118:119], v[40:41], v[32:33]
	s_add_i32 s28, s3, 0xffffe2e0
	s_add_i32 s8, s3, 0xffffeb98
	s_add_i32 s9, s3, 0xffffeb88
	s_add_i32 s11, s3, 0xffffeaa0
	s_add_i32 s14, s3, 0xffffea90
	s_add_i32 s17, s3, 0xffffe998
	s_add_i32 s19, s3, 0xffffe7b8
	s_add_i32 s21, s3, 0xffffe6c0
	s_waitcnt lgkmcnt(1)
	v_mul_f64 v[156:157], v[116:117], v[124:125]
	s_waitcnt vmcnt(1)
	v_fma_f64 v[158:159], v[38:39], s[4:5], -v[132:133]
	v_fma_f64 v[168:169], -v[12:13], v[68:69], v[70:71]
	v_fma_f64 v[162:163], -v[0:1], v[48:49], v[50:51]
	;; [unrolled: 1-line block ×10, first 2 shown]
	v_mov_b32_e32 v74, s23
	v_mov_b32_e32 v78, s30
	s_add_i32 s30, s3, 0xffffec90
	s_add_i32 s23, s3, 0xffffe5c8
	v_fma_f64 v[107:108], -v[34:35], v[120:121], v[107:108]
	v_mul_f64 v[32:33], v[52:53], v[54:55]
	ds_load_b64 v[120:121], v127
	ds_load_2addr_b64 v[98:101], v47 offset1:1
	ds_load_2addr_b64 v[38:41], v46 offset1:1
	;; [unrolled: 1-line block ×19, first 2 shown]
	s_waitcnt lgkmcnt(19)
	v_mul_f64 v[120:121], v[116:117], v[120:121]
	v_mov_b32_e32 v109, s27
	s_add_i32 s27, s3, 0xffffe3c8
	s_waitcnt lgkmcnt(16)
	v_fma_f64 v[126:127], -v[2:3], v[126:127], v[160:161]
	v_fma_f64 v[36:37], v[36:37], s[4:5], -v[156:157]
	v_fma_f64 v[156:157], -v[118:119], v[94:95], v[158:159]
	s_waitcnt lgkmcnt(13)
	v_fma_f64 v[138:139], -v[18:19], v[138:139], v[168:169]
	v_fma_f64 v[82:83], -v[0:1], v[130:131], v[82:83]
	v_fma_f64 v[130:131], -v[6:7], v[134:135], v[162:163]
	v_fma_f64 v[90:91], -v[4:5], v[90:91], v[96:97]
	s_waitcnt lgkmcnt(12)
	v_fma_f64 v[134:135], -v[14:15], v[142:143], v[164:165]
	s_waitcnt lgkmcnt(11)
	v_fma_f64 v[142:143], -v[12:13], v[146:147], v[166:167]
	v_fma_f64 v[86:87], -v[16:17], v[86:87], v[170:171]
	s_waitcnt lgkmcnt(8)
	v_fma_f64 v[146:147], -v[22:23], v[154:155], v[172:173]
	v_fma_f64 v[150:151], -v[20:21], v[150:151], v[174:175]
	;; [unrolled: 1-line block ×3, first 2 shown]
	ds_load_2addr_b64 v[94:97], v184 offset1:1
	v_fma_f64 v[44:45], -v[32:33], v[44:45], v[107:108]
	v_fma_f64 v[158:159], -v[0:1], v[124:125], v[126:127]
	s_waitcnt lgkmcnt(0)
	v_mul_f64 v[107:108], v[116:117], v[96:97]
	v_mov_b32_e32 v96, s33
	s_waitcnt vmcnt(0)
	v_fma_f64 v[154:155], v[26:27], s[4:5], -v[120:121]
	v_fma_f64 v[36:37], -v[118:119], v[122:123], v[36:37]
	v_fma_f64 v[156:157], -v[2:3], v[92:93], v[156:157]
	;; [unrolled: 1-line block ×12, first 2 shown]
	v_mov_b32_e32 v82, s26
	v_mov_b32_e32 v86, s31
	ds_load_b64 v[146:147], v109
	v_mov_b32_e32 v90, s30
	s_add_i32 s30, s3, 0xffffdff8
	ds_load_2addr_b64 v[82:85], v82 offset1:1
	ds_load_2addr_b64 v[86:89], v86 offset1:1
	s_add_i32 s31, s3, 0xffffe0f0
	v_mul_f64 v[26:27], v[42:43], v[44:45]
	v_dual_mov_b32 v42, s24 :: v_dual_mov_b32 v109, s34
	v_mov_b32_e32 v124, s31
	s_add_i32 s31, s3, 0xffffdfe8
	v_mov_b32_e32 v149, s29
	ds_load_2addr_b64 v[42:45], v42 offset1:1
	v_fma_f64 v[76:77], -v[6:7], v[76:77], v[158:159]
	ds_load_2addr_b64 v[90:93], v90 offset1:1
	ds_load_2addr_b64 v[96:99], v96 offset1:1
	;; [unrolled: 1-line block ×4, first 2 shown]
	v_mov_b32_e32 v109, s31
	s_add_i32 s24, s3, 0xffffe2d0
	s_add_i32 s26, s3, 0xffffe1d8
	v_fma_f64 v[24:25], v[24:25], s[4:5], -v[107:108]
	v_mov_b32_e32 v108, s30
	s_waitcnt lgkmcnt(7)
	v_mul_f64 v[146:147], v[116:117], v[146:147]
	v_dual_mov_b32 v148, s28 :: v_dual_mov_b32 v107, s14
	v_fma_f64 v[80:81], -v[118:119], v[80:81], v[154:155]
	v_fma_f64 v[36:37], -v[2:3], v[104:105], v[36:37]
	v_mov_b32_e32 v104, s9
	v_fma_f64 v[56:57], -v[22:23], v[56:57], v[136:137]
	v_fma_f64 v[72:73], -v[4:5], v[72:73], v[128:129]
	v_fma_f64 v[68:69], -v[14:15], v[68:69], v[130:131]
	s_waitcnt lgkmcnt(6)
	v_fma_f64 v[84:85], -v[12:13], v[84:85], v[132:133]
	v_fma_f64 v[64:65], -v[18:19], v[64:65], v[134:135]
	;; [unrolled: 1-line block ×3, first 2 shown]
	s_waitcnt lgkmcnt(4)
	v_fma_f64 v[44:45], -v[0:1], v[44:45], v[156:157]
	v_fma_f64 v[88:89], -v[20:21], v[88:89], v[138:139]
	;; [unrolled: 1-line block ×4, first 2 shown]
	ds_load_2addr_b64 v[128:131], v108 offset1:1
	ds_load_2addr_b64 v[132:135], v109 offset1:1
	v_dual_mov_b32 v144, s25 :: v_dual_mov_b32 v105, s11
	v_dual_mov_b32 v136, s15 :: v_dual_mov_b32 v137, s17
	v_dual_mov_b32 v138, s19 :: v_dual_mov_b32 v139, s20
	v_fma_f64 v[40:41], -v[26:27], v[40:41], v[100:101]
	v_dual_mov_b32 v100, s7 :: v_dual_mov_b32 v101, s8
	v_dual_mov_b32 v140, s21 :: v_dual_mov_b32 v141, s22
	;; [unrolled: 1-line block ×3, first 2 shown]
	v_fma_f64 v[160:161], -v[4:5], v[74:75], v[76:77]
	v_dual_mov_b32 v145, s27 :: v_dual_mov_b32 v150, s24
	v_mov_b32_e32 v152, s26
	s_add_i32 s7, s6, 0xffffec68
	v_fma_f64 v[94:95], -v[118:119], v[94:95], v[24:25]
	s_waitcnt lgkmcnt(1)
	v_mul_f64 v[130:131], v[116:117], v[130:131]
	v_fma_f64 v[10:11], v[10:11], s[4:5], -v[146:147]
	s_add_i32 s18, s3, 0xffffe0e0
	s_add_i32 s17, s3, 0xffffe8a0
	v_fma_f64 v[108:109], -v[2:3], v[78:79], v[80:81]
	v_fma_f64 v[156:157], -v[0:1], v[102:103], v[36:37]
	s_add_i32 s19, s3, 0xffffe890
	v_fma_f64 v[172:173], -v[20:21], v[54:55], v[56:57]
	v_fma_f64 v[162:163], -v[14:15], v[70:71], v[72:73]
	;; [unrolled: 1-line block ×10, first 2 shown]
	s_add_i32 s23, s3, 0xffffe0d0
	s_add_i32 s8, s6, 0xffffeb60
	;; [unrolled: 1-line block ×8, first 2 shown]
	v_mul_f64 v[24:25], v[38:39], v[40:41]
	ds_load_2addr_b64 v[36:39], v144 offset1:1
	ds_load_2addr_b64 v[40:43], v149 offset1:1
	;; [unrolled: 1-line block ×20, first 2 shown]
	s_add_i32 s20, s3, 0xffffe798
	s_add_i32 s21, s3, 0xffffe6a0
	;; [unrolled: 1-line block ×5, first 2 shown]
	s_waitcnt lgkmcnt(14)
	v_fma_f64 v[58:59], -v[14:15], v[58:59], v[160:161]
	s_add_i32 s28, s3, 0xffffdfd8
	s_add_i32 s29, s3, 0xffffdfc8
	v_fma_f64 v[42:43], -v[2:3], v[42:43], v[94:95]
	v_fma_f64 v[8:9], v[8:9], s[4:5], -v[130:131]
	v_fma_f64 v[10:11], -v[118:119], v[126:127], v[10:11]
	v_fma_f64 v[46:47], -v[0:1], v[46:47], v[108:109]
	v_fma_f64 v[38:39], -v[6:7], v[38:39], v[156:157]
	v_mov_b32_e32 v156, s7
	s_waitcnt lgkmcnt(9)
	v_fma_f64 v[78:79], -v[34:35], v[78:79], v[172:173]
	v_fma_f64 v[62:63], -v[12:13], v[62:63], v[162:163]
	;; [unrolled: 1-line block ×9, first 2 shown]
	s_add_i32 s7, s3, 0xffffec80
	v_mov_b32_e32 v157, s18
	s_add_i32 s18, s3, 0xffffe4c0
	v_mov_b32_e32 v166, s8
	s_add_i32 s8, s3, 0xffffeb78
	v_fma_f64 v[30:31], -v[24:25], v[30:31], v[176:177]
	v_fma_f64 v[108:109], -v[0:1], v[40:41], v[42:43]
	v_fma_f64 v[8:9], -v[118:119], v[128:129], v[8:9]
	v_fma_f64 v[92:93], -v[2:3], v[124:125], v[10:11]
	v_mov_b32_e32 v40, s17
	s_add_i32 s17, s3, 0xffffe690
	v_fma_f64 v[122:123], -v[6:7], v[44:45], v[46:47]
	v_fma_f64 v[124:125], -v[4:5], v[36:37], v[38:39]
	v_mov_b32_e32 v36, s18
	v_mov_b32_e32 v44, s7
	v_fma_f64 v[126:127], -v[18:19], v[60:61], v[62:63]
	v_fma_f64 v[130:131], -v[16:17], v[64:65], v[66:67]
	;; [unrolled: 1-line block ×10, first 2 shown]
	ds_load_2addr_b64 v[36:39], v36 offset1:1
	ds_load_2addr_b64 v[40:43], v40 offset1:1
	;; [unrolled: 1-line block ×3, first 2 shown]
	s_add_i32 s7, s3, 0xffffe4b0
	v_mov_b32_e32 v56, s19
	v_mov_b32_e32 v60, s7
	;; [unrolled: 1-line block ×3, first 2 shown]
	v_mul_f64 v[10:11], v[28:29], v[30:31]
	ds_load_2addr_b64 v[28:31], v157 offset1:1
	ds_load_2addr_b64 v[48:51], v156 offset1:1
	;; [unrolled: 1-line block ×5, first 2 shown]
	s_add_i32 s19, s3, 0xffffe3b8
	s_add_i32 s18, s3, 0xffffe788
	;; [unrolled: 1-line block ×4, first 2 shown]
	v_mov_b32_e32 v128, s25
	s_add_i32 s25, s3, 0xffffdfa8
	s_waitcnt lgkmcnt(8)
	v_fma_f64 v[78:79], -v[6:7], v[154:155], v[108:109]
	v_fma_f64 v[88:89], -v[4:5], v[150:151], v[122:123]
	;; [unrolled: 1-line block ×3, first 2 shown]
	v_mov_b32_e32 v124, s23
	s_add_i32 s23, s3, 0xffffe198
	s_waitcnt lgkmcnt(4)
	v_fma_f64 v[30:31], -v[0:1], v[30:31], v[92:93]
	v_fma_f64 v[98:99], -v[22:23], v[106:107], v[130:131]
	;; [unrolled: 1-line block ×11, first 2 shown]
	v_mov_b32_e32 v103, s19
	v_dual_mov_b32 v107, s24 :: v_dual_mov_b32 v86, s9
	v_mov_b32_e32 v96, s11
	v_dual_mov_b32 v82, s14 :: v_dual_mov_b32 v97, s15
	v_fma_f64 v[54:55], -v[10:11], v[54:55], v[76:77]
	v_dual_mov_b32 v76, s8 :: v_dual_mov_b32 v77, s20
	v_dual_mov_b32 v102, s18 :: v_dual_mov_b32 v83, s21
	v_dual_mov_b32 v106, s17 :: v_dual_mov_b32 v87, s22
	v_mov_b32_e32 v120, s7
	s_add_i32 s7, s3, 0xffffe0c0
	s_add_i32 s11, s3, 0xffffe0b0
	;; [unrolled: 1-line block ×4, first 2 shown]
	v_fma_f64 v[142:143], -v[4:5], v[152:153], v[78:79]
	s_add_i32 s22, s3, 0xffffe1a8
	s_add_i32 s9, s3, 0xffffe490
	;; [unrolled: 1-line block ×4, first 2 shown]
	v_fma_f64 v[146:147], -v[14:15], v[148:149], v[88:89]
	v_fma_f64 v[144:145], -v[12:13], v[144:145], v[90:91]
	s_add_i32 s24, s3, 0xffffdfb8
	s_add_i32 s14, s3, 0xffffe670
	v_fma_f64 v[108:109], -v[6:7], v[28:29], v[30:31]
	v_fma_f64 v[152:153], -v[20:21], v[104:105], v[98:99]
	;; [unrolled: 1-line block ×11, first 2 shown]
	v_mov_b32_e32 v36, s26
	v_mov_b32_e32 v132, s27
	v_mov_b32_e32 v100, s28
	v_mov_b32_e32 v136, s29
	s_add_i32 s17, s3, 0xffffe578
	s_add_i32 s19, s3, 0xffffe388
	v_mul_f64 v[8:9], v[52:53], v[54:55]
	ds_load_2addr_b64 v[28:31], v103 offset1:1
	ds_load_2addr_b64 v[36:39], v36 offset1:1
	;; [unrolled: 1-line block ×20, first 2 shown]
	s_add_i32 s21, s3, 0xffffe290
	s_waitcnt lgkmcnt(18)
	v_fma_f64 v[38:39], -v[14:15], v[38:39], v[142:143]
	s_waitcnt lgkmcnt(17)
	v_fma_f64 v[42:43], -v[12:13], v[42:43], v[146:147]
	v_fma_f64 v[30:31], -v[18:19], v[30:31], v[144:145]
	;; [unrolled: 1-line block ×3, first 2 shown]
	s_waitcnt lgkmcnt(12)
	v_fma_f64 v[78:79], -v[34:35], v[78:79], v[152:153]
	v_fma_f64 v[58:59], -v[32:33], v[58:59], v[154:155]
	s_waitcnt lgkmcnt(11)
	v_fma_f64 v[82:83], -v[26:27], v[82:83], v[156:157]
	s_waitcnt lgkmcnt(10)
	v_fma_f64 v[86:87], -v[24:25], v[86:87], v[158:159]
	v_fma_f64 v[62:63], -v[16:17], v[62:63], v[148:149]
	v_fma_f64 v[70:71], -v[22:23], v[70:71], v[140:141]
	v_fma_f64 v[74:75], -v[20:21], v[74:75], v[150:151]
	v_fma_f64 v[46:47], -v[10:11], v[46:47], v[160:161]
	s_waitcnt lgkmcnt(6)
	v_fma_f64 v[102:103], -v[6:7], v[102:103], v[164:165]
	v_fma_f64 v[50:51], -v[8:9], v[50:51], v[162:163]
	;; [unrolled: 1-line block ×6, first 2 shown]
	v_mov_b32_e32 v36, s7
	s_add_i32 s7, s3, 0xffffe4a0
	v_fma_f64 v[140:141], -v[22:23], v[60:61], v[62:63]
	v_fma_f64 v[68:69], -v[20:21], v[68:69], v[70:71]
	;; [unrolled: 1-line block ×9, first 2 shown]
	v_mov_b32_e32 v40, s7
	s_add_i32 s7, s3, 0xffffe880
	ds_load_2addr_b64 v[36:39], v36 offset1:1
	v_mul_f64 v[30:31], v[48:49], v[50:51]
	v_mov_b32_e32 v44, s7
	ds_load_2addr_b64 v[40:43], v40 offset1:1
	s_add_i32 s7, s6, 0xffffea58
	v_mov_b32_e32 v60, s11
	v_mov_b32_e32 v100, s7
	ds_load_2addr_b64 v[44:47], v44 offset1:1
	s_add_i32 s7, s6, 0xffffe950
	s_add_i32 s11, s3, 0xffffe680
	v_mov_b32_e32 v48, s8
	s_add_i32 s8, s3, 0xffffe778
	v_mov_b32_e32 v56, s9
	ds_load_2addr_b64 v[48:51], v48 offset1:1
	ds_load_2addr_b64 v[56:59], v56 offset1:1
	;; [unrolled: 1-line block ×3, first 2 shown]
	s_add_i32 s9, s3, 0xffffe768
	s_waitcnt lgkmcnt(8)
	v_fma_f64 v[86:87], -v[16:17], v[130:131], v[108:109]
	v_fma_f64 v[28:29], -v[22:23], v[126:127], v[28:29]
	s_waitcnt lgkmcnt(5)
	v_fma_f64 v[38:39], -v[12:13], v[38:39], v[64:65]
	v_fma_f64 v[84:85], -v[18:19], v[134:135], v[66:67]
	ds_load_2addr_b64 v[64:67], v100 offset1:1
	v_mov_b32_e32 v100, s19
	s_add_i32 s19, s3, 0xffffe270
	s_waitcnt lgkmcnt(5)
	v_fma_f64 v[42:43], -v[20:21], v[42:43], v[140:141]
	v_fma_f64 v[68:69], -v[34:35], v[122:123], v[68:69]
	;; [unrolled: 1-line block ×4, first 2 shown]
	s_waitcnt lgkmcnt(4)
	v_fma_f64 v[46:47], -v[24:25], v[46:47], v[74:75]
	v_fma_f64 v[74:75], -v[10:11], v[94:95], v[76:77]
	;; [unrolled: 1-line block ×3, first 2 shown]
	v_mov_b32_e32 v90, s7
	v_fma_f64 v[78:79], -v[14:15], v[138:139], v[82:83]
	s_add_i32 s7, s3, 0xffffe968
	v_dual_mov_b32 v82, s11 :: v_dual_mov_b32 v83, s24
	v_fma_f64 v[54:55], -v[30:31], v[54:55], v[80:81]
	v_dual_mov_b32 v80, s7 :: v_dual_mov_b32 v81, s8
	v_dual_mov_b32 v91, s9 :: v_dual_mov_b32 v94, s14
	s_add_i32 s7, s3, 0xffffe0a0
	s_add_i32 s8, s3, 0xffffe090
	;; [unrolled: 1-line block ×5, first 2 shown]
	v_fma_f64 v[128:129], -v[22:23], v[128:129], v[86:87]
	v_fma_f64 v[108:109], -v[18:19], v[36:37], v[38:39]
	;; [unrolled: 1-line block ×4, first 2 shown]
	v_mov_b32_e32 v36, s22
	v_mov_b32_e32 v124, s25
	v_fma_f64 v[134:135], -v[34:35], v[40:41], v[42:43]
	v_fma_f64 v[138:139], -v[32:33], v[120:121], v[68:69]
	;; [unrolled: 1-line block ×7, first 2 shown]
	v_mov_b32_e32 v40, s20
	v_fma_f64 v[136:137], -v[12:13], v[136:137], v[78:79]
	v_mov_b32_e32 v44, s18
	ds_load_2addr_b64 v[36:39], v36 offset1:1
	ds_load_2addr_b64 v[40:43], v40 offset1:1
	ds_load_2addr_b64 v[44:47], v44 offset1:1
	v_mul_f64 v[28:29], v[52:53], v[54:55]
	v_mov_b32_e32 v52, s15
	ds_load_2addr_b64 v[52:55], v52 offset1:1
	ds_load_2addr_b64 v[68:71], v82 offset1:1
	ds_load_2addr_b64 v[72:75], v81 offset1:1
	ds_load_2addr_b64 v[76:79], v80 offset1:1
	v_mov_b32_e32 v96, s17
	v_mov_b32_e32 v104, s21
	;; [unrolled: 1-line block ×3, first 2 shown]
	ds_load_2addr_b64 v[80:83], v83 offset1:1
	ds_load_2addr_b64 v[84:87], v90 offset1:1
	;; [unrolled: 1-line block ×9, first 2 shown]
	s_add_i32 s20, s3, 0xffffe188
	s_add_i32 s22, s3, 0xffffdf98
	;; [unrolled: 1-line block ×6, first 2 shown]
	s_waitcnt lgkmcnt(14)
	v_fma_f64 v[42:43], -v[20:21], v[42:43], v[128:129]
	s_add_i32 s23, s3, 0xffffdf88
	v_fma_f64 v[62:63], -v[16:17], v[62:63], v[108:109]
	v_fma_f64 v[38:39], -v[22:23], v[38:39], v[130:131]
	s_waitcnt lgkmcnt(13)
	v_fma_f64 v[46:47], -v[34:35], v[46:47], v[132:133]
	v_fma_f64 v[58:59], -v[32:33], v[58:59], v[134:135]
	s_waitcnt lgkmcnt(12)
	v_fma_f64 v[54:55], -v[26:27], v[54:55], v[138:139]
	s_waitcnt lgkmcnt(11)
	;; [unrolled: 2-line block ×3, first 2 shown]
	v_fma_f64 v[74:75], -v[10:11], v[74:75], v[142:143]
	v_fma_f64 v[50:51], -v[8:9], v[50:51], v[144:145]
	s_waitcnt lgkmcnt(9)
	v_fma_f64 v[78:79], -v[30:31], v[78:79], v[146:147]
	s_waitcnt lgkmcnt(8)
	v_fma_f64 v[82:83], -v[18:19], v[82:83], v[136:137]
	v_fma_f64 v[66:67], -v[28:29], v[66:67], v[148:149]
	;; [unrolled: 1-line block ×3, first 2 shown]
	v_mov_b32_e32 v40, s7
	v_fma_f64 v[108:109], -v[22:23], v[60:61], v[62:63]
	v_fma_f64 v[36:37], -v[20:21], v[36:37], v[38:39]
	;; [unrolled: 1-line block ×3, first 2 shown]
	s_add_i32 s7, s3, 0xffffe480
	ds_load_2addr_b64 v[40:43], v40 offset1:1
	v_fma_f64 v[132:133], -v[26:27], v[56:57], v[58:59]
	v_fma_f64 v[134:135], -v[24:25], v[52:53], v[54:55]
	;; [unrolled: 1-line block ×6, first 2 shown]
	v_mov_b32_e32 v44, s7
	s_add_i32 s7, s3, 0xffffe860
	v_mov_b32_e32 v60, s8
	v_mov_b32_e32 v48, s7
	s_add_i32 s7, s6, 0xffffe848
	ds_load_2addr_b64 v[44:47], v44 offset1:1
	v_mov_b32_e32 v52, s7
	v_mul_f64 v[38:39], v[64:65], v[66:67]
	v_fma_f64 v[64:65], -v[16:17], v[80:81], v[82:83]
	ds_load_2addr_b64 v[48:51], v48 offset1:1
	s_add_i32 s7, s3, 0xffffe470
	s_add_i32 s8, s3, 0xffffe660
	v_mov_b32_e32 v56, s7
	s_add_i32 s7, s6, 0xffffe740
	ds_load_2addr_b64 v[52:55], v52 offset1:1
	ds_load_2addr_b64 v[56:59], v56 offset1:1
	;; [unrolled: 1-line block ×3, first 2 shown]
	v_mov_b32_e32 v80, s7
	s_add_i32 s7, s3, 0xffffe758
	s_waitcnt lgkmcnt(8)
	v_fma_f64 v[66:67], -v[32:33], v[106:107], v[128:129]
	s_waitcnt lgkmcnt(5)
	v_fma_f64 v[42:43], -v[20:21], v[42:43], v[108:109]
	v_fma_f64 v[36:37], -v[34:35], v[122:123], v[36:37]
	;; [unrolled: 1-line block ×3, first 2 shown]
	s_waitcnt lgkmcnt(4)
	v_fma_f64 v[46:47], -v[24:25], v[46:47], v[132:133]
	v_fma_f64 v[78:79], -v[10:11], v[98:99], v[134:135]
	;; [unrolled: 1-line block ×4, first 2 shown]
	s_waitcnt lgkmcnt(3)
	v_fma_f64 v[50:51], -v[28:29], v[50:51], v[72:73]
	v_fma_f64 v[72:73], -v[38:39], v[86:87], v[74:75]
	;; [unrolled: 1-line block ×4, first 2 shown]
	v_mov_b32_e32 v104, s23
	v_fma_f64 v[108:109], -v[34:35], v[40:41], v[42:43]
	v_fma_f64 v[120:121], -v[32:33], v[120:121], v[36:37]
	;; [unrolled: 1-line block ×3, first 2 shown]
	v_mov_b32_e32 v40, s20
	v_mov_b32_e32 v76, s22
	v_fma_f64 v[128:129], -v[10:11], v[44:45], v[46:47]
	v_fma_f64 v[130:131], -v[8:9], v[96:97], v[78:79]
	;; [unrolled: 1-line block ×5, first 2 shown]
	v_mov_b32_e32 v68, s8
	v_mov_b32_e32 v44, s18
	;; [unrolled: 1-line block ×3, first 2 shown]
	ds_load_2addr_b64 v[40:43], v40 offset1:1
	ds_load_2addr_b64 v[44:47], v44 offset1:1
	;; [unrolled: 1-line block ×3, first 2 shown]
	v_mov_b32_e32 v88, s14
	v_mov_b32_e32 v92, s17
	v_mul_f64 v[36:37], v[84:85], v[72:73]
	v_fma_f64 v[124:125], -v[20:21], v[124:125], v[64:65]
	v_mov_b32_e32 v64, s11
	v_mov_b32_e32 v72, s7
	ds_load_2addr_b64 v[64:67], v64 offset1:1
	ds_load_2addr_b64 v[68:71], v68 offset1:1
	;; [unrolled: 1-line block ×4, first 2 shown]
	s_add_i32 s7, s3, 0xffffe080
	v_mov_b32_e32 v84, s9
	v_mov_b32_e32 v96, s19
	;; [unrolled: 1-line block ×3, first 2 shown]
	ds_load_2addr_b64 v[80:83], v80 offset1:1
	ds_load_2addr_b64 v[84:87], v84 offset1:1
	ds_load_2addr_b64 v[88:91], v88 offset1:1
	ds_load_2addr_b64 v[92:95], v92 offset1:1
	ds_load_2addr_b64 v[96:99], v96 offset1:1
	ds_load_2addr_b64 v[100:103], v100 offset1:1
	ds_load_2addr_b64 v[104:107], v104 offset1:1
	s_add_i32 s8, s3, 0xffffe070
	s_add_i32 s14, s3, 0xffffe168
	;; [unrolled: 1-line block ×3, first 2 shown]
	s_waitcnt lgkmcnt(12)
	v_fma_f64 v[46:47], -v[24:25], v[46:47], v[122:123]
	s_add_i32 s11, s3, 0xffffe260
	v_fma_f64 v[62:63], -v[32:33], v[62:63], v[108:109]
	v_fma_f64 v[42:43], -v[26:27], v[42:43], v[120:121]
	s_waitcnt lgkmcnt(11)
	v_fma_f64 v[50:51], -v[10:11], v[50:51], v[126:127]
	s_add_i32 s9, s3, 0xffffe358
	v_fma_f64 v[58:59], -v[8:9], v[58:59], v[128:129]
	s_waitcnt lgkmcnt(10)
	v_fma_f64 v[66:67], -v[30:31], v[66:67], v[130:131]
	s_waitcnt lgkmcnt(9)
	;; [unrolled: 2-line block ×3, first 2 shown]
	v_fma_f64 v[74:75], -v[38:39], v[74:75], v[134:135]
	v_fma_f64 v[54:55], -v[36:37], v[54:55], v[136:137]
	s_waitcnt lgkmcnt(7)
	v_fma_f64 v[78:79], -v[34:35], v[78:79], v[124:125]
	v_fma_f64 v[60:61], -v[26:27], v[60:61], v[62:63]
	;; [unrolled: 1-line block ×5, first 2 shown]
	v_mov_b32_e32 v44, s7
	v_fma_f64 v[120:121], -v[30:31], v[56:57], v[58:59]
	v_fma_f64 v[64:65], -v[28:29], v[64:65], v[66:67]
	;; [unrolled: 1-line block ×4, first 2 shown]
	s_add_i32 s7, s3, 0xffffe460
	v_mov_b32_e32 v56, s8
	v_mov_b32_e32 v48, s7
	ds_load_2addr_b64 v[44:47], v44 offset1:1
	ds_load_2addr_b64 v[48:51], v48 offset1:1
	s_add_i32 s7, s3, 0xffffe450
	s_add_i32 s8, s3, 0xffffe548
	v_mul_f64 v[42:43], v[52:53], v[54:55]
	v_fma_f64 v[70:71], -v[32:33], v[76:77], v[78:79]
	v_mov_b32_e32 v52, s7
	s_add_i32 s7, s6, 0xffffe638
	ds_load_2addr_b64 v[52:55], v52 offset1:1
	ds_load_2addr_b64 v[56:59], v56 offset1:1
	s_waitcnt lgkmcnt(3)
	v_fma_f64 v[46:47], -v[24:25], v[46:47], v[60:61]
	v_fma_f64 v[40:41], -v[10:11], v[102:103], v[40:41]
	;; [unrolled: 1-line block ×4, first 2 shown]
	v_mov_b32_e32 v60, s7
	s_waitcnt lgkmcnt(2)
	v_fma_f64 v[50:51], -v[28:29], v[50:51], v[120:121]
	v_fma_f64 v[64:65], -v[38:39], v[90:91], v[64:65]
	;; [unrolled: 1-line block ×3, first 2 shown]
	s_add_i32 s7, s6, 0xffffe530
	ds_load_2addr_b64 v[60:63], v60 offset1:1
	v_mov_b32_e32 v76, s7
	s_add_i32 s7, s3, 0xffffe348
	v_fma_f64 v[68:69], -v[42:43], v[82:83], v[68:69]
	v_fma_f64 v[70:71], -v[26:27], v[106:107], v[70:71]
	v_fma_f64 v[98:99], -v[10:11], v[44:45], v[46:47]
	v_fma_f64 v[100:101], -v[8:9], v[100:101], v[40:41]
	v_fma_f64 v[96:97], -v[30:31], v[96:97], v[72:73]
	v_fma_f64 v[102:103], -v[28:29], v[92:93], v[74:75]
	v_mov_b32_e32 v44, s14
	v_fma_f64 v[106:107], -v[38:39], v[48:49], v[50:51]
	v_fma_f64 v[108:109], -v[36:37], v[88:89], v[64:65]
	;; [unrolled: 1-line block ×3, first 2 shown]
	v_mov_b32_e32 v72, s15
	v_mov_b32_e32 v48, s11
	;; [unrolled: 1-line block ×3, first 2 shown]
	ds_load_2addr_b64 v[44:47], v44 offset1:1
	ds_load_2addr_b64 v[48:51], v48 offset1:1
	;; [unrolled: 1-line block ×4, first 2 shown]
	s_add_i32 s9, s3, 0xffffe158
	s_add_i32 s11, s3, 0xffffdf68
	v_mov_b32_e32 v88, s9
	v_mul_f64 v[40:41], v[80:81], v[68:69]
	v_fma_f64 v[104:105], -v[24:25], v[104:105], v[70:71]
	v_mov_b32_e32 v68, s8
	v_mov_b32_e32 v80, s7
	s_add_i32 s7, s3, 0xffffe060
	s_add_i32 s8, s3, 0xffffe250
	v_mov_b32_e32 v92, s11
	ds_load_2addr_b64 v[68:71], v68 offset1:1
	v_mov_b32_e32 v84, s8
	ds_load_2addr_b64 v[76:79], v76 offset1:1
	ds_load_2addr_b64 v[80:83], v80 offset1:1
	;; [unrolled: 1-line block ×5, first 2 shown]
	s_add_i32 s8, s3, 0xffffe050
	s_add_i32 s9, s3, 0xffffe148
	;; [unrolled: 1-line block ×3, first 2 shown]
	s_waitcnt lgkmcnt(11)
	v_fma_f64 v[58:59], -v[8:9], v[58:59], v[98:99]
	s_waitcnt lgkmcnt(9)
	v_fma_f64 v[46:47], -v[30:31], v[46:47], v[100:101]
	;; [unrolled: 2-line block ×4, first 2 shown]
	v_fma_f64 v[54:55], -v[36:37], v[54:55], v[106:107]
	s_waitcnt lgkmcnt(5)
	v_fma_f64 v[70:71], -v[42:43], v[70:71], v[108:109]
	v_fma_f64 v[62:63], -v[40:41], v[62:63], v[120:121]
	v_fma_f64 v[74:75], -v[10:11], v[74:75], v[104:105]
	v_fma_f64 v[96:97], -v[30:31], v[56:57], v[58:59]
	v_fma_f64 v[44:45], -v[28:29], v[44:45], v[46:47]
	v_fma_f64 v[98:99], -v[38:39], v[48:49], v[50:51]
	v_fma_f64 v[64:65], -v[36:37], v[64:65], v[66:67]
	v_mov_b32_e32 v48, s7
	v_fma_f64 v[66:67], -v[42:43], v[52:53], v[54:55]
	s_add_i32 s7, s3, 0xffffe440
	v_fma_f64 v[68:69], -v[40:41], v[68:69], v[70:71]
	v_mov_b32_e32 v52, s7
	ds_load_2addr_b64 v[48:51], v48 offset1:1
	ds_load_2addr_b64 v[52:55], v52 offset1:1
	s_add_i32 s7, s6, 0xffffe428
	s_delay_alu instid0(SALU_CYCLE_1)
	v_mov_b32_e32 v56, s7
	s_add_i32 s7, s3, 0xffffe338
	v_mul_f64 v[46:47], v[60:61], v[62:63]
	v_fma_f64 v[70:71], -v[8:9], v[72:73], v[74:75]
	v_mov_b32_e32 v60, s8
	s_add_i32 s8, s3, 0xffffe240
	ds_load_2addr_b64 v[56:59], v56 offset1:1
	ds_load_2addr_b64 v[60:63], v60 offset1:1
	s_waitcnt lgkmcnt(3)
	v_fma_f64 v[50:51], -v[28:29], v[50:51], v[96:97]
	v_fma_f64 v[44:45], -v[38:39], v[90:91], v[44:45]
	;; [unrolled: 1-line block ×4, first 2 shown]
	s_waitcnt lgkmcnt(2)
	v_fma_f64 v[54:55], -v[40:41], v[54:55], v[66:67]
	v_fma_f64 v[66:67], -v[46:47], v[78:79], v[68:69]
	;; [unrolled: 1-line block ×7, first 2 shown]
	v_mov_b32_e32 v48, s9
	v_fma_f64 v[98:99], -v[46:47], v[52:53], v[54:55]
	v_mov_b32_e32 v52, s8
	v_mov_b32_e32 v64, s7
	s_add_i32 s7, s6, 0xffffe320
	s_add_i32 s8, s3, 0xffffe138
	v_mov_b32_e32 v72, s7
	s_add_i32 s7, s3, 0xffffe230
	s_add_i32 s9, s3, 0xffffdf48
	v_mov_b32_e32 v80, s8
	v_mov_b32_e32 v84, s9
	s_add_i32 s8, s3, 0xffffe128
	s_add_i32 s9, s3, 0xffffdf38
	v_mul_f64 v[44:45], v[76:77], v[66:67]
	v_fma_f64 v[92:93], -v[28:29], v[92:93], v[68:69]
	v_mov_b32_e32 v68, s11
	ds_load_2addr_b64 v[48:51], v48 offset1:1
	ds_load_2addr_b64 v[52:55], v52 offset1:1
	;; [unrolled: 1-line block ×4, first 2 shown]
	v_mov_b32_e32 v76, s7
	s_add_i32 s7, s3, 0xffffe040
	ds_load_2addr_b64 v[72:75], v72 offset1:1
	ds_load_2addr_b64 v[76:79], v76 offset1:1
	;; [unrolled: 1-line block ×4, first 2 shown]
	s_waitcnt lgkmcnt(8)
	v_fma_f64 v[62:63], -v[36:37], v[62:63], v[90:91]
	s_waitcnt lgkmcnt(7)
	v_fma_f64 v[50:51], -v[42:43], v[50:51], v[88:89]
	;; [unrolled: 2-line block ×4, first 2 shown]
	v_fma_f64 v[58:59], -v[44:45], v[58:59], v[98:99]
	s_waitcnt lgkmcnt(4)
	v_fma_f64 v[70:71], -v[38:39], v[70:71], v[92:93]
	v_fma_f64 v[60:61], -v[42:43], v[60:61], v[62:63]
	;; [unrolled: 1-line block ×5, first 2 shown]
	v_mov_b32_e32 v52, s7
	s_add_i32 s7, s3, 0xffffe030
	ds_load_2addr_b64 v[52:55], v52 offset1:1
	v_mul_f64 v[50:51], v[56:57], v[58:59]
	v_fma_f64 v[66:67], -v[36:37], v[68:69], v[70:71]
	v_mov_b32_e32 v56, s7
	s_add_i32 s7, s6, 0xffffe218
	ds_load_2addr_b64 v[56:59], v56 offset1:1
	s_waitcnt lgkmcnt(1)
	v_fma_f64 v[54:55], -v[40:41], v[54:55], v[60:61]
	v_fma_f64 v[48:49], -v[46:47], v[82:83], v[48:49]
	;; [unrolled: 1-line block ×8, first 2 shown]
	v_mov_b32_e32 v52, s8
	v_mov_b32_e32 v60, s7
	s_add_i32 s7, s6, 0xffffe110
	s_add_i32 s8, s3, 0xffffdf28
	v_mov_b32_e32 v68, s7
	s_add_i32 s7, s3, 0xffffe020
	s_addk_i32 s3, 0xdf18
	v_mul_f64 v[48:49], v[72:73], v[62:63]
	v_fma_f64 v[82:83], -v[40:41], v[84:85], v[64:65]
	v_mov_b32_e32 v64, s9
	ds_load_2addr_b64 v[52:55], v52 offset1:1
	ds_load_2addr_b64 v[60:63], v60 offset1:1
	;; [unrolled: 1-line block ×3, first 2 shown]
	v_mov_b32_e32 v72, s8
	ds_load_2addr_b64 v[68:71], v68 offset1:1
	ds_load_2addr_b64 v[72:75], v72 offset1:1
	s_waitcnt lgkmcnt(5)
	v_fma_f64 v[58:59], -v[44:45], v[58:59], v[78:79]
	s_waitcnt lgkmcnt(4)
	v_fma_f64 v[54:55], -v[50:51], v[54:55], v[80:81]
	;; [unrolled: 2-line block ×4, first 2 shown]
	s_delay_alu instid0(VALU_DEP_4)
	v_fma_f64 v[76:77], -v[50:51], v[56:57], v[58:59]
	v_mov_b32_e32 v56, s7
	s_add_i32 s7, s6, 0xffffe008
	v_fma_f64 v[52:53], -v[48:49], v[52:53], v[54:55]
	ds_load_2addr_b64 v[56:59], v56 offset1:1
	v_mul_f64 v[54:55], v[60:61], v[62:63]
	v_fma_f64 v[64:65], -v[44:45], v[64:65], v[66:67]
	v_mov_b32_e32 v60, s7
	ds_load_2addr_b64 v[60:63], v60 offset1:1
	s_waitcnt lgkmcnt(1)
	v_fma_f64 v[58:59], -v[48:49], v[58:59], v[76:77]
	v_fma_f64 v[52:53], -v[54:55], v[70:71], v[52:53]
	;; [unrolled: 1-line block ×3, first 2 shown]
	s_delay_alu instid0(VALU_DEP_3)
	v_fma_f64 v[70:71], -v[54:55], v[56:57], v[58:59]
	v_mov_b32_e32 v56, s3
	s_add_i32 s3, s6, 0xffffdf00
	ds_load_2addr_b64 v[56:59], v56 offset1:1
	v_mul_f64 v[52:53], v[68:69], v[52:53]
	v_fma_f64 v[68:69], -v[48:49], v[72:73], v[64:65]
	v_mov_b32_e32 v64, s3
	s_ashr_i32 s3, s2, 31
	s_delay_alu instid0(SALU_CYCLE_1)
	s_lshl_b64 s[6:7], s[2:3], 3
	ds_load_2addr_b64 v[64:67], v64 offset1:1
	s_waitcnt lgkmcnt(2)
	v_fma_f64 v[62:63], -v[52:53], v[62:63], v[70:71]
	s_waitcnt lgkmcnt(1)
	v_fma_f64 v[68:69], -v[54:55], v[58:59], v[68:69]
	s_delay_alu instid0(VALU_DEP_2) | instskip(NEXT) | instid1(VALU_DEP_2)
	v_mul_f64 v[58:59], v[60:61], v[62:63]
	v_fma_f64 v[56:57], -v[52:53], v[56:57], v[68:69]
	v_add_co_u32 v60, vcc_lo, v110, s6
	v_add_co_ci_u32_e32 v61, vcc_lo, s7, v111, vcc_lo
	s_sub_i32 s6, s2, 33
	s_clause 0xe
	global_store_b64 v[114:115], v[116:117], off
	global_store_b64 v[60:61], v[118:119], off offset:-16
	global_store_b128 v[60:61], v[0:3], off offset:-32
	global_store_b128 v[60:61], v[4:7], off offset:-48
	;; [unrolled: 1-line block ×13, first 2 shown]
	s_waitcnt lgkmcnt(0)
	v_fma_f64 v[56:57], -v[58:59], v[66:67], v[56:57]
	s_delay_alu instid0(VALU_DEP_1)
	v_mul_f64 v[56:57], v[64:65], v[56:57]
	s_clause 0x1
	global_store_b128 v[60:61], v[52:55], off offset:-240
	global_store_b128 v[60:61], v[56:59], off offset:-256
.LBB105_14:
	s_cmp_gt_i32 s6, -1
	s_cbranch_scc0 .LBB105_33
; %bb.15:
	s_cmp_lt_u32 s6, 27
	s_cbranch_scc1 .LBB105_20
; %bb.16:
	s_mov_b32 s7, 0
	s_delay_alu instid0(SALU_CYCLE_1)
	s_lshl_b64 s[8:9], s[6:7], 3
	s_cmp_le_i32 s16, s6
	v_add_co_u32 v100, vcc_lo, v110, s8
	v_add_co_ci_u32_e32 v101, vcc_lo, s9, v111, vcc_lo
	s_clause 0xd
	global_load_b128 v[0:3], v[100:101], off offset:-8
	global_load_b128 v[4:7], v[100:101], off offset:-24
	;; [unrolled: 1-line block ×14, first 2 shown]
	s_waitcnt vmcnt(13)
	v_mul_f64 v[36:37], v[2:3], s[4:5]
	v_mul_f64 v[30:31], v[0:1], s[4:5]
	s_waitcnt vmcnt(12)
	v_mul_f64 v[28:29], v[6:7], s[4:5]
	v_mul_f64 v[26:27], v[4:5], s[4:5]
	;; [unrolled: 3-line block ×14, first 2 shown]
	s_cbranch_scc1 .LBB105_19
; %bb.17:
	s_lshl_b32 s3, s6, 8
	s_lshl_b32 s7, s2, 3
	s_ashr_i32 s17, s16, 31
	s_add_i32 s3, s3, s7
	s_lshl_b64 s[8:9], s[16:17], 3
	s_addk_i32 s3, 0xe4f8
	s_add_u32 s7, s12, s8
	s_addc_u32 s8, s13, s9
	s_add_u32 s7, s7, s0
	s_addc_u32 s8, s8, s1
	v_add_co_u32 v38, vcc_lo, s7, v112
	v_add_co_ci_u32_e32 v39, vcc_lo, s8, v113, vcc_lo
	s_mov_b32 s7, s16
.LBB105_18:                             ; =>This Inner Loop Header: Depth=1
	global_load_b64 v[62:63], v[38:39], off
	v_add_nc_u32_e64 v44, 0x1800, s3
	v_add_nc_u32_e64 v68, 0x1000, s3
	;; [unrolled: 1-line block ×3, first 2 shown]
	v_mov_b32_e32 v98, s3
	ds_load_2addr_b64 v[40:43], v44 offset0:64 offset1:96
	ds_load_2addr_b64 v[44:47], v44 offset1:32
	ds_load_2addr_b64 v[48:51], v68 offset0:192 offset1:224
	ds_load_2addr_b64 v[52:55], v68 offset0:128 offset1:160
	ds_load_2addr_b64 v[56:59], v68 offset0:64 offset1:96
	ds_load_2addr_b64 v[68:71], v68 offset1:32
	ds_load_2addr_b64 v[72:75], v86 offset0:192 offset1:224
	ds_load_2addr_b64 v[76:79], v86 offset0:128 offset1:160
	;; [unrolled: 4-line block ×3, first 2 shown]
	ds_load_2addr_b64 v[102:105], v98 offset0:64 offset1:96
	ds_load_2addr_b64 v[120:123], v98 offset1:32
	v_add_co_u32 v38, vcc_lo, v38, -8
	v_add_co_ci_u32_e32 v39, vcc_lo, -1, v39, vcc_lo
	s_add_i32 s7, s7, -1
	s_add_i32 s3, s3, -8
	s_cmp_gt_i32 s7, s6
	s_waitcnt vmcnt(0) lgkmcnt(13)
	v_fma_f64 v[36:37], -v[62:63], v[42:43], v[36:37]
	v_fma_f64 v[30:31], -v[62:63], v[40:41], v[30:31]
	s_waitcnt lgkmcnt(12)
	v_fma_f64 v[28:29], -v[62:63], v[46:47], v[28:29]
	v_fma_f64 v[26:27], -v[62:63], v[44:45], v[26:27]
	s_waitcnt lgkmcnt(11)
	;; [unrolled: 3-line block ×13, first 2 shown]
	v_fma_f64 v[108:109], -v[62:63], v[122:123], v[108:109]
	v_fma_f64 v[106:107], -v[62:63], v[120:121], v[106:107]
	s_cbranch_scc1 .LBB105_18
.LBB105_19:
	s_mul_i32 s3, s6, 0x108
	s_delay_alu instid0(SALU_CYCLE_1) | instskip(SKIP_4) | instid1(SALU_CYCLE_1)
	v_mov_b32_e32 v38, s3
	s_add_i32 s7, s3, 0xfffffef8
	ds_load_b64 v[42:43], v38
	v_mov_b32_e32 v38, s7
	s_lshl_b32 s7, s6, 5
	s_add_i32 s7, s7, s6
	ds_load_2addr_b64 v[38:41], v38 offset1:1
	s_lshl_b32 s7, s7, 3
	s_delay_alu instid0(SALU_CYCLE_1)
	s_add_i32 s8, s7, 0xfffffe00
	s_add_i32 s19, s7, 0xffffedf0
	;; [unrolled: 1-line block ×11, first 2 shown]
	s_waitcnt lgkmcnt(1)
	v_mul_f64 v[102:103], v[42:43], v[36:37]
	v_mov_b32_e32 v36, s8
	s_add_i32 s8, s3, 0xfffffdf0
	s_add_i32 s15, s7, 0xfffff2b8
	;; [unrolled: 1-line block ×4, first 2 shown]
	ds_load_b64 v[36:37], v36
	s_add_i32 s25, s7, 0xffffe9f0
	s_add_i32 s27, s7, 0xffffe8e8
	;; [unrolled: 1-line block ×5, first 2 shown]
	s_waitcnt lgkmcnt(1)
	v_fma_f64 v[30:31], -v[102:103], v[40:41], v[30:31]
	s_waitcnt lgkmcnt(0)
	v_fma_f64 v[44:45], -v[102:103], v[36:37], v[28:29]
	v_mov_b32_e32 v40, s8
	s_add_i32 s8, s7, 0xfffffcf8
	s_delay_alu instid0(SALU_CYCLE_1)
	v_mov_b32_e32 v28, s8
	s_add_i32 s8, s3, 0xfffffce8
	ds_load_2addr_b64 v[40:43], v40 offset1:1
	v_mov_b32_e32 v36, s8
	s_add_i32 s8, s7, 0xfffffc00
	v_mul_f64 v[104:105], v[38:39], v[30:31]
	ds_load_2addr_b64 v[28:31], v28 offset1:1
	ds_load_2addr_b64 v[36:39], v36 offset1:1
	s_waitcnt lgkmcnt(1)
	v_fma_f64 v[26:27], -v[102:103], v[30:31], v[26:27]
	v_fma_f64 v[30:31], -v[104:105], v[42:43], v[44:45]
	v_mov_b32_e32 v42, s8
	s_add_i32 s8, s7, 0xfffffbf0
	ds_load_b64 v[46:47], v42
	v_mov_b32_e32 v42, s8
	s_add_i32 s8, s7, 0xfffffaf8
	ds_load_2addr_b64 v[42:45], v42 offset1:1
	v_fma_f64 v[48:49], -v[104:105], v[28:29], v[26:27]
	v_mov_b32_e32 v26, s8
	s_add_i32 s8, s7, 0xfffff9f8
	s_waitcnt lgkmcnt(1)
	v_fma_f64 v[46:47], -v[102:103], v[46:47], v[2:3]
	ds_load_2addr_b64 v[26:29], v26 offset1:1
	v_mul_f64 v[2:3], v[40:41], v[30:31]
	s_waitcnt lgkmcnt(0)
	v_fma_f64 v[24:25], -v[102:103], v[28:29], v[24:25]
	v_mov_b32_e32 v28, s8
	s_add_i32 s8, s7, 0xfffff9e8
	ds_load_2addr_b64 v[28:31], v28 offset1:1
	v_fma_f64 v[44:45], -v[104:105], v[44:45], v[46:47]
	v_fma_f64 v[46:47], -v[2:3], v[38:39], v[48:49]
	v_mov_b32_e32 v38, s8
	s_add_i32 s8, s7, 0xfffff900
	ds_load_2addr_b64 v[38:41], v38 offset1:1
	s_waitcnt lgkmcnt(1)
	v_fma_f64 v[30:31], -v[102:103], v[30:31], v[0:1]
	v_fma_f64 v[54:55], -v[104:105], v[26:27], v[24:25]
	v_mov_b32_e32 v24, s8
	s_add_i32 s8, s3, 0xfffffbe0
	v_mov_b32_e32 v25, s9
	s_add_i32 s9, s7, 0xfffff8f0
	s_delay_alu instid0(SALU_CYCLE_1)
	v_mov_b32_e32 v50, s9
	s_add_i32 s9, s7, 0xfffff9d8
	v_fma_f64 v[56:57], -v[2:3], v[42:43], v[44:45]
	v_mov_b32_e32 v42, s8
	s_add_i32 s8, s3, 0xfffffad8
	v_mul_f64 v[0:1], v[36:37], v[46:47]
	ds_load_b64 v[36:37], v24
	ds_load_2addr_b64 v[24:27], v25 offset1:1
	ds_load_2addr_b64 v[42:45], v42 offset1:1
	v_mov_b32_e32 v46, s8
	s_add_i32 s8, s7, 0xfffff7f8
	ds_load_2addr_b64 v[46:49], v46 offset1:1
	ds_load_2addr_b64 v[50:53], v50 offset1:1
	v_fma_f64 v[30:31], -v[104:105], v[28:29], v[30:31]
	s_waitcnt lgkmcnt(4)
	v_fma_f64 v[22:23], -v[102:103], v[36:37], v[22:23]
	s_waitcnt lgkmcnt(3)
	v_fma_f64 v[36:37], -v[2:3], v[26:27], v[54:55]
	v_mov_b32_e32 v26, s8
	s_add_i32 s8, s7, 0xfffff7e8
	s_delay_alu instid0(SALU_CYCLE_1)
	v_mov_b32_e32 v54, s8
	s_add_i32 s8, s7, 0xfffff700
	ds_load_2addr_b64 v[26:29], v26 offset1:1
	s_waitcnt lgkmcnt(3)
	v_fma_f64 v[44:45], -v[0:1], v[44:45], v[56:57]
	ds_load_2addr_b64 v[54:57], v54 offset1:1
	v_fma_f64 v[30:31], -v[2:3], v[40:41], v[30:31]
	s_waitcnt lgkmcnt(2)
	v_fma_f64 v[52:53], -v[104:105], v[52:53], v[22:23]
	v_mov_b32_e32 v22, s8
	v_fma_f64 v[36:37], -v[0:1], v[24:25], v[36:37]
	s_add_i32 s8, s7, 0xfffff6f0
	ds_load_b64 v[40:41], v22
	s_waitcnt lgkmcnt(2)
	v_fma_f64 v[28:29], -v[102:103], v[28:29], v[6:7]
	v_mov_b32_e32 v22, s8
	s_add_i32 s8, s7, 0xfffff5f8
	ds_load_2addr_b64 v[22:25], v22 offset1:1
	v_mul_f64 v[6:7], v[42:43], v[44:45]
	s_waitcnt lgkmcnt(1)
	v_fma_f64 v[20:21], -v[102:103], v[40:41], v[20:21]
	v_fma_f64 v[30:31], -v[0:1], v[38:39], v[30:31]
	v_mov_b32_e32 v40, s9
	s_add_i32 s9, s7, 0xfffff5e8
	s_delay_alu instid0(SALU_CYCLE_1)
	v_mov_b32_e32 v62, s9
	s_add_i32 s9, s3, 0xfffff9d0
	v_fma_f64 v[52:53], -v[2:3], v[50:51], v[52:53]
	v_fma_f64 v[44:45], -v[104:105], v[26:27], v[28:29]
	v_mov_b32_e32 v26, s8
	s_add_i32 s8, s7, 0xfffff8e0
	v_fma_f64 v[58:59], -v[6:7], v[48:49], v[36:37]
	v_mov_b32_e32 v36, s8
	s_add_i32 s8, s7, 0xfffff8d0
	ds_load_2addr_b64 v[26:29], v26 offset1:1
	ds_load_2addr_b64 v[36:39], v36 offset1:1
	;; [unrolled: 1-line block ×3, first 2 shown]
	v_mov_b32_e32 v48, s8
	ds_load_2addr_b64 v[48:51], v48 offset1:1
	ds_load_2addr_b64 v[68:71], v62 offset1:1
	s_waitcnt lgkmcnt(5)
	v_fma_f64 v[20:21], -v[104:105], v[24:25], v[20:21]
	s_add_i32 s8, s7, 0xfffff4f8
	s_waitcnt lgkmcnt(4)
	v_fma_f64 v[62:63], -v[102:103], v[28:29], v[4:5]
	s_waitcnt lgkmcnt(3)
	v_fma_f64 v[38:39], -v[0:1], v[38:39], v[52:53]
	;; [unrolled: 2-line block ×3, first 2 shown]
	v_fma_f64 v[24:25], -v[2:3], v[56:57], v[44:45]
	v_mov_b32_e32 v28, s8
	s_add_i32 s8, s7, 0xfffff4e8
	s_delay_alu instid0(SALU_CYCLE_1)
	v_mov_b32_e32 v42, s8
	s_add_i32 s8, s7, 0xfffff400
	ds_load_2addr_b64 v[28:31], v28 offset1:1
	ds_load_2addr_b64 v[42:45], v42 offset1:1
	v_mul_f64 v[4:5], v[46:47], v[58:59]
	v_fma_f64 v[46:47], -v[2:3], v[22:23], v[20:21]
	v_mov_b32_e32 v22, s11
	s_waitcnt lgkmcnt(1)
	v_fma_f64 v[30:31], -v[102:103], v[30:31], v[18:19]
	v_mov_b32_e32 v18, s8
	s_add_i32 s8, s7, 0xfffff6e0
	s_add_i32 s11, s7, 0xfffff3f0
	v_mov_b32_e32 v19, s8
	s_add_i32 s8, s7, 0xfffff7c8
	ds_load_b64 v[74:75], v18
	v_mov_b32_e32 v56, s11
	s_add_i32 s11, s7, 0xfffff2e8
	v_fma_f64 v[26:27], -v[104:105], v[26:27], v[62:63]
	v_fma_f64 v[72:73], -v[6:7], v[36:37], v[38:39]
	v_mov_b32_e32 v36, s9
	v_fma_f64 v[62:63], -v[0:1], v[54:55], v[24:25]
	ds_load_2addr_b64 v[18:21], v19 offset1:1
	ds_load_2addr_b64 v[22:25], v22 offset1:1
	ds_load_b64 v[76:77], v36
	v_mov_b32_e32 v36, s8
	s_add_i32 s8, s7, 0xfffff2f8
	s_add_i32 s9, s7, 0xfffff6d0
	v_fma_f64 v[40:41], -v[4:5], v[40:41], v[52:53]
	v_mov_b32_e32 v52, s9
	s_waitcnt lgkmcnt(3)
	v_fma_f64 v[74:75], -v[102:103], v[74:75], v[10:11]
	s_add_i32 s9, s3, 0xfffff8c8
	ds_load_2addr_b64 v[36:39], v36 offset1:1
	ds_load_2addr_b64 v[52:55], v52 offset1:1
	;; [unrolled: 1-line block ×3, first 2 shown]
	s_waitcnt lgkmcnt(5)
	v_fma_f64 v[20:21], -v[0:1], v[20:21], v[46:47]
	v_fma_f64 v[28:29], -v[104:105], v[28:29], v[30:31]
	;; [unrolled: 1-line block ×4, first 2 shown]
	s_waitcnt lgkmcnt(4)
	v_fma_f64 v[46:47], -v[6:7], v[24:25], v[62:63]
	v_mov_b32_e32 v24, s8
	s_add_i32 s8, s7, 0xfffff200
	ds_load_2addr_b64 v[24:27], v24 offset1:1
	s_waitcnt lgkmcnt(4)
	v_mul_f64 v[10:11], v[76:77], v[40:41]
	v_mov_b32_e32 v40, s8
	s_add_i32 s8, s7, 0xfffff5d8
	ds_load_b64 v[40:41], v40
	v_fma_f64 v[18:19], -v[6:7], v[18:19], v[20:21]
	s_waitcnt lgkmcnt(1)
	v_fma_f64 v[16:17], -v[102:103], v[26:27], v[16:17]
	v_fma_f64 v[26:27], -v[104:105], v[58:59], v[74:75]
	;; [unrolled: 1-line block ×3, first 2 shown]
	v_mov_b32_e32 v44, s8
	s_add_i32 s8, s7, 0xfffff5c8
	v_fma_f64 v[30:31], -v[0:1], v[68:69], v[30:31]
	v_fma_f64 v[20:21], -v[4:5], v[22:23], v[46:47]
	v_fma_f64 v[22:23], -v[10:11], v[48:49], v[50:51]
	v_mov_b32_e32 v48, s9
	s_add_i32 s9, s7, 0xfffff1f0
	ds_load_2addr_b64 v[44:47], v44 offset1:1
	ds_load_b64 v[58:59], v48
	v_mov_b32_e32 v48, s8
	v_mov_b32_e32 v62, s9
	s_add_i32 s9, s7, 0xfffff0f8
	ds_load_2addr_b64 v[48:51], v48 offset1:1
	ds_load_2addr_b64 v[68:71], v62 offset1:1
	s_waitcnt lgkmcnt(4)
	v_fma_f64 v[62:63], -v[102:103], v[40:41], v[8:9]
	v_fma_f64 v[86:87], -v[4:5], v[54:55], v[18:19]
	;; [unrolled: 1-line block ×5, first 2 shown]
	v_mov_b32_e32 v16, s9
	s_add_i32 s9, s7, 0xfffff3e0
	s_add_i32 s8, s7, 0xfffff4d8
	v_dual_mov_b32 v17, s11 :: v_dual_mov_b32 v18, s9
	v_mov_b32_e32 v19, s8
	s_add_i32 s8, s7, 0xfffff4c8
	s_waitcnt lgkmcnt(3)
	v_fma_f64 v[46:47], -v[6:7], v[46:47], v[30:31]
	s_add_i32 s9, s7, 0xfffff3d0
	v_fma_f64 v[88:89], -v[10:11], v[38:39], v[20:21]
	ds_load_2addr_b64 v[38:41], v16 offset1:1
	ds_load_2addr_b64 v[54:57], v17 offset1:1
	;; [unrolled: 1-line block ×4, first 2 shown]
	v_mov_b32_e32 v16, s8
	s_add_i32 s8, s7, 0xfffff000
	s_add_i32 s11, s7, 0xfffff2d8
	v_mov_b32_e32 v20, s9
	v_mov_b32_e32 v24, s11
	;; [unrolled: 1-line block ×3, first 2 shown]
	s_add_i32 s9, s3, 0xfffff7c0
	s_add_i32 s14, s7, 0xfffff2c8
	;; [unrolled: 1-line block ×3, first 2 shown]
	s_waitcnt lgkmcnt(6)
	v_mul_f64 v[8:9], v[58:59], v[22:23]
	ds_load_2addr_b64 v[16:19], v16 offset1:1
	ds_load_2addr_b64 v[20:23], v20 offset1:1
	;; [unrolled: 1-line block ×4, first 2 shown]
	s_waitcnt lgkmcnt(7)
	v_fma_f64 v[58:59], -v[102:103], v[40:41], v[34:35]
	v_mov_b32_e32 v34, s8
	s_add_i32 s8, s7, 0xfffff6c0
	v_mov_b32_e32 v40, s9
	s_add_i32 s9, s3, 0xfffff4a8
	v_fma_f64 v[62:63], -v[104:105], v[70:71], v[62:63]
	s_waitcnt lgkmcnt(6)
	v_fma_f64 v[56:57], -v[2:3], v[56:57], v[82:83]
	s_waitcnt lgkmcnt(5)
	;; [unrolled: 2-line block ×3, first 2 shown]
	v_fma_f64 v[74:75], -v[6:7], v[78:79], v[42:43]
	ds_load_b64 v[78:79], v34
	v_mov_b32_e32 v34, s8
	s_add_i32 s8, s7, 0xffffeff0
	v_fma_f64 v[44:45], -v[4:5], v[44:45], v[46:47]
	v_fma_f64 v[46:47], -v[10:11], v[52:53], v[86:87]
	s_waitcnt lgkmcnt(0)
	v_fma_f64 v[78:79], -v[102:103], v[78:79], v[14:15]
	v_fma_f64 v[52:53], -v[8:9], v[36:37], v[88:89]
	ds_load_2addr_b64 v[34:37], v34 offset1:1
	ds_load_b64 v[82:83], v40
	v_mov_b32_e32 v40, s8
	s_add_i32 s8, s7, 0xffffeef8
	v_fma_f64 v[58:59], -v[104:105], v[38:39], v[58:59]
	ds_load_2addr_b64 v[40:43], v40 offset1:1
	v_fma_f64 v[62:63], -v[2:3], v[68:69], v[62:63]
	v_fma_f64 v[54:55], -v[0:1], v[54:55], v[56:57]
	;; [unrolled: 1-line block ×5, first 2 shown]
	s_waitcnt lgkmcnt(2)
	v_fma_f64 v[74:75], -v[8:9], v[36:37], v[46:47]
	v_mov_b32_e32 v36, s8
	s_add_i32 s8, s7, 0xfffff1e0
	s_delay_alu instid0(SALU_CYCLE_1)
	v_mov_b32_e32 v44, s8
	ds_load_2addr_b64 v[36:39], v36 offset1:1
	ds_load_2addr_b64 v[44:47], v44 offset1:1
	s_add_i32 s8, s7, 0xfffff1d0
	s_waitcnt lgkmcnt(2)
	v_fma_f64 v[42:43], -v[104:105], v[42:43], v[78:79]
	v_mul_f64 v[14:15], v[82:83], v[52:53]
	v_mov_b32_e32 v52, s8
	s_add_i32 s8, s7, 0xffffee00
	ds_load_2addr_b64 v[68:71], v52 offset1:1
	v_fma_f64 v[52:53], -v[2:3], v[30:31], v[58:59]
	v_mov_b32_e32 v30, s8
	s_add_i32 s8, s3, 0xfffff6b8
	v_fma_f64 v[26:27], -v[6:7], v[26:27], v[54:55]
	v_fma_f64 v[22:23], -v[4:5], v[22:23], v[56:57]
	;; [unrolled: 1-line block ×3, first 2 shown]
	s_waitcnt lgkmcnt(2)
	v_fma_f64 v[38:39], -v[102:103], v[38:39], v[32:33]
	s_waitcnt lgkmcnt(1)
	v_fma_f64 v[46:47], -v[0:1], v[46:47], v[62:63]
	v_mov_b32_e32 v54, s8
	s_add_i32 s8, s7, 0xfffff5b8
	v_mov_b32_e32 v56, s9
	s_add_i32 s9, s7, 0xfffff4b8
	v_mov_b32_e32 v57, s19
	v_fma_f64 v[48:49], -v[8:9], v[48:49], v[50:51]
	ds_load_b64 v[50:51], v30
	v_mov_b32_e32 v30, s8
	s_add_i32 s8, s7, 0xfffff3c0
	ds_load_2addr_b64 v[30:33], v30 offset1:1
	ds_load_b64 v[54:55], v54
	s_add_i32 s19, s7, 0xffffefd0
	v_fma_f64 v[96:97], -v[2:3], v[40:41], v[42:43]
	v_fma_f64 v[34:35], -v[14:15], v[34:35], v[74:75]
	ds_load_2addr_b64 v[72:75], v57 offset1:1
	v_mov_b32_e32 v40, s15
	s_add_i32 s15, s7, 0xffffeeb8
	s_waitcnt lgkmcnt(3)
	v_fma_f64 v[62:63], -v[102:103], v[50:51], v[12:13]
	v_fma_f64 v[28:29], -v[0:1], v[28:29], v[52:53]
	v_mov_b32_e32 v52, s22
	s_add_i32 s22, s7, 0xfffff0a8
	s_delay_alu instid0(SALU_CYCLE_1)
	v_mov_b32_e32 v145, s22
	s_add_i32 s22, s7, 0xffffe6f8
	v_fma_f64 v[120:121], -v[4:5], v[24:25], v[26:27]
	v_fma_f64 v[122:123], -v[10:11], v[20:21], v[22:23]
	;; [unrolled: 1-line block ×5, first 2 shown]
	v_mov_b32_e32 v16, s23
	v_mov_b32_e32 v20, s21
	;; [unrolled: 1-line block ×5, first 2 shown]
	ds_load_2addr_b64 v[16:19], v16 offset1:1
	s_waitcnt lgkmcnt(3)
	v_fma_f64 v[126:127], -v[14:15], v[32:33], v[48:49]
	v_dual_mov_b32 v33, s8 :: v_dual_mov_b32 v32, s9
	s_add_i32 s8, s7, 0xffffec00
	v_dual_mov_b32 v48, s19 :: v_dual_mov_b32 v57, s24
	s_add_i32 s9, s7, 0xfffff1b0
	s_add_i32 s11, s7, 0xffffedd0
	;; [unrolled: 1-line block ×7, first 2 shown]
	s_waitcnt lgkmcnt(2)
	v_mul_f64 v[12:13], v[54:55], v[34:35]
	v_dual_mov_b32 v35, s14 :: v_dual_mov_b32 v34, s17
	ds_load_2addr_b64 v[20:23], v20 offset1:1
	ds_load_2addr_b64 v[24:27], v24 offset1:1
	;; [unrolled: 1-line block ×6, first 2 shown]
	s_waitcnt lgkmcnt(6)
	v_fma_f64 v[18:19], -v[102:103], v[18:19], v[60:61]
	v_fma_f64 v[74:75], -v[104:105], v[74:75], v[62:63]
	v_mov_b32_e32 v60, s8
	s_add_i32 s8, s3, 0xfffff5b0
	ds_load_2addr_b64 v[32:35], v56 offset1:1
	ds_load_2addr_b64 v[36:39], v36 offset1:1
	;; [unrolled: 1-line block ×7, first 2 shown]
	s_add_i32 s17, s7, 0xffffeec8
	s_add_i32 s14, s7, 0xffffecd8
	v_mov_b32_e32 v146, s23
	v_mov_b32_e32 v144, s21
	s_add_i32 s24, s7, 0xffffefb0
	s_add_i32 s21, s7, 0xffffecb8
	v_fma_f64 v[70:71], -v[4:5], v[70:71], v[98:99]
	v_mov_b32_e32 v147, s24
	s_add_i32 s23, s7, 0xffffeca8
	s_add_i32 s24, s7, 0xffffebb0
	s_waitcnt lgkmcnt(12)
	v_fma_f64 v[22:23], -v[2:3], v[22:23], v[94:95]
	s_waitcnt lgkmcnt(11)
	v_fma_f64 v[26:27], -v[0:1], v[26:27], v[96:97]
	;; [unrolled: 2-line block ×6, first 2 shown]
	ds_load_b64 v[92:93], v60
	v_mov_b32_e32 v60, s8
	s_add_i32 s8, s7, 0xffffebf0
	ds_load_b64 v[94:95], v60
	v_mov_b32_e32 v60, s8
	s_add_i32 s8, s7, 0xffffeaf8
	v_fma_f64 v[30:31], -v[12:13], v[30:31], v[126:127]
	ds_load_2addr_b64 v[60:63], v60 offset1:1
	v_fma_f64 v[16:17], -v[104:105], v[16:17], v[18:19]
	s_waitcnt lgkmcnt(2)
	v_fma_f64 v[66:67], -v[102:103], v[92:93], v[66:67]
	v_fma_f64 v[92:93], -v[2:3], v[72:73], v[74:75]
	;; [unrolled: 1-line block ×9, first 2 shown]
	v_mov_b32_e32 v20, s8
	s_add_i32 s8, s7, 0xffffede0
	s_delay_alu instid0(SALU_CYCLE_1)
	v_dual_mov_b32 v24, s9 :: v_dual_mov_b32 v21, s8
	s_add_i32 s8, s7, 0xfffff1c0
	ds_load_2addr_b64 v[76:79], v20 offset1:1
	v_mov_b32_e32 v28, s11
	s_add_i32 s11, s7, 0xffffecc8
	ds_load_2addr_b64 v[72:75], v21 offset1:1
	s_waitcnt lgkmcnt(3)
	v_mul_f64 v[18:19], v[94:95], v[30:31]
	v_mov_b32_e32 v20, s8
	s_add_i32 s8, s3, 0xfffff3a0
	s_add_i32 s9, s7, 0xffffebd0
	ds_load_2addr_b64 v[68:71], v20 offset1:1
	v_fma_f64 v[16:17], -v[2:3], v[58:59], v[16:17]
	v_mov_b32_e32 v20, s8
	s_add_i32 s8, s3, 0xfffff298
	s_waitcnt lgkmcnt(3)
	v_fma_f64 v[62:63], -v[104:105], v[62:63], v[66:67]
	v_mov_b32_e32 v120, s8
	s_add_i32 s8, s7, 0xffffea00
	ds_load_2addr_b64 v[20:23], v20 offset1:1
	ds_load_2addr_b64 v[24:27], v24 offset1:1
	ds_load_2addr_b64 v[28:31], v28 offset1:1
	s_waitcnt lgkmcnt(5)
	v_fma_f64 v[78:79], -v[102:103], v[78:79], v[64:65]
	v_mov_b32_e32 v64, s8
	s_add_i32 s8, s7, 0xffffead8
	s_waitcnt lgkmcnt(4)
	v_fma_f64 v[58:59], -v[0:1], v[74:75], v[92:93]
	ds_load_b64 v[74:75], v64
	v_fma_f64 v[54:55], -v[6:7], v[54:55], v[96:97]
	v_fma_f64 v[50:51], -v[4:5], v[50:51], v[98:99]
	;; [unrolled: 1-line block ×3, first 2 shown]
	s_waitcnt lgkmcnt(4)
	v_fma_f64 v[70:71], -v[8:9], v[70:71], v[123:124]
	v_fma_f64 v[42:43], -v[14:15], v[42:43], v[82:83]
	;; [unrolled: 1-line block ×3, first 2 shown]
	v_mov_b32_e32 v121, s20
	s_add_i32 s20, s7, 0xffffedb0
	v_fma_f64 v[34:35], -v[18:19], v[34:35], v[86:87]
	v_fma_f64 v[128:129], -v[0:1], v[56:57], v[16:17]
	v_mov_b32_e32 v56, s8
	s_sub_i32 s8, s6, 27
	v_fma_f64 v[126:127], -v[2:3], v[60:61], v[62:63]
	v_mov_b32_e32 v60, s27
	s_lshl_b32 s8, s8, 5
	s_add_i32 s27, s7, 0xffffe8c8
	s_add_i32 s8, s8, s6
	v_fma_f64 v[124:125], -v[104:105], v[76:77], v[78:79]
	s_lshl_b32 s8, s8, 3
	v_fma_f64 v[130:131], -v[6:7], v[72:73], v[58:59]
	v_fma_f64 v[132:133], -v[4:5], v[52:53], v[54:55]
	;; [unrolled: 1-line block ×7, first 2 shown]
	v_mov_b32_e32 v36, s14
	v_mov_b32_e32 v44, s15
	v_mov_b32_e32 v48, s11
	v_mov_b32_e32 v52, s9
	s_add_i32 s9, s3, 0xfffff190
	s_add_i32 s11, s3, 0xfffff088
	;; [unrolled: 1-line block ×4, first 2 shown]
	v_mul_f64 v[16:17], v[32:33], v[34:35]
	v_dual_mov_b32 v33, s26 :: v_dual_mov_b32 v32, s17
	v_dual_mov_b32 v34, s19 :: v_dual_mov_b32 v35, s18
	s_add_i32 s18, s7, 0xffffe7f0
	ds_load_2addr_b64 v[96:99], v33 offset1:1
	s_waitcnt lgkmcnt(1)
	v_fma_f64 v[122:123], -v[102:103], v[74:75], v[80:81]
	v_mov_b32_e32 v64, s25
	s_add_i32 s26, s7, 0xffffe8d8
	s_add_i32 s17, s7, 0xffffeea8
	;; [unrolled: 1-line block ×4, first 2 shown]
	ds_load_2addr_b64 v[64:67], v64 offset1:1
	ds_load_2addr_b64 v[92:95], v34 offset1:1
	;; [unrolled: 1-line block ×16, first 2 shown]
	s_waitcnt lgkmcnt(16)
	v_fma_f64 v[120:121], -v[102:103], v[98:99], v[118:119]
	s_waitcnt lgkmcnt(14)
	v_fma_f64 v[98:99], -v[2:3], v[94:95], v[124:125]
	;; [unrolled: 2-line block ×4, first 2 shown]
	v_fma_f64 v[86:87], -v[4:5], v[30:31], v[130:131]
	s_waitcnt lgkmcnt(11)
	v_fma_f64 v[82:83], -v[10:11], v[82:83], v[132:133]
	s_waitcnt lgkmcnt(10)
	v_fma_f64 v[78:79], -v[8:9], v[78:79], v[134:135]
	v_fma_f64 v[30:31], -v[12:13], v[26:27], v[138:139]
	s_waitcnt lgkmcnt(8)
	v_fma_f64 v[26:27], -v[18:19], v[70:71], v[140:141]
	v_fma_f64 v[22:23], -v[16:17], v[22:23], v[142:143]
	v_mov_b32_e32 v70, s28
	s_add_i32 s28, s7, 0xffffe600
	s_delay_alu instid0(SALU_CYCLE_1)
	v_dual_mov_b32 v128, s11 :: v_dual_mov_b32 v129, s28
	v_fma_f64 v[118:119], -v[104:105], v[66:67], v[122:123]
	v_fma_f64 v[66:67], -v[14:15], v[74:75], v[136:137]
	ds_load_b64 v[70:71], v70
	v_dual_mov_b32 v75, s18 :: v_dual_mov_b32 v74, s9
	s_add_i32 s9, s7, 0xfffff1a0
	s_add_i32 s18, s7, 0xffffedc0
	s_add_i32 s28, s7, 0xffffe6e8
	ds_load_2addr_b64 v[122:125], v75 offset1:1
	s_add_i32 s11, s7, 0xfffff098
	v_fma_f64 v[96:97], -v[104:105], v[96:97], v[120:121]
	s_waitcnt lgkmcnt(1)
	v_fma_f64 v[116:117], -v[102:103], v[70:71], v[116:117]
	v_fma_f64 v[92:93], -v[0:1], v[92:93], v[98:99]
	;; [unrolled: 1-line block ×9, first 2 shown]
	v_mul_f64 v[22:23], v[20:21], v[22:23]
	v_mov_b32_e32 v20, s22
	s_add_i32 s22, s7, 0xffffe9e0
	s_delay_alu instid0(SALU_CYCLE_1)
	v_mov_b32_e32 v21, s22
	v_fma_f64 v[118:119], -v[2:3], v[64:65], v[118:119]
	v_fma_f64 v[98:99], -v[12:13], v[72:73], v[66:67]
	ds_load_2addr_b64 v[24:27], v20 offset1:1
	s_add_i32 s22, s7, 0xffffebc0
	ds_load_2addr_b64 v[28:31], v21 offset1:1
	v_dual_mov_b32 v20, s18 :: v_dual_mov_b32 v21, s9
	s_add_i32 s9, s7, 0xffffe9d0
	s_add_i32 s18, s7, 0xffffeac8
	ds_load_2addr_b64 v[64:67], v20 offset1:1
	ds_load_2addr_b64 v[68:71], v21 offset1:1
	v_dual_mov_b32 v20, s20 :: v_dual_mov_b32 v21, s9
	ds_load_2addr_b64 v[72:75], v74 offset1:1
	ds_load_2addr_b64 v[76:79], v20 offset1:1
	;; [unrolled: 1-line block ×3, first 2 shown]
	s_add_i32 s9, s7, 0xffffe7e0
	s_add_i32 s20, s7, 0xffffe7d0
	v_fma_f64 v[62:63], -v[2:3], v[62:63], v[96:97]
	v_dual_mov_b32 v96, s23 :: v_dual_mov_b32 v97, s22
	s_waitcnt lgkmcnt(6)
	v_fma_f64 v[20:21], -v[102:103], v[26:27], v[114:115]
	v_fma_f64 v[26:27], -v[104:105], v[124:125], v[116:117]
	v_mov_b32_e32 v115, s26
	v_fma_f64 v[58:59], -v[6:7], v[58:59], v[92:93]
	v_fma_f64 v[54:55], -v[4:5], v[54:55], v[88:89]
	;; [unrolled: 1-line block ×3, first 2 shown]
	ds_load_b64 v[88:89], v129
	v_fma_f64 v[46:47], -v[14:15], v[46:47], v[90:91]
	s_waitcnt lgkmcnt(5)
	v_fma_f64 v[66:67], -v[8:9], v[66:67], v[86:87]
	v_fma_f64 v[42:43], -v[12:13], v[42:43], v[94:95]
	s_waitcnt lgkmcnt(4)
	v_fma_f64 v[70:71], -v[16:17], v[70:71], v[120:121]
	v_fma_f64 v[34:35], -v[22:23], v[34:35], v[126:127]
	v_dual_mov_b32 v84, s30 :: v_dual_mov_b32 v117, s28
	v_mov_b32_e32 v90, s11
	v_mov_b32_e32 v116, s9
	v_fma_f64 v[30:31], -v[0:1], v[30:31], v[118:119]
	ds_load_2addr_b64 v[84:87], v84 offset1:1
	v_fma_f64 v[38:39], -v[18:19], v[38:39], v[98:99]
	s_add_i32 s9, s8, -8
	s_sub_i32 s11, s8, 24
	v_dual_mov_b32 v91, s14 :: v_dual_mov_b32 v92, s15
	v_dual_mov_b32 v93, s17 :: v_dual_mov_b32 v94, s19
	v_mov_b32_e32 v95, s21
	s_waitcnt lgkmcnt(1)
	v_fma_f64 v[108:109], -v[102:103], v[88:89], v[108:109]
	v_dual_mov_b32 v98, s24 :: v_dual_mov_b32 v99, s18
	v_mov_b32_e32 v114, s25
	v_mov_b32_e32 v118, s27
	;; [unrolled: 1-line block ×3, first 2 shown]
	v_dual_mov_b32 v126, s29 :: v_dual_mov_b32 v119, s9
	v_mov_b32_e32 v130, s11
	v_fma_f64 v[138:139], -v[0:1], v[60:61], v[62:63]
	s_add_i32 s9, s7, 0xffffe5e0
	s_add_i32 s15, s7, 0xffffe5d0
	v_fma_f64 v[134:135], -v[104:105], v[24:25], v[20:21]
	v_fma_f64 v[136:137], -v[2:3], v[122:123], v[26:27]
	s_add_i32 s11, s7, 0xffffed90
	v_fma_f64 v[142:143], -v[4:5], v[56:57], v[58:59]
	v_fma_f64 v[144:145], -v[10:11], v[52:53], v[54:55]
	;; [unrolled: 1-line block ×3, first 2 shown]
	s_add_i32 s18, s7, 0xffffeaa8
	v_fma_f64 v[150:151], -v[12:13], v[44:45], v[46:47]
	v_fma_f64 v[148:149], -v[14:15], v[64:65], v[66:67]
	;; [unrolled: 1-line block ×4, first 2 shown]
	v_mul_f64 v[20:21], v[32:33], v[34:35]
	s_add_i32 s24, s7, 0xffffe6c8
	s_add_i32 s14, s7, 0xffffe9b0
	;; [unrolled: 1-line block ×4, first 2 shown]
	v_fma_f64 v[140:141], -v[6:7], v[28:29], v[30:31]
	s_add_i32 s17, s7, 0xffffeb90
	v_fma_f64 v[154:155], -v[16:17], v[36:37], v[38:39]
	ds_load_2addr_b64 v[24:27], v115 offset1:1
	ds_load_2addr_b64 v[28:31], v117 offset1:1
	ds_load_2addr_b64 v[32:35], v116 offset1:1
	ds_load_2addr_b64 v[36:39], v90 offset1:1
	ds_load_2addr_b64 v[40:43], v128 offset1:1
	ds_load_2addr_b64 v[44:47], v99 offset1:1
	ds_load_2addr_b64 v[48:51], v97 offset1:1
	ds_load_2addr_b64 v[52:55], v95 offset1:1
	ds_load_2addr_b64 v[56:59], v93 offset1:1
	ds_load_2addr_b64 v[60:63], v91 offset1:1
	ds_load_2addr_b64 v[64:67], v92 offset1:1
	ds_load_2addr_b64 v[68:71], v94 offset1:1
	ds_load_2addr_b64 v[88:91], v96 offset1:1
	ds_load_2addr_b64 v[92:95], v119 offset1:1
	ds_load_2addr_b64 v[96:99], v98 offset1:1
	ds_load_2addr_b64 v[114:117], v114 offset1:1
	ds_load_2addr_b64 v[118:121], v118 offset1:1
	ds_load_2addr_b64 v[122:125], v124 offset1:1
	ds_load_2addr_b64 v[126:129], v126 offset1:1
	ds_load_2addr_b64 v[130:133], v130 offset1:1
	s_add_i32 s19, s7, 0xffffea98
	s_add_i32 s21, s7, 0xffffe8a8
	;; [unrolled: 1-line block ×4, first 2 shown]
	s_waitcnt lgkmcnt(20)
	v_fma_f64 v[86:87], -v[104:105], v[86:87], v[108:109]
	s_waitcnt lgkmcnt(6)
	v_fma_f64 v[94:95], -v[102:103], v[94:95], v[106:107]
	v_fma_f64 v[26:27], -v[6:7], v[26:27], v[138:139]
	v_fma_f64 v[30:31], -v[2:3], v[30:31], v[134:135]
	v_fma_f64 v[34:35], -v[0:1], v[34:35], v[136:137]
	v_fma_f64 v[46:47], -v[10:11], v[46:47], v[142:143]
	v_fma_f64 v[50:51], -v[8:9], v[50:51], v[144:145]
	v_fma_f64 v[54:55], -v[14:15], v[54:55], v[146:147]
	v_fma_f64 v[58:59], -v[18:19], v[58:59], v[150:151]
	v_fma_f64 v[78:79], -v[12:13], v[78:79], v[148:149]
	v_fma_f64 v[62:63], -v[16:17], v[62:63], v[152:153]
	v_fma_f64 v[74:75], -v[20:21], v[74:75], v[156:157]
	v_fma_f64 v[82:83], -v[4:5], v[82:83], v[140:141]
	v_fma_f64 v[38:39], -v[22:23], v[38:39], v[154:155]
	v_fma_f64 v[84:85], -v[2:3], v[84:85], v[86:87]
	v_fma_f64 v[24:25], -v[4:5], v[24:25], v[26:27]
	v_fma_f64 v[86:87], -v[0:1], v[28:29], v[30:31]
	v_fma_f64 v[106:107], -v[6:7], v[32:33], v[34:35]
	v_mov_b32_e32 v28, s9
	s_add_i32 s9, s7, 0xffffe9c0
	v_fma_f64 v[108:109], -v[14:15], v[48:49], v[50:51]
	v_fma_f64 v[134:135], -v[12:13], v[52:53], v[54:55]
	v_mov_b32_e32 v32, s9
	v_fma_f64 v[56:57], -v[16:17], v[56:57], v[58:59]
	v_fma_f64 v[76:77], -v[18:19], v[76:77], v[78:79]
	;; [unrolled: 1-line block ×4, first 2 shown]
	v_mul_f64 v[26:27], v[72:73], v[74:75]
	s_add_i32 s9, s7, 0xffffeda0
	ds_load_2addr_b64 v[28:31], v28 offset1:1
	ds_load_2addr_b64 v[32:35], v32 offset1:1
	v_mov_b32_e32 v52, s15
	v_fma_f64 v[80:81], -v[10:11], v[80:81], v[82:83]
	v_fma_f64 v[82:83], -v[8:9], v[44:45], v[46:47]
	;; [unrolled: 1-line block ×3, first 2 shown]
	v_mov_b32_e32 v36, s9
	s_add_i32 s9, s3, 0xffffef80
	s_add_i32 s15, s7, 0xffffeba0
	v_mov_b32_e32 v92, s9
	s_add_i32 s9, s3, 0xffffee78
	ds_load_2addr_b64 v[36:39], v36 offset1:1
	v_mov_b32_e32 v44, s11
	s_add_i32 s11, s7, 0xffffec98
	v_mov_b32_e32 v48, s14
	ds_load_2addr_b64 v[44:47], v44 offset1:1
	ds_load_2addr_b64 v[48:51], v48 offset1:1
	;; [unrolled: 1-line block ×3, first 2 shown]
	s_add_i32 s14, s7, 0xffffec88
	s_waitcnt lgkmcnt(5)
	v_fma_f64 v[30:31], -v[0:1], v[30:31], v[84:85]
	v_mov_b32_e32 v84, s11
	v_fma_f64 v[24:25], -v[10:11], v[120:121], v[24:25]
	v_mov_b32_e32 v85, s14
	s_add_i32 s11, s7, 0xffffe5b0
	v_fma_f64 v[72:73], -v[6:7], v[128:129], v[86:87]
	v_fma_f64 v[74:75], -v[4:5], v[124:125], v[106:107]
	v_mov_b32_e32 v86, s17
	v_mov_b32_e32 v106, s25
	s_add_i32 s14, s7, 0xffffeb70
	s_add_i32 s17, s7, 0xffffea78
	v_fma_f64 v[70:71], -v[22:23], v[70:71], v[56:57]
	s_waitcnt lgkmcnt(3)
	v_fma_f64 v[38:39], -v[16:17], v[38:39], v[76:77]
	v_fma_f64 v[66:67], -v[20:21], v[66:67], v[58:59]
	v_mov_b32_e32 v76, s9
	s_add_i32 s9, s7, 0xffffee88
	ds_load_2addr_b64 v[56:59], v92 offset1:1
	v_mov_b32_e32 v77, s9
	s_sub_i32 s9, s8, 40
	v_mov_b32_e32 v92, s21
	v_fma_f64 v[34:35], -v[8:9], v[34:35], v[80:81]
	v_fma_f64 v[78:79], -v[14:15], v[116:117], v[82:83]
	;; [unrolled: 1-line block ×6, first 2 shown]
	v_dual_mov_b32 v63, s18 :: v_dual_mov_b32 v62, s15
	v_mov_b32_e32 v90, s19
	s_add_i32 s15, s7, 0xffffea88
	s_add_i32 s18, s7, 0xffffe898
	;; [unrolled: 1-line block ×4, first 2 shown]
	v_fma_f64 v[120:121], -v[6:7], v[28:29], v[30:31]
	v_mov_b32_e32 v28, s24
	v_fma_f64 v[118:119], -v[8:9], v[118:119], v[24:25]
	v_fma_f64 v[124:125], -v[4:5], v[126:127], v[72:73]
	;; [unrolled: 1-line block ×3, first 2 shown]
	v_mov_b32_e32 v72, s9
	s_sub_i32 s9, s8, 56
	v_fma_f64 v[138:139], -v[20:21], v[68:69], v[70:71]
	v_fma_f64 v[136:137], -v[22:23], v[36:37], v[38:39]
	;; [unrolled: 1-line block ×3, first 2 shown]
	v_mov_b32_e32 v36, s20
	s_add_i32 s20, s7, 0xffffe7a0
	v_fma_f64 v[126:127], -v[14:15], v[32:33], v[34:35]
	v_fma_f64 v[128:129], -v[12:13], v[114:115], v[78:79]
	;; [unrolled: 1-line block ×4, first 2 shown]
	v_mul_f64 v[24:25], v[40:41], v[42:43]
	v_fma_f64 v[130:131], -v[0:1], v[130:131], v[60:61]
	v_mov_b32_e32 v32, s22
	ds_load_2addr_b64 v[28:31], v28 offset1:1
	ds_load_2addr_b64 v[32:35], v32 offset1:1
	;; [unrolled: 1-line block ×7, first 2 shown]
	v_mov_b32_e32 v96, s23
	v_mov_b32_e32 v114, s9
	ds_load_2addr_b64 v[72:75], v72 offset1:1
	ds_load_2addr_b64 v[76:79], v76 offset1:1
	;; [unrolled: 1-line block ×9, first 2 shown]
	s_add_i32 s9, s7, 0xffffe5c0
	s_waitcnt lgkmcnt(17)
	v_fma_f64 v[54:55], -v[4:5], v[54:55], v[120:121]
	s_add_i32 s22, s7, 0xffffe6a8
	s_add_i32 s23, s7, 0xffffe698
	s_waitcnt lgkmcnt(15)
	v_fma_f64 v[30:31], -v[10:11], v[30:31], v[124:125]
	s_waitcnt lgkmcnt(14)
	v_fma_f64 v[34:35], -v[8:9], v[34:35], v[122:123]
	;; [unrolled: 2-line block ×3, first 2 shown]
	v_fma_f64 v[46:47], -v[20:21], v[46:47], v[136:137]
	s_waitcnt lgkmcnt(9)
	v_fma_f64 v[70:71], -v[26:27], v[70:71], v[138:139]
	v_fma_f64 v[50:51], -v[12:13], v[50:51], v[126:127]
	;; [unrolled: 1-line block ×6, first 2 shown]
	s_waitcnt lgkmcnt(8)
	v_fma_f64 v[74:75], -v[6:7], v[74:75], v[130:131]
	v_fma_f64 v[118:119], -v[10:11], v[52:53], v[54:55]
	v_mov_b32_e32 v52, s11
	s_add_i32 s11, s7, 0xffffeb80
	v_fma_f64 v[28:29], -v[8:9], v[28:29], v[30:31]
	v_fma_f64 v[120:121], -v[14:15], v[32:33], v[34:35]
	v_fma_f64 v[122:123], -v[12:13], v[36:37], v[38:39]
	v_mov_b32_e32 v32, s9
	s_add_i32 s9, s7, 0xffffe9a0
	s_delay_alu instid0(SALU_CYCLE_1)
	v_mov_b32_e32 v36, s9
	s_add_i32 s9, s7, 0xffffed80
	ds_load_2addr_b64 v[32:35], v32 offset1:1
	v_fma_f64 v[124:125], -v[18:19], v[48:49], v[50:51]
	ds_load_2addr_b64 v[36:39], v36 offset1:1
	v_fma_f64 v[126:127], -v[16:17], v[40:41], v[42:43]
	v_fma_f64 v[60:61], -v[22:23], v[60:61], v[62:63]
	;; [unrolled: 1-line block ×5, first 2 shown]
	v_mul_f64 v[30:31], v[56:57], v[58:59]
	v_fma_f64 v[56:57], -v[4:5], v[72:73], v[74:75]
	v_mov_b32_e32 v40, s9
	s_add_i32 s9, s3, 0xffffed70
	s_delay_alu instid0(SALU_CYCLE_1)
	v_mov_b32_e32 v44, s9
	s_add_i32 s9, s7, 0xffffe990
	ds_load_2addr_b64 v[40:43], v40 offset1:1
	v_mov_b32_e32 v48, s9
	s_add_i32 s9, s3, 0xffffec68
	ds_load_2addr_b64 v[44:47], v44 offset1:1
	ds_load_2addr_b64 v[48:51], v48 offset1:1
	;; [unrolled: 1-line block ×3, first 2 shown]
	s_waitcnt lgkmcnt(5)
	v_fma_f64 v[34:35], -v[8:9], v[34:35], v[118:119]
	v_mov_b32_e32 v72, s9
	s_add_i32 s9, s7, 0xffffec78
	v_fma_f64 v[28:29], -v[14:15], v[108:109], v[28:29]
	v_fma_f64 v[58:59], -v[12:13], v[98:99], v[120:121]
	;; [unrolled: 1-line block ×3, first 2 shown]
	s_waitcnt lgkmcnt(4)
	v_fma_f64 v[38:39], -v[16:17], v[38:39], v[124:125]
	v_fma_f64 v[70:71], -v[22:23], v[90:91], v[126:127]
	;; [unrolled: 1-line block ×4, first 2 shown]
	s_waitcnt lgkmcnt(3)
	v_fma_f64 v[42:43], -v[24:25], v[42:43], v[64:65]
	v_fma_f64 v[64:65], -v[30:31], v[78:79], v[66:67]
	;; [unrolled: 1-line block ×3, first 2 shown]
	v_mov_b32_e32 v66, s9
	s_add_i32 s9, s8, 0xffffffb8
	v_fma_f64 v[108:109], -v[14:15], v[32:33], v[34:35]
	v_mov_b32_e32 v32, s22
	v_fma_f64 v[106:107], -v[12:13], v[106:107], v[28:29]
	v_fma_f64 v[116:117], -v[18:19], v[96:97], v[58:59]
	;; [unrolled: 1-line block ×3, first 2 shown]
	v_mov_b32_e32 v68, s9
	s_add_i32 s9, s8, 0xffffffa8
	v_mov_b32_e32 v92, s23
	v_mov_b32_e32 v96, s9
	s_add_i32 s9, s7, 0xffffe5a0
	v_fma_f64 v[120:121], -v[22:23], v[36:37], v[38:39]
	v_mov_b32_e32 v36, s20
	v_fma_f64 v[122:123], -v[20:21], v[88:89], v[70:71]
	v_fma_f64 v[124:125], -v[26:27], v[84:85], v[60:61]
	;; [unrolled: 1-line block ×4, first 2 shown]
	v_mov_b32_e32 v60, s11
	v_mul_f64 v[28:29], v[76:77], v[64:65]
	v_fma_f64 v[114:115], -v[8:9], v[114:115], v[56:57]
	v_mov_b32_e32 v56, s15
	v_mov_b32_e32 v40, s18
	ds_load_2addr_b64 v[32:35], v32 offset1:1
	ds_load_2addr_b64 v[36:39], v36 offset1:1
	;; [unrolled: 1-line block ×7, first 2 shown]
	v_mov_b32_e32 v76, s14
	v_mov_b32_e32 v80, s17
	;; [unrolled: 1-line block ×4, first 2 shown]
	s_waitcnt lgkmcnt(7)
	v_fma_f64 v[54:55], -v[12:13], v[54:55], v[108:109]
	ds_load_2addr_b64 v[72:75], v72 offset1:1
	ds_load_2addr_b64 v[76:79], v76 offset1:1
	;; [unrolled: 1-line block ×7, first 2 shown]
	s_add_i32 s11, s7, 0xffffe590
	s_add_i32 s14, s7, 0xffffe878
	;; [unrolled: 1-line block ×4, first 2 shown]
	s_waitcnt lgkmcnt(13)
	v_fma_f64 v[34:35], -v[18:19], v[34:35], v[106:107]
	s_waitcnt lgkmcnt(12)
	v_fma_f64 v[38:39], -v[16:17], v[38:39], v[116:117]
	;; [unrolled: 2-line block ×3, first 2 shown]
	v_fma_f64 v[50:51], -v[20:21], v[50:51], v[120:121]
	s_waitcnt lgkmcnt(10)
	v_fma_f64 v[58:59], -v[26:27], v[58:59], v[122:123]
	s_waitcnt lgkmcnt(9)
	;; [unrolled: 2-line block ×3, first 2 shown]
	v_fma_f64 v[66:67], -v[30:31], v[66:67], v[126:127]
	v_fma_f64 v[46:47], -v[28:29], v[46:47], v[128:129]
	s_waitcnt lgkmcnt(7)
	v_fma_f64 v[70:71], -v[14:15], v[70:71], v[114:115]
	v_fma_f64 v[52:53], -v[18:19], v[52:53], v[54:55]
	v_fma_f64 v[32:33], -v[16:17], v[32:33], v[34:35]
	v_fma_f64 v[54:55], -v[22:23], v[36:37], v[38:39]
	v_fma_f64 v[106:107], -v[20:21], v[40:41], v[42:43]
	v_mov_b32_e32 v36, s9
	s_add_i32 s9, s7, 0xffffe980
	s_delay_alu instid0(SALU_CYCLE_1)
	v_mov_b32_e32 v40, s9
	v_fma_f64 v[108:109], -v[26:27], v[48:49], v[50:51]
	ds_load_2addr_b64 v[36:39], v36 offset1:1
	ds_load_2addr_b64 v[40:43], v40 offset1:1
	v_fma_f64 v[56:57], -v[24:25], v[56:57], v[58:59]
	v_fma_f64 v[58:59], -v[30:31], v[60:61], v[62:63]
	;; [unrolled: 1-line block ×3, first 2 shown]
	v_mul_f64 v[34:35], v[44:45], v[46:47]
	v_fma_f64 v[62:63], -v[12:13], v[68:69], v[70:71]
	s_add_i32 s9, s7, 0xffffe970
	v_mov_b32_e32 v48, s11
	v_mov_b32_e32 v44, s9
	s_add_i32 s9, s3, 0xffffeb60
	s_add_i32 s11, s7, 0xffffea68
	ds_load_2addr_b64 v[44:47], v44 offset1:1
	ds_load_2addr_b64 v[48:51], v48 offset1:1
	s_waitcnt lgkmcnt(3)
	v_fma_f64 v[38:39], -v[16:17], v[38:39], v[52:53]
	v_mov_b32_e32 v52, s9
	s_add_i32 s9, s3, 0xffffea58
	s_delay_alu instid0(SALU_CYCLE_1)
	v_mov_b32_e32 v68, s9
	s_add_i32 s9, s7, 0xffffe868
	v_fma_f64 v[32:33], -v[22:23], v[94:95], v[32:33]
	v_fma_f64 v[64:65], -v[20:21], v[90:91], v[54:55]
	;; [unrolled: 1-line block ×3, first 2 shown]
	ds_load_2addr_b64 v[52:55], v52 offset1:1
	s_waitcnt lgkmcnt(3)
	v_fma_f64 v[42:43], -v[24:25], v[42:43], v[108:109]
	v_fma_f64 v[56:57], -v[30:31], v[82:83], v[56:57]
	;; [unrolled: 1-line block ×6, first 2 shown]
	v_mov_b32_e32 v36, s17
	v_fma_f64 v[92:93], -v[20:21], v[92:93], v[32:33]
	v_fma_f64 v[88:89], -v[26:27], v[88:89], v[64:65]
	;; [unrolled: 1-line block ×4, first 2 shown]
	v_mov_b32_e32 v40, s15
	v_fma_f64 v[106:107], -v[28:29], v[80:81], v[56:57]
	v_fma_f64 v[108:109], -v[34:35], v[76:77], v[58:59]
	v_mov_b32_e32 v56, s14
	v_mul_f64 v[32:33], v[72:73], v[60:61]
	v_fma_f64 v[96:97], -v[16:17], v[96:97], v[62:63]
	s_add_i32 s14, s8, 0xffffff98
	v_mov_b32_e32 v60, s11
	v_mov_b32_e32 v64, s14
	ds_load_2addr_b64 v[36:39], v36 offset1:1
	ds_load_2addr_b64 v[40:43], v40 offset1:1
	;; [unrolled: 1-line block ×3, first 2 shown]
	v_mov_b32_e32 v72, s9
	s_add_i32 s9, s8, 0xffffff88
	ds_load_2addr_b64 v[60:63], v60 offset1:1
	ds_load_2addr_b64 v[64:67], v64 offset1:1
	v_mov_b32_e32 v84, s9
	s_add_i32 s9, s7, 0xffffe580
	s_add_i32 s11, s7, 0xffffe770
	;; [unrolled: 1-line block ×3, first 2 shown]
	v_mov_b32_e32 v76, s11
	s_waitcnt lgkmcnt(6)
	v_fma_f64 v[50:51], -v[20:21], v[50:51], v[90:91]
	v_mov_b32_e32 v80, s14
	ds_load_2addr_b64 v[68:71], v68 offset1:1
	ds_load_2addr_b64 v[72:75], v72 offset1:1
	;; [unrolled: 1-line block ×5, first 2 shown]
	s_add_i32 s11, s7, 0xffffe570
	s_add_i32 s14, s7, 0xffffe668
	s_waitcnt lgkmcnt(9)
	v_fma_f64 v[38:39], -v[26:27], v[38:39], v[92:93]
	s_waitcnt lgkmcnt(8)
	v_fma_f64 v[42:43], -v[24:25], v[42:43], v[88:89]
	;; [unrolled: 2-line block ×3, first 2 shown]
	v_fma_f64 v[46:47], -v[28:29], v[46:47], v[98:99]
	s_waitcnt lgkmcnt(6)
	v_fma_f64 v[62:63], -v[34:35], v[62:63], v[106:107]
	v_fma_f64 v[54:55], -v[32:33], v[54:55], v[108:109]
	s_waitcnt lgkmcnt(5)
	v_fma_f64 v[66:67], -v[22:23], v[66:67], v[96:97]
	v_fma_f64 v[88:89], -v[26:27], v[48:49], v[50:51]
	;; [unrolled: 1-line block ×5, first 2 shown]
	v_mov_b32_e32 v40, s9
	s_add_i32 s9, s7, 0xffffe960
	v_fma_f64 v[58:59], -v[34:35], v[44:45], v[46:47]
	v_mov_b32_e32 v44, s9
	ds_load_2addr_b64 v[40:43], v40 offset1:1
	ds_load_2addr_b64 v[44:47], v44 offset1:1
	v_fma_f64 v[60:61], -v[32:33], v[60:61], v[62:63]
	v_mul_f64 v[38:39], v[52:53], v[54:55]
	v_fma_f64 v[62:63], -v[20:21], v[64:65], v[66:67]
	s_add_i32 s9, s3, 0xffffe950
	v_mov_b32_e32 v52, s11
	v_mov_b32_e32 v48, s9
	s_add_i32 s9, s7, 0xffffe858
	s_add_i32 s11, s7, 0xffffe760
	ds_load_2addr_b64 v[48:51], v48 offset1:1
	ds_load_2addr_b64 v[52:55], v52 offset1:1
	s_waitcnt lgkmcnt(3)
	v_fma_f64 v[42:43], -v[24:25], v[42:43], v[88:89]
	v_fma_f64 v[36:37], -v[30:31], v[82:83], v[36:37]
	v_fma_f64 v[64:65], -v[28:29], v[78:79], v[90:91]
	v_fma_f64 v[56:57], -v[34:35], v[74:75], v[56:57]
	s_waitcnt lgkmcnt(2)
	v_fma_f64 v[46:47], -v[32:33], v[46:47], v[58:59]
	v_fma_f64 v[58:59], -v[38:39], v[70:71], v[60:61]
	;; [unrolled: 1-line block ×4, first 2 shown]
	v_mov_b32_e32 v40, s14
	v_fma_f64 v[80:81], -v[28:29], v[80:81], v[36:37]
	v_fma_f64 v[86:87], -v[34:35], v[76:77], v[64:65]
	v_fma_f64 v[88:89], -v[32:33], v[72:73], v[56:57]
	v_mov_b32_e32 v56, s9
	s_add_i32 s9, s8, 0xffffff78
	v_fma_f64 v[90:91], -v[38:39], v[44:45], v[46:47]
	v_mov_b32_e32 v44, s11
	s_add_i32 s11, s7, 0xffffe658
	s_delay_alu instid0(SALU_CYCLE_1)
	v_mov_b32_e32 v72, s11
	s_add_i32 s11, s3, 0xffffe740
	v_mul_f64 v[36:37], v[68:69], v[58:59]
	v_fma_f64 v[84:85], -v[24:25], v[84:85], v[60:61]
	v_mov_b32_e32 v60, s9
	ds_load_2addr_b64 v[40:43], v40 offset1:1
	ds_load_2addr_b64 v[44:47], v44 offset1:1
	;; [unrolled: 1-line block ×4, first 2 shown]
	s_add_i32 s9, s3, 0xffffe848
	s_delay_alu instid0(SALU_CYCLE_1) | instskip(SKIP_1) | instid1(SALU_CYCLE_1)
	v_mov_b32_e32 v64, s9
	s_add_i32 s9, s7, 0xffffe750
	v_mov_b32_e32 v68, s9
	s_add_i32 s9, s8, 0xffffff68
	s_delay_alu instid0(SALU_CYCLE_1)
	v_mov_b32_e32 v76, s9
	s_add_i32 s9, s7, 0xffffe560
	ds_load_2addr_b64 v[64:67], v64 offset1:1
	ds_load_2addr_b64 v[68:71], v68 offset1:1
	;; [unrolled: 1-line block ×4, first 2 shown]
	s_waitcnt lgkmcnt(8)
	v_fma_f64 v[54:55], -v[28:29], v[54:55], v[82:83]
	s_waitcnt lgkmcnt(7)
	v_fma_f64 v[42:43], -v[34:35], v[42:43], v[80:81]
	;; [unrolled: 2-line block ×4, first 2 shown]
	v_fma_f64 v[50:51], -v[36:37], v[50:51], v[90:91]
	s_waitcnt lgkmcnt(4)
	v_fma_f64 v[62:63], -v[30:31], v[62:63], v[84:85]
	v_fma_f64 v[52:53], -v[34:35], v[52:53], v[54:55]
	;; [unrolled: 1-line block ×5, first 2 shown]
	v_mov_b32_e32 v44, s9
	s_add_i32 s9, s7, 0xffffe550
	ds_load_2addr_b64 v[44:47], v44 offset1:1
	v_mul_f64 v[42:43], v[48:49], v[50:51]
	v_fma_f64 v[58:59], -v[28:29], v[60:61], v[62:63]
	v_mov_b32_e32 v48, s9
	s_add_i32 s9, s7, 0xffffe648
	s_addk_i32 s7, 0xe540
	ds_load_2addr_b64 v[48:51], v48 offset1:1
	s_waitcnt lgkmcnt(1)
	v_fma_f64 v[46:47], -v[32:33], v[46:47], v[52:53]
	v_fma_f64 v[40:41], -v[38:39], v[74:75], v[40:41]
	;; [unrolled: 1-line block ×6, first 2 shown]
	v_mov_b32_e32 v44, s9
	s_add_i32 s9, s8, 0xffffff58
	v_fma_f64 v[72:73], -v[36:37], v[72:73], v[40:41]
	v_fma_f64 v[68:69], -v[42:43], v[68:69], v[52:53]
	v_mov_b32_e32 v52, s11
	s_add_i32 s11, s8, 0xffffff48
	v_mul_f64 v[40:41], v[64:65], v[54:55]
	v_fma_f64 v[74:75], -v[32:33], v[76:77], v[56:57]
	v_mov_b32_e32 v56, s9
	ds_load_2addr_b64 v[44:47], v44 offset1:1
	ds_load_2addr_b64 v[52:55], v52 offset1:1
	;; [unrolled: 1-line block ×3, first 2 shown]
	s_add_i32 s9, s3, 0xffffe638
	v_mov_b32_e32 v64, s11
	v_mov_b32_e32 v60, s9
	ds_load_2addr_b64 v[60:63], v60 offset1:1
	ds_load_2addr_b64 v[64:67], v64 offset1:1
	s_waitcnt lgkmcnt(5)
	v_fma_f64 v[50:51], -v[36:37], v[50:51], v[70:71]
	s_waitcnt lgkmcnt(4)
	v_fma_f64 v[46:47], -v[42:43], v[46:47], v[72:73]
	;; [unrolled: 2-line block ×4, first 2 shown]
	s_delay_alu instid0(VALU_DEP_4)
	v_fma_f64 v[68:69], -v[42:43], v[48:49], v[50:51]
	v_mov_b32_e32 v48, s7
	s_add_i32 s7, s3, 0xffffe530
	s_addk_i32 s3, 0xe428
	ds_load_2addr_b64 v[48:51], v48 offset1:1
	v_fma_f64 v[44:45], -v[40:41], v[44:45], v[46:47]
	v_mul_f64 v[46:47], v[52:53], v[54:55]
	v_fma_f64 v[56:57], -v[36:37], v[56:57], v[58:59]
	v_mov_b32_e32 v52, s7
	s_add_i32 s7, s8, 0xffffff38
	ds_load_2addr_b64 v[52:55], v52 offset1:1
	s_waitcnt lgkmcnt(1)
	v_fma_f64 v[50:51], -v[40:41], v[50:51], v[68:69]
	v_fma_f64 v[44:45], -v[46:47], v[62:63], v[44:45]
	;; [unrolled: 1-line block ×3, first 2 shown]
	s_delay_alu instid0(VALU_DEP_3) | instskip(SKIP_2) | instid1(SALU_CYCLE_1)
	v_fma_f64 v[62:63], -v[46:47], v[48:49], v[50:51]
	v_mov_b32_e32 v48, s7
	s_ashr_i32 s7, s6, 31
	s_lshl_b64 s[8:9], s[6:7], 3
	s_sub_i32 s6, s6, 28
	ds_load_2addr_b64 v[48:51], v48 offset1:1
	v_mul_f64 v[44:45], v[60:61], v[44:45]
	v_fma_f64 v[60:61], -v[40:41], v[64:65], v[56:57]
	v_mov_b32_e32 v56, s3
	ds_load_2addr_b64 v[56:59], v56 offset1:1
	s_waitcnt lgkmcnt(2)
	v_fma_f64 v[54:55], -v[44:45], v[54:55], v[62:63]
	s_waitcnt lgkmcnt(1)
	v_fma_f64 v[60:61], -v[46:47], v[50:51], v[60:61]
	s_delay_alu instid0(VALU_DEP_2) | instskip(NEXT) | instid1(VALU_DEP_2)
	v_mul_f64 v[50:51], v[52:53], v[54:55]
	v_fma_f64 v[48:49], -v[44:45], v[48:49], v[60:61]
	v_add_co_u32 v52, vcc_lo, v110, s8
	v_add_co_ci_u32_e32 v53, vcc_lo, s9, v111, vcc_lo
	s_clause 0xc
	global_store_b64 v[52:53], v[104:105], off offset:-8
	global_store_b128 v[52:53], v[0:3], off offset:-24
	global_store_b128 v[52:53], v[4:7], off offset:-40
	;; [unrolled: 1-line block ×12, first 2 shown]
	s_waitcnt lgkmcnt(0)
	v_fma_f64 v[48:49], -v[50:51], v[58:59], v[48:49]
	s_delay_alu instid0(VALU_DEP_1)
	v_mul_f64 v[48:49], v[56:57], v[48:49]
	s_clause 0x1
	global_store_b64 v[100:101], v[102:103], off
	global_store_b128 v[52:53], v[48:51], off offset:-216
.LBB105_20:
	s_cmp_lt_i32 s6, 0
	s_cbranch_scc1 .LBB105_33
; %bb.21:
	s_bitcmp1_b32 s6, 0
	s_mov_b32 s8, s6
	s_cselect_b32 s3, -1, 0
	s_delay_alu instid0(SALU_CYCLE_1)
	s_and_b32 vcc_lo, exec_lo, s3
	s_cbranch_vccnz .LBB105_26
; %bb.22:
	s_mov_b32 s7, 0
	s_delay_alu instid0(SALU_CYCLE_1)
	s_lshl_b64 s[8:9], s[6:7], 3
	s_cmp_le_i32 s16, s6
	v_add_co_u32 v0, vcc_lo, v110, s8
	v_add_co_ci_u32_e32 v1, vcc_lo, s9, v111, vcc_lo
	global_load_b64 v[2:3], v[0:1], off
	s_waitcnt vmcnt(0)
	v_mul_f64 v[2:3], v[2:3], s[4:5]
	s_cbranch_scc1 .LBB105_25
; %bb.23:
	s_lshl_b32 s3, s6, 8
	s_lshl_b32 s7, s2, 3
	s_ashr_i32 s17, s16, 31
	s_add_i32 s3, s3, s7
	s_lshl_b64 s[8:9], s[16:17], 3
	s_add_i32 s3, s3, -8
	s_add_u32 s7, s12, s8
	s_addc_u32 s8, s13, s9
	s_add_u32 s7, s7, s0
	s_addc_u32 s8, s8, s1
	v_add_co_u32 v4, vcc_lo, s7, v112
	v_add_co_ci_u32_e32 v5, vcc_lo, s8, v113, vcc_lo
	s_mov_b32 s7, s16
.LBB105_24:                             ; =>This Inner Loop Header: Depth=1
	global_load_b64 v[6:7], v[4:5], off
	v_mov_b32_e32 v8, s3
	v_add_co_u32 v4, vcc_lo, v4, -8
	v_add_co_ci_u32_e32 v5, vcc_lo, -1, v5, vcc_lo
	ds_load_b64 v[8:9], v8
	s_add_i32 s7, s7, -1
	s_add_i32 s3, s3, -8
	s_cmp_gt_i32 s7, s6
	s_waitcnt vmcnt(0) lgkmcnt(0)
	v_fma_f64 v[2:3], -v[6:7], v[8:9], v[2:3]
	s_cbranch_scc1 .LBB105_24
.LBB105_25:
	s_mul_i32 s3, s6, 0x108
	s_add_i32 s8, s6, -1
	v_mov_b32_e32 v4, s3
	ds_load_b64 v[4:5], v4
	s_waitcnt lgkmcnt(0)
	v_mul_f64 v[2:3], v[4:5], v[2:3]
	global_store_b64 v[0:1], v[2:3], off
.LBB105_26:
	s_cmp_eq_u32 s6, 0
	s_mov_b32 s9, 0
	s_cbranch_scc1 .LBB105_33
; %bb.27:
	s_lshl_b32 s3, s8, 8
	s_lshl_b32 s6, s2, 3
	s_ashr_i32 s17, s16, 31
	s_add_i32 s11, s3, s6
	s_lshl_b64 s[6:7], s[16:17], 3
	s_add_i32 s3, s11, -8
	s_add_u32 s6, s12, s6
	s_addc_u32 s7, s13, s7
	s_add_u32 s6, s6, s0
	s_addc_u32 s7, s7, s1
	v_add_co_u32 v0, vcc_lo, s6, v112
	v_add_co_ci_u32_e32 v1, vcc_lo, s7, v113, vcc_lo
	s_add_i32 s6, s11, 0xfffffef8
	s_branch .LBB105_29
.LBB105_28:                             ;   in Loop: Header=BB105_29 Depth=1
	s_addk_i32 s7, 0xfef8
	s_addk_i32 s3, 0xfe00
	v_mov_b32_e32 v6, s7
	s_add_i32 s7, s8, -2
	s_addk_i32 s6, 0xfe00
	s_cmp_lt_i32 s8, 2
	s_mov_b32 s8, s7
	ds_load_b64 v[6:7], v6
	s_waitcnt lgkmcnt(0)
	v_mul_f64 v[4:5], v[6:7], v[4:5]
	global_store_b64 v[2:3], v[4:5], off offset:-8
	s_cbranch_scc1 .LBB105_33
.LBB105_29:                             ; =>This Loop Header: Depth=1
                                        ;     Child Loop BB105_30 Depth 2
                                        ;     Child Loop BB105_32 Depth 2
	s_lshl_b64 s[14:15], s[8:9], 3
	s_delay_alu instid0(VALU_DEP_1)
	v_dual_mov_b32 v5, v1 :: v_dual_mov_b32 v4, v0
	v_add_co_u32 v2, vcc_lo, v110, s14
	v_add_co_ci_u32_e32 v3, vcc_lo, s15, v111, vcc_lo
	s_cmp_le_i32 s16, s8
	s_mov_b32 s7, s3
	s_mov_b32 s11, s16
	global_load_b64 v[2:3], v[2:3], off
	s_waitcnt vmcnt(0)
	v_mul_f64 v[2:3], v[2:3], s[4:5]
	s_cbranch_scc1 .LBB105_31
.LBB105_30:                             ;   Parent Loop BB105_29 Depth=1
                                        ; =>  This Inner Loop Header: Depth=2
	global_load_b64 v[6:7], v[4:5], off
	v_mov_b32_e32 v8, s7
	v_add_co_u32 v4, vcc_lo, v4, -8
	v_add_co_ci_u32_e32 v5, vcc_lo, -1, v5, vcc_lo
	ds_load_b64 v[8:9], v8
	s_add_i32 s11, s11, -1
	s_add_i32 s7, s7, -8
	s_cmp_gt_i32 s11, s8
	s_waitcnt vmcnt(0) lgkmcnt(0)
	v_fma_f64 v[2:3], -v[6:7], v[8:9], v[2:3]
	s_cbranch_scc1 .LBB105_30
.LBB105_31:                             ;   in Loop: Header=BB105_29 Depth=1
	s_add_i32 s14, s8, -1
	s_mov_b32 s15, s9
	s_mul_i32 s7, s8, 0x108
	s_lshl_b64 s[14:15], s[14:15], 3
	v_mov_b32_e32 v6, s7
	v_add_co_u32 v4, vcc_lo, v110, s14
	v_add_co_ci_u32_e32 v5, vcc_lo, s15, v111, vcc_lo
	ds_load_b64 v[6:7], v6
	s_ashr_i32 s15, s8, 31
	s_mov_b32 s14, s8
	global_load_b64 v[4:5], v[4:5], off
	s_lshl_b64 s[14:15], s[14:15], 3
	s_cmp_lt_i32 s16, s8
	s_mov_b32 s11, s6
	s_waitcnt lgkmcnt(0)
	v_mul_f64 v[8:9], v[6:7], v[2:3]
	v_add_co_u32 v2, vcc_lo, v110, s14
	v_add_co_ci_u32_e32 v3, vcc_lo, s15, v111, vcc_lo
	v_dual_mov_b32 v7, v1 :: v_dual_mov_b32 v6, v0
	s_mov_b32 s14, s2
	global_store_b64 v[2:3], v[8:9], off
	s_waitcnt vmcnt(0)
	v_mul_f64 v[4:5], v[4:5], s[4:5]
	s_cbranch_scc1 .LBB105_28
.LBB105_32:                             ;   Parent Loop BB105_29 Depth=1
                                        ; =>  This Inner Loop Header: Depth=2
	global_load_b64 v[8:9], v[6:7], off
	v_mov_b32_e32 v10, s11
	v_add_co_u32 v6, vcc_lo, v6, -8
	v_add_co_ci_u32_e32 v7, vcc_lo, -1, v7, vcc_lo
	ds_load_b64 v[10:11], v10
	s_add_i32 s14, s14, -1
	s_add_i32 s11, s11, -8
	s_cmp_gt_i32 s14, s8
	s_waitcnt vmcnt(0) lgkmcnt(0)
	v_fma_f64 v[4:5], -v[8:9], v[10:11], v[4:5]
	s_cbranch_scc1 .LBB105_32
	s_branch .LBB105_28
.LBB105_33:
	s_mov_b32 s3, 0
.LBB105_34:
	s_delay_alu instid0(SALU_CYCLE_1)
	s_and_b32 vcc_lo, exec_lo, s3
	s_cbranch_vccz .LBB105_54
; %bb.35:
	s_cmp_gt_i32 s10, 31
	s_mov_b32 s6, 0
	s_cselect_b32 s3, -1, 0
	s_delay_alu instid0(SALU_CYCLE_1)
	s_and_b32 vcc_lo, exec_lo, s3
	s_cbranch_vccz .LBB105_37
; %bb.36:
	s_clause 0x3
	global_load_b128 v[0:3], v[110:111], off
	global_load_b128 v[26:29], v[110:111], off offset:16
	global_load_b128 v[8:11], v[110:111], off offset:32
	;; [unrolled: 1-line block ×3, first 2 shown]
	v_dual_mov_b32 v48, 0 :: v_dual_mov_b32 v109, 0xb88
	s_mov_b32 s6, 32
	ds_load_b128 v[14:17], v48
	ds_load_b128 v[22:25], v48 offset:16
	s_waitcnt vmcnt(3)
	v_mul_f64 v[0:1], v[0:1], s[4:5]
	s_waitcnt lgkmcnt(1)
	s_delay_alu instid0(VALU_DEP_1)
	v_mul_f64 v[0:1], v[14:15], v[0:1]
	global_load_b128 v[12:15], v[110:111], off offset:64
	v_mul_f64 v[16:17], v[0:1], v[16:17]
	s_waitcnt lgkmcnt(0)
	v_mul_f64 v[30:31], v[0:1], v[22:23]
	v_mul_f64 v[38:39], v[0:1], v[24:25]
	s_delay_alu instid0(VALU_DEP_3)
	v_fma_f64 v[2:3], v[2:3], s[4:5], -v[16:17]
	global_load_b128 v[16:19], v[110:111], off offset:80
	ds_load_2addr_b64 v[34:37], v48 offset0:33 offset1:34
	ds_load_2addr_b64 v[20:23], v48 offset0:35 offset1:36
	s_waitcnt vmcnt(4)
	v_fma_f64 v[30:31], v[26:27], s[4:5], -v[30:31]
	v_fma_f64 v[44:45], v[28:29], s[4:5], -v[38:39]
	s_waitcnt lgkmcnt(1)
	v_mul_f64 v[2:3], v[34:35], v[2:3]
	ds_load_b128 v[24:27], v48 offset:32
	ds_load_b128 v[32:35], v48 offset:48
	s_waitcnt lgkmcnt(1)
	v_mul_f64 v[46:47], v[0:1], v[24:25]
	v_mul_f64 v[26:27], v[0:1], v[26:27]
	s_waitcnt lgkmcnt(0)
	v_mul_f64 v[32:33], v[0:1], v[32:33]
	v_mul_f64 v[65:66], v[0:1], v[34:35]
	v_fma_f64 v[24:25], -v[2:3], v[36:37], v[30:31]
	global_load_b128 v[28:31], v[110:111], off offset:96
	ds_load_b128 v[36:39], v48 offset:528
	ds_load_2addr_b64 v[40:43], v48 offset0:61 offset1:62
	v_fma_f64 v[20:21], -v[2:3], v[20:21], v[44:45]
	s_waitcnt vmcnt(4)
	v_fma_f64 v[46:47], v[8:9], s[4:5], -v[46:47]
	v_fma_f64 v[10:11], v[10:11], s[4:5], -v[26:27]
	s_waitcnt vmcnt(3)
	v_fma_f64 v[4:5], v[4:5], s[4:5], -v[32:33]
	s_waitcnt lgkmcnt(1)
	v_mul_f64 v[8:9], v[36:37], v[24:25]
	s_delay_alu instid0(VALU_DEP_4) | instskip(NEXT) | instid1(VALU_DEP_2)
	v_fma_f64 v[61:62], -v[2:3], v[22:23], v[46:47]
	v_fma_f64 v[63:64], -v[8:9], v[38:39], v[20:21]
	global_load_b128 v[20:23], v[110:111], off offset:112
	ds_load_2addr_b64 v[24:27], v48 offset0:37 offset1:38
	ds_load_b128 v[36:39], v48 offset:544
	ds_load_2addr_b64 v[44:47], v48 offset0:99 offset1:100
	ds_load_2addr_b64 v[49:52], v48 offset0:101 offset1:102
	ds_load_b128 v[53:56], v48 offset:560
	ds_load_2addr_b64 v[57:60], v48 offset0:39 offset1:40
	s_waitcnt lgkmcnt(5)
	v_fma_f64 v[24:25], -v[2:3], v[24:25], v[10:11]
	s_waitcnt lgkmcnt(4)
	v_fma_f64 v[36:37], -v[8:9], v[36:37], v[61:62]
	s_waitcnt lgkmcnt(3)
	v_mul_f64 v[10:11], v[44:45], v[63:64]
	ds_load_b128 v[32:35], v48 offset:64
	ds_load_b128 v[61:64], v48 offset:80
	v_fma_f64 v[44:45], v[6:7], s[4:5], -v[65:66]
	v_fma_f64 v[65:66], -v[2:3], v[26:27], v[4:5]
	v_fma_f64 v[67:68], -v[8:9], v[38:39], v[24:25]
	s_waitcnt lgkmcnt(1)
	v_mul_f64 v[32:33], v[0:1], v[32:33]
	v_mul_f64 v[34:35], v[0:1], v[34:35]
	s_waitcnt lgkmcnt(0)
	v_mul_f64 v[61:62], v[0:1], v[61:62]
	v_mul_f64 v[85:86], v[0:1], v[63:64]
	v_fma_f64 v[46:47], -v[10:11], v[46:47], v[36:37]
	global_load_b128 v[36:39], v[110:111], off offset:128
	ds_load_b128 v[4:7], v48 offset:1056
	ds_load_b128 v[24:27], v48 offset:1072
	v_fma_f64 v[49:50], -v[10:11], v[49:50], v[67:68]
	s_waitcnt vmcnt(4)
	v_fma_f64 v[12:13], v[12:13], s[4:5], -v[32:33]
	v_fma_f64 v[32:33], -v[2:3], v[57:58], v[44:45]
	v_fma_f64 v[44:45], -v[8:9], v[53:54], v[65:66]
	v_fma_f64 v[77:78], v[14:15], s[4:5], -v[34:35]
	s_waitcnt lgkmcnt(1)
	v_mul_f64 v[4:5], v[4:5], v[46:47]
	v_fma_f64 v[79:80], -v[2:3], v[59:60], v[12:13]
	v_fma_f64 v[81:82], -v[8:9], v[55:56], v[32:33]
	v_fma_f64 v[83:84], -v[10:11], v[51:52], v[44:45]
	global_load_b128 v[32:35], v[110:111], off offset:144
	v_fma_f64 v[6:7], -v[4:5], v[6:7], v[49:50]
	ds_load_2addr_b64 v[12:15], v48 offset0:41 offset1:42
	ds_load_b128 v[44:47], v48 offset:576
	ds_load_2addr_b64 v[49:52], v48 offset0:103 offset1:104
	ds_load_2addr_b64 v[53:56], v48 offset0:165 offset1:166
	;; [unrolled: 1-line block ×4, first 2 shown]
	ds_load_b128 v[69:72], v48 offset:592
	ds_load_2addr_b64 v[73:76], v48 offset0:43 offset1:44
	s_waitcnt lgkmcnt(7)
	v_fma_f64 v[12:13], -v[2:3], v[12:13], v[77:78]
	s_waitcnt vmcnt(4)
	v_fma_f64 v[16:17], v[16:17], s[4:5], -v[61:62]
	s_waitcnt lgkmcnt(6)
	v_fma_f64 v[44:45], -v[8:9], v[44:45], v[79:80]
	ds_load_b128 v[61:64], v48 offset:96
	ds_load_b128 v[77:80], v48 offset:112
	s_waitcnt lgkmcnt(7)
	v_fma_f64 v[49:50], -v[10:11], v[49:50], v[81:82]
	v_fma_f64 v[24:25], -v[4:5], v[24:25], v[83:84]
	s_waitcnt lgkmcnt(6)
	v_mul_f64 v[6:7], v[53:54], v[6:7]
	s_waitcnt lgkmcnt(1)
	v_mul_f64 v[53:54], v[0:1], v[61:62]
	v_fma_f64 v[61:62], v[18:19], s[4:5], -v[85:86]
	v_mul_f64 v[63:64], v[0:1], v[63:64]
	s_waitcnt lgkmcnt(0)
	v_mul_f64 v[77:78], v[0:1], v[77:78]
	v_mul_f64 v[118:119], v[0:1], v[79:80]
	v_fma_f64 v[83:84], -v[8:9], v[46:47], v[12:13]
	v_fma_f64 v[81:82], -v[2:3], v[14:15], v[16:17]
	;; [unrolled: 1-line block ×3, first 2 shown]
	global_load_b128 v[44:47], v[110:111], off offset:160
	v_fma_f64 v[87:88], -v[4:5], v[26:27], v[49:50]
	v_fma_f64 v[55:56], -v[6:7], v[55:56], v[24:25]
	ds_load_b128 v[12:15], v48 offset:1088
	ds_load_b128 v[16:19], v48 offset:1584
	;; [unrolled: 1-line block ×3, first 2 shown]
	ds_load_2addr_b64 v[24:27], v48 offset0:189 offset1:190
	v_fma_f64 v[65:66], -v[10:11], v[65:66], v[83:84]
	s_waitcnt vmcnt(4)
	v_fma_f64 v[28:29], v[28:29], s[4:5], -v[53:54]
	v_fma_f64 v[53:54], -v[2:3], v[73:74], v[61:62]
	v_fma_f64 v[61:62], -v[8:9], v[69:70], v[81:82]
	s_waitcnt lgkmcnt(3)
	v_fma_f64 v[69:70], -v[4:5], v[12:13], v[85:86]
	v_fma_f64 v[101:102], v[30:31], s[4:5], -v[63:64]
	v_fma_f64 v[57:58], -v[6:7], v[57:58], v[87:88]
	s_waitcnt lgkmcnt(2)
	v_mul_f64 v[12:13], v[16:17], v[55:56]
	v_fma_f64 v[114:115], -v[4:5], v[14:15], v[65:66]
	v_fma_f64 v[103:104], -v[2:3], v[75:76], v[28:29]
	;; [unrolled: 1-line block ×5, first 2 shown]
	global_load_b128 v[28:31], v[110:111], off offset:176
	v_fma_f64 v[18:19], -v[12:13], v[18:19], v[57:58]
	ds_load_2addr_b64 v[14:17], v48 offset0:45 offset1:46
	ds_load_b128 v[53:56], v48 offset:608
	ds_load_2addr_b64 v[57:60], v48 offset0:107 offset1:108
	ds_load_2addr_b64 v[61:64], v48 offset0:169 offset1:170
	ds_load_b128 v[65:68], v48 offset:1600
	ds_load_2addr_b64 v[69:72], v48 offset0:231 offset1:232
	;; [unrolled: 3-line block ×4, first 2 shown]
	s_waitcnt lgkmcnt(11)
	v_fma_f64 v[101:102], -v[2:3], v[14:15], v[101:102]
	s_waitcnt lgkmcnt(8)
	v_fma_f64 v[61:62], -v[6:7], v[61:62], v[114:115]
	s_waitcnt vmcnt(4)
	v_fma_f64 v[120:121], v[20:21], s[4:5], -v[77:78]
	v_fma_f64 v[57:58], -v[10:11], v[57:58], v[105:106]
	v_fma_f64 v[49:50], -v[4:5], v[49:50], v[107:108]
	;; [unrolled: 1-line block ×3, first 2 shown]
	s_waitcnt lgkmcnt(7)
	v_fma_f64 v[65:66], -v[12:13], v[65:66], v[116:117]
	v_fma_f64 v[22:23], v[22:23], s[4:5], -v[118:119]
	s_waitcnt lgkmcnt(6)
	v_mul_f64 v[14:15], v[69:70], v[18:19]
	v_fma_f64 v[101:102], -v[8:9], v[55:56], v[101:102]
	v_fma_f64 v[67:68], -v[12:13], v[67:68], v[61:62]
	;; [unrolled: 1-line block ×6, first 2 shown]
	s_waitcnt lgkmcnt(0)
	v_fma_f64 v[22:23], -v[2:3], v[97:98], v[22:23]
	v_fma_f64 v[65:66], -v[14:15], v[71:72], v[65:66]
	;; [unrolled: 1-line block ×7, first 2 shown]
	s_delay_alu instid0(VALU_DEP_3)
	v_fma_f64 v[132:133], -v[12:13], v[83:84], v[85:86]
	v_mov_b32_e32 v85, 0x948
	ds_load_b128 v[18:21], v48 offset:128
	ds_load_b128 v[77:80], v48 offset:144
	global_load_b128 v[49:52], v[110:111], off offset:192
	v_fma_f64 v[134:135], -v[14:15], v[75:76], v[81:82]
	s_waitcnt lgkmcnt(1)
	v_mul_f64 v[69:70], v[0:1], v[18:19]
	ds_load_b128 v[16:19], v48 offset:1120
	ds_load_b128 v[53:56], v48 offset:2112
	;; [unrolled: 1-line block ×4, first 2 shown]
	v_mul_f64 v[20:21], v[0:1], v[20:21]
	s_waitcnt lgkmcnt(4)
	v_mul_f64 v[77:78], v[0:1], v[77:78]
	v_mul_f64 v[138:139], v[0:1], v[79:80]
	s_waitcnt lgkmcnt(3)
	v_fma_f64 v[89:90], -v[4:5], v[16:17], v[105:106]
	s_waitcnt lgkmcnt(2)
	v_mul_f64 v[16:17], v[53:54], v[65:66]
	v_fma_f64 v[128:129], -v[4:5], v[18:19], v[71:72]
	s_waitcnt vmcnt(4)
	v_fma_f64 v[36:37], v[36:37], s[4:5], -v[69:70]
	v_fma_f64 v[69:70], -v[8:9], v[93:94], v[103:104]
	v_fma_f64 v[122:123], v[38:39], s[4:5], -v[20:21]
	s_waitcnt vmcnt(3)
	v_fma_f64 v[32:33], v[32:33], s[4:5], -v[77:78]
	v_fma_f64 v[130:131], -v[6:7], v[87:88], v[89:90]
	v_fma_f64 v[136:137], -v[16:17], v[55:56], v[67:68]
	global_load_b128 v[53:56], v[110:111], off offset:208
	v_mov_b32_e32 v89, 0x958
	s_waitcnt lgkmcnt(1)
	v_fma_f64 v[57:58], -v[16:17], v[57:58], v[134:135]
	v_fma_f64 v[124:125], -v[2:3], v[99:100], v[36:37]
	;; [unrolled: 1-line block ×3, first 2 shown]
	ds_load_2addr_b64 v[18:21], v48 offset0:49 offset1:50
	ds_load_b128 v[36:39], v48 offset:640
	ds_load_2addr_b64 v[65:68], v48 offset0:111 offset1:112
	ds_load_2addr_b64 v[69:72], v48 offset0:173 offset1:174
	ds_load_b128 v[73:76], v48 offset:1632
	ds_load_2addr_b64 v[81:84], v48 offset0:235 offset1:236
	ds_load_2addr_b64 v[85:88], v85 offset1:1
	ds_load_2addr_b64 v[89:92], v89 offset1:1
	ds_load_2addr_b64 v[93:96], v48 offset0:237 offset1:238
	ds_load_b128 v[97:100], v48 offset:1648
	ds_load_2addr_b64 v[101:104], v48 offset0:175 offset1:176
	ds_load_2addr_b64 v[105:108], v48 offset0:113 offset1:114
	ds_load_b128 v[114:117], v48 offset:656
	ds_load_2addr_b64 v[118:121], v48 offset0:51 offset1:52
	s_waitcnt lgkmcnt(13)
	v_fma_f64 v[140:141], -v[2:3], v[18:19], v[122:123]
	s_waitcnt lgkmcnt(7)
	v_mul_f64 v[18:19], v[85:86], v[136:137]
	v_fma_f64 v[22:23], -v[10:11], v[65:66], v[22:23]
	v_fma_f64 v[65:66], -v[6:7], v[69:70], v[128:129]
	;; [unrolled: 1-line block ×4, first 2 shown]
	v_fma_f64 v[81:82], v[34:35], s[4:5], -v[138:139]
	v_fma_f64 v[85:86], -v[2:3], v[20:21], v[32:33]
	v_fma_f64 v[36:37], -v[8:9], v[36:37], v[124:125]
	;; [unrolled: 1-line block ×3, first 2 shown]
	ds_load_b128 v[77:80], v48 offset:160
	ds_load_b128 v[122:125], v48 offset:176
	v_fma_f64 v[126:127], -v[8:9], v[38:39], v[140:141]
	s_waitcnt lgkmcnt(1)
	v_mul_f64 v[77:78], v[0:1], v[77:78]
	v_fma_f64 v[130:131], -v[4:5], v[63:64], v[22:23]
	v_fma_f64 v[75:76], -v[12:13], v[75:76], v[65:66]
	;; [unrolled: 1-line block ×5, first 2 shown]
	global_load_b128 v[57:60], v[110:111], off offset:224
	v_mul_f64 v[79:80], v[0:1], v[79:80]
	s_waitcnt lgkmcnt(0)
	v_mul_f64 v[122:123], v[0:1], v[122:123]
	v_mul_f64 v[150:151], v[0:1], v[124:125]
	v_fma_f64 v[128:129], -v[10:11], v[67:68], v[36:37]
	v_fma_f64 v[132:133], -v[6:7], v[71:72], v[61:62]
	ds_load_b128 v[20:23], v48 offset:1152
	ds_load_b128 v[32:35], v48 offset:2144
	;; [unrolled: 1-line block ×6, first 2 shown]
	s_waitcnt vmcnt(4)
	v_fma_f64 v[44:45], v[44:45], s[4:5], -v[77:78]
	v_fma_f64 v[77:78], -v[2:3], v[118:119], v[81:82]
	v_fma_f64 v[81:82], -v[8:9], v[114:115], v[85:86]
	;; [unrolled: 1-line block ×5, first 2 shown]
	s_waitcnt lgkmcnt(4)
	v_fma_f64 v[32:33], -v[16:17], v[32:33], v[83:84]
	v_fma_f64 v[73:74], -v[18:19], v[89:90], v[73:74]
	v_fma_f64 v[134:135], v[46:47], s[4:5], -v[79:80]
	v_mov_b32_e32 v93, 0x968
	s_waitcnt vmcnt(3)
	v_fma_f64 v[28:29], v[28:29], s[4:5], -v[122:123]
	v_fma_f64 v[105:106], -v[4:5], v[20:21], v[128:129]
	v_fma_f64 v[97:98], -v[12:13], v[97:98], v[132:133]
	s_waitcnt lgkmcnt(3)
	v_mul_f64 v[20:21], v[36:37], v[87:88]
	v_fma_f64 v[136:137], -v[2:3], v[120:121], v[44:45]
	v_fma_f64 v[138:139], -v[8:9], v[116:117], v[77:78]
	;; [unrolled: 1-line block ×7, first 2 shown]
	global_load_b128 v[34:37], v[110:111], off offset:240
	v_fma_f64 v[142:143], -v[6:7], v[103:104], v[105:106]
	v_fma_f64 v[146:147], -v[14:15], v[95:96], v[97:98]
	;; [unrolled: 1-line block ×3, first 2 shown]
	ds_load_2addr_b64 v[44:47], v48 offset0:53 offset1:54
	ds_load_b128 v[73:76], v48 offset:672
	ds_load_2addr_b64 v[77:80], v48 offset0:115 offset1:116
	v_mov_b32_e32 v97, 0xb58
	ds_load_2addr_b64 v[81:84], v48 offset0:177 offset1:178
	ds_load_b128 v[85:88], v48 offset:1664
	ds_load_2addr_b64 v[89:92], v48 offset0:239 offset1:240
	ds_load_2addr_b64 v[93:96], v93 offset1:1
	ds_load_2addr_b64 v[97:100], v97 offset1:1
	ds_load_2addr_b64 v[101:104], v48 offset0:241 offset1:242
	ds_load_b128 v[105:108], v48 offset:1680
	ds_load_2addr_b64 v[114:117], v48 offset0:179 offset1:180
	ds_load_2addr_b64 v[118:121], v48 offset0:117 offset1:118
	ds_load_b128 v[126:129], v48 offset:688
	ds_load_2addr_b64 v[130:133], v48 offset0:55 offset1:56
	s_waitcnt lgkmcnt(13)
	v_fma_f64 v[44:45], -v[2:3], v[44:45], v[134:135]
	s_waitcnt lgkmcnt(12)
	v_fma_f64 v[73:74], -v[8:9], v[73:74], v[136:137]
	;; [unrolled: 2-line block ×3, first 2 shown]
	v_fma_f64 v[69:70], -v[4:5], v[69:70], v[140:141]
	s_waitcnt lgkmcnt(10)
	v_fma_f64 v[81:82], -v[6:7], v[81:82], v[22:23]
	s_waitcnt lgkmcnt(8)
	;; [unrolled: 2-line block ×3, first 2 shown]
	v_fma_f64 v[93:94], -v[18:19], v[93:94], v[148:149]
	v_fma_f64 v[32:33], -v[20:21], v[61:62], v[32:33]
	ds_load_b128 v[122:125], v48 offset:192
	ds_load_b128 v[134:137], v48 offset:208
	v_fma_f64 v[138:139], -v[2:3], v[46:47], v[28:29]
	v_mov_b32_e32 v46, 0xd68
	v_mov_b32_e32 v47, 0xb78
	v_fma_f64 v[85:86], -v[12:13], v[85:86], v[142:143]
	v_fma_f64 v[65:66], -v[16:17], v[65:66], v[146:147]
	s_waitcnt lgkmcnt(8)
	v_mul_f64 v[22:23], v[97:98], v[38:39]
	s_waitcnt lgkmcnt(1)
	v_mul_f64 v[38:39], v[0:1], v[122:123]
	v_fma_f64 v[122:123], v[30:31], s[4:5], -v[150:151]
	ds_load_b128 v[28:31], v48 offset:1184
	v_mul_f64 v[124:125], v[0:1], v[124:125]
	s_waitcnt lgkmcnt(1)
	v_mul_f64 v[134:135], v[0:1], v[134:135]
	v_mul_f64 v[170:171], v[0:1], v[136:137]
	v_fma_f64 v[140:141], -v[8:9], v[75:76], v[44:45]
	v_fma_f64 v[142:143], -v[10:11], v[79:80], v[73:74]
	;; [unrolled: 1-line block ×7, first 2 shown]
	v_mov_b32_e32 v44, 0x978
	v_mov_b32_e32 v45, 0xb68
	v_fma_f64 v[150:151], -v[14:15], v[91:92], v[85:86]
	v_fma_f64 v[154:155], -v[18:19], v[95:96], v[65:66]
	;; [unrolled: 1-line block ×3, first 2 shown]
	ds_load_b128 v[61:64], v48 offset:2176
	ds_load_2addr_b64 v[65:68], v44 offset1:1
	ds_load_b128 v[69:72], v48 offset:2672
	ds_load_2addr_b64 v[73:76], v45 offset1:1
	;; [unrolled: 2-line block ×3, first 2 shown]
	ds_load_2addr_b64 v[85:88], v47 offset1:1
	ds_load_b128 v[89:92], v48 offset:2688
	ds_load_b128 v[93:96], v48 offset:2192
	;; [unrolled: 1-line block ×4, first 2 shown]
	s_waitcnt vmcnt(3)
	v_fma_f64 v[38:39], v[49:50], s[4:5], -v[38:39]
	v_fma_f64 v[49:50], -v[2:3], v[130:131], v[122:123]
	v_fma_f64 v[122:123], -v[8:9], v[126:127], v[138:139]
	;; [unrolled: 1-line block ×3, first 2 shown]
	s_waitcnt lgkmcnt(11)
	v_fma_f64 v[126:127], -v[4:5], v[28:29], v[142:143]
	v_fma_f64 v[114:115], -v[6:7], v[114:115], v[144:145]
	;; [unrolled: 1-line block ×4, first 2 shown]
	s_waitcnt lgkmcnt(9)
	v_fma_f64 v[65:66], -v[18:19], v[65:66], v[152:153]
	s_waitcnt lgkmcnt(7)
	v_fma_f64 v[73:74], -v[22:23], v[73:74], v[156:157]
	v_fma_f64 v[146:147], v[51:52], s[4:5], -v[124:125]
	v_fma_f64 v[61:62], -v[16:17], v[61:62], v[150:151]
	v_fma_f64 v[69:70], -v[20:21], v[69:70], v[154:155]
	s_waitcnt lgkmcnt(6)
	v_mul_f64 v[28:29], v[77:78], v[32:33]
	v_mov_b32_e32 v77, 0x988
	v_fma_f64 v[38:39], -v[2:3], v[132:133], v[38:39]
	v_fma_f64 v[148:149], -v[8:9], v[128:129], v[49:50]
	;; [unrolled: 1-line block ×9, first 2 shown]
	s_waitcnt vmcnt(2)
	v_fma_f64 v[53:54], v[53:54], s[4:5], -v[134:135]
	v_fma_f64 v[162:163], -v[18:19], v[67:68], v[61:62]
	v_fma_f64 v[166:167], -v[22:23], v[75:76], v[69:70]
	;; [unrolled: 1-line block ×3, first 2 shown]
	ds_load_2addr_b64 v[30:33], v48 offset0:57 offset1:58
	ds_load_b128 v[49:52], v48 offset:704
	ds_load_2addr_b64 v[61:64], v48 offset0:119 offset1:120
	ds_load_2addr_b64 v[65:68], v48 offset0:181 offset1:182
	ds_load_b128 v[69:72], v48 offset:1696
	ds_load_2addr_b64 v[73:76], v48 offset0:243 offset1:244
	ds_load_2addr_b64 v[77:80], v77 offset1:1
	ds_load_b128 v[101:104], v48 offset:3184
	ds_load_b128 v[105:108], v48 offset:3200
	ds_load_2addr_b64 v[114:117], v109 offset1:1
	ds_load_2addr_b64 v[118:121], v48 offset0:245 offset1:246
	ds_load_b128 v[122:125], v48 offset:1712
	ds_load_2addr_b64 v[126:129], v48 offset0:183 offset1:184
	ds_load_2addr_b64 v[130:133], v48 offset0:121 offset1:122
	ds_load_b128 v[138:141], v48 offset:720
	ds_load_2addr_b64 v[142:145], v48 offset0:59 offset1:60
	v_mov_b32_e32 v109, 0xd98
	s_waitcnt lgkmcnt(15)
	v_fma_f64 v[172:173], -v[2:3], v[30:31], v[146:147]
	s_waitcnt lgkmcnt(14)
	v_fma_f64 v[38:39], -v[8:9], v[49:50], v[38:39]
	;; [unrolled: 2-line block ×3, first 2 shown]
	v_fma_f64 v[61:62], -v[4:5], v[97:98], v[150:151]
	s_waitcnt lgkmcnt(12)
	v_fma_f64 v[65:66], -v[6:7], v[65:66], v[152:153]
	s_waitcnt lgkmcnt(11)
	;; [unrolled: 2-line block ×3, first 2 shown]
	v_fma_f64 v[73:74], -v[14:15], v[73:74], v[156:157]
	v_fma_f64 v[93:94], -v[16:17], v[93:94], v[158:159]
	s_waitcnt lgkmcnt(9)
	v_fma_f64 v[77:78], -v[18:19], v[77:78], v[160:161]
	v_fma_f64 v[85:86], -v[22:23], v[85:86], v[164:165]
	ds_load_b128 v[134:137], v48 offset:224
	ds_load_b128 v[146:149], v48 offset:240
	v_fma_f64 v[32:33], -v[2:3], v[32:33], v[53:54]
	v_fma_f64 v[89:90], -v[20:21], v[89:90], v[162:163]
	s_waitcnt lgkmcnt(10)
	v_fma_f64 v[97:98], -v[28:29], v[101:102], v[166:167]
	v_mul_f64 v[30:31], v[81:82], v[168:169]
	s_waitcnt lgkmcnt(1)
	v_mul_f64 v[101:102], v[0:1], v[134:135]
	v_fma_f64 v[134:135], v[55:56], s[4:5], -v[170:171]
	v_mul_f64 v[136:137], v[0:1], v[136:137]
	s_waitcnt lgkmcnt(0)
	v_mul_f64 v[146:147], v[0:1], v[146:147]
	v_fma_f64 v[150:151], -v[8:9], v[51:52], v[172:173]
	v_fma_f64 v[38:39], -v[10:11], v[63:64], v[38:39]
	;; [unrolled: 1-line block ×10, first 2 shown]
	ds_load_b128 v[49:52], v48 offset:1216
	v_mov_b32_e32 v61, 0x998
	v_mov_b32_e32 v73, 0xd78
	;; [unrolled: 1-line block ×3, first 2 shown]
	v_fma_f64 v[164:165], -v[22:23], v[87:88], v[89:90]
	v_fma_f64 v[97:98], -v[30:31], v[83:84], v[97:98]
	ds_load_b128 v[53:56], v48 offset:2208
	ds_load_2addr_b64 v[61:64], v61 offset1:1
	ds_load_b128 v[65:68], v48 offset:2704
	ds_load_b128 v[69:72], v48 offset:3696
	ds_load_2addr_b64 v[73:76], v73 offset1:1
	ds_load_2addr_b64 v[77:80], v77 offset1:1
	ds_load_b128 v[81:84], v48 offset:2720
	ds_load_b128 v[85:88], v48 offset:2224
	;; [unrolled: 1-line block ×4, first 2 shown]
	s_waitcnt vmcnt(1)
	v_fma_f64 v[57:58], v[57:58], s[4:5], -v[101:102]
	v_fma_f64 v[101:102], -v[2:3], v[142:143], v[134:135]
	v_fma_f64 v[134:135], -v[8:9], v[138:139], v[32:33]
	;; [unrolled: 1-line block ×3, first 2 shown]
	s_waitcnt lgkmcnt(10)
	v_fma_f64 v[38:39], -v[4:5], v[49:50], v[38:39]
	v_fma_f64 v[49:50], -v[6:7], v[126:127], v[99:100]
	;; [unrolled: 1-line block ×4, first 2 shown]
	s_waitcnt lgkmcnt(9)
	v_fma_f64 v[53:54], -v[16:17], v[53:54], v[156:157]
	s_waitcnt lgkmcnt(8)
	v_fma_f64 v[61:62], -v[18:19], v[61:62], v[158:159]
	;; [unrolled: 2-line block ×3, first 2 shown]
	v_fma_f64 v[114:115], -v[22:23], v[114:115], v[162:163]
	s_waitcnt lgkmcnt(5)
	v_fma_f64 v[73:74], -v[30:31], v[73:74], v[103:104]
	v_fma_f64 v[154:155], v[59:60], s[4:5], -v[136:137]
	v_fma_f64 v[105:106], -v[28:29], v[105:106], v[164:165]
	v_mul_f64 v[32:33], v[69:70], v[97:98]
	v_mov_b32_e32 v69, 0xd88
	v_mov_b32_e32 v70, 0xf88
	v_fma_f64 v[156:157], -v[2:3], v[144:145], v[57:58]
	v_fma_f64 v[158:159], -v[8:9], v[140:141], v[101:102]
	;; [unrolled: 1-line block ×3, first 2 shown]
	v_mov_b32_e32 v101, 0x9a8
	v_fma_f64 v[162:163], -v[4:5], v[51:52], v[130:131]
	v_fma_f64 v[38:39], -v[6:7], v[128:129], v[38:39]
	;; [unrolled: 1-line block ×11, first 2 shown]
	v_mov_b32_e32 v105, 0xb98
	v_fma_f64 v[180:181], -v[32:33], v[71:72], v[73:74]
	ds_load_2addr_b64 v[49:52], v48 offset0:123 offset1:124
	ds_load_b128 v[53:56], v48 offset:736
	ds_load_2addr_b64 v[57:60], v69 offset1:1
	ds_load_2addr_b64 v[61:64], v70 offset1:1
	ds_load_2addr_b64 v[65:68], v48 offset0:185 offset1:186
	ds_load_b128 v[69:72], v48 offset:1728
	ds_load_2addr_b64 v[73:76], v48 offset0:247 offset1:248
	ds_load_b128 v[97:100], v48 offset:3216
	ds_load_2addr_b64 v[101:104], v101 offset1:1
	ds_load_2addr_b64 v[105:108], v105 offset1:1
	ds_load_b128 v[114:117], v48 offset:3712
	ds_load_b128 v[118:121], v48 offset:3728
	ds_load_2addr_b64 v[122:125], v109 offset1:1
	ds_load_b128 v[126:129], v48 offset:3232
	ds_load_2addr_b64 v[130:133], v48 offset0:249 offset1:250
	ds_load_b128 v[134:137], v48 offset:1744
	ds_load_2addr_b64 v[138:141], v48 offset0:187 offset1:188
	ds_load_2addr_b64 v[142:145], v48 offset0:125 offset1:126
	ds_load_b128 v[150:153], v48 offset:752
	v_mov_b32_e32 v109, 0xbc8
	s_waitcnt vmcnt(0)
	v_fma_f64 v[146:147], v[34:35], s[4:5], -v[146:147]
	s_waitcnt lgkmcnt(17)
	v_fma_f64 v[53:54], -v[8:9], v[53:54], v[156:157]
	v_fma_f64 v[49:50], -v[10:11], v[49:50], v[158:159]
	;; [unrolled: 1-line block ×3, first 2 shown]
	s_waitcnt lgkmcnt(14)
	v_fma_f64 v[65:66], -v[6:7], v[65:66], v[162:163]
	s_waitcnt lgkmcnt(13)
	v_fma_f64 v[38:39], -v[12:13], v[69:70], v[38:39]
	;; [unrolled: 2-line block ×3, first 2 shown]
	v_fma_f64 v[73:74], -v[16:17], v[85:86], v[166:167]
	s_waitcnt lgkmcnt(10)
	v_fma_f64 v[85:86], -v[18:19], v[101:102], v[168:169]
	v_fma_f64 v[81:82], -v[20:21], v[81:82], v[170:171]
	s_waitcnt lgkmcnt(9)
	v_fma_f64 v[101:102], -v[22:23], v[105:106], v[172:173]
	v_fma_f64 v[97:98], -v[28:29], v[97:98], v[174:175]
	;; [unrolled: 1-line block ×3, first 2 shown]
	s_waitcnt lgkmcnt(8)
	v_fma_f64 v[105:106], -v[32:33], v[114:115], v[178:179]
	v_mul_f64 v[34:35], v[77:78], v[180:181]
	v_mul_f64 v[77:78], v[0:1], v[148:149]
	v_fma_f64 v[114:115], -v[2:3], v[42:43], v[146:147]
	v_fma_f64 v[146:147], -v[8:9], v[55:56], v[40:41]
	;; [unrolled: 1-line block ×5, first 2 shown]
	v_mov_b32_e32 v49, 0x9b8
	v_fma_f64 v[158:159], -v[12:13], v[71:72], v[65:66]
	v_fma_f64 v[160:161], -v[14:15], v[75:76], v[38:39]
	;; [unrolled: 1-line block ×9, first 2 shown]
	v_mov_b32_e32 v57, 0xba8
	v_mov_b32_e32 v73, 0xda8
	;; [unrolled: 1-line block ×3, first 2 shown]
	v_fma_f64 v[105:106], -v[34:35], v[79:80], v[105:106]
	v_fma_f64 v[168:169], v[36:37], s[4:5], -v[77:78]
	ds_load_b128 v[36:39], v48 offset:1248
	ds_load_b128 v[40:43], v48 offset:2240
	ds_load_2addr_b64 v[49:52], v49 offset1:1
	ds_load_b128 v[53:56], v48 offset:2736
	ds_load_2addr_b64 v[57:60], v57 offset1:1
	ds_load_b128 v[65:68], v48 offset:4224
	ds_load_b128 v[69:72], v48 offset:4240
	ds_load_2addr_b64 v[73:76], v73 offset1:1
	ds_load_2addr_b64 v[77:80], v48 offset0:63 offset1:127
	ds_load_2addr_b64 v[81:84], v81 offset1:1
	ds_load_b128 v[85:88], v48 offset:2752
	ds_load_b128 v[89:92], v48 offset:2256
	;; [unrolled: 1-line block ×3, first 2 shown]
	s_waitcnt lgkmcnt(13)
	v_fma_f64 v[114:115], -v[8:9], v[150:151], v[114:115]
	v_fma_f64 v[142:143], -v[10:11], v[142:143], v[146:147]
	;; [unrolled: 1-line block ×5, first 2 shown]
	s_waitcnt lgkmcnt(11)
	v_fma_f64 v[40:41], -v[16:17], v[40:41], v[160:161]
	s_waitcnt lgkmcnt(10)
	v_fma_f64 v[49:50], -v[18:19], v[49:50], v[162:163]
	v_fma_f64 v[146:147], -v[4:5], v[36:37], v[148:149]
	s_waitcnt lgkmcnt(9)
	v_fma_f64 v[53:54], -v[20:21], v[53:54], v[103:104]
	s_waitcnt lgkmcnt(8)
	v_fma_f64 v[57:58], -v[22:23], v[57:58], v[164:165]
	v_fma_f64 v[103:104], -v[28:29], v[126:127], v[107:108]
	;; [unrolled: 1-line block ×5, first 2 shown]
	s_waitcnt lgkmcnt(7)
	v_mul_f64 v[36:37], v[65:66], v[105:106]
	s_waitcnt lgkmcnt(4)
	v_fma_f64 v[65:66], -v[2:3], v[77:78], v[168:169]
	v_mov_b32_e32 v105, 0x1198
	v_fma_f64 v[77:78], -v[10:11], v[144:145], v[114:115]
	v_fma_f64 v[142:143], -v[4:5], v[38:39], v[142:143]
	;; [unrolled: 1-line block ×13, first 2 shown]
	v_mov_b32_e32 v53, 0x9c8
	ds_load_b128 v[38:41], v48 offset:1760
	ds_load_2addr_b64 v[49:52], v48 offset0:251 offset1:252
	ds_load_2addr_b64 v[53:56], v53 offset1:1
	ds_load_b128 v[57:60], v48 offset:3248
	v_mov_b32_e32 v101, 0x1188
	v_fma_f64 v[158:159], -v[36:37], v[67:68], v[61:62]
	v_fma_f64 v[152:153], -v[8:9], v[152:153], v[65:66]
	v_mov_b32_e32 v65, 0xf98
	ds_load_b128 v[61:64], v48 offset:3744
	ds_load_2addr_b64 v[65:68], v65 offset1:1
	ds_load_2addr_b64 v[101:104], v101 offset1:1
	;; [unrolled: 1-line block ×3, first 2 shown]
	ds_load_b128 v[114:117], v48 offset:3760
	ds_load_b128 v[118:121], v48 offset:3264
	ds_load_2addr_b64 v[122:125], v109 offset1:1
	ds_load_2addr_b64 v[126:129], v48 offset0:253 offset1:254
	ds_load_b128 v[130:133], v48 offset:1776
	s_waitcnt lgkmcnt(13)
	v_fma_f64 v[77:78], -v[4:5], v[97:98], v[77:78]
	v_fma_f64 v[24:25], -v[6:7], v[24:25], v[142:143]
	v_mov_b32_e32 v109, 0xdd8
	s_waitcnt lgkmcnt(11)
	v_fma_f64 v[49:50], -v[14:15], v[49:50], v[136:137]
	v_fma_f64 v[89:90], -v[16:17], v[89:90], v[134:135]
	s_waitcnt lgkmcnt(10)
	v_fma_f64 v[42:43], -v[18:19], v[53:54], v[42:43]
	v_fma_f64 v[53:54], -v[20:21], v[85:86], v[138:139]
	;; [unrolled: 1-line block ×4, first 2 shown]
	s_waitcnt lgkmcnt(9)
	v_fma_f64 v[57:58], -v[28:29], v[57:58], v[146:147]
	v_fma_f64 v[73:74], -v[30:31], v[73:74], v[148:149]
	s_waitcnt lgkmcnt(8)
	v_fma_f64 v[61:62], -v[32:33], v[61:62], v[150:151]
	s_waitcnt lgkmcnt(7)
	v_fma_f64 v[65:66], -v[34:35], v[65:66], v[154:155]
	v_fma_f64 v[69:70], -v[36:37], v[69:70], v[156:157]
	v_mov_b32_e32 v85, 0xfb8
	s_waitcnt lgkmcnt(6)
	v_mul_f64 v[38:39], v[101:102], v[158:159]
	v_fma_f64 v[79:80], -v[10:11], v[79:80], v[152:153]
	v_fma_f64 v[101:102], -v[6:7], v[26:27], v[77:78]
	;; [unrolled: 1-line block ×3, first 2 shown]
	v_mov_b32_e32 v40, 0x9d8
	v_mov_b32_e32 v77, 0x11a8
	v_fma_f64 v[138:139], -v[16:17], v[91:92], v[49:50]
	v_fma_f64 v[140:141], -v[18:19], v[55:56], v[89:90]
	;; [unrolled: 1-line block ×10, first 2 shown]
	v_mov_b32_e32 v57, 0xfa8
	v_mov_b32_e32 v53, 0xdb8
	ds_load_b128 v[24:27], v48 offset:2272
	ds_load_2addr_b64 v[40:43], v40 offset1:1
	ds_load_b128 v[49:52], v48 offset:2768
	ds_load_2addr_b64 v[53:56], v53 offset1:1
	ds_load_2addr_b64 v[57:60], v57 offset1:1
	ds_load_b128 v[61:64], v48 offset:4256
	v_fma_f64 v[103:104], -v[38:39], v[103:104], v[69:70]
	v_fma_f64 v[156:157], -v[4:5], v[99:100], v[79:80]
	ds_load_b128 v[65:68], v48 offset:4752
	ds_load_2addr_b64 v[69:72], v48 offset0:191 offset1:255
	ds_load_b128 v[73:76], v48 offset:4768
	ds_load_2addr_b64 v[77:80], v77 offset1:1
	ds_load_b128 v[81:84], v48 offset:4272
	ds_load_2addr_b64 v[85:88], v85 offset1:1
	ds_load_b128 v[89:92], v48 offset:2784
	ds_load_b128 v[97:100], v48 offset:2288
	s_waitcnt lgkmcnt(14)
	v_fma_f64 v[101:102], -v[12:13], v[130:131], v[101:102]
	v_fma_f64 v[126:127], -v[14:15], v[126:127], v[134:135]
	s_waitcnt lgkmcnt(12)
	v_fma_f64 v[40:41], -v[18:19], v[40:41], v[138:139]
	s_waitcnt lgkmcnt(11)
	v_fma_f64 v[49:50], -v[20:21], v[49:50], v[140:141]
	v_fma_f64 v[122:123], -v[22:23], v[122:123], v[142:143]
	;; [unrolled: 1-line block ×3, first 2 shown]
	s_waitcnt lgkmcnt(10)
	v_fma_f64 v[53:54], -v[30:31], v[53:54], v[146:147]
	v_fma_f64 v[130:131], -v[16:17], v[24:25], v[136:137]
	v_fma_f64 v[114:115], -v[32:33], v[114:115], v[148:149]
	s_waitcnt lgkmcnt(9)
	v_fma_f64 v[57:58], -v[34:35], v[57:58], v[150:151]
	s_waitcnt lgkmcnt(8)
	v_fma_f64 v[61:62], -v[36:37], v[61:62], v[152:153]
	v_fma_f64 v[105:106], -v[38:39], v[105:106], v[154:155]
	s_waitcnt lgkmcnt(7)
	v_mul_f64 v[24:25], v[65:66], v[103:104]
	s_waitcnt lgkmcnt(6)
	v_fma_f64 v[65:66], -v[6:7], v[69:70], v[156:157]
	v_fma_f64 v[69:70], -v[14:15], v[128:129], v[101:102]
	;; [unrolled: 1-line block ×3, first 2 shown]
	v_mov_b32_e32 v101, 0xfc8
	v_fma_f64 v[128:129], -v[20:21], v[51:52], v[40:41]
	v_fma_f64 v[124:125], -v[22:23], v[124:125], v[49:50]
	v_mov_b32_e32 v40, 0x9e8
	v_mov_b32_e32 v49, 0xbd8
	v_fma_f64 v[122:123], -v[28:29], v[120:121], v[122:123]
	v_fma_f64 v[134:135], -v[32:33], v[116:117], v[53:54]
	;; [unrolled: 1-line block ×7, first 2 shown]
	v_mov_b32_e32 v57, 0xdc8
	ds_load_2addr_b64 v[40:43], v40 offset1:1
	v_fma_f64 v[142:143], -v[24:25], v[67:68], v[105:106]
	v_fma_f64 v[132:133], -v[12:13], v[132:133], v[65:66]
	v_mov_b32_e32 v65, 0x1398
	ds_load_2addr_b64 v[49:52], v49 offset1:1
	ds_load_b128 v[53:56], v48 offset:3280
	ds_load_2addr_b64 v[57:60], v57 offset1:1
	ds_load_b128 v[61:64], v48 offset:3776
	ds_load_2addr_b64 v[65:68], v65 offset1:1
	ds_load_2addr_b64 v[101:104], v101 offset1:1
	ds_load_b128 v[105:108], v48 offset:3792
	ds_load_2addr_b64 v[114:117], v109 offset1:1
	ds_load_b128 v[118:121], v48 offset:3296
	v_add_nc_u32_e64 v109, 0x1f8, 0
	s_waitcnt lgkmcnt(10)
	v_fma_f64 v[69:70], -v[16:17], v[97:98], v[69:70]
	s_waitcnt lgkmcnt(9)
	v_fma_f64 v[40:41], -v[18:19], v[40:41], v[26:27]
	;; [unrolled: 2-line block ×5, first 2 shown]
	v_fma_f64 v[89:90], -v[20:21], v[89:90], v[126:127]
	s_waitcnt lgkmcnt(5)
	v_fma_f64 v[61:62], -v[32:33], v[61:62], v[130:131]
	v_fma_f64 v[85:86], -v[34:35], v[85:86], v[134:135]
	;; [unrolled: 1-line block ×5, first 2 shown]
	s_waitcnt lgkmcnt(4)
	v_mul_f64 v[26:27], v[65:66], v[142:143]
	v_fma_f64 v[65:66], -v[14:15], v[71:72], v[132:133]
	v_fma_f64 v[126:127], -v[18:19], v[42:43], v[69:70]
	;; [unrolled: 1-line block ×3, first 2 shown]
	v_mov_b32_e32 v40, 0xbe8
	ds_load_2addr_b64 v[40:43], v40 offset1:1
	v_fma_f64 v[132:133], -v[28:29], v[55:56], v[49:50]
	v_fma_f64 v[134:135], -v[30:31], v[59:60], v[53:54]
	;; [unrolled: 1-line block ×8, first 2 shown]
	v_mov_b32_e32 v53, 0x11b8
	v_mov_b32_e32 v61, 0x13a8
	;; [unrolled: 1-line block ×4, first 2 shown]
	v_fma_f64 v[146:147], -v[26:27], v[67:68], v[73:74]
	v_fma_f64 v[148:149], -v[16:17], v[99:100], v[65:66]
	ds_load_b128 v[49:52], v48 offset:4288
	ds_load_2addr_b64 v[53:56], v53 offset1:1
	ds_load_b128 v[57:60], v48 offset:4784
	ds_load_2addr_b64 v[61:64], v61 offset1:1
	ds_load_b128 v[65:68], v48 offset:5280
	ds_load_2addr_stride64_b64 v[69:72], v109 offset0:4 offset1:5
	v_mov_b32_e32 v73, 0x15a8
	ds_load_2addr_b64 v[73:76], v73 offset1:1
	ds_load_2addr_b64 v[77:80], v77 offset1:1
	ds_load_b128 v[81:84], v48 offset:4800
	ds_load_b128 v[85:88], v48 offset:4304
	ds_load_2addr_b64 v[89:92], v89 offset1:1
	ds_load_b128 v[97:100], v48 offset:4848
	ds_load_2addr_stride64_b64 v[122:125], v109 offset0:6 offset1:7
	v_fma_f64 v[44:45], -v[20:21], v[44:45], v[126:127]
	s_waitcnt lgkmcnt(13)
	v_fma_f64 v[126:127], -v[22:23], v[40:41], v[128:129]
	v_fma_f64 v[114:115], -v[30:31], v[114:115], v[132:133]
	;; [unrolled: 1-line block ×5, first 2 shown]
	s_waitcnt lgkmcnt(12)
	v_fma_f64 v[49:50], -v[36:37], v[49:50], v[138:139]
	s_waitcnt lgkmcnt(11)
	v_fma_f64 v[53:54], -v[38:39], v[53:54], v[140:141]
	s_waitcnt lgkmcnt(10)
	v_fma_f64 v[57:58], -v[24:25], v[57:58], v[142:143]
	s_waitcnt lgkmcnt(9)
	v_fma_f64 v[61:62], -v[26:27], v[61:62], v[144:145]
	s_waitcnt lgkmcnt(8)
	v_mul_f64 v[40:41], v[65:66], v[146:147]
	s_waitcnt lgkmcnt(7)
	v_fma_f64 v[65:66], -v[18:19], v[69:70], v[148:149]
	v_fma_f64 v[69:70], -v[22:23], v[42:43], v[44:45]
	;; [unrolled: 1-line block ×10, first 2 shown]
	v_mov_b32_e32 v49, 0xfd8
	v_mov_b32_e32 v53, 0x11c8
	ds_load_b128 v[42:45], v48 offset:3808
	ds_load_2addr_b64 v[49:52], v49 offset1:1
	ds_load_2addr_b64 v[53:56], v53 offset1:1
	ds_load_b128 v[57:60], v48 offset:5296
	v_mov_b32_e32 v101, 0x11d8
	v_fma_f64 v[134:135], -v[40:41], v[67:68], v[61:62]
	v_fma_f64 v[46:47], -v[20:21], v[46:47], v[65:66]
	v_mov_b32_e32 v65, 0x13c8
	ds_load_b128 v[61:64], v48 offset:5312
	ds_load_2addr_b64 v[65:68], v65 offset1:1
	ds_load_2addr_b64 v[101:104], v101 offset1:1
	ds_load_b128 v[105:108], v48 offset:3824
	v_fma_f64 v[69:70], -v[28:29], v[93:94], v[69:70]
	s_waitcnt lgkmcnt(10)
	v_fma_f64 v[89:90], -v[30:31], v[89:90], v[120:121]
	s_waitcnt lgkmcnt(6)
	;; [unrolled: 2-line block ×3, first 2 shown]
	v_fma_f64 v[53:54], -v[38:39], v[53:54], v[126:127]
	v_fma_f64 v[93:94], -v[32:33], v[42:43], v[116:117]
	;; [unrolled: 1-line block ×5, first 2 shown]
	s_waitcnt lgkmcnt(4)
	v_fma_f64 v[57:58], -v[40:41], v[57:58], v[132:133]
	v_mul_f64 v[42:43], v[73:74], v[134:135]
	v_fma_f64 v[46:47], -v[22:23], v[71:72], v[46:47]
	v_mov_b32_e32 v73, 0x17b8
	v_fma_f64 v[114:115], -v[30:31], v[91:92], v[69:70]
	v_fma_f64 v[116:117], -v[32:33], v[44:45], v[89:90]
	v_mov_b32_e32 v44, 0xfe8
	v_fma_f64 v[118:119], -v[36:37], v[87:88], v[49:50]
	v_fma_f64 v[126:127], -v[24:25], v[83:84], v[53:54]
	;; [unrolled: 1-line block ×6, first 2 shown]
	v_mov_b32_e32 v81, 0x11e8
	v_fma_f64 v[132:133], -v[42:43], v[75:76], v[57:58]
	v_fma_f64 v[95:96], -v[28:29], v[95:96], v[46:47]
	v_mov_b32_e32 v57, 0x15b8
	ds_load_2addr_b64 v[44:47], v44 offset1:1
	ds_load_b128 v[49:52], v48 offset:4320
	ds_load_b128 v[53:56], v48 offset:4816
	ds_load_2addr_b64 v[57:60], v57 offset1:1
	ds_load_b128 v[69:72], v48 offset:5808
	ds_load_2addr_b64 v[73:76], v73 offset1:1
	;; [unrolled: 2-line block ×3, first 2 shown]
	ds_load_b128 v[85:88], v48 offset:4336
	ds_load_b128 v[89:92], v48 offset:5360
	s_waitcnt lgkmcnt(10)
	v_fma_f64 v[105:106], -v[32:33], v[105:106], v[114:115]
	s_waitcnt lgkmcnt(9)
	v_fma_f64 v[114:115], -v[34:35], v[44:45], v[116:117]
	v_fma_f64 v[65:66], -v[26:27], v[65:66], v[126:127]
	s_waitcnt lgkmcnt(8)
	v_fma_f64 v[49:50], -v[36:37], v[49:50], v[93:94]
	;; [unrolled: 3-line block ×4, first 2 shown]
	s_waitcnt lgkmcnt(5)
	v_mul_f64 v[44:45], v[69:70], v[132:133]
	v_fma_f64 v[69:70], -v[30:31], v[122:123], v[95:96]
	v_fma_f64 v[46:47], -v[34:35], v[46:47], v[105:106]
	;; [unrolled: 1-line block ×8, first 2 shown]
	v_mov_b32_e32 v49, 0x13d8
	v_mov_b32_e32 v65, 0x17c8
	;; [unrolled: 1-line block ×3, first 2 shown]
	v_fma_f64 v[126:127], -v[44:45], v[71:72], v[57:58]
	v_fma_f64 v[107:108], -v[32:33], v[107:108], v[69:70]
	v_mov_b32_e32 v57, 0x15c8
	ds_load_2addr_b64 v[49:52], v49 offset1:1
	ds_load_b128 v[53:56], v48 offset:5328
	ds_load_2addr_b64 v[57:60], v57 offset1:1
	ds_load_b128 v[61:64], v48 offset:5824
	ds_load_2addr_b64 v[65:68], v65 offset1:1
	ds_load_b128 v[69:72], v48 offset:5840
	ds_load_2addr_b64 v[93:96], v93 offset1:1
	ds_load_b128 v[101:104], v48 offset:5344
	s_waitcnt lgkmcnt(9)
	v_fma_f64 v[85:86], -v[36:37], v[85:86], v[46:47]
	v_fma_f64 v[81:82], -v[38:39], v[81:82], v[105:106]
	;; [unrolled: 1-line block ×3, first 2 shown]
	s_waitcnt lgkmcnt(7)
	v_fma_f64 v[49:50], -v[26:27], v[49:50], v[116:117]
	s_waitcnt lgkmcnt(6)
	v_fma_f64 v[53:54], -v[40:41], v[53:54], v[118:119]
	;; [unrolled: 2-line block ×4, first 2 shown]
	v_mul_f64 v[46:47], v[73:74], v[126:127]
	v_fma_f64 v[73:74], -v[34:35], v[124:125], v[107:108]
	v_fma_f64 v[83:84], -v[38:39], v[83:84], v[85:86]
	;; [unrolled: 1-line block ×7, first 2 shown]
	v_mov_b32_e32 v49, 0x13e8
	ds_load_2addr_b64 v[49:52], v49 offset1:1
	ds_load_b128 v[53:56], v48 offset:6336
	ds_load_2addr_stride64_b64 v[57:60], v109 offset0:8 offset1:9
	v_fma_f64 v[116:117], -v[46:47], v[75:76], v[61:62]
	v_fma_f64 v[87:88], -v[36:37], v[87:88], v[73:74]
	v_mov_b32_e32 v73, 0x15e8
	ds_load_b128 v[61:64], v48 offset:6352
	ds_load_2addr_b64 v[73:76], v73 offset1:1
	ds_load_2addr_stride64_b64 v[77:80], v109 offset0:10 offset1:11
	v_fma_f64 v[83:84], -v[24:25], v[97:98], v[83:84]
	s_waitcnt lgkmcnt(5)
	v_fma_f64 v[81:82], -v[26:27], v[49:50], v[81:82]
	v_fma_f64 v[85:86], -v[40:41], v[101:102], v[85:86]
	;; [unrolled: 1-line block ×5, first 2 shown]
	s_waitcnt lgkmcnt(4)
	v_mul_f64 v[49:50], v[53:54], v[116:117]
	s_waitcnt lgkmcnt(3)
	v_fma_f64 v[53:54], -v[38:39], v[57:58], v[87:88]
	v_fma_f64 v[87:88], -v[26:27], v[51:52], v[83:84]
	;; [unrolled: 1-line block ×6, first 2 shown]
	v_mov_b32_e32 v69, 0x19d8
	v_fma_f64 v[101:102], -v[49:50], v[55:56], v[65:66]
	v_fma_f64 v[99:100], -v[24:25], v[99:100], v[53:54]
	v_mov_b32_e32 v55, 0x17d8
	v_mov_b32_e32 v65, 0x19c8
	ds_load_b128 v[51:54], v48 offset:5856
	ds_load_2addr_b64 v[55:58], v55 offset1:1
	ds_load_2addr_b64 v[65:68], v65 offset1:1
	;; [unrolled: 1-line block ×3, first 2 shown]
	ds_load_b128 v[81:84], v48 offset:5872
	v_fma_f64 v[87:88], -v[40:41], v[89:90], v[87:88]
	s_waitcnt lgkmcnt(6)
	v_fma_f64 v[73:74], -v[42:43], v[73:74], v[97:98]
	s_waitcnt lgkmcnt(4)
	;; [unrolled: 2-line block ×3, first 2 shown]
	v_fma_f64 v[55:56], -v[46:47], v[55:56], v[93:94]
	v_fma_f64 v[61:62], -v[49:50], v[61:62], v[95:96]
	s_waitcnt lgkmcnt(2)
	v_mul_f64 v[51:52], v[65:66], v[101:102]
	v_fma_f64 v[59:60], -v[26:27], v[59:60], v[99:100]
	v_fma_f64 v[89:90], -v[42:43], v[75:76], v[87:88]
	v_fma_f64 v[93:94], -v[44:45], v[53:54], v[73:74]
	v_mov_b32_e32 v53, 0x17e8
	v_mov_b32_e32 v73, 0x19e8
	v_fma_f64 v[95:96], -v[46:47], v[57:58], v[85:86]
	v_fma_f64 v[97:98], -v[49:50], v[63:64], v[55:56]
	;; [unrolled: 1-line block ×4, first 2 shown]
	ds_load_2addr_b64 v[53:56], v53 offset1:1
	ds_load_b128 v[57:60], v48 offset:6368
	ds_load_b128 v[61:64], v48 offset:6864
	;; [unrolled: 1-line block ×3, first 2 shown]
	ds_load_2addr_b64 v[73:76], v73 offset1:1
	ds_load_b128 v[85:88], v48 offset:6384
	s_waitcnt lgkmcnt(6)
	v_fma_f64 v[81:82], -v[44:45], v[81:82], v[89:90]
	s_waitcnt lgkmcnt(5)
	v_fma_f64 v[89:90], -v[46:47], v[53:54], v[93:94]
	;; [unrolled: 2-line block ×3, first 2 shown]
	v_fma_f64 v[69:70], -v[51:52], v[69:70], v[97:98]
	s_waitcnt lgkmcnt(3)
	v_mul_f64 v[53:54], v[61:62], v[99:100]
	v_fma_f64 v[61:62], -v[42:43], v[77:78], v[91:92]
	v_fma_f64 v[77:78], -v[46:47], v[55:56], v[81:82]
	v_mov_b32_e32 v55, 0x1bd8
	v_fma_f64 v[59:60], -v[49:50], v[59:60], v[89:90]
	v_fma_f64 v[71:72], -v[51:52], v[71:72], v[57:58]
	ds_load_2addr_b64 v[55:58], v55 offset1:1
	v_fma_f64 v[63:64], -v[53:54], v[63:64], v[69:70]
	v_fma_f64 v[61:62], -v[44:45], v[83:84], v[61:62]
	s_waitcnt lgkmcnt(1)
	v_fma_f64 v[69:70], -v[49:50], v[85:86], v[77:78]
	v_fma_f64 v[59:60], -v[51:52], v[73:74], v[59:60]
	v_mov_b32_e32 v73, 0x1de8
	v_fma_f64 v[65:66], -v[53:54], v[65:66], v[71:72]
	s_waitcnt lgkmcnt(0)
	v_mul_f64 v[55:56], v[55:56], v[63:64]
	v_fma_f64 v[61:62], -v[46:47], v[79:80], v[61:62]
	v_fma_f64 v[81:82], -v[51:52], v[75:76], v[69:70]
	;; [unrolled: 1-line block ×3, first 2 shown]
	s_delay_alu instid0(VALU_DEP_4) | instskip(NEXT) | instid1(VALU_DEP_4)
	v_fma_f64 v[85:86], -v[55:56], v[57:58], v[65:66]
	v_fma_f64 v[87:88], -v[49:50], v[87:88], v[61:62]
	v_mov_b32_e32 v61, 0x1be8
	ds_load_b128 v[57:60], v48 offset:6896
	ds_load_2addr_b64 v[61:64], v61 offset1:1
	ds_load_b128 v[65:68], v48 offset:7392
	ds_load_2addr_stride64_b64 v[69:72], v109 offset0:12 offset1:13
	ds_load_2addr_b64 v[73:76], v73 offset1:1
	ds_load_2addr_stride64_b64 v[77:80], v109 offset0:14 offset1:15
	s_waitcnt lgkmcnt(5)
	v_fma_f64 v[81:82], -v[53:54], v[57:58], v[81:82]
	s_waitcnt lgkmcnt(4)
	v_fma_f64 v[61:62], -v[55:56], v[61:62], v[83:84]
	s_waitcnt lgkmcnt(3)
	v_mul_f64 v[57:58], v[65:66], v[85:86]
	s_waitcnt lgkmcnt(2)
	v_fma_f64 v[65:66], -v[51:52], v[69:70], v[87:88]
	s_delay_alu instid0(VALU_DEP_4) | instskip(NEXT) | instid1(VALU_DEP_3)
	v_fma_f64 v[69:70], -v[55:56], v[63:64], v[81:82]
	v_fma_f64 v[67:68], -v[57:58], v[67:68], v[61:62]
	s_delay_alu instid0(VALU_DEP_3)
	v_fma_f64 v[81:82], -v[53:54], v[59:60], v[65:66]
	ds_load_b128 v[59:62], v48 offset:7408
	ds_load_b128 v[63:66], v48 offset:7920
	s_clause 0xd
	global_store_b128 v[110:111], v[0:3], off
	global_store_b128 v[110:111], v[8:11], off offset:16
	global_store_b128 v[110:111], v[4:7], off offset:32
	;; [unrolled: 1-line block ×13, first 2 shown]
	s_waitcnt lgkmcnt(1)
	v_fma_f64 v[69:70], -v[57:58], v[59:60], v[69:70]
	v_mul_f64 v[59:60], v[73:74], v[67:68]
	v_fma_f64 v[67:68], -v[55:56], v[71:72], v[81:82]
	s_delay_alu instid0(VALU_DEP_2) | instskip(NEXT) | instid1(VALU_DEP_2)
	v_fma_f64 v[69:70], -v[59:60], v[75:76], v[69:70]
	v_fma_f64 v[67:68], -v[57:58], v[61:62], v[67:68]
	s_waitcnt lgkmcnt(0)
	s_delay_alu instid0(VALU_DEP_2) | instskip(NEXT) | instid1(VALU_DEP_2)
	v_mul_f64 v[61:62], v[63:64], v[69:70]
	v_fma_f64 v[63:64], -v[59:60], v[77:78], v[67:68]
	s_delay_alu instid0(VALU_DEP_1) | instskip(NEXT) | instid1(VALU_DEP_1)
	v_fma_f64 v[63:64], -v[61:62], v[65:66], v[63:64]
	v_mul_f64 v[63:64], v[79:80], v[63:64]
	s_clause 0x1
	global_store_b128 v[110:111], v[57:60], off offset:224
	global_store_b128 v[110:111], v[61:64], off offset:240
.LBB105_37:
	s_cmp_lt_i32 s6, s2
	s_cbranch_scc0 .LBB105_54
; %bb.38:
	s_or_b32 s7, s6, 27
	s_delay_alu instid0(SALU_CYCLE_1)
	s_cmp_ge_u32 s7, s2
	s_cbranch_scc1 .LBB105_43
; %bb.39:
	s_lshl_b32 s8, s6, 3
	s_delay_alu instid0(SALU_CYCLE_1)
	v_add_co_u32 v44, vcc_lo, v110, s8
	v_add_co_ci_u32_e32 v45, vcc_lo, 0, v111, vcc_lo
	s_and_not1_b32 vcc_lo, exec_lo, s3
	s_mov_b32 s3, 0
	s_clause 0xd
	global_load_b128 v[0:3], v[44:45], off
	global_load_b128 v[6:9], v[44:45], off offset:16
	global_load_b128 v[10:13], v[44:45], off offset:32
	;; [unrolled: 1-line block ×13, first 2 shown]
	s_waitcnt vmcnt(13)
	v_mul_f64 v[0:1], v[0:1], s[4:5]
	v_mul_f64 v[4:5], v[2:3], s[4:5]
	s_waitcnt vmcnt(12)
	v_mul_f64 v[2:3], v[6:7], s[4:5]
	v_mul_f64 v[8:9], v[8:9], s[4:5]
	;; [unrolled: 3-line block ×14, first 2 shown]
	s_cbranch_vccnz .LBB105_42
; %bb.40:
	v_dual_mov_b32 v6, v110 :: v_dual_mov_b32 v7, v111
.LBB105_41:                             ; =>This Inner Loop Header: Depth=1
	global_load_b64 v[26:27], v[6:7], off
	v_mov_b32_e32 v118, s8
	v_add_co_u32 v6, vcc_lo, v6, 8
	v_add_co_ci_u32_e32 v7, vcc_lo, 0, v7, vcc_lo
	ds_load_b128 v[10:13], v118
	ds_load_b128 v[14:17], v118 offset:16
	ds_load_b128 v[18:21], v118 offset:32
	;; [unrolled: 1-line block ×13, first 2 shown]
	s_add_i32 s3, s3, 1
	s_addk_i32 s8, 0x100
	s_cmp_lt_u32 s3, s6
	s_waitcnt vmcnt(0) lgkmcnt(13)
	v_fma_f64 v[0:1], -v[26:27], v[10:11], v[0:1]
	v_fma_f64 v[4:5], -v[26:27], v[12:13], v[4:5]
	s_waitcnt lgkmcnt(12)
	v_fma_f64 v[2:3], -v[26:27], v[14:15], v[2:3]
	v_fma_f64 v[8:9], -v[26:27], v[16:17], v[8:9]
	s_waitcnt lgkmcnt(11)
	;; [unrolled: 3-line block ×13, first 2 shown]
	v_fma_f64 v[48:49], -v[26:27], v[118:119], v[48:49]
	v_fma_f64 v[46:47], -v[26:27], v[120:121], v[46:47]
	s_cbranch_scc1 .LBB105_41
.LBB105_42:
	s_mul_i32 s3, s6, 0x108
	s_delay_alu instid0(SALU_CYCLE_1) | instskip(SKIP_1) | instid1(SALU_CYCLE_1)
	v_mov_b32_e32 v87, s3
	s_lshl_b32 s3, s6, 5
	s_add_i32 s3, s6, s3
	s_delay_alu instid0(SALU_CYCLE_1) | instskip(NEXT) | instid1(SALU_CYCLE_1)
	s_lshl_b32 s3, s3, 3
	v_mov_b32_e32 v86, s3
	ds_load_b128 v[10:13], v87
	ds_load_b128 v[14:17], v87 offset:16
	s_add_i32 s8, s3, 0x848
	s_waitcnt lgkmcnt(1)
	v_mul_f64 v[0:1], v[10:11], v[0:1]
	s_delay_alu instid0(VALU_DEP_1)
	v_fma_f64 v[18:19], -v[0:1], v[12:13], v[4:5]
	ds_load_2addr_b64 v[10:13], v87 offset0:33 offset1:34
	ds_load_b128 v[4:7], v87 offset:64
	s_waitcnt lgkmcnt(2)
	v_fma_f64 v[14:15], -v[0:1], v[14:15], v[2:3]
	v_fma_f64 v[84:85], -v[0:1], v[16:17], v[8:9]
	s_waitcnt lgkmcnt(0)
	v_fma_f64 v[76:77], -v[0:1], v[4:5], v[76:77]
	v_fma_f64 v[104:105], -v[0:1], v[6:7], v[74:75]
	v_mul_f64 v[2:3], v[10:11], v[18:19]
	s_delay_alu instid0(VALU_DEP_1)
	v_fma_f64 v[82:83], -v[2:3], v[12:13], v[14:15]
	ds_load_b128 v[16:19], v87 offset:32
	ds_load_2addr_b64 v[24:27], v86 offset0:35 offset1:36
	ds_load_b128 v[20:23], v87 offset:528
	ds_load_b128 v[12:15], v87 offset:48
	ds_load_2addr_b64 v[8:11], v87 offset0:99 offset1:100
	ds_load_b128 v[32:35], v86 offset:208
	s_waitcnt lgkmcnt(5)
	v_fma_f64 v[80:81], -v[0:1], v[16:17], v[80:81]
	s_waitcnt lgkmcnt(4)
	v_fma_f64 v[24:25], -v[2:3], v[24:25], v[84:85]
	v_fma_f64 v[88:89], -v[0:1], v[18:19], v[78:79]
	s_waitcnt lgkmcnt(2)
	v_fma_f64 v[12:13], -v[0:1], v[12:13], v[30:31]
	;; [unrolled: 3-line block ×3, first 2 shown]
	v_mul_f64 v[16:17], v[20:21], v[82:83]
	v_fma_f64 v[26:27], -v[2:3], v[26:27], v[80:81]
	s_delay_alu instid0(VALU_DEP_2)
	v_fma_f64 v[90:91], -v[16:17], v[22:23], v[24:25]
	ds_load_2addr_b64 v[18:21], v86 offset0:37 offset1:38
	ds_load_b128 v[22:25], v86 offset:544
	ds_load_2addr_b64 v[78:81], v86 offset0:39 offset1:40
	ds_load_2addr_b64 v[82:85], v86 offset0:57 offset1:58
	s_waitcnt lgkmcnt(3)
	v_fma_f64 v[30:31], -v[2:3], v[18:19], v[88:89]
	s_waitcnt lgkmcnt(2)
	v_fma_f64 v[22:23], -v[16:17], v[22:23], v[26:27]
	v_fma_f64 v[94:95], -v[2:3], v[20:21], v[12:13]
	s_waitcnt lgkmcnt(1)
	v_fma_f64 v[78:79], -v[2:3], v[78:79], v[92:93]
	v_fma_f64 v[106:107], -v[2:3], v[80:81], v[76:77]
	v_mul_f64 v[18:19], v[8:9], v[90:91]
	v_fma_f64 v[96:97], -v[16:17], v[24:25], v[30:31]
	s_delay_alu instid0(VALU_DEP_2)
	v_fma_f64 v[98:99], -v[18:19], v[10:11], v[22:23]
	ds_load_b128 v[8:11], v86 offset:560
	ds_load_2addr_b64 v[12:15], v86 offset0:101 offset1:102
	ds_load_b128 v[20:23], v87 offset:1056
	ds_load_2addr_b64 v[24:27], v87 offset0:165 offset1:166
	ds_load_b128 v[88:91], v86 offset:576
	ds_load_b128 v[28:31], v86 offset:720
	s_waitcnt lgkmcnt(5)
	v_fma_f64 v[8:9], -v[16:17], v[8:9], v[94:95]
	v_fma_f64 v[108:109], -v[16:17], v[10:11], v[78:79]
	s_waitcnt lgkmcnt(4)
	v_fma_f64 v[12:13], -v[18:19], v[12:13], v[96:97]
	s_waitcnt lgkmcnt(1)
	v_fma_f64 v[88:89], -v[16:17], v[88:89], v[106:107]
	v_mul_f64 v[4:5], v[20:21], v[98:99]
	v_fma_f64 v[14:15], -v[18:19], v[14:15], v[8:9]
	s_delay_alu instid0(VALU_DEP_2)
	v_fma_f64 v[114:115], -v[4:5], v[22:23], v[12:13]
	ds_load_b128 v[6:9], v86 offset:80
	ds_load_2addr_b64 v[10:13], v86 offset0:41 offset1:42
	ds_load_2addr_b64 v[20:23], v86 offset0:103 offset1:104
	ds_load_b128 v[74:77], v86 offset:1072
	ds_load_b128 v[78:81], v86 offset:1088
	ds_load_2addr_b64 v[92:95], v86 offset0:105 offset1:106
	ds_load_2addr_b64 v[96:99], v86 offset0:43 offset1:44
	ds_load_b128 v[100:103], v86 offset:96
	s_waitcnt lgkmcnt(7)
	v_fma_f64 v[72:73], -v[0:1], v[6:7], v[72:73]
	s_waitcnt lgkmcnt(6)
	v_fma_f64 v[10:11], -v[2:3], v[10:11], v[104:105]
	;; [unrolled: 2-line block ×4, first 2 shown]
	v_fma_f64 v[42:43], -v[0:1], v[8:9], v[42:43]
	v_fma_f64 v[88:89], -v[18:19], v[22:23], v[88:89]
	s_waitcnt lgkmcnt(0)
	v_fma_f64 v[100:101], -v[0:1], v[100:101], v[40:41]
	v_mul_f64 v[6:7], v[24:25], v[114:115]
	v_fma_f64 v[104:105], -v[2:3], v[12:13], v[72:73]
	v_fma_f64 v[90:91], -v[16:17], v[90:91], v[10:11]
	;; [unrolled: 1-line block ×6, first 2 shown]
	ds_load_b128 v[8:11], v86 offset:592
	ds_load_2addr_b64 v[12:15], v86 offset0:167 offset1:168
	ds_load_2addr_b64 v[20:23], v87 offset0:198 offset1:231
	ds_load_b128 v[72:75], v86 offset:608
	ds_load_b128 v[24:27], v86 offset:1232
	v_fma_f64 v[90:91], -v[18:19], v[92:93], v[90:91]
	s_waitcnt lgkmcnt(4)
	v_fma_f64 v[104:105], -v[16:17], v[8:9], v[104:105]
	s_waitcnt lgkmcnt(3)
	v_fma_f64 v[12:13], -v[6:7], v[12:13], v[76:77]
	ds_load_2addr_b64 v[76:79], v86 offset0:199 offset1:200
	ds_load_2addr_b64 v[40:43], v86 offset0:185 offset1:186
	v_fma_f64 v[108:109], -v[16:17], v[10:11], v[96:97]
	v_fma_f64 v[14:15], -v[6:7], v[14:15], v[88:89]
	s_waitcnt lgkmcnt(4)
	v_mul_f64 v[8:9], v[20:21], v[106:107]
	v_fma_f64 v[20:21], -v[0:1], v[102:103], v[38:39]
	v_fma_f64 v[38:39], -v[2:3], v[98:99], v[100:101]
	;; [unrolled: 1-line block ×4, first 2 shown]
	s_waitcnt lgkmcnt(1)
	v_fma_f64 v[76:77], -v[8:9], v[76:77], v[12:13]
	ds_load_b128 v[10:13], v86 offset:112
	ds_load_2addr_b64 v[88:91], v86 offset0:45 offset1:46
	ds_load_2addr_b64 v[92:95], v86 offset0:107 offset1:108
	ds_load_b128 v[96:99], v86 offset:1104
	ds_load_2addr_b64 v[100:103], v86 offset0:169 offset1:170
	ds_load_2addr_b64 v[104:107], v86 offset0:171 offset1:172
	ds_load_b128 v[114:117], v86 offset:1120
	ds_load_2addr_b64 v[118:121], v86 offset0:109 offset1:110
	ds_load_2addr_b64 v[122:125], v86 offset0:47 offset1:48
	ds_load_b128 v[126:129], v86 offset:128
	v_fma_f64 v[72:73], -v[16:17], v[72:73], v[38:39]
	v_fma_f64 v[14:15], -v[8:9], v[78:79], v[14:15]
	s_waitcnt lgkmcnt(9)
	v_fma_f64 v[134:135], -v[0:1], v[10:11], v[36:37]
	s_waitcnt lgkmcnt(8)
	;; [unrolled: 2-line block ×4, first 2 shown]
	v_fma_f64 v[80:81], -v[6:7], v[100:101], v[80:81]
	v_fma_f64 v[96:97], -v[4:5], v[96:97], v[130:131]
	;; [unrolled: 1-line block ×3, first 2 shown]
	s_waitcnt lgkmcnt(0)
	v_fma_f64 v[68:69], -v[0:1], v[126:127], v[68:69]
	v_fma_f64 v[108:109], -v[0:1], v[128:129], v[66:67]
	v_mul_f64 v[10:11], v[22:23], v[76:77]
	ds_load_2addr_b64 v[20:23], v86 offset0:201 offset1:202
	ds_load_b128 v[76:79], v86 offset:1856
	ds_load_2addr_b64 v[130:133], v86 offset0:203 offset1:204
	ds_load_2addr_b64 v[36:39], v86 offset0:217 offset1:218
	v_fma_f64 v[90:91], -v[2:3], v[90:91], v[134:135]
	v_fma_f64 v[74:75], -v[16:17], v[74:75], v[88:89]
	v_fma_f64 v[88:89], -v[18:19], v[94:95], v[72:73]
	v_fma_f64 v[92:93], -v[4:5], v[98:99], v[92:93]
	v_fma_f64 v[94:95], -v[6:7], v[102:103], v[96:97]
	s_waitcnt lgkmcnt(3)
	v_fma_f64 v[20:21], -v[8:9], v[20:21], v[80:81]
	v_fma_f64 v[96:97], -v[2:3], v[122:123], v[100:101]
	;; [unrolled: 1-line block ×3, first 2 shown]
	s_waitcnt lgkmcnt(2)
	v_fma_f64 v[76:77], -v[10:11], v[76:77], v[14:15]
	ds_load_b128 v[12:15], v86 offset:624
	ds_load_b64 v[80:81], v87 offset:2112
	ds_load_b128 v[70:73], v86 offset:640
	v_fma_f64 v[100:101], -v[18:19], v[118:119], v[74:75]
	v_fma_f64 v[102:103], -v[4:5], v[114:115], v[88:89]
	v_mov_b32_e32 v74, s8
	s_or_b32 s8, s6, 9
	s_delay_alu instid0(SALU_CYCLE_1)
	s_mul_i32 s9, s8, 0x108
	s_waitcnt lgkmcnt(2)
	v_fma_f64 v[98:99], -v[16:17], v[12:13], v[90:91]
	v_mov_b32_e32 v87, s9
	v_fma_f64 v[91:92], -v[6:7], v[104:105], v[92:93]
	v_fma_f64 v[93:94], -v[8:9], v[22:23], v[94:95]
	;; [unrolled: 1-line block ×4, first 2 shown]
	s_waitcnt lgkmcnt(0)
	v_fma_f64 v[70:71], -v[16:17], v[70:71], v[138:139]
	s_lshl_b32 s8, s8, 5
	s_add_i32 s9, s3, 0x858
	s_add_i32 s8, s6, s8
	s_delay_alu instid0(SALU_CYCLE_1)
	s_lshl_b32 s8, s8, 3
	v_mul_f64 v[12:13], v[80:81], v[76:77]
	ds_load_b128 v[20:23], v86 offset:1872
	ds_load_2addr_b64 v[74:77], v74 offset1:1
	ds_load_b128 v[78:81], v86 offset:1888
	ds_load_2addr_b64 v[87:90], v87 offset1:1
	v_fma_f64 v[142:143], -v[4:5], v[116:117], v[100:101]
	v_fma_f64 v[144:145], -v[6:7], v[106:107], v[102:103]
	;; [unrolled: 1-line block ×4, first 2 shown]
	s_waitcnt lgkmcnt(3)
	v_fma_f64 v[20:21], -v[10:11], v[20:21], v[93:94]
	s_waitcnt lgkmcnt(2)
	v_fma_f64 v[74:75], -v[12:13], v[74:75], v[104:105]
	ds_load_b128 v[66:69], v86 offset:144
	ds_load_2addr_b64 v[91:94], v86 offset0:49 offset1:50
	ds_load_2addr_b64 v[95:98], v86 offset0:111 offset1:112
	ds_load_b128 v[99:102], v86 offset:1136
	ds_load_2addr_b64 v[103:106], v86 offset0:173 offset1:174
	ds_load_2addr_b64 v[114:117], v86 offset0:175 offset1:176
	;; [unrolled: 3-line block ×3, first 2 shown]
	ds_load_b128 v[134:137], v86 offset:160
	s_waitcnt lgkmcnt(9)
	v_fma_f64 v[146:147], -v[0:1], v[66:67], v[64:65]
	s_waitcnt lgkmcnt(8)
	v_fma_f64 v[91:92], -v[2:3], v[91:92], v[108:109]
	;; [unrolled: 2-line block ×3, first 2 shown]
	v_fma_f64 v[107:108], -v[8:9], v[132:133], v[144:145]
	s_waitcnt lgkmcnt(5)
	v_fma_f64 v[103:104], -v[6:7], v[103:104], v[142:143]
	v_dual_mov_b32 v64, s9 :: v_dual_mov_b32 v109, s8
	v_fma_f64 v[99:100], -v[4:5], v[99:100], v[140:141]
	v_fma_f64 v[138:139], -v[0:1], v[68:69], v[62:63]
	;; [unrolled: 1-line block ×5, first 2 shown]
	s_or_b32 s9, s6, 10
	s_add_i32 s8, s3, 0x868
	s_mul_i32 s10, s9, 0x108
	v_mul_f64 v[14:15], v[87:88], v[74:75]
	ds_load_2addr_b64 v[20:23], v86 offset0:205 offset1:206
	ds_load_2addr_b64 v[64:67], v64 offset1:1
	ds_load_2addr_b64 v[74:77], v86 offset0:207 offset1:208
	v_mov_b32_e32 v87, s10
	v_fma_f64 v[140:141], -v[2:3], v[93:94], v[146:147]
	v_fma_f64 v[72:73], -v[16:17], v[72:73], v[91:92]
	;; [unrolled: 1-line block ×4, first 2 shown]
	s_waitcnt lgkmcnt(3)
	v_fma_f64 v[107:108], -v[0:1], v[134:135], v[60:61]
	v_fma_f64 v[99:100], -v[6:7], v[105:106], v[99:100]
	s_waitcnt lgkmcnt(2)
	v_fma_f64 v[20:21], -v[8:9], v[20:21], v[103:104]
	s_waitcnt lgkmcnt(1)
	v_fma_f64 v[103:104], -v[12:13], v[64:65], v[130:131]
	ds_load_b128 v[62:65], v86 offset:656
	v_fma_f64 v[126:127], -v[2:3], v[126:127], v[138:139]
	v_fma_f64 v[118:119], -v[4:5], v[118:119], v[142:143]
	;; [unrolled: 1-line block ×4, first 2 shown]
	s_waitcnt lgkmcnt(0)
	v_fma_f64 v[130:131], -v[16:17], v[62:63], v[140:141]
	v_fma_f64 v[72:73], -v[18:19], v[122:123], v[72:73]
	;; [unrolled: 1-line block ×4, first 2 shown]
	v_mov_b32_e32 v66, s8
	ds_load_2addr_b64 v[68:71], v109 offset0:11 offset1:12
	ds_load_b128 v[87:90], v87
	ds_load_b128 v[91:94], v86 offset:672
	ds_load_2addr_b64 v[95:98], v109 offset0:13 offset1:14
	v_fma_f64 v[107:108], -v[2:3], v[128:129], v[107:108]
	v_fma_f64 v[22:23], -v[8:9], v[22:23], v[99:100]
	;; [unrolled: 1-line block ×3, first 2 shown]
	s_lshl_b32 s8, s9, 5
	s_or_b32 s9, s6, 11
	v_fma_f64 v[144:145], -v[16:17], v[64:65], v[126:127]
	v_fma_f64 v[150:151], -v[6:7], v[116:117], v[118:119]
	s_add_i32 s8, s6, s8
	s_mul_i32 s10, s9, 0x108
	s_lshl_b32 s8, s8, 3
	s_delay_alu instid0(SALU_CYCLE_1)
	v_mov_b32_e32 v162, s8
	s_add_i32 s8, s3, 0x878
	s_waitcnt lgkmcnt(3)
	v_fma_f64 v[103:104], -v[14:15], v[68:69], v[103:104]
	ds_load_b128 v[60:63], v86 offset:1904
	ds_load_2addr_b64 v[66:69], v66 offset1:1
	ds_load_b128 v[78:81], v86 offset:1920
	s_waitcnt lgkmcnt(5)
	v_mul_f64 v[20:21], v[87:88], v[105:106]
	v_fma_f64 v[146:147], -v[18:19], v[124:125], v[130:131]
	v_fma_f64 v[148:149], -v[4:5], v[120:121], v[72:73]
	v_fma_f64 v[74:75], -v[8:9], v[74:75], v[101:102]
	v_fma_f64 v[154:155], -v[14:15], v[70:71], v[114:115]
	v_mov_b32_e32 v114, s10
	s_waitcnt lgkmcnt(4)
	v_fma_f64 v[91:92], -v[16:17], v[91:92], v[107:108]
	s_waitcnt lgkmcnt(2)
	v_fma_f64 v[22:23], -v[10:11], v[60:61], v[22:23]
	;; [unrolled: 2-line block ×3, first 2 shown]
	ds_load_b128 v[58:61], v86 offset:176
	ds_load_2addr_b64 v[64:67], v86 offset0:53 offset1:54
	v_fma_f64 v[76:77], -v[8:9], v[76:77], v[150:151]
	v_fma_f64 v[156:157], -v[20:21], v[89:90], v[103:104]
	ds_load_2addr_b64 v[70:73], v86 offset0:115 offset1:116
	ds_load_b128 v[87:90], v86 offset:1168
	ds_load_2addr_b64 v[99:102], v86 offset0:177 offset1:178
	ds_load_b128 v[103:106], v162 offset:96
	ds_load_2addr_b64 v[114:117], v114 offset1:1
	ds_load_2addr_b64 v[118:121], v86 offset0:179 offset1:180
	ds_load_b128 v[122:125], v86 offset:1184
	ds_load_2addr_b64 v[126:129], v86 offset0:117 offset1:118
	ds_load_2addr_b64 v[130:133], v86 offset0:55 offset1:56
	ds_load_b128 v[134:137], v86 offset:192
	ds_load_b128 v[138:141], v162 offset:112
	ds_load_b64 v[158:159], v109 offset:216
	s_waitcnt lgkmcnt(13)
	v_fma_f64 v[160:161], -v[0:1], v[58:59], v[56:57]
	s_waitcnt lgkmcnt(12)
	v_fma_f64 v[142:143], -v[2:3], v[64:65], v[142:143]
	v_fma_f64 v[74:75], -v[10:11], v[62:63], v[74:75]
	s_waitcnt lgkmcnt(8)
	v_fma_f64 v[103:104], -v[20:21], v[103:104], v[154:155]
	v_mov_b32_e32 v62, s8
	s_lshl_b32 s8, s9, 5
	s_or_b32 s9, s6, 12
	v_fma_f64 v[107:108], -v[18:19], v[70:71], v[144:145]
	v_fma_f64 v[87:88], -v[4:5], v[87:88], v[146:147]
	;; [unrolled: 1-line block ×5, first 2 shown]
	ds_load_2addr_b64 v[56:59], v86 offset0:209 offset1:210
	ds_load_2addr_b64 v[62:65], v62 offset1:1
	ds_load_2addr_b64 v[68:71], v86 offset0:211 offset1:212
	v_fma_f64 v[146:147], -v[18:19], v[72:73], v[91:92]
	v_fma_f64 v[148:149], -v[10:11], v[78:79], v[76:77]
	s_add_i32 s8, s6, s8
	s_mul_i32 s10, s9, 0x108
	s_lshl_b32 s8, s8, 3
	v_mov_b32_e32 v76, s10
	v_mov_b32_e32 v152, s8
	s_add_i32 s8, s3, 0x888
	s_waitcnt lgkmcnt(5)
	v_fma_f64 v[50:51], -v[0:1], v[136:137], v[50:51]
	v_mul_f64 v[22:23], v[114:115], v[156:157]
	v_fma_f64 v[114:115], -v[0:1], v[60:61], v[54:55]
	v_fma_f64 v[66:67], -v[2:3], v[66:67], v[160:161]
	;; [unrolled: 1-line block ×3, first 2 shown]
	s_waitcnt lgkmcnt(1)
	v_fma_f64 v[150:151], -v[12:13], v[62:63], v[74:75]
	v_fma_f64 v[107:108], -v[4:5], v[89:90], v[107:108]
	;; [unrolled: 1-line block ×6, first 2 shown]
	ds_load_b128 v[54:57], v86 offset:688
	ds_load_2addr_b64 v[60:63], v109 offset0:15 offset1:16
	ds_load_2addr_b64 v[72:75], v152 offset0:13 offset1:14
	ds_load_b128 v[76:79], v76
	ds_load_b128 v[87:90], v86 offset:704
	ds_load_2addr_b64 v[91:94], v152 offset0:15 offset1:16
	ds_load_2addr_b64 v[95:98], v109 offset0:17 offset1:18
	v_fma_f64 v[122:123], -v[4:5], v[122:123], v[146:147]
	v_fma_f64 v[82:83], -v[2:3], v[82:83], v[50:51]
	;; [unrolled: 1-line block ×7, first 2 shown]
	v_mov_b32_e32 v64, s8
	s_waitcnt lgkmcnt(6)
	v_fma_f64 v[54:55], -v[16:17], v[54:55], v[66:67]
	s_lshl_b32 s8, s9, 5
	s_or_b32 s9, s6, 13
	s_add_i32 s8, s6, s8
	s_mul_i32 s10, s9, 0x108
	s_lshl_b32 s8, s8, 3
	s_waitcnt lgkmcnt(5)
	v_fma_f64 v[134:135], -v[14:15], v[60:61], v[150:151]
	v_mov_b32_e32 v150, s8
	s_add_i32 s8, s3, 0x898
	v_fma_f64 v[107:108], -v[6:7], v[118:119], v[107:108]
	v_fma_f64 v[118:119], -v[8:9], v[58:59], v[101:102]
	;; [unrolled: 1-line block ×4, first 2 shown]
	s_waitcnt lgkmcnt(4)
	v_fma_f64 v[72:73], -v[22:23], v[72:73], v[105:106]
	ds_load_b128 v[58:61], v86 offset:1936
	ds_load_2addr_b64 v[64:67], v64 offset1:1
	ds_load_b128 v[99:102], v86 offset:1952
	v_fma_f64 v[148:149], -v[6:7], v[120:121], v[122:123]
	s_waitcnt lgkmcnt(6)
	v_mul_f64 v[52:53], v[76:77], v[103:104]
	v_fma_f64 v[136:137], -v[2:3], v[132:133], v[116:117]
	v_fma_f64 v[142:143], -v[16:17], v[56:57], v[114:115]
	v_mov_b32_e32 v114, s10
	v_fma_f64 v[146:147], -v[4:5], v[124:125], v[126:127]
	v_fma_f64 v[144:145], -v[18:19], v[128:129], v[54:55]
	;; [unrolled: 1-line block ×4, first 2 shown]
	s_waitcnt lgkmcnt(2)
	v_fma_f64 v[58:59], -v[10:11], v[58:59], v[118:119]
	s_waitcnt lgkmcnt(1)
	v_fma_f64 v[80:81], -v[12:13], v[64:65], v[80:81]
	v_fma_f64 v[107:108], -v[14:15], v[62:63], v[130:131]
	;; [unrolled: 1-line block ×5, first 2 shown]
	ds_load_2addr_b64 v[54:57], v86 offset0:119 offset1:120
	ds_load_b128 v[62:65], v86 offset:1200
	ds_load_2addr_b64 v[72:75], v86 offset0:181 offset1:182
	ds_load_b128 v[76:79], v162 offset:128
	ds_load_b128 v[103:106], v150 offset:112
	ds_load_2addr_b64 v[114:117], v114 offset1:1
	ds_load_2addr_b64 v[118:121], v86 offset0:183 offset1:184
	ds_load_b128 v[122:125], v86 offset:1216
	ds_load_2addr_b64 v[126:129], v86 offset0:121 offset1:122
	ds_load_b128 v[130:133], v162 offset:144
	v_fma_f64 v[87:88], -v[16:17], v[87:88], v[136:137]
	v_fma_f64 v[91:92], -v[22:23], v[91:92], v[134:135]
	s_waitcnt lgkmcnt(9)
	v_fma_f64 v[136:137], -v[18:19], v[54:55], v[142:143]
	s_waitcnt lgkmcnt(8)
	;; [unrolled: 2-line block ×3, first 2 shown]
	v_fma_f64 v[72:73], -v[6:7], v[72:73], v[146:147]
	v_fma_f64 v[142:143], -v[10:11], v[60:61], v[68:69]
	;; [unrolled: 1-line block ×4, first 2 shown]
	s_waitcnt lgkmcnt(6)
	v_fma_f64 v[76:77], -v[20:21], v[76:77], v[107:108]
	s_waitcnt lgkmcnt(5)
	v_fma_f64 v[95:96], -v[52:53], v[103:104], v[138:139]
	v_mov_b32_e32 v58, s8
	ds_load_2addr_b64 v[48:51], v86 offset0:213 offset1:214
	ds_load_2addr_b64 v[58:61], v58 offset1:1
	ds_load_2addr_b64 v[66:69], v86 offset0:215 offset1:216
	v_fma_f64 v[103:104], -v[2:3], v[84:85], v[32:33]
	v_fma_f64 v[107:108], -v[16:17], v[89:90], v[82:83]
	v_fma_f64 v[99:100], -v[10:11], v[99:100], v[70:71]
	s_lshl_b32 s8, s9, 5
	s_or_b32 s9, s6, 14
	s_add_i32 s8, s6, s8
	s_waitcnt lgkmcnt(7)
	v_mul_f64 v[54:55], v[114:115], v[140:141]
	s_lshl_b32 s8, s8, 3
	s_mul_i32 s10, s9, 0x108
	v_fma_f64 v[114:115], -v[18:19], v[56:57], v[87:88]
	v_mov_b32_e32 v146, s8
	v_mov_b32_e32 v70, s10
	s_add_i32 s8, s3, 0x8a8
	v_fma_f64 v[105:106], -v[52:53], v[105:106], v[91:92]
	v_fma_f64 v[134:135], -v[4:5], v[64:65], v[136:137]
	;; [unrolled: 1-line block ×3, first 2 shown]
	s_waitcnt lgkmcnt(2)
	v_fma_f64 v[138:139], -v[8:9], v[48:49], v[72:73]
	s_waitcnt lgkmcnt(1)
	v_fma_f64 v[140:141], -v[12:13], v[58:59], v[142:143]
	v_fma_f64 v[97:98], -v[14:15], v[97:98], v[144:145]
	;; [unrolled: 1-line block ×9, first 2 shown]
	ds_load_2addr_b64 v[32:35], v109 offset0:19 offset1:20
	ds_load_2addr_b64 v[46:49], v152 offset0:17 offset1:18
	ds_load_b128 v[56:59], v150 offset:128
	ds_load_2addr_b64 v[62:65], v146 offset0:15 offset1:16
	ds_load_b128 v[70:73], v70
	ds_load_2addr_b64 v[74:77], v86 offset0:59 offset1:123
	ds_load_2addr_b64 v[78:81], v146 offset0:17 offset1:18
	ds_load_b128 v[82:85], v150 offset:144
	ds_load_2addr_b64 v[87:90], v152 offset0:19 offset1:20
	ds_load_2addr_b64 v[91:94], v109 offset0:21 offset1:22
	v_fma_f64 v[114:115], -v[4:5], v[122:123], v[114:115]
	s_waitcnt lgkmcnt(6)
	v_fma_f64 v[105:106], -v[54:55], v[62:63], v[105:106]
	v_fma_f64 v[118:119], -v[6:7], v[118:119], v[134:135]
	;; [unrolled: 1-line block ×9, first 2 shown]
	s_waitcnt lgkmcnt(5)
	v_mul_f64 v[28:29], v[70:71], v[95:96]
	s_waitcnt lgkmcnt(4)
	v_fma_f64 v[70:71], -v[2:3], v[74:75], v[116:117]
	v_mov_b32_e32 v74, s8
	ds_load_b128 v[60:63], v86 offset:1968
	ds_load_2addr_b64 v[95:98], v74 offset1:1
	ds_load_b128 v[99:102], v86 offset:1984
	v_fma_f64 v[74:75], -v[18:19], v[128:129], v[103:104]
	v_fma_f64 v[103:104], -v[4:5], v[124:125], v[107:108]
	;; [unrolled: 1-line block ×3, first 2 shown]
	s_lshl_b32 s8, s9, 5
	s_or_b32 s9, s6, 15
	s_add_i32 s8, s6, s8
	s_mul_i32 s10, s9, 0x108
	s_lshl_b32 s8, s8, 3
	s_lshl_b32 s9, s9, 5
	s_delay_alu instid0(SALU_CYCLE_1)
	s_add_i32 s9, s6, s9
	v_fma_f64 v[114:115], -v[8:9], v[66:67], v[118:119]
	s_lshl_b32 s9, s9, 3
	v_fma_f64 v[116:117], -v[22:23], v[48:49], v[130:131]
	s_waitcnt lgkmcnt(2)
	v_fma_f64 v[50:51], -v[10:11], v[60:61], v[50:51]
	s_waitcnt lgkmcnt(1)
	v_fma_f64 v[60:61], -v[12:13], v[95:96], v[122:123]
	v_fma_f64 v[95:96], -v[20:21], v[132:133], v[32:33]
	;; [unrolled: 1-line block ×4, first 2 shown]
	v_mov_b32_e32 v130, s8
	v_dual_mov_b32 v56, s10 :: v_dual_mov_b32 v131, s9
	s_add_i32 s8, s3, 0x8b8
	s_addk_i32 s3, 0x8c8
	v_fma_f64 v[105:106], -v[28:29], v[72:73], v[105:106]
	v_fma_f64 v[122:123], -v[16:17], v[30:31], v[70:71]
	ds_load_b128 v[30:33], v162 offset:160
	ds_load_b128 v[46:49], v130 offset:128
	ds_load_2addr_b64 v[56:59], v56 offset1:1
	ds_load_b128 v[64:67], v130 offset:144
	ds_load_b128 v[70:73], v162 offset:176
	ds_load_b64 v[124:125], v146 offset:216
	v_fma_f64 v[24:25], -v[4:5], v[24:25], v[74:75]
	v_fma_f64 v[40:41], -v[6:7], v[40:41], v[103:104]
	;; [unrolled: 1-line block ×3, first 2 shown]
	s_waitcnt lgkmcnt(5)
	v_fma_f64 v[34:35], -v[20:21], v[30:31], v[34:35]
	v_fma_f64 v[74:75], -v[10:11], v[62:63], v[114:115]
	;; [unrolled: 1-line block ×7, first 2 shown]
	s_waitcnt lgkmcnt(4)
	v_fma_f64 v[46:47], -v[28:29], v[46:47], v[120:121]
	v_mov_b32_e32 v60, s8
	s_or_b32 s8, s6, 16
	s_delay_alu instid0(SALU_CYCLE_1)
	s_mul_i32 s10, s8, 0x108
	ds_load_2addr_b64 v[60:63], v60 offset1:1
	s_waitcnt lgkmcnt(4)
	v_mul_f64 v[30:31], v[56:57], v[105:106]
	v_fma_f64 v[56:57], -v[18:19], v[76:77], v[122:123]
	v_fma_f64 v[107:108], -v[6:7], v[42:43], v[24:25]
	;; [unrolled: 1-line block ×12, first 2 shown]
	ds_load_2addr_b64 v[24:27], v109 offset0:23 offset1:24
	s_waitcnt lgkmcnt(1)
	v_fma_f64 v[60:61], -v[12:13], v[60:61], v[74:75]
	v_mov_b32_e32 v74, s10
	ds_load_2addr_b64 v[32:35], v152 offset0:21 offset1:22
	ds_load_b128 v[40:43], v150 offset:160
	ds_load_2addr_b64 v[46:49], v146 offset0:19 offset1:20
	ds_load_2addr_b64 v[56:59], v131 offset0:17 offset1:18
	ds_load_b128 v[74:77], v74
	ds_load_2addr_b64 v[78:81], v86 offset0:187 offset1:219
	ds_load_2addr_b64 v[82:85], v131 offset0:19 offset1:20
	;; [unrolled: 1-line block ×3, first 2 shown]
	ds_load_b128 v[91:94], v150 offset:176
	ds_load_2addr_b64 v[95:98], v152 offset0:23 offset1:24
	ds_load_2addr_b64 v[103:106], v109 offset0:25 offset1:26
	v_fma_f64 v[107:108], -v[8:9], v[38:39], v[107:108]
	v_fma_f64 v[101:102], -v[10:11], v[101:102], v[36:37]
	;; [unrolled: 1-line block ×3, first 2 shown]
	s_waitcnt lgkmcnt(9)
	v_fma_f64 v[40:41], -v[52:53], v[40:41], v[114:115]
	v_fma_f64 v[64:65], -v[28:29], v[64:65], v[118:119]
	;; [unrolled: 1-line block ×4, first 2 shown]
	s_waitcnt lgkmcnt(8)
	v_fma_f64 v[46:47], -v[54:55], v[46:47], v[116:117]
	s_waitcnt lgkmcnt(7)
	v_fma_f64 v[56:57], -v[30:31], v[56:57], v[120:121]
	;; [unrolled: 2-line block ×3, first 2 shown]
	v_fma_f64 v[128:129], -v[14:15], v[24:25], v[60:61]
	v_mul_f64 v[24:25], v[74:75], v[122:123]
	v_mov_b32_e32 v60, s3
	ds_load_b128 v[36:39], v86 offset:2000
	ds_load_2addr_b64 v[60:63], v60 offset1:1
	ds_load_b64 v[74:75], v86 offset:2264
	v_fma_f64 v[26:27], -v[14:15], v[26:27], v[68:69]
	s_lshl_b32 s3, s8, 5
	s_or_b32 s8, s6, 17
	s_add_i32 s3, s6, s3
	s_mul_i32 s9, s8, 0x108
	s_lshl_b32 s3, s3, 3
	v_fma_f64 v[99:100], -v[54:55], v[48:49], v[40:41]
	v_mov_b32_e32 v109, s3
	s_lshl_b32 s3, s8, 5
	s_or_b32 s8, s6, 18
	s_add_i32 s3, s6, s3
	s_delay_alu instid0(SALU_CYCLE_1)
	s_lshl_b32 s3, s3, 3
	v_fma_f64 v[50:51], -v[22:23], v[34:35], v[50:51]
	v_fma_f64 v[78:79], -v[52:53], v[42:43], v[32:33]
	ds_load_b128 v[32:35], v162 offset:192
	s_waitcnt lgkmcnt(3)
	v_fma_f64 v[36:37], -v[10:11], v[36:37], v[107:108]
	s_waitcnt lgkmcnt(2)
	v_fma_f64 v[60:61], -v[12:13], v[60:61], v[101:102]
	v_fma_f64 v[101:102], -v[28:29], v[66:67], v[46:47]
	;; [unrolled: 1-line block ×3, first 2 shown]
	v_mov_b32_e32 v122, s3
	s_lshl_b32 s3, s8, 5
	s_delay_alu instid0(SALU_CYCLE_1) | instskip(NEXT) | instid1(SALU_CYCLE_1)
	s_add_i32 s3, s6, s3
	s_lshl_b32 s3, s3, 3
	v_fma_f64 v[80:81], -v[8:9], v[80:81], v[70:71]
	v_fma_f64 v[72:73], -v[20:21], v[72:73], v[128:129]
	;; [unrolled: 1-line block ×3, first 2 shown]
	v_mov_b32_e32 v56, s9
	ds_load_b128 v[40:43], v130 offset:160
	ds_load_b128 v[46:49], v109 offset:144
	ds_load_2addr_b64 v[56:59], v56 offset1:1
	ds_load_b128 v[64:67], v130 offset:176
	ds_load_b128 v[68:71], v162 offset:208
	s_mul_i32 s9, s8, 0x108
	s_waitcnt lgkmcnt(5)
	v_fma_f64 v[32:33], -v[20:21], v[32:33], v[26:27]
	s_or_b32 s8, s6, 19
	s_waitcnt lgkmcnt(4)
	v_fma_f64 v[40:41], -v[28:29], v[40:41], v[99:100]
	v_fma_f64 v[50:51], -v[52:53], v[91:92], v[50:51]
	;; [unrolled: 1-line block ×4, first 2 shown]
	s_waitcnt lgkmcnt(3)
	v_fma_f64 v[46:47], -v[24:25], v[46:47], v[107:108]
	v_fma_f64 v[38:39], -v[10:11], v[38:39], v[80:81]
	;; [unrolled: 1-line block ×5, first 2 shown]
	s_waitcnt lgkmcnt(2)
	v_mul_f64 v[26:27], v[56:57], v[76:77]
	v_fma_f64 v[96:97], -v[22:23], v[97:98], v[32:33]
	v_fma_f64 v[107:108], -v[30:31], v[84:85], v[40:41]
	;; [unrolled: 1-line block ×10, first 2 shown]
	v_mov_b32_e32 v72, s9
	ds_load_2addr_b64 v[32:35], v152 offset0:25 offset1:26
	ds_load_b128 v[36:39], v150 offset:192
	ds_load_2addr_b64 v[40:43], v146 offset0:23 offset1:24
	ds_load_2addr_b64 v[46:49], v131 offset0:21 offset1:22
	ds_load_b128 v[56:59], v109 offset:160
	ds_load_2addr_b64 v[60:63], v122 offset0:19 offset1:20
	ds_load_b128 v[72:75], v72
	ds_load_2addr_b64 v[76:79], v122 offset0:21 offset1:22
	ds_load_b128 v[80:83], v109 offset:176
	ds_load_2addr_b64 v[84:87], v131 offset0:23 offset1:24
	ds_load_2addr_b64 v[88:91], v146 offset0:25 offset1:26
	ds_load_b128 v[92:95], v150 offset:208
	ds_load_b64 v[120:121], v152 offset:216
	s_mul_i32 s9, s8, 0x108
	s_waitcnt lgkmcnt(11)
	v_fma_f64 v[36:37], -v[52:53], v[36:37], v[96:97]
	s_waitcnt lgkmcnt(8)
	v_fma_f64 v[56:57], -v[24:25], v[56:57], v[107:108]
	v_fma_f64 v[50:51], -v[28:29], v[64:65], v[50:51]
	;; [unrolled: 1-line block ×4, first 2 shown]
	v_mov_b32_e32 v102, s3
	s_lshl_b32 s3, s8, 5
	s_or_b32 s8, s6, 20
	s_add_i32 s3, s6, s3
	s_delay_alu instid0(SALU_CYCLE_1)
	s_lshl_b32 s3, s3, 3
	v_fma_f64 v[64:65], -v[14:15], v[158:159], v[118:119]
	v_fma_f64 v[40:41], -v[54:55], v[40:41], v[103:104]
	;; [unrolled: 1-line block ×3, first 2 shown]
	s_waitcnt lgkmcnt(7)
	v_fma_f64 v[60:61], -v[26:27], v[60:61], v[114:115]
	s_waitcnt lgkmcnt(6)
	v_mul_f64 v[32:33], v[72:73], v[116:117]
	v_mov_b32_e32 v103, s3
	s_lshl_b32 s3, s8, 5
	s_delay_alu instid0(SALU_CYCLE_1) | instskip(NEXT) | instid1(SALU_CYCLE_1)
	s_add_i32 s3, s6, s3
	s_lshl_b32 s3, s3, 3
	v_fma_f64 v[42:43], -v[54:55], v[42:43], v[36:37]
	v_fma_f64 v[50:51], -v[30:31], v[48:49], v[50:51]
	;; [unrolled: 1-line block ×8, first 2 shown]
	v_mov_b32_e32 v46, s9
	v_fma_f64 v[74:75], -v[32:33], v[74:75], v[60:61]
	ds_load_b128 v[34:37], v130 offset:192
	ds_load_b128 v[38:41], v102 offset:160
	ds_load_2addr_b64 v[46:49], v46 offset1:1
	ds_load_b128 v[56:59], v102 offset:176
	ds_load_b128 v[60:63], v130 offset:208
	ds_load_b64 v[100:101], v122 offset:216
	s_mul_i32 s9, s8, 0x108
	s_or_b32 s8, s6, 21
	s_waitcnt lgkmcnt(5)
	v_fma_f64 v[42:43], -v[28:29], v[34:35], v[42:43]
	v_fma_f64 v[50:51], -v[24:25], v[80:81], v[50:51]
	;; [unrolled: 1-line block ×4, first 2 shown]
	s_waitcnt lgkmcnt(4)
	v_fma_f64 v[38:39], -v[32:33], v[38:39], v[98:99]
	v_fma_f64 v[66:67], -v[30:31], v[84:85], v[66:67]
	;; [unrolled: 1-line block ×3, first 2 shown]
	s_waitcnt lgkmcnt(3)
	v_mul_f64 v[34:35], v[46:47], v[74:75]
	v_fma_f64 v[46:47], -v[22:23], v[120:121], v[64:65]
	v_fma_f64 v[86:87], -v[30:31], v[86:87], v[42:43]
	;; [unrolled: 1-line block ×5, first 2 shown]
	v_mov_b32_e32 v68, s9
	s_mul_i32 s9, s8, 0x108
	v_fma_f64 v[90:91], -v[24:25], v[82:83], v[66:67]
	v_fma_f64 v[92:93], -v[32:33], v[40:41], v[72:73]
	;; [unrolled: 1-line block ×4, first 2 shown]
	ds_load_2addr_b64 v[36:39], v131 offset0:25 offset1:26
	ds_load_b128 v[40:43], v109 offset:192
	ds_load_2addr_b64 v[46:49], v122 offset0:23 offset1:24
	ds_load_2addr_b64 v[64:67], v103 offset0:21 offset1:22
	ds_load_b128 v[68:71], v68
	ds_load_2addr_b64 v[72:75], v103 offset0:23 offset1:24
	ds_load_2addr_b64 v[76:79], v122 offset0:25 offset1:26
	ds_load_b128 v[80:83], v109 offset:208
	ds_load_b64 v[98:99], v131 offset:216
	s_waitcnt lgkmcnt(7)
	v_fma_f64 v[40:41], -v[24:25], v[40:41], v[86:87]
	v_fma_f64 v[50:51], -v[32:33], v[56:57], v[50:51]
	;; [unrolled: 1-line block ×4, first 2 shown]
	v_mov_b32_e32 v88, s3
	s_lshl_b32 s3, s8, 5
	s_or_b32 s8, s6, 22
	s_add_i32 s3, s6, s3
	s_delay_alu instid0(SALU_CYCLE_1) | instskip(NEXT) | instid1(SALU_CYCLE_1)
	s_lshl_b32 s3, s3, 3
	v_mov_b32_e32 v89, s3
	s_lshl_b32 s3, s8, 5
	s_delay_alu instid0(SALU_CYCLE_1)
	s_add_i32 s3, s6, s3
	s_waitcnt lgkmcnt(6)
	v_fma_f64 v[46:47], -v[26:27], v[46:47], v[90:91]
	s_waitcnt lgkmcnt(5)
	v_fma_f64 v[56:57], -v[34:35], v[64:65], v[92:93]
	s_lshl_b32 s3, s3, 3
	s_waitcnt lgkmcnt(4)
	v_mul_f64 v[36:37], v[68:69], v[96:97]
	v_fma_f64 v[64:65], -v[54:55], v[124:125], v[94:95]
	v_fma_f64 v[50:51], -v[34:35], v[66:67], v[50:51]
	;; [unrolled: 1-line block ×8, first 2 shown]
	v_mov_b32_e32 v56, s9
	ds_load_b128 v[38:41], v102 offset:192
	ds_load_b128 v[46:49], v88 offset:176
	ds_load_2addr_b64 v[56:59], v56 offset1:1
	ds_load_b128 v[60:63], v102 offset:208
	s_mul_i32 s9, s8, 0x108
	s_or_b32 s8, s6, 23
	s_waitcnt lgkmcnt(5)
	v_fma_f64 v[68:69], -v[24:25], v[80:81], v[68:69]
	v_fma_f64 v[42:43], -v[26:27], v[76:77], v[42:43]
	s_waitcnt lgkmcnt(3)
	v_fma_f64 v[70:71], -v[32:33], v[38:39], v[84:85]
	s_waitcnt lgkmcnt(2)
	v_fma_f64 v[46:47], -v[36:37], v[46:47], v[50:51]
	v_fma_f64 v[72:73], -v[34:35], v[72:73], v[86:87]
	s_waitcnt lgkmcnt(1)
	v_mul_f64 v[38:39], v[56:57], v[66:67]
	v_fma_f64 v[50:51], -v[30:31], v[98:99], v[64:65]
	v_mov_b32_e32 v64, s9
	s_mul_i32 s9, s8, 0x108
	v_fma_f64 v[76:77], -v[26:27], v[78:79], v[68:69]
	v_fma_f64 v[78:79], -v[32:33], v[40:41], v[42:43]
	;; [unrolled: 1-line block ×6, first 2 shown]
	ds_load_2addr_b64 v[40:43], v103 offset0:25 offset1:26
	ds_load_b128 v[46:49], v88 offset:192
	ds_load_2addr_b64 v[56:59], v89 offset0:23 offset1:24
	ds_load_b128 v[64:67], v64
	ds_load_2addr_b64 v[68:71], v89 offset0:25 offset1:26
	ds_load_b128 v[72:75], v88 offset:208
	ds_load_b64 v[82:83], v103 offset:216
	s_waitcnt lgkmcnt(7)
	v_fma_f64 v[60:61], -v[32:33], v[60:61], v[76:77]
	s_waitcnt lgkmcnt(6)
	v_fma_f64 v[76:77], -v[34:35], v[40:41], v[78:79]
	;; [unrolled: 2-line block ×4, first 2 shown]
	s_waitcnt lgkmcnt(3)
	v_mul_f64 v[40:41], v[64:65], v[86:87]
	v_fma_f64 v[50:51], -v[26:27], v[100:101], v[50:51]
	v_fma_f64 v[42:43], -v[34:35], v[42:43], v[60:61]
	;; [unrolled: 1-line block ×4, first 2 shown]
	v_mov_b32_e32 v60, s3
	s_lshl_b32 s3, s8, 5
	s_or_b32 s8, s6, 24
	s_add_i32 s3, s6, s3
	s_delay_alu instid0(SALU_CYCLE_1)
	s_lshl_b32 s3, s3, 3
	v_fma_f64 v[66:67], -v[40:41], v[66:67], v[56:57]
	v_fma_f64 v[50:51], -v[32:33], v[62:63], v[50:51]
	v_mov_b32_e32 v56, s9
	ds_load_b128 v[46:49], v60 offset:192
	ds_load_2addr_b64 v[56:59], v56 offset1:1
	ds_load_b128 v[60:63], v60 offset:208
	ds_load_b64 v[78:79], v89 offset:216
	s_mul_i32 s9, s8, 0x108
	s_waitcnt lgkmcnt(5)
	v_fma_f64 v[72:73], -v[36:37], v[72:73], v[42:43]
	v_fma_f64 v[64:65], -v[38:39], v[68:69], v[64:65]
	s_waitcnt lgkmcnt(3)
	v_fma_f64 v[46:47], -v[40:41], v[46:47], v[76:77]
	s_waitcnt lgkmcnt(2)
	v_mul_f64 v[42:43], v[56:57], v[66:67]
	v_fma_f64 v[50:51], -v[34:35], v[82:83], v[50:51]
	v_mov_b32_e32 v56, s9
	v_fma_f64 v[66:67], -v[38:39], v[70:71], v[72:73]
	v_fma_f64 v[64:65], -v[40:41], v[48:49], v[64:65]
	v_mov_b32_e32 v70, s3
	s_lshl_b32 s3, s8, 5
	s_or_b32 s8, s6, 25
	s_add_i32 s3, s6, s3
	s_mul_i32 s9, s8, 0x108
	s_lshl_b32 s3, s3, 3
	v_fma_f64 v[68:69], -v[42:43], v[58:59], v[46:47]
	v_fma_f64 v[50:51], -v[36:37], v[74:75], v[50:51]
	ds_load_2addr_b64 v[46:49], v70 offset0:25 offset1:26
	ds_load_b128 v[56:59], v56
	ds_load_b64 v[70:71], v70 offset:216
	s_waitcnt lgkmcnt(4)
	v_fma_f64 v[60:61], -v[40:41], v[60:61], v[66:67]
	s_waitcnt lgkmcnt(2)
	v_fma_f64 v[64:65], -v[42:43], v[46:47], v[64:65]
	s_waitcnt lgkmcnt(1)
	v_mul_f64 v[46:47], v[56:57], v[68:69]
	v_fma_f64 v[50:51], -v[38:39], v[78:79], v[50:51]
	v_mov_b32_e32 v56, s9
	v_fma_f64 v[60:61], -v[42:43], v[48:49], v[60:61]
	v_mov_b32_e32 v48, s3
	s_lshl_b32 s3, s8, 5
	s_or_b32 s8, s6, 26
	s_add_i32 s3, s6, s3
	s_mulk_i32 s8, 0x108
	s_lshl_b32 s3, s3, 3
	s_or_b32 s6, s6, 28
	v_fma_f64 v[64:65], -v[46:47], v[58:59], v[64:65]
	v_fma_f64 v[62:63], -v[40:41], v[62:63], v[50:51]
	ds_load_b128 v[48:51], v48 offset:208
	ds_load_2addr_b64 v[56:59], v56 offset1:1
	s_waitcnt lgkmcnt(1)
	v_fma_f64 v[60:61], -v[46:47], v[48:49], v[60:61]
	s_waitcnt lgkmcnt(0)
	v_mul_f64 v[48:49], v[56:57], v[64:65]
	v_fma_f64 v[56:57], -v[42:43], v[70:71], v[62:63]
	v_mov_b32_e32 v62, s3
	s_mul_i32 s3, s7, 0x108
	s_delay_alu instid0(VALU_DEP_3) | instskip(NEXT) | instid1(VALU_DEP_3)
	v_fma_f64 v[60:61], -v[48:49], v[58:59], v[60:61]
	v_fma_f64 v[50:51], -v[46:47], v[50:51], v[56:57]
	v_mov_b32_e32 v56, s8
	ds_load_b128 v[56:59], v56
	ds_load_b64 v[62:63], v62 offset:216
	s_waitcnt lgkmcnt(1)
	v_mul_f64 v[56:57], v[56:57], v[60:61]
	s_waitcnt lgkmcnt(0)
	v_fma_f64 v[50:51], -v[48:49], v[62:63], v[50:51]
	s_delay_alu instid0(VALU_DEP_1)
	v_fma_f64 v[50:51], -v[56:57], v[58:59], v[50:51]
	v_mov_b32_e32 v58, s3
	ds_load_b64 v[58:59], v58
	s_waitcnt lgkmcnt(0)
	v_mul_f64 v[58:59], v[58:59], v[50:51]
	s_clause 0xd
	global_store_b128 v[44:45], v[0:3], off
	global_store_b128 v[44:45], v[16:19], off offset:16
	global_store_b128 v[44:45], v[4:7], off offset:32
	global_store_b128 v[44:45], v[8:11], off offset:48
	global_store_b128 v[44:45], v[12:15], off offset:64
	global_store_b128 v[44:45], v[20:23], off offset:80
	global_store_b128 v[44:45], v[52:55], off offset:96
	global_store_b128 v[44:45], v[28:31], off offset:112
	global_store_b128 v[44:45], v[24:27], off offset:128
	global_store_b128 v[44:45], v[32:35], off offset:144
	global_store_b128 v[44:45], v[36:39], off offset:160
	global_store_b128 v[44:45], v[40:43], off offset:176
	global_store_b128 v[44:45], v[46:49], off offset:192
	global_store_b128 v[44:45], v[56:59], off offset:208
.LBB105_43:
	s_cmp_ge_i32 s6, s2
	s_cbranch_scc1 .LBB105_54
; %bb.44:
	s_add_i32 s3, s6, -1
	s_lshl_b32 s8, s6, 3
	s_add_u32 s0, s12, s0
	s_addc_u32 s1, s13, s1
	v_add_co_u32 v8, vcc_lo, s0, v112
	v_add_co_ci_u32_e32 v9, vcc_lo, s1, v113, vcc_lo
	s_mov_b32 s1, 0
	s_delay_alu instid0(VALU_DEP_2) | instskip(NEXT) | instid1(VALU_DEP_2)
	v_add_co_u32 v0, vcc_lo, v8, 56
	v_add_co_ci_u32_e32 v1, vcc_lo, 0, v9, vcc_lo
	s_mov_b32 s10, s6
	s_mov_b32 s9, 0
	s_branch .LBB105_46
.LBB105_45:                             ;   in Loop: Header=BB105_46 Depth=1
	s_mul_i32 s0, s6, 0x108
	s_add_i32 s6, s6, 1
	v_mov_b32_e32 v6, s0
	s_add_i32 s9, s9, 1
	s_add_i32 s8, s8, 8
	s_cmp_ge_i32 s6, s2
	ds_load_b64 v[6:7], v6
	s_waitcnt lgkmcnt(0)
	v_mul_f64 v[4:5], v[6:7], v[4:5]
	v_add_nc_u16 v6, s10, 1
	s_delay_alu instid0(VALU_DEP_1)
	v_readfirstlane_b32 s10, v6
	global_store_b64 v[2:3], v[4:5], off
	s_cbranch_scc1 .LBB105_54
.LBB105_46:                             ; =>This Loop Header: Depth=1
                                        ;     Child Loop BB105_49 Depth 2
                                        ;     Child Loop BB105_53 Depth 2
	s_ashr_i32 s7, s6, 31
	s_delay_alu instid0(SALU_CYCLE_1)
	s_lshl_b64 s[12:13], s[6:7], 3
	s_cmp_eq_u32 s6, 0
	v_add_co_u32 v2, vcc_lo, v110, s12
	v_add_co_ci_u32_e32 v3, vcc_lo, s13, v111, vcc_lo
	global_load_b64 v[4:5], v[2:3], off
	s_waitcnt vmcnt(0)
	v_mul_f64 v[4:5], v[4:5], s[4:5]
	s_cbranch_scc1 .LBB105_45
; %bb.47:                               ;   in Loop: Header=BB105_46 Depth=1
	s_add_i32 s0, s3, s9
	s_delay_alu instid0(SALU_CYCLE_1)
	s_cmp_lt_u32 s0, 7
	s_cbranch_scc1 .LBB105_51
; %bb.48:                               ;   in Loop: Header=BB105_46 Depth=1
	v_dual_mov_b32 v7, v1 :: v_dual_mov_b32 v6, v0
	s_and_b32 s0, s6, -8
	s_mov_b32 s7, 0
	s_mov_b32 s11, s8
	s_set_inst_prefetch_distance 0x1
	.p2align	6
.LBB105_49:                             ;   Parent Loop BB105_46 Depth=1
                                        ; =>  This Inner Loop Header: Depth=2
	s_clause 0x3
	global_load_b128 v[10:13], v[6:7], off offset:-56
	global_load_b128 v[14:17], v[6:7], off offset:-40
	;; [unrolled: 1-line block ×4, first 2 shown]
	v_mov_b32_e32 v30, s11
	v_add_co_u32 v6, vcc_lo, v6, 64
	v_add_co_ci_u32_e32 v7, vcc_lo, 0, v7, vcc_lo
	ds_load_2addr_b64 v[26:29], v30 offset1:32
	s_add_i32 s7, s7, 8
	s_addk_i32 s11, 0x800
	s_cmp_lg_u32 s0, s7
	s_waitcnt vmcnt(3) lgkmcnt(0)
	v_fma_f64 v[4:5], -v[10:11], v[26:27], v[4:5]
	s_delay_alu instid0(VALU_DEP_1) | instskip(SKIP_3) | instid1(VALU_DEP_1)
	v_fma_f64 v[4:5], -v[12:13], v[28:29], v[4:5]
	ds_load_2addr_b64 v[10:13], v30 offset0:64 offset1:96
	s_waitcnt vmcnt(2) lgkmcnt(0)
	v_fma_f64 v[4:5], -v[14:15], v[10:11], v[4:5]
	v_fma_f64 v[4:5], -v[16:17], v[12:13], v[4:5]
	ds_load_2addr_b64 v[10:13], v30 offset0:128 offset1:160
	s_waitcnt vmcnt(1) lgkmcnt(0)
	v_fma_f64 v[4:5], -v[18:19], v[10:11], v[4:5]
	s_delay_alu instid0(VALU_DEP_1) | instskip(SKIP_3) | instid1(VALU_DEP_1)
	v_fma_f64 v[4:5], -v[20:21], v[12:13], v[4:5]
	ds_load_2addr_b64 v[10:13], v30 offset0:192 offset1:224
	s_waitcnt vmcnt(0) lgkmcnt(0)
	v_fma_f64 v[4:5], -v[22:23], v[10:11], v[4:5]
	v_fma_f64 v[4:5], -v[24:25], v[12:13], v[4:5]
	s_cbranch_scc1 .LBB105_49
; %bb.50:                               ;   in Loop: Header=BB105_46 Depth=1
	s_set_inst_prefetch_distance 0x2
	s_and_b32 s7, s6, 7
	s_delay_alu instid0(SALU_CYCLE_1)
	s_cmp_eq_u32 s7, 0
	s_cbranch_scc0 .LBB105_52
	s_branch .LBB105_45
.LBB105_51:                             ;   in Loop: Header=BB105_46 Depth=1
	s_mov_b32 s0, 0
	s_and_b32 s7, s6, 7
	s_delay_alu instid0(SALU_CYCLE_1)
	s_cmp_eq_u32 s7, 0
	s_cbranch_scc1 .LBB105_45
.LBB105_52:                             ;   in Loop: Header=BB105_46 Depth=1
	s_lshl_b64 s[12:13], s[0:1], 3
	s_and_b32 s7, s10, 7
	v_add_co_u32 v6, vcc_lo, v8, s12
	v_add_co_ci_u32_e32 v7, vcc_lo, s13, v9, vcc_lo
	s_lshl_b32 s0, s0, 8
.LBB105_53:                             ;   Parent Loop BB105_46 Depth=1
                                        ; =>  This Inner Loop Header: Depth=2
	global_load_b64 v[10:11], v[6:7], off
	s_add_i32 s11, s8, s0
	v_add_co_u32 v6, vcc_lo, v6, 8
	v_mov_b32_e32 v12, s11
	v_add_co_ci_u32_e32 v7, vcc_lo, 0, v7, vcc_lo
	s_add_i32 s7, s7, -1
	s_addk_i32 s0, 0x100
	ds_load_b64 v[12:13], v12
	s_cmp_lg_u32 s7, 0
	s_waitcnt vmcnt(0) lgkmcnt(0)
	v_fma_f64 v[4:5], -v[10:11], v[12:13], v[4:5]
	s_cbranch_scc1 .LBB105_53
	s_branch .LBB105_45
.LBB105_54:
	s_nop 0
	s_sendmsg sendmsg(MSG_DEALLOC_VGPRS)
	s_endpgm
	.section	.rodata,"a",@progbits
	.p2align	6, 0x0
	.amdhsa_kernel _ZL30rocblas_trsm_small_left_deviceILi32ELi32ELb1EddPKPKdPKPdEv13rocblas_fill_18rocblas_operation_17rocblas_diagonal_iiT3_T4_lilT5_lili
		.amdhsa_group_segment_fixed_size 8192
		.amdhsa_private_segment_fixed_size 0
		.amdhsa_kernarg_size 360
		.amdhsa_user_sgpr_count 14
		.amdhsa_user_sgpr_dispatch_ptr 0
		.amdhsa_user_sgpr_queue_ptr 0
		.amdhsa_user_sgpr_kernarg_segment_ptr 1
		.amdhsa_user_sgpr_dispatch_id 0
		.amdhsa_user_sgpr_private_segment_size 0
		.amdhsa_wavefront_size32 1
		.amdhsa_uses_dynamic_stack 0
		.amdhsa_enable_private_segment 0
		.amdhsa_system_sgpr_workgroup_id_x 1
		.amdhsa_system_sgpr_workgroup_id_y 0
		.amdhsa_system_sgpr_workgroup_id_z 1
		.amdhsa_system_sgpr_workgroup_info 0
		.amdhsa_system_vgpr_workitem_id 0
		.amdhsa_next_free_vgpr 185
		.amdhsa_next_free_sgpr 35
		.amdhsa_reserve_vcc 1
		.amdhsa_float_round_mode_32 0
		.amdhsa_float_round_mode_16_64 0
		.amdhsa_float_denorm_mode_32 3
		.amdhsa_float_denorm_mode_16_64 3
		.amdhsa_dx10_clamp 1
		.amdhsa_ieee_mode 1
		.amdhsa_fp16_overflow 0
		.amdhsa_workgroup_processor_mode 1
		.amdhsa_memory_ordered 1
		.amdhsa_forward_progress 0
		.amdhsa_shared_vgpr_count 0
		.amdhsa_exception_fp_ieee_invalid_op 0
		.amdhsa_exception_fp_denorm_src 0
		.amdhsa_exception_fp_ieee_div_zero 0
		.amdhsa_exception_fp_ieee_overflow 0
		.amdhsa_exception_fp_ieee_underflow 0
		.amdhsa_exception_fp_ieee_inexact 0
		.amdhsa_exception_int_div_zero 0
	.end_amdhsa_kernel
	.section	.text._ZL30rocblas_trsm_small_left_deviceILi32ELi32ELb1EddPKPKdPKPdEv13rocblas_fill_18rocblas_operation_17rocblas_diagonal_iiT3_T4_lilT5_lili,"axG",@progbits,_ZL30rocblas_trsm_small_left_deviceILi32ELi32ELb1EddPKPKdPKPdEv13rocblas_fill_18rocblas_operation_17rocblas_diagonal_iiT3_T4_lilT5_lili,comdat
.Lfunc_end105:
	.size	_ZL30rocblas_trsm_small_left_deviceILi32ELi32ELb1EddPKPKdPKPdEv13rocblas_fill_18rocblas_operation_17rocblas_diagonal_iiT3_T4_lilT5_lili, .Lfunc_end105-_ZL30rocblas_trsm_small_left_deviceILi32ELi32ELb1EddPKPKdPKPdEv13rocblas_fill_18rocblas_operation_17rocblas_diagonal_iiT3_T4_lilT5_lili
                                        ; -- End function
	.section	.AMDGPU.csdata,"",@progbits
; Kernel info:
; codeLenInByte = 37444
; NumSgprs: 37
; NumVgprs: 185
; ScratchSize: 0
; MemoryBound: 1
; FloatMode: 240
; IeeeMode: 1
; LDSByteSize: 8192 bytes/workgroup (compile time only)
; SGPRBlocks: 4
; VGPRBlocks: 23
; NumSGPRsForWavesPerEU: 37
; NumVGPRsForWavesPerEU: 185
; Occupancy: 4
; WaveLimiterHint : 1
; COMPUTE_PGM_RSRC2:SCRATCH_EN: 0
; COMPUTE_PGM_RSRC2:USER_SGPR: 14
; COMPUTE_PGM_RSRC2:TRAP_HANDLER: 0
; COMPUTE_PGM_RSRC2:TGID_X_EN: 1
; COMPUTE_PGM_RSRC2:TGID_Y_EN: 0
; COMPUTE_PGM_RSRC2:TGID_Z_EN: 1
; COMPUTE_PGM_RSRC2:TIDIG_COMP_CNT: 0
	.section	.text._ZL31rocblas_trsm_small_right_deviceIddPKPKdPKPdLi32EEv13rocblas_fill_18rocblas_operation_17rocblas_diagonal_iiT0_T1_lilT2_lili,"axG",@progbits,_ZL31rocblas_trsm_small_right_deviceIddPKPKdPKPdLi32EEv13rocblas_fill_18rocblas_operation_17rocblas_diagonal_iiT0_T1_lilT2_lili,comdat
	.globl	_ZL31rocblas_trsm_small_right_deviceIddPKPKdPKPdLi32EEv13rocblas_fill_18rocblas_operation_17rocblas_diagonal_iiT0_T1_lilT2_lili ; -- Begin function _ZL31rocblas_trsm_small_right_deviceIddPKPKdPKPdLi32EEv13rocblas_fill_18rocblas_operation_17rocblas_diagonal_iiT0_T1_lilT2_lili
	.p2align	8
	.type	_ZL31rocblas_trsm_small_right_deviceIddPKPKdPKPdLi32EEv13rocblas_fill_18rocblas_operation_17rocblas_diagonal_iiT0_T1_lilT2_lili,@function
_ZL31rocblas_trsm_small_right_deviceIddPKPKdPKPdLi32EEv13rocblas_fill_18rocblas_operation_17rocblas_diagonal_iiT0_T1_lilT2_lili: ; @_ZL31rocblas_trsm_small_right_deviceIddPKPKdPKPdLi32EEv13rocblas_fill_18rocblas_operation_17rocblas_diagonal_iiT0_T1_lilT2_lili
; %bb.0:
	s_load_b128 s[16:19], s[0:1], 0x40
	s_mov_b32 s12, s15
	s_mov_b32 s13, 0
	s_clause 0x1
	s_load_b32 s28, s[0:1], 0x10
	s_load_b128 s[4:7], s[0:1], 0x0
	s_lshl_b64 s[22:23], s[12:13], 3
	s_mov_b32 s12, exec_lo
	s_waitcnt lgkmcnt(0)
	s_add_u32 s2, s16, s22
	s_addc_u32 s3, s17, s23
	s_clause 0x1
	s_load_b128 s[8:11], s[0:1], 0x18
	s_load_b64 s[16:17], s[0:1], 0x28
	s_load_b64 s[2:3], s[2:3], 0x0
	s_min_i32 s29, s28, 32
	s_delay_alu instid0(SALU_CYCLE_1)
	s_add_i32 s30, s29, -1
	v_cmpx_gt_i32_e64 s29, v0
	s_cbranch_execz .LBB106_9
; %bb.1:
	s_load_b32 s20, s[0:1], 0x30
	s_waitcnt lgkmcnt(0)
	s_ashr_i32 s21, s20, 31
	s_add_u32 s10, s10, s22
	s_addc_u32 s11, s11, s23
	s_cmp_lt_u32 s30, 3
	s_load_b64 s[10:11], s[10:11], 0x0
	s_cbranch_scc1 .LBB106_4
; %bb.2:
	v_lshlrev_b32_e32 v3, 3, v0
	s_lshl_b64 s[22:23], s[16:17], 3
	s_mul_i32 s31, s20, 24
	s_waitcnt lgkmcnt(0)
	s_add_u32 s13, s10, s22
	s_addc_u32 s15, s11, s23
	v_add_co_u32 v1, s13, s13, v3
	s_delay_alu instid0(VALU_DEP_1)
	v_add_co_ci_u32_e64 v2, null, s15, 0, s13
	s_and_b32 s13, s29, -4
	s_mul_hi_i32 s15, s20, 24
	s_lshl_b64 s[22:23], s[20:21], 5
	s_lshl_b64 s[24:25], s[20:21], 4
	;; [unrolled: 1-line block ×3, first 2 shown]
	s_mov_b32 s33, 0
	.p2align	6
.LBB106_3:                              ; =>This Inner Loop Header: Depth=1
	v_add_co_u32 v4, vcc_lo, v1, s26
	v_add_co_ci_u32_e32 v5, vcc_lo, s27, v2, vcc_lo
	v_add_co_u32 v6, vcc_lo, v1, s24
	v_add_co_ci_u32_e32 v7, vcc_lo, s25, v2, vcc_lo
	;; [unrolled: 2-line block ×3, first 2 shown]
	s_clause 0x3
	global_load_b64 v[10:11], v[1:2], off
	global_load_b64 v[4:5], v[4:5], off
	;; [unrolled: 1-line block ×4, first 2 shown]
	v_add_co_u32 v1, vcc_lo, v1, s22
	v_add_co_ci_u32_e32 v2, vcc_lo, s23, v2, vcc_lo
	s_add_i32 s33, s33, 4
	s_waitcnt vmcnt(2)
	ds_store_2addr_b64 v3, v[10:11], v[4:5] offset1:32
	s_waitcnt vmcnt(0)
	ds_store_2addr_b64 v3, v[6:7], v[8:9] offset0:64 offset1:96
	v_add_nc_u32_e32 v3, 0x400, v3
	s_cmp_eq_u32 s13, s33
	s_cbranch_scc0 .LBB106_3
.LBB106_4:
	s_and_b32 s15, s29, 3
	s_delay_alu instid0(SALU_CYCLE_1)
	s_cmp_eq_u32 s15, 0
	s_cbranch_scc1 .LBB106_7
; %bb.5:
	s_mul_i32 s22, s21, s13
	s_mul_hi_u32 s23, s20, s13
	v_lshlrev_b32_e32 v1, 3, v0
	s_add_i32 s23, s23, s22
	s_mul_i32 s22, s20, s13
	s_lshl_b64 s[16:17], s[16:17], 3
	s_lshl_b64 s[22:23], s[22:23], 3
	v_lshl_or_b32 v3, s13, 8, v1
	s_add_u32 s13, s22, s16
	s_addc_u32 s16, s23, s17
	s_waitcnt lgkmcnt(0)
	s_add_u32 s10, s10, s13
	s_addc_u32 s11, s11, s16
	v_add_co_u32 v1, s10, s10, v1
	s_delay_alu instid0(VALU_DEP_1)
	v_add_co_ci_u32_e64 v2, null, s11, 0, s10
	s_lshl_b64 s[10:11], s[20:21], 3
.LBB106_6:                              ; =>This Inner Loop Header: Depth=1
	global_load_b64 v[4:5], v[1:2], off
	v_add_co_u32 v1, vcc_lo, v1, s10
	v_add_co_ci_u32_e32 v2, vcc_lo, s11, v2, vcc_lo
	s_add_i32 s15, s15, -1
	s_delay_alu instid0(SALU_CYCLE_1)
	s_cmp_lg_u32 s15, 0
	s_waitcnt vmcnt(0)
	ds_store_b64 v3, v[4:5]
	v_add_nc_u32_e32 v3, 0x100, v3
	s_cbranch_scc1 .LBB106_6
.LBB106_7:
	s_cmpk_eq_i32 s6, 0x84
	s_cbranch_scc0 .LBB106_9
; %bb.8:
	v_mul_u32_u24_e32 v2, 33, v0
	v_mov_b32_e32 v1, 0
	s_delay_alu instid0(VALU_DEP_2)
	v_dual_mov_b32 v2, 0x3ff00000 :: v_dual_lshlrev_b32 v3, 3, v2
	ds_store_b64 v3, v[1:2]
.LBB106_9:
	s_or_b32 exec_lo, exec_lo, s12
	s_load_b32 s6, s[0:1], 0x68
	s_waitcnt lgkmcnt(0)
	s_lshl_b64 s[10:11], s[18:19], 3
	s_load_b32 s0, s[0:1], 0x50
	s_add_u32 s1, s2, s10
	s_addc_u32 s12, s3, s11
	s_lshl_b32 s13, s14, 5
	s_mov_b32 s22, 0
	s_sub_i32 s7, s7, s13
	s_add_i32 s6, s6, -1
	s_delay_alu instid0(SALU_CYCLE_1) | instskip(SKIP_4) | instid1(SALU_CYCLE_1)
	s_cmp_ge_u32 s14, s6
	s_cselect_b32 s13, s7, 32
	s_ashr_i32 s15, s14, 31
	v_cmp_gt_i32_e32 vcc_lo, s13, v0
	s_lshl_b64 s[6:7], s[14:15], 8
	s_add_u32 s18, s1, s6
	s_addc_u32 s19, s12, s7
	s_cmp_gt_i32 s28, 0
	s_cselect_b32 s1, -1, 0
	s_delay_alu instid0(SALU_CYCLE_1) | instskip(NEXT) | instid1(SALU_CYCLE_1)
	s_and_b32 s20, vcc_lo, s1
	s_and_saveexec_b32 s21, s20
	s_cbranch_execz .LBB106_16
; %bb.10:
	s_waitcnt lgkmcnt(0)
	s_ashr_i32 s1, s0, 31
	s_cmp_lt_u32 s28, 4
	s_cbranch_scc1 .LBB106_13
; %bb.11:
	v_lshlrev_b32_e32 v1, 3, v0
	v_lshl_or_b32 v3, v0, 3, 0x2000
	s_and_b32 s22, s28, 0x7ffffffc
	s_mul_hi_i32 s23, s0, 24
	s_mul_i32 s24, s0, 24
	v_add_co_u32 v1, s12, s18, v1
	s_delay_alu instid0(VALU_DEP_1)
	v_add_co_ci_u32_e64 v2, null, s19, 0, s12
	s_lshl_b64 s[12:13], s[0:1], 5
	s_lshl_b64 s[14:15], s[0:1], 4
	;; [unrolled: 1-line block ×3, first 2 shown]
	s_mov_b32 s25, 0
	s_set_inst_prefetch_distance 0x1
	.p2align	6
.LBB106_12:                             ; =>This Inner Loop Header: Depth=1
	v_add_co_u32 v4, vcc_lo, v1, s16
	v_add_co_ci_u32_e32 v5, vcc_lo, s17, v2, vcc_lo
	v_add_co_u32 v6, vcc_lo, v1, s14
	v_add_co_ci_u32_e32 v7, vcc_lo, s15, v2, vcc_lo
	;; [unrolled: 2-line block ×3, first 2 shown]
	s_clause 0x3
	global_load_b64 v[10:11], v[1:2], off
	global_load_b64 v[4:5], v[4:5], off
	;; [unrolled: 1-line block ×4, first 2 shown]
	v_add_co_u32 v1, vcc_lo, v1, s12
	v_add_co_ci_u32_e32 v2, vcc_lo, s13, v2, vcc_lo
	s_add_i32 s25, s25, 4
	s_delay_alu instid0(SALU_CYCLE_1)
	s_cmp_lg_u32 s22, s25
	s_waitcnt vmcnt(3)
	v_mul_f64 v[10:11], v[10:11], s[8:9]
	s_waitcnt vmcnt(2)
	v_mul_f64 v[4:5], v[4:5], s[8:9]
	;; [unrolled: 2-line block ×4, first 2 shown]
	ds_store_2addr_b64 v3, v[10:11], v[4:5] offset1:32
	ds_store_2addr_b64 v3, v[6:7], v[8:9] offset0:64 offset1:96
	v_add_nc_u32_e32 v3, 0x400, v3
	s_cbranch_scc1 .LBB106_12
.LBB106_13:
	s_set_inst_prefetch_distance 0x2
	s_and_b32 s14, s28, 3
	s_delay_alu instid0(SALU_CYCLE_1)
	s_cmp_eq_u32 s14, 0
	s_cbranch_scc1 .LBB106_16
; %bb.14:
	s_mul_hi_i32 s13, s0, s22
	s_mul_i32 s12, s0, s22
	v_lshlrev_b32_e32 v1, 3, v0
	s_lshl_b64 s[12:13], s[12:13], 3
	s_delay_alu instid0(SALU_CYCLE_1)
	s_add_u32 s12, s12, s6
	s_addc_u32 s13, s13, s7
	s_add_u32 s12, s12, s10
	v_lshl_or_b32 v2, s22, 8, v1
	s_addc_u32 s13, s13, s11
	s_add_u32 s12, s2, s12
	s_addc_u32 s13, s3, s13
	v_add_co_u32 v1, s12, s12, v1
	v_add_nc_u32_e32 v3, 0x2000, v2
	v_add_co_ci_u32_e64 v2, null, s13, 0, s12
	s_lshl_b64 s[12:13], s[0:1], 3
.LBB106_15:                             ; =>This Inner Loop Header: Depth=1
	global_load_b64 v[4:5], v[1:2], off
	v_add_co_u32 v1, vcc_lo, v1, s12
	v_add_co_ci_u32_e32 v2, vcc_lo, s13, v2, vcc_lo
	s_add_i32 s14, s14, -1
	s_delay_alu instid0(SALU_CYCLE_1)
	s_cmp_lg_u32 s14, 0
	s_waitcnt vmcnt(0)
	v_mul_f64 v[4:5], v[4:5], s[8:9]
	ds_store_b64 v3, v[4:5]
	v_add_nc_u32_e32 v3, 0x100, v3
	s_cbranch_scc1 .LBB106_15
.LBB106_16:
	s_or_b32 exec_lo, exec_lo, s21
	s_cmpk_eq_i32 s5, 0x6f
	s_waitcnt lgkmcnt(0)
	s_cselect_b32 s1, -1, 0
	s_cmpk_eq_i32 s4, 0x79
	; wave barrier
	buffer_gl0_inv
	s_cselect_b32 s8, -1, 0
	s_cmpk_lg_i32 s4, 0x79
	s_cselect_b32 s5, -1, 0
	s_and_b32 s8, s8, s1
	s_delay_alu instid0(SALU_CYCLE_1)
	s_and_not1_b32 vcc_lo, exec_lo, s8
	s_mov_b32 s8, -1
	s_cbranch_vccz .LBB106_80
; %bb.17:
	s_cmpk_lg_i32 s4, 0x7a
	s_cselect_b32 s4, -1, 0
	s_xor_b32 s1, s1, -1
	s_delay_alu instid0(SALU_CYCLE_1)
	s_or_b32 s4, s4, s1
	s_cmp_gt_i32 s28, 3
	s_cselect_b32 s1, -1, 0
	s_and_b32 vcc_lo, exec_lo, s4
	s_mov_b32 s4, -1
	s_cbranch_vccz .LBB106_59
; %bb.18:
	s_and_not1_b32 vcc_lo, exec_lo, s5
	s_cbranch_vccnz .LBB106_38
; %bb.19:
	s_and_not1_b32 vcc_lo, exec_lo, s1
	s_mov_b32 s8, 0
	s_cbranch_vccnz .LBB106_26
; %bb.20:
	v_lshl_or_b32 v9, v0, 3, 0x2000
	s_mov_b32 s4, 0
	s_mov_b32 s5, 0
.LBB106_21:                             ; =>This Loop Header: Depth=1
                                        ;     Child Loop BB106_23 Depth 2
	s_delay_alu instid0(SALU_CYCLE_1)
	s_lshl_b32 s9, s5, 5
	s_lshl_b32 s12, s5, 8
	s_or_b32 s8, s9, 32
	v_or_b32_e32 v1, s9, v0
	v_or_b32_e32 v2, s8, v0
	v_lshl_or_b32 v10, v0, 3, s12
	s_cmp_eq_u32 s5, 0
	s_delay_alu instid0(VALU_DEP_3) | instskip(NEXT) | instid1(VALU_DEP_3)
	v_lshlrev_b32_e32 v11, 3, v1
	v_lshlrev_b32_e32 v12, 3, v2
	s_delay_alu instid0(VALU_DEP_3)
	v_add_nc_u32_e32 v1, 0x2000, v10
	ds_load_b64 v[7:8], v11 offset:8192
	ds_load_b64 v[5:6], v12 offset:8192
	ds_load_2addr_b64 v[1:4], v1 offset0:64 offset1:96
	s_cbranch_scc1 .LBB106_24
; %bb.22:                               ;   in Loop: Header=BB106_21 Depth=1
	v_mov_b32_e32 v13, v9
	s_mov_b32 s9, 0
	s_mov_b32 s12, s4
.LBB106_23:                             ;   Parent Loop BB106_21 Depth=1
                                        ; =>  This Inner Loop Header: Depth=2
	s_delay_alu instid0(SALU_CYCLE_1)
	v_mov_b32_e32 v28, s12
	s_add_i32 s9, s9, 4
	s_addk_i32 s12, 0x400
	s_cmp_ge_u32 s9, s5
	ds_load_2addr_b64 v[14:17], v13 offset1:32
	ds_load_b128 v[18:21], v28
	ds_load_b128 v[22:25], v28 offset:16
	s_waitcnt lgkmcnt(1)
	v_fma_f64 v[18:19], -v[14:15], v[18:19], v[7:8]
	v_fma_f64 v[20:21], -v[14:15], v[20:21], v[5:6]
	s_waitcnt lgkmcnt(0)
	v_fma_f64 v[22:23], -v[14:15], v[22:23], v[1:2]
	v_fma_f64 v[14:15], -v[14:15], v[24:25], v[3:4]
	ds_load_b128 v[1:4], v28 offset:256
	ds_load_b128 v[5:8], v28 offset:272
	s_waitcnt lgkmcnt(1)
	v_fma_f64 v[18:19], -v[16:17], v[1:2], v[18:19]
	v_fma_f64 v[20:21], -v[16:17], v[3:4], v[20:21]
	s_waitcnt lgkmcnt(0)
	v_fma_f64 v[22:23], -v[16:17], v[5:6], v[22:23]
	v_fma_f64 v[24:25], -v[16:17], v[7:8], v[14:15]
	ds_load_2addr_b64 v[1:4], v13 offset0:64 offset1:96
	ds_load_b128 v[5:8], v28 offset:512
	ds_load_b128 v[14:17], v28 offset:528
	v_add_nc_u32_e32 v13, 0x400, v13
	s_waitcnt lgkmcnt(1)
	v_fma_f64 v[5:6], -v[1:2], v[5:6], v[18:19]
	v_fma_f64 v[26:27], -v[1:2], v[7:8], v[20:21]
	s_waitcnt lgkmcnt(0)
	v_fma_f64 v[22:23], -v[1:2], v[14:15], v[22:23]
	v_fma_f64 v[24:25], -v[1:2], v[16:17], v[24:25]
	ds_load_b128 v[14:17], v28 offset:768
	ds_load_b128 v[18:21], v28 offset:784
	s_waitcnt lgkmcnt(1)
	v_fma_f64 v[7:8], -v[3:4], v[14:15], v[5:6]
	v_fma_f64 v[5:6], -v[3:4], v[16:17], v[26:27]
	s_waitcnt lgkmcnt(0)
	v_fma_f64 v[1:2], -v[3:4], v[18:19], v[22:23]
	v_fma_f64 v[3:4], -v[3:4], v[20:21], v[24:25]
	s_cbranch_scc0 .LBB106_23
.LBB106_24:                             ;   in Loop: Header=BB106_21 Depth=1
	s_mul_i32 s9, s5, 0x108
	s_delay_alu instid0(SALU_CYCLE_1)
	v_dual_mov_b32 v34, s9 :: v_dual_add_nc_u32 v11, 0x2000, v11
	s_add_i32 s8, s8, s5
	v_add_nc_u32_e32 v12, 0x2000, v12
	s_lshl_b32 s8, s8, 3
	v_add_nc_u32_e32 v13, 0x2200, v10
	ds_load_b128 v[14:17], v34
	ds_load_b128 v[18:21], v34 offset:16
	s_add_i32 s4, s4, 32
	v_add_nc_u32_e32 v10, 0x2300, v10
	s_waitcnt lgkmcnt(1)
	v_div_scale_f64 v[22:23], null, v[14:15], v[14:15], v[7:8]
	v_div_scale_f64 v[28:29], vcc_lo, v[7:8], v[14:15], v[7:8]
	s_delay_alu instid0(VALU_DEP_2) | instskip(SKIP_2) | instid1(VALU_DEP_1)
	v_rcp_f64_e32 v[24:25], v[22:23]
	s_waitcnt_depctr 0xfff
	v_fma_f64 v[26:27], -v[22:23], v[24:25], 1.0
	v_fma_f64 v[24:25], v[24:25], v[26:27], v[24:25]
	s_delay_alu instid0(VALU_DEP_1) | instskip(NEXT) | instid1(VALU_DEP_1)
	v_fma_f64 v[26:27], -v[22:23], v[24:25], 1.0
	v_fma_f64 v[24:25], v[24:25], v[26:27], v[24:25]
	s_delay_alu instid0(VALU_DEP_1) | instskip(NEXT) | instid1(VALU_DEP_1)
	v_mul_f64 v[26:27], v[28:29], v[24:25]
	v_fma_f64 v[22:23], -v[22:23], v[26:27], v[28:29]
	s_delay_alu instid0(VALU_DEP_1) | instskip(NEXT) | instid1(VALU_DEP_1)
	v_div_fmas_f64 v[22:23], v[22:23], v[24:25], v[26:27]
	v_div_fixup_f64 v[22:23], v[22:23], v[14:15], v[7:8]
	s_delay_alu instid0(VALU_DEP_1)
	v_fma_f64 v[24:25], -v[22:23], v[16:17], v[5:6]
	ds_load_2addr_b64 v[5:8], v34 offset0:33 offset1:34
	ds_load_b128 v[14:17], v34 offset:528
	s_waitcnt lgkmcnt(2)
	v_fma_f64 v[1:2], -v[22:23], v[18:19], v[1:2]
	v_fma_f64 v[3:4], -v[22:23], v[20:21], v[3:4]
	s_waitcnt lgkmcnt(1)
	v_div_scale_f64 v[26:27], null, v[5:6], v[5:6], v[24:25]
	v_div_scale_f64 v[32:33], vcc_lo, v[24:25], v[5:6], v[24:25]
	s_delay_alu instid0(VALU_DEP_2) | instskip(SKIP_2) | instid1(VALU_DEP_1)
	v_rcp_f64_e32 v[28:29], v[26:27]
	s_waitcnt_depctr 0xfff
	v_fma_f64 v[30:31], -v[26:27], v[28:29], 1.0
	v_fma_f64 v[28:29], v[28:29], v[30:31], v[28:29]
	s_delay_alu instid0(VALU_DEP_1) | instskip(NEXT) | instid1(VALU_DEP_1)
	v_fma_f64 v[30:31], -v[26:27], v[28:29], 1.0
	v_fma_f64 v[28:29], v[28:29], v[30:31], v[28:29]
	s_delay_alu instid0(VALU_DEP_1) | instskip(NEXT) | instid1(VALU_DEP_1)
	v_mul_f64 v[30:31], v[32:33], v[28:29]
	v_fma_f64 v[26:27], -v[26:27], v[30:31], v[32:33]
	s_delay_alu instid0(VALU_DEP_1) | instskip(NEXT) | instid1(VALU_DEP_1)
	v_div_fmas_f64 v[26:27], v[26:27], v[28:29], v[30:31]
	v_div_fixup_f64 v[5:6], v[26:27], v[5:6], v[24:25]
	s_delay_alu instid0(VALU_DEP_1) | instskip(SKIP_1) | instid1(VALU_DEP_1)
	v_fma_f64 v[1:2], -v[5:6], v[7:8], v[1:2]
	s_waitcnt lgkmcnt(0)
	v_div_scale_f64 v[7:8], null, v[14:15], v[14:15], v[1:2]
	v_div_scale_f64 v[26:27], vcc_lo, v[1:2], v[14:15], v[1:2]
	s_delay_alu instid0(VALU_DEP_2) | instskip(SKIP_2) | instid1(VALU_DEP_1)
	v_rcp_f64_e32 v[18:19], v[7:8]
	s_waitcnt_depctr 0xfff
	v_fma_f64 v[24:25], -v[7:8], v[18:19], 1.0
	v_fma_f64 v[18:19], v[18:19], v[24:25], v[18:19]
	s_delay_alu instid0(VALU_DEP_1) | instskip(NEXT) | instid1(VALU_DEP_1)
	v_fma_f64 v[24:25], -v[7:8], v[18:19], 1.0
	v_fma_f64 v[18:19], v[18:19], v[24:25], v[18:19]
	s_delay_alu instid0(VALU_DEP_1) | instskip(NEXT) | instid1(VALU_DEP_1)
	v_mul_f64 v[24:25], v[26:27], v[18:19]
	v_fma_f64 v[7:8], -v[7:8], v[24:25], v[26:27]
	s_delay_alu instid0(VALU_DEP_1)
	v_div_fmas_f64 v[7:8], v[7:8], v[18:19], v[24:25]
	v_mov_b32_e32 v18, s8
	s_add_i32 s8, s5, 4
	s_add_i32 s5, s5, 7
	ds_load_b64 v[18:19], v18 offset:24
	ds_load_b64 v[20:21], v34 offset:792
	s_cmp_ge_i32 s5, s29
	s_waitcnt lgkmcnt(1)
	v_fma_f64 v[3:4], -v[5:6], v[18:19], v[3:4]
	v_div_fixup_f64 v[1:2], v[7:8], v[14:15], v[1:2]
	s_delay_alu instid0(VALU_DEP_1) | instskip(SKIP_1) | instid1(VALU_DEP_1)
	v_fma_f64 v[3:4], -v[1:2], v[16:17], v[3:4]
	s_waitcnt lgkmcnt(0)
	v_div_scale_f64 v[7:8], null, v[20:21], v[20:21], v[3:4]
	s_delay_alu instid0(VALU_DEP_1) | instskip(SKIP_2) | instid1(VALU_DEP_1)
	v_rcp_f64_e32 v[14:15], v[7:8]
	s_waitcnt_depctr 0xfff
	v_fma_f64 v[16:17], -v[7:8], v[14:15], 1.0
	v_fma_f64 v[14:15], v[14:15], v[16:17], v[14:15]
	s_delay_alu instid0(VALU_DEP_1) | instskip(NEXT) | instid1(VALU_DEP_1)
	v_fma_f64 v[16:17], -v[7:8], v[14:15], 1.0
	v_fma_f64 v[14:15], v[14:15], v[16:17], v[14:15]
	v_div_scale_f64 v[16:17], vcc_lo, v[3:4], v[20:21], v[3:4]
	s_delay_alu instid0(VALU_DEP_1) | instskip(NEXT) | instid1(VALU_DEP_1)
	v_mul_f64 v[18:19], v[16:17], v[14:15]
	v_fma_f64 v[7:8], -v[7:8], v[18:19], v[16:17]
	s_delay_alu instid0(VALU_DEP_1) | instskip(NEXT) | instid1(VALU_DEP_1)
	v_div_fmas_f64 v[7:8], v[7:8], v[14:15], v[18:19]
	v_div_fixup_f64 v[3:4], v[7:8], v[20:21], v[3:4]
	ds_store_b64 v11, v[22:23]
	ds_store_b64 v12, v[5:6]
	;; [unrolled: 1-line block ×4, first 2 shown]
	s_cbranch_scc1 .LBB106_26
; %bb.25:                               ;   in Loop: Header=BB106_21 Depth=1
	s_mov_b32 s5, s8
	s_branch .LBB106_21
.LBB106_26:
	s_cmp_ge_i32 s8, s29
	s_cbranch_scc1 .LBB106_37
; %bb.27:
	v_lshl_or_b32 v3, v0, 3, 0x2000
	v_lshlrev_b32_e32 v4, 3, v0
	s_add_i32 s4, s8, -1
	s_lshl_b32 s5, s8, 3
	s_mov_b32 s9, 0
	s_mov_b32 s12, s8
	s_branch .LBB106_29
.LBB106_28:                             ;   in Loop: Header=BB106_29 Depth=1
	s_mul_i32 s13, s8, 0x108
	s_delay_alu instid0(SALU_CYCLE_1)
	v_dual_mov_b32 v6, s13 :: v_dual_add_nc_u32 v5, 0x2000, v5
	s_add_i32 s8, s8, 1
	s_add_i32 s9, s9, 1
	;; [unrolled: 1-line block ×3, first 2 shown]
	s_cmp_ge_i32 s8, s29
	ds_load_b64 v[6:7], v6
	s_waitcnt lgkmcnt(0)
	v_div_scale_f64 v[8:9], null, v[6:7], v[6:7], v[1:2]
	s_delay_alu instid0(VALU_DEP_1) | instskip(SKIP_2) | instid1(VALU_DEP_1)
	v_rcp_f64_e32 v[10:11], v[8:9]
	s_waitcnt_depctr 0xfff
	v_fma_f64 v[12:13], -v[8:9], v[10:11], 1.0
	v_fma_f64 v[10:11], v[10:11], v[12:13], v[10:11]
	s_delay_alu instid0(VALU_DEP_1) | instskip(NEXT) | instid1(VALU_DEP_1)
	v_fma_f64 v[12:13], -v[8:9], v[10:11], 1.0
	v_fma_f64 v[10:11], v[10:11], v[12:13], v[10:11]
	v_div_scale_f64 v[12:13], vcc_lo, v[1:2], v[6:7], v[1:2]
	s_delay_alu instid0(VALU_DEP_1) | instskip(NEXT) | instid1(VALU_DEP_1)
	v_mul_f64 v[14:15], v[12:13], v[10:11]
	v_fma_f64 v[8:9], -v[8:9], v[14:15], v[12:13]
	s_delay_alu instid0(VALU_DEP_1) | instskip(NEXT) | instid1(VALU_DEP_1)
	v_div_fmas_f64 v[8:9], v[8:9], v[10:11], v[14:15]
	v_div_fixup_f64 v[1:2], v[8:9], v[6:7], v[1:2]
	v_add_nc_u16 v6, s12, 1
	s_delay_alu instid0(VALU_DEP_1)
	v_readfirstlane_b32 s12, v6
	ds_store_b64 v5, v[1:2]
	s_cbranch_scc1 .LBB106_37
.LBB106_29:                             ; =>This Loop Header: Depth=1
                                        ;     Child Loop BB106_32 Depth 2
                                        ;     Child Loop BB106_36 Depth 2
	v_lshl_or_b32 v5, s8, 8, v4
	s_cmp_eq_u32 s8, 0
	ds_load_b64 v[1:2], v5 offset:8192
	s_cbranch_scc1 .LBB106_28
; %bb.30:                               ;   in Loop: Header=BB106_29 Depth=1
	s_add_i32 s13, s4, s9
	s_delay_alu instid0(SALU_CYCLE_1)
	s_cmp_lt_u32 s13, 7
	s_cbranch_scc1 .LBB106_34
; %bb.31:                               ;   in Loop: Header=BB106_29 Depth=1
	v_mov_b32_e32 v6, v3
	s_and_b32 s13, s8, -8
	s_mov_b32 s14, 0
	s_mov_b32 s15, s5
	s_set_inst_prefetch_distance 0x1
	.p2align	6
.LBB106_32:                             ;   Parent Loop BB106_29 Depth=1
                                        ; =>  This Inner Loop Header: Depth=2
	v_mov_b32_e32 v15, s15
	s_add_i32 s14, s14, 8
	s_addk_i32 s15, 0x800
	s_cmp_eq_u32 s13, s14
	ds_load_2addr_b64 v[7:10], v6 offset1:32
	ds_load_2addr_b64 v[11:14], v15 offset1:32
	s_waitcnt lgkmcnt(0)
	v_fma_f64 v[1:2], -v[7:8], v[11:12], v[1:2]
	s_delay_alu instid0(VALU_DEP_1) | instskip(SKIP_4) | instid1(VALU_DEP_1)
	v_fma_f64 v[1:2], -v[9:10], v[13:14], v[1:2]
	ds_load_2addr_b64 v[7:10], v6 offset0:64 offset1:96
	ds_load_2addr_b64 v[11:14], v15 offset0:64 offset1:96
	s_waitcnt lgkmcnt(0)
	v_fma_f64 v[1:2], -v[7:8], v[11:12], v[1:2]
	v_fma_f64 v[1:2], -v[9:10], v[13:14], v[1:2]
	ds_load_2addr_b64 v[7:10], v6 offset0:128 offset1:160
	ds_load_2addr_b64 v[11:14], v15 offset0:128 offset1:160
	s_waitcnt lgkmcnt(0)
	v_fma_f64 v[1:2], -v[7:8], v[11:12], v[1:2]
	s_delay_alu instid0(VALU_DEP_1)
	v_fma_f64 v[1:2], -v[9:10], v[13:14], v[1:2]
	ds_load_2addr_b64 v[7:10], v6 offset0:192 offset1:224
	ds_load_2addr_b64 v[11:14], v15 offset0:192 offset1:224
	v_add_nc_u32_e32 v6, 0x800, v6
	s_waitcnt lgkmcnt(0)
	v_fma_f64 v[1:2], -v[7:8], v[11:12], v[1:2]
	s_delay_alu instid0(VALU_DEP_1)
	v_fma_f64 v[1:2], -v[9:10], v[13:14], v[1:2]
	s_cbranch_scc0 .LBB106_32
; %bb.33:                               ;   in Loop: Header=BB106_29 Depth=1
	s_set_inst_prefetch_distance 0x2
	s_and_b32 s14, s8, 7
	s_delay_alu instid0(SALU_CYCLE_1)
	s_cmp_eq_u32 s14, 0
	s_cbranch_scc0 .LBB106_35
	s_branch .LBB106_28
.LBB106_34:                             ;   in Loop: Header=BB106_29 Depth=1
	s_mov_b32 s13, 0
	s_and_b32 s14, s8, 7
	s_delay_alu instid0(SALU_CYCLE_1)
	s_cmp_eq_u32 s14, 0
	s_cbranch_scc1 .LBB106_28
.LBB106_35:                             ;   in Loop: Header=BB106_29 Depth=1
	s_and_b32 s14, s12, 7
	s_lshl_b32 s13, s13, 8
.LBB106_36:                             ;   Parent Loop BB106_29 Depth=1
                                        ; =>  This Inner Loop Header: Depth=2
	s_delay_alu instid0(SALU_CYCLE_1)
	s_add_i32 s15, s5, s13
	v_add_nc_u32_e32 v6, s13, v3
	v_mov_b32_e32 v8, s15
	s_add_i32 s14, s14, -1
	s_addk_i32 s13, 0x100
	s_cmp_lg_u32 s14, 0
	ds_load_b64 v[6:7], v6
	ds_load_b64 v[8:9], v8
	s_waitcnt lgkmcnt(0)
	v_fma_f64 v[1:2], -v[6:7], v[8:9], v[1:2]
	s_cbranch_scc1 .LBB106_36
	s_branch .LBB106_28
.LBB106_37:
	s_mov_b32 s4, 0
.LBB106_38:
	s_delay_alu instid0(SALU_CYCLE_1)
	s_and_b32 vcc_lo, exec_lo, s4
	s_cbranch_vccz .LBB106_58
; %bb.39:
	s_and_not1_b32 vcc_lo, exec_lo, s1
	s_mov_b32 s8, s30
	s_cbranch_vccnz .LBB106_45
; %bb.40:
	v_lshlrev_b32_e32 v9, 3, v0
	s_mul_i32 s4, s29, 0x108
	s_mov_b32 s5, s30
	s_addk_i32 s4, 0xfbe0
	s_delay_alu instid0(VALU_DEP_1) | instskip(NEXT) | instid1(VALU_DEP_1)
	v_lshl_or_b32 v1, s29, 8, v9
	v_add_nc_u32_e32 v10, 0x1c00, v1
.LBB106_41:                             ; =>This Loop Header: Depth=1
                                        ;     Child Loop BB106_42 Depth 2
	s_add_i32 s14, s5, -1
	s_lshl_b32 s13, s5, 5
	s_lshl_b32 s12, s14, 5
	v_or_b32_e32 v1, s13, v0
	s_sub_i32 s8, s13, 64
	v_or_b32_e32 v2, s12, v0
	v_or_b32_e32 v3, s8, v0
	s_add_i32 s9, s5, -3
	v_lshlrev_b32_e32 v11, 3, v1
	v_lshl_or_b32 v14, s9, 8, v9
	v_dual_mov_b32 v15, v10 :: v_dual_lshlrev_b32 v12, 3, v2
	v_lshlrev_b32_e32 v13, 3, v3
	ds_load_b64 v[7:8], v11 offset:8192
	ds_load_b64 v[5:6], v12 offset:8192
	;; [unrolled: 1-line block ×4, first 2 shown]
	s_cmp_le_i32 s30, s5
	s_mov_b32 s15, s4
	s_mov_b32 s16, s30
	s_cbranch_scc1 .LBB106_43
.LBB106_42:                             ;   Parent Loop BB106_41 Depth=1
                                        ; =>  This Inner Loop Header: Depth=2
	v_mov_b32_e32 v28, s15
	s_add_i32 s16, s16, -4
	s_addk_i32 s15, 0xfc00
	s_cmp_le_i32 s16, s5
	ds_load_2addr_b64 v[16:19], v15 offset0:64 offset1:96
	ds_load_2addr_b64 v[20:23], v28 offset0:98 offset1:99
	;; [unrolled: 1-line block ×3, first 2 shown]
	s_waitcnt lgkmcnt(1)
	v_fma_f64 v[22:23], -v[18:19], v[22:23], v[7:8]
	v_fma_f64 v[20:21], -v[18:19], v[20:21], v[5:6]
	s_waitcnt lgkmcnt(0)
	v_fma_f64 v[26:27], -v[18:19], v[26:27], v[3:4]
	v_fma_f64 v[18:19], -v[18:19], v[24:25], v[1:2]
	ds_load_2addr_b64 v[1:4], v28 offset0:66 offset1:67
	ds_load_2addr_b64 v[5:8], v28 offset0:64 offset1:65
	s_waitcnt lgkmcnt(1)
	v_fma_f64 v[22:23], -v[16:17], v[3:4], v[22:23]
	v_fma_f64 v[20:21], -v[16:17], v[1:2], v[20:21]
	s_waitcnt lgkmcnt(0)
	v_fma_f64 v[24:25], -v[16:17], v[7:8], v[26:27]
	v_fma_f64 v[26:27], -v[16:17], v[5:6], v[18:19]
	ds_load_2addr_b64 v[1:4], v15 offset1:32
	ds_load_2addr_b64 v[5:8], v28 offset0:34 offset1:35
	ds_load_2addr_b64 v[16:19], v28 offset0:32 offset1:33
	v_add_nc_u32_e32 v15, 0xfffffc00, v15
	s_waitcnt lgkmcnt(1)
	v_fma_f64 v[7:8], -v[3:4], v[7:8], v[22:23]
	v_fma_f64 v[20:21], -v[3:4], v[5:6], v[20:21]
	s_waitcnt lgkmcnt(0)
	v_fma_f64 v[22:23], -v[3:4], v[18:19], v[24:25]
	v_fma_f64 v[24:25], -v[3:4], v[16:17], v[26:27]
	ds_load_2addr_b64 v[3:6], v28 offset0:2 offset1:3
	ds_load_2addr_b64 v[16:19], v28 offset1:1
	s_waitcnt lgkmcnt(1)
	v_fma_f64 v[7:8], -v[1:2], v[5:6], v[7:8]
	v_fma_f64 v[5:6], -v[1:2], v[3:4], v[20:21]
	s_waitcnt lgkmcnt(0)
	v_fma_f64 v[3:4], -v[1:2], v[18:19], v[22:23]
	v_fma_f64 v[1:2], -v[1:2], v[16:17], v[24:25]
	s_cbranch_scc0 .LBB106_42
.LBB106_43:                             ;   in Loop: Header=BB106_41 Depth=1
	s_add_i32 s14, s13, s14
	s_add_i32 s13, s13, s9
	s_lshl_b32 s14, s14, 3
	s_delay_alu instid0(SALU_CYCLE_1) | instskip(SKIP_3) | instid1(SALU_CYCLE_1)
	v_dual_mov_b32 v15, s14 :: v_dual_add_nc_u32 v12, 0x2000, v12
	s_mul_i32 s14, s5, 0x108
	s_lshl_b32 s13, s13, 3
	s_add_i32 s15, s14, 0xfffffef8
	v_dual_mov_b32 v19, s15 :: v_dual_add_nc_u32 v14, 0x2000, v14
	ds_load_2addr_b64 v[15:18], v15 offset1:1
	s_add_i32 s12, s12, s9
	s_add_i32 s8, s8, s9
	s_lshl_b32 s12, s12, 3
	ds_load_b64 v[19:20], v19
	s_lshl_b32 s8, s8, 3
	v_add_nc_u32_e32 v11, 0x2000, v11
	v_add_nc_u32_e32 v13, 0x2000, v13
	s_sub_i32 s4, s4, 32
	s_waitcnt lgkmcnt(1)
	v_div_scale_f64 v[21:22], null, v[17:18], v[17:18], v[7:8]
	v_div_scale_f64 v[27:28], vcc_lo, v[7:8], v[17:18], v[7:8]
	s_delay_alu instid0(VALU_DEP_2) | instskip(SKIP_2) | instid1(VALU_DEP_1)
	v_rcp_f64_e32 v[23:24], v[21:22]
	s_waitcnt_depctr 0xfff
	v_fma_f64 v[25:26], -v[21:22], v[23:24], 1.0
	v_fma_f64 v[23:24], v[23:24], v[25:26], v[23:24]
	s_delay_alu instid0(VALU_DEP_1) | instskip(NEXT) | instid1(VALU_DEP_1)
	v_fma_f64 v[25:26], -v[21:22], v[23:24], 1.0
	v_fma_f64 v[23:24], v[23:24], v[25:26], v[23:24]
	s_delay_alu instid0(VALU_DEP_1) | instskip(NEXT) | instid1(VALU_DEP_1)
	v_mul_f64 v[25:26], v[27:28], v[23:24]
	v_fma_f64 v[21:22], -v[21:22], v[25:26], v[27:28]
	s_delay_alu instid0(VALU_DEP_1) | instskip(NEXT) | instid1(VALU_DEP_1)
	v_div_fmas_f64 v[21:22], v[21:22], v[23:24], v[25:26]
	v_div_fixup_f64 v[21:22], v[21:22], v[17:18], v[7:8]
	s_delay_alu instid0(VALU_DEP_1) | instskip(SKIP_1) | instid1(VALU_DEP_1)
	v_fma_f64 v[23:24], -v[21:22], v[15:16], v[5:6]
	s_waitcnt lgkmcnt(0)
	v_div_scale_f64 v[5:6], null, v[19:20], v[19:20], v[23:24]
	v_div_scale_f64 v[17:18], vcc_lo, v[23:24], v[19:20], v[23:24]
	s_delay_alu instid0(VALU_DEP_2) | instskip(SKIP_2) | instid1(VALU_DEP_1)
	v_rcp_f64_e32 v[7:8], v[5:6]
	s_waitcnt_depctr 0xfff
	v_fma_f64 v[15:16], -v[5:6], v[7:8], 1.0
	v_fma_f64 v[7:8], v[7:8], v[15:16], v[7:8]
	s_delay_alu instid0(VALU_DEP_1) | instskip(NEXT) | instid1(VALU_DEP_1)
	v_fma_f64 v[15:16], -v[5:6], v[7:8], 1.0
	v_fma_f64 v[7:8], v[7:8], v[15:16], v[7:8]
	s_delay_alu instid0(VALU_DEP_1) | instskip(NEXT) | instid1(VALU_DEP_1)
	v_mul_f64 v[15:16], v[17:18], v[7:8]
	v_fma_f64 v[5:6], -v[5:6], v[15:16], v[17:18]
	s_delay_alu instid0(VALU_DEP_1)
	v_div_fmas_f64 v[25:26], v[5:6], v[7:8], v[15:16]
	v_mov_b32_e32 v5, s13
	v_mov_b32_e32 v15, s12
	ds_load_2addr_b64 v[5:8], v5 offset1:1
	ds_load_2addr_b64 v[15:18], v15 offset1:1
	s_waitcnt lgkmcnt(1)
	v_fma_f64 v[3:4], -v[21:22], v[7:8], v[3:4]
	v_fma_f64 v[1:2], -v[21:22], v[5:6], v[1:2]
	v_div_fixup_f64 v[7:8], v[25:26], v[19:20], v[23:24]
	s_waitcnt lgkmcnt(0)
	s_delay_alu instid0(VALU_DEP_1) | instskip(SKIP_2) | instid1(VALU_DEP_4)
	v_fma_f64 v[3:4], -v[7:8], v[17:18], v[3:4]
	v_mov_b32_e32 v17, s8
	s_add_i32 s8, s14, 0xfffffce8
	v_fma_f64 v[1:2], -v[7:8], v[15:16], v[1:2]
	v_mov_b32_e32 v23, s8
	s_add_i32 s8, s5, -4
	ds_load_2addr_b64 v[17:20], v17 offset1:1
	s_cmp_lt_i32 s5, 7
	ds_load_b64 v[23:24], v23
	s_waitcnt lgkmcnt(1)
	v_div_scale_f64 v[25:26], null, v[19:20], v[19:20], v[3:4]
	v_div_scale_f64 v[31:32], vcc_lo, v[3:4], v[19:20], v[3:4]
	s_delay_alu instid0(VALU_DEP_2) | instskip(SKIP_2) | instid1(VALU_DEP_1)
	v_rcp_f64_e32 v[27:28], v[25:26]
	s_waitcnt_depctr 0xfff
	v_fma_f64 v[29:30], -v[25:26], v[27:28], 1.0
	v_fma_f64 v[27:28], v[27:28], v[29:30], v[27:28]
	s_delay_alu instid0(VALU_DEP_1) | instskip(NEXT) | instid1(VALU_DEP_1)
	v_fma_f64 v[29:30], -v[25:26], v[27:28], 1.0
	v_fma_f64 v[27:28], v[27:28], v[29:30], v[27:28]
	s_delay_alu instid0(VALU_DEP_1) | instskip(NEXT) | instid1(VALU_DEP_1)
	v_mul_f64 v[29:30], v[31:32], v[27:28]
	v_fma_f64 v[25:26], -v[25:26], v[29:30], v[31:32]
	s_delay_alu instid0(VALU_DEP_1) | instskip(NEXT) | instid1(VALU_DEP_1)
	v_div_fmas_f64 v[5:6], v[25:26], v[27:28], v[29:30]
	v_div_fixup_f64 v[3:4], v[5:6], v[19:20], v[3:4]
	s_delay_alu instid0(VALU_DEP_1) | instskip(SKIP_1) | instid1(VALU_DEP_1)
	v_fma_f64 v[1:2], -v[3:4], v[17:18], v[1:2]
	s_waitcnt lgkmcnt(0)
	v_div_scale_f64 v[5:6], null, v[23:24], v[23:24], v[1:2]
	s_delay_alu instid0(VALU_DEP_1) | instskip(SKIP_2) | instid1(VALU_DEP_1)
	v_rcp_f64_e32 v[15:16], v[5:6]
	s_waitcnt_depctr 0xfff
	v_fma_f64 v[17:18], -v[5:6], v[15:16], 1.0
	v_fma_f64 v[15:16], v[15:16], v[17:18], v[15:16]
	s_delay_alu instid0(VALU_DEP_1) | instskip(NEXT) | instid1(VALU_DEP_1)
	v_fma_f64 v[17:18], -v[5:6], v[15:16], 1.0
	v_fma_f64 v[15:16], v[15:16], v[17:18], v[15:16]
	v_div_scale_f64 v[17:18], vcc_lo, v[1:2], v[23:24], v[1:2]
	s_delay_alu instid0(VALU_DEP_1) | instskip(NEXT) | instid1(VALU_DEP_1)
	v_mul_f64 v[19:20], v[17:18], v[15:16]
	v_fma_f64 v[5:6], -v[5:6], v[19:20], v[17:18]
	s_delay_alu instid0(VALU_DEP_1) | instskip(NEXT) | instid1(VALU_DEP_1)
	v_div_fmas_f64 v[5:6], v[5:6], v[15:16], v[19:20]
	v_div_fixup_f64 v[1:2], v[5:6], v[23:24], v[1:2]
	ds_store_b64 v11, v[21:22]
	ds_store_b64 v12, v[7:8]
	;; [unrolled: 1-line block ×4, first 2 shown]
	s_cbranch_scc1 .LBB106_45
; %bb.44:                               ;   in Loop: Header=BB106_41 Depth=1
	s_mov_b32 s5, s8
	s_branch .LBB106_41
.LBB106_45:
	s_cmp_lt_i32 s8, 0
	s_cbranch_scc1 .LBB106_58
; %bb.46:
	s_bitcmp1_b32 s8, 0
	s_cselect_b32 s4, -1, 0
	s_delay_alu instid0(SALU_CYCLE_1)
	s_and_b32 vcc_lo, exec_lo, s4
	s_mov_b32 s4, s8
	s_cbranch_vccnz .LBB106_51
; %bb.47:
	v_lshlrev_b32_e32 v1, 3, v0
	s_cmp_le_i32 s30, s8
	s_delay_alu instid0(VALU_DEP_1)
	v_lshl_or_b32 v3, s8, 8, v1
	ds_load_b64 v[1:2], v3 offset:8192
	s_cbranch_scc1 .LBB106_50
; %bb.48:
	s_lshl_b32 s4, s29, 8
	s_lshl_b32 s5, s8, 3
	v_lshl_or_b32 v4, v0, 3, s4
	s_add_i32 s4, s4, s5
	s_mov_b32 s5, s30
	s_addk_i32 s4, 0xff00
	s_delay_alu instid0(VALU_DEP_1)
	v_add_nc_u32_e32 v4, 0x1f00, v4
.LBB106_49:                             ; =>This Inner Loop Header: Depth=1
	v_mov_b32_e32 v7, s4
	s_add_i32 s5, s5, -1
	s_addk_i32 s4, 0xff00
	s_cmp_gt_i32 s5, s8
	ds_load_b64 v[5:6], v4
	ds_load_b64 v[7:8], v7
	v_add_nc_u32_e32 v4, 0xffffff00, v4
	s_waitcnt lgkmcnt(0)
	v_fma_f64 v[1:2], -v[5:6], v[7:8], v[1:2]
	s_cbranch_scc1 .LBB106_49
.LBB106_50:
	s_mul_i32 s4, s8, 0x108
	s_delay_alu instid0(SALU_CYCLE_1) | instskip(SKIP_4) | instid1(VALU_DEP_1)
	v_dual_mov_b32 v4, s4 :: v_dual_add_nc_u32 v3, 0x2000, v3
	s_add_i32 s4, s8, -1
	ds_load_b64 v[4:5], v4
	s_waitcnt lgkmcnt(0)
	v_div_scale_f64 v[6:7], null, v[4:5], v[4:5], v[1:2]
	v_rcp_f64_e32 v[8:9], v[6:7]
	s_waitcnt_depctr 0xfff
	v_fma_f64 v[10:11], -v[6:7], v[8:9], 1.0
	s_delay_alu instid0(VALU_DEP_1) | instskip(NEXT) | instid1(VALU_DEP_1)
	v_fma_f64 v[8:9], v[8:9], v[10:11], v[8:9]
	v_fma_f64 v[10:11], -v[6:7], v[8:9], 1.0
	s_delay_alu instid0(VALU_DEP_1) | instskip(SKIP_1) | instid1(VALU_DEP_1)
	v_fma_f64 v[8:9], v[8:9], v[10:11], v[8:9]
	v_div_scale_f64 v[10:11], vcc_lo, v[1:2], v[4:5], v[1:2]
	v_mul_f64 v[12:13], v[10:11], v[8:9]
	s_delay_alu instid0(VALU_DEP_1) | instskip(NEXT) | instid1(VALU_DEP_1)
	v_fma_f64 v[6:7], -v[6:7], v[12:13], v[10:11]
	v_div_fmas_f64 v[6:7], v[6:7], v[8:9], v[12:13]
	s_delay_alu instid0(VALU_DEP_1)
	v_div_fixup_f64 v[1:2], v[6:7], v[4:5], v[1:2]
	ds_store_b64 v3, v[1:2]
.LBB106_51:
	s_cmp_eq_u32 s8, 0
	s_cbranch_scc1 .LBB106_58
; %bb.52:
	s_lshl_b32 s5, s29, 8
	s_lshl_b32 s8, s4, 3
	v_lshl_or_b32 v1, v0, 3, s5
	v_lshlrev_b32_e32 v6, 3, v0
	s_add_i32 s8, s5, s8
	s_delay_alu instid0(SALU_CYCLE_1) | instskip(NEXT) | instid1(VALU_DEP_2)
	s_add_i32 s5, s8, 0xffffff00
	v_add_nc_u32_e32 v5, 0x1f00, v1
	s_addk_i32 s8, 0xfef8
	s_branch .LBB106_54
.LBB106_53:                             ;   in Loop: Header=BB106_54 Depth=1
	s_addk_i32 s9, 0xfef8
	s_delay_alu instid0(SALU_CYCLE_1)
	v_dual_mov_b32 v2, s9 :: v_dual_add_nc_u32 v1, 0x2000, v7
	s_add_i32 s9, s4, -2
	s_add_i32 s5, s5, -16
	;; [unrolled: 1-line block ×3, first 2 shown]
	s_cmp_lt_i32 s4, 2
	ds_load_b64 v[7:8], v2
	s_mov_b32 s4, s9
	s_waitcnt lgkmcnt(0)
	v_div_scale_f64 v[9:10], null, v[7:8], v[7:8], v[3:4]
	s_delay_alu instid0(VALU_DEP_1) | instskip(SKIP_2) | instid1(VALU_DEP_1)
	v_rcp_f64_e32 v[11:12], v[9:10]
	s_waitcnt_depctr 0xfff
	v_fma_f64 v[13:14], -v[9:10], v[11:12], 1.0
	v_fma_f64 v[11:12], v[11:12], v[13:14], v[11:12]
	s_delay_alu instid0(VALU_DEP_1) | instskip(NEXT) | instid1(VALU_DEP_1)
	v_fma_f64 v[13:14], -v[9:10], v[11:12], 1.0
	v_fma_f64 v[11:12], v[11:12], v[13:14], v[11:12]
	v_div_scale_f64 v[13:14], vcc_lo, v[3:4], v[7:8], v[3:4]
	s_delay_alu instid0(VALU_DEP_1) | instskip(NEXT) | instid1(VALU_DEP_1)
	v_mul_f64 v[15:16], v[13:14], v[11:12]
	v_fma_f64 v[9:10], -v[9:10], v[15:16], v[13:14]
	s_delay_alu instid0(VALU_DEP_1) | instskip(NEXT) | instid1(VALU_DEP_1)
	v_div_fmas_f64 v[9:10], v[9:10], v[11:12], v[15:16]
	v_div_fixup_f64 v[2:3], v[9:10], v[7:8], v[3:4]
	ds_store_b64 v1, v[2:3]
	s_cbranch_scc1 .LBB106_58
.LBB106_54:                             ; =>This Loop Header: Depth=1
                                        ;     Child Loop BB106_55 Depth 2
                                        ;     Child Loop BB106_57 Depth 2
	v_lshl_or_b32 v3, s4, 8, v6
	s_delay_alu instid0(VALU_DEP_2)
	v_mov_b32_e32 v4, v5
	s_cmp_le_i32 s30, s4
	s_mov_b32 s9, s5
	s_mov_b32 s12, s30
	ds_load_b64 v[1:2], v3 offset:8192
	s_cbranch_scc1 .LBB106_56
.LBB106_55:                             ;   Parent Loop BB106_54 Depth=1
                                        ; =>  This Inner Loop Header: Depth=2
	v_mov_b32_e32 v9, s9
	s_add_i32 s12, s12, -1
	s_addk_i32 s9, 0xff00
	s_cmp_le_i32 s12, s4
	ds_load_b64 v[7:8], v4
	ds_load_b64 v[9:10], v9
	v_add_nc_u32_e32 v4, 0xffffff00, v4
	s_waitcnt lgkmcnt(0)
	v_fma_f64 v[1:2], -v[7:8], v[9:10], v[1:2]
	s_cbranch_scc0 .LBB106_55
.LBB106_56:                             ;   in Loop: Header=BB106_54 Depth=1
	s_mul_i32 s9, s4, 0x108
	s_delay_alu instid0(SALU_CYCLE_1)
	v_dual_mov_b32 v3, s9 :: v_dual_add_nc_u32 v8, 0x2000, v3
	s_lshl_b32 s12, s4, 8
	s_mov_b32 s13, s29
	s_addk_i32 s12, 0xff00
	s_cmp_lt_i32 s30, s4
	ds_load_b64 v[9:10], v3
	v_lshl_or_b32 v7, v0, 3, s12
	s_mov_b32 s12, s8
	ds_load_b64 v[3:4], v7 offset:8192
	s_waitcnt lgkmcnt(1)
	v_div_scale_f64 v[11:12], null, v[9:10], v[9:10], v[1:2]
	s_delay_alu instid0(VALU_DEP_1) | instskip(SKIP_2) | instid1(VALU_DEP_1)
	v_rcp_f64_e32 v[13:14], v[11:12]
	s_waitcnt_depctr 0xfff
	v_fma_f64 v[15:16], -v[11:12], v[13:14], 1.0
	v_fma_f64 v[13:14], v[13:14], v[15:16], v[13:14]
	s_delay_alu instid0(VALU_DEP_1) | instskip(NEXT) | instid1(VALU_DEP_1)
	v_fma_f64 v[15:16], -v[11:12], v[13:14], 1.0
	v_fma_f64 v[13:14], v[13:14], v[15:16], v[13:14]
	v_div_scale_f64 v[15:16], vcc_lo, v[1:2], v[9:10], v[1:2]
	s_delay_alu instid0(VALU_DEP_1) | instskip(NEXT) | instid1(VALU_DEP_1)
	v_mul_f64 v[17:18], v[15:16], v[13:14]
	v_fma_f64 v[11:12], -v[11:12], v[17:18], v[15:16]
	s_delay_alu instid0(VALU_DEP_1) | instskip(NEXT) | instid1(VALU_DEP_1)
	v_div_fmas_f64 v[11:12], v[11:12], v[13:14], v[17:18]
	v_div_fixup_f64 v[9:10], v[11:12], v[9:10], v[1:2]
	v_mov_b32_e32 v1, v5
	ds_store_b64 v8, v[9:10]
	s_cbranch_scc1 .LBB106_53
.LBB106_57:                             ;   Parent Loop BB106_54 Depth=1
                                        ; =>  This Inner Loop Header: Depth=2
	v_mov_b32_e32 v2, s12
	s_add_i32 s13, s13, -1
	s_addk_i32 s12, 0xff00
	s_cmp_gt_i32 s13, s4
	ds_load_b64 v[8:9], v1
	ds_load_b64 v[10:11], v2
	v_add_nc_u32_e32 v1, 0xffffff00, v1
	s_waitcnt lgkmcnt(0)
	v_fma_f64 v[3:4], -v[8:9], v[10:11], v[3:4]
	s_cbranch_scc1 .LBB106_57
	s_branch .LBB106_53
.LBB106_58:
	s_mov_b32 s4, 0
.LBB106_59:
	s_delay_alu instid0(SALU_CYCLE_1)
	s_and_not1_b32 vcc_lo, exec_lo, s4
	s_cbranch_vccnz .LBB106_79
; %bb.60:
	s_and_not1_b32 vcc_lo, exec_lo, s1
	s_mov_b32 s5, s30
	s_cbranch_vccnz .LBB106_66
; %bb.61:
	v_lshlrev_b32_e32 v9, 3, v0
	s_mul_i32 s1, s29, 0x108
	s_mov_b32 s4, s30
	s_addk_i32 s1, 0xfbe0
	s_delay_alu instid0(VALU_DEP_1) | instskip(NEXT) | instid1(VALU_DEP_1)
	v_lshl_or_b32 v1, s29, 8, v9
	v_add_nc_u32_e32 v10, 0x1c00, v1
.LBB106_62:                             ; =>This Loop Header: Depth=1
                                        ;     Child Loop BB106_63 Depth 2
	s_lshl_b32 s5, s4, 5
	s_add_i32 s8, s4, -1
	v_or_b32_e32 v1, s5, v0
	s_sub_i32 s9, s5, 64
	s_addk_i32 s5, 0xffa0
	v_or_b32_e32 v2, s9, v0
	v_or_b32_e32 v3, s5, v0
	v_lshlrev_b32_e32 v11, 3, v1
	v_lshl_or_b32 v12, s8, 8, v9
	v_mov_b32_e32 v15, v10
	v_lshlrev_b32_e32 v13, 3, v2
	v_lshlrev_b32_e32 v14, 3, v3
	ds_load_b64 v[7:8], v11 offset:8192
	ds_load_b64 v[5:6], v12 offset:8192
	;; [unrolled: 1-line block ×4, first 2 shown]
	s_cmp_le_i32 s30, s4
	s_mov_b32 s12, s1
	s_mov_b32 s13, s30
	s_cbranch_scc1 .LBB106_64
.LBB106_63:                             ;   Parent Loop BB106_62 Depth=1
                                        ; =>  This Inner Loop Header: Depth=2
	v_mov_b32_e32 v48, s12
	s_add_i32 s13, s13, -4
	s_sub_i32 s12, s12, 32
	s_cmp_le_i32 s13, s4
	ds_load_2addr_b64 v[16:19], v15 offset0:64 offset1:96
	ds_load_2addr_b64 v[20:23], v48 offset0:98 offset1:99
	;; [unrolled: 1-line block ×8, first 2 shown]
	ds_load_2addr_b64 v[48:51], v48 offset1:1
	s_waitcnt lgkmcnt(7)
	v_fma_f64 v[7:8], -v[18:19], v[22:23], v[7:8]
	s_waitcnt lgkmcnt(6)
	v_fma_f64 v[5:6], -v[18:19], v[26:27], v[5:6]
	;; [unrolled: 2-line block ×4, first 2 shown]
	s_delay_alu instid0(VALU_DEP_4) | instskip(NEXT) | instid1(VALU_DEP_4)
	v_fma_f64 v[7:8], -v[16:17], v[20:21], v[7:8]
	v_fma_f64 v[5:6], -v[16:17], v[24:25], v[5:6]
	s_delay_alu instid0(VALU_DEP_4) | instskip(NEXT) | instid1(VALU_DEP_4)
	v_fma_f64 v[18:19], -v[16:17], v[28:29], v[3:4]
	v_fma_f64 v[16:17], -v[16:17], v[32:33], v[1:2]
	ds_load_2addr_b64 v[1:4], v15 offset1:32
	v_add_nc_u32_e32 v15, 0xfffffc00, v15
	s_waitcnt lgkmcnt(0)
	v_fma_f64 v[7:8], -v[3:4], v[38:39], v[7:8]
	v_fma_f64 v[5:6], -v[3:4], v[42:43], v[5:6]
	v_fma_f64 v[18:19], -v[3:4], v[46:47], v[18:19]
	v_fma_f64 v[16:17], -v[3:4], v[50:51], v[16:17]
	s_delay_alu instid0(VALU_DEP_4) | instskip(NEXT) | instid1(VALU_DEP_4)
	v_fma_f64 v[7:8], -v[1:2], v[36:37], v[7:8]
	v_fma_f64 v[5:6], -v[1:2], v[40:41], v[5:6]
	s_delay_alu instid0(VALU_DEP_4) | instskip(NEXT) | instid1(VALU_DEP_4)
	v_fma_f64 v[3:4], -v[1:2], v[44:45], v[18:19]
	v_fma_f64 v[1:2], -v[1:2], v[48:49], v[16:17]
	s_cbranch_scc0 .LBB106_63
.LBB106_64:                             ;   in Loop: Header=BB106_62 Depth=1
	s_mul_i32 s12, s4, 0x108
	s_delay_alu instid0(SALU_CYCLE_1)
	v_dual_mov_b32 v15, s12 :: v_dual_add_nc_u32 v12, 0x2000, v12
	s_add_i32 s13, s12, 0xfffffef8
	v_add_nc_u32_e32 v14, 0x2000, v14
	s_add_i32 s9, s9, s4
	s_add_i32 s5, s5, s8
	ds_load_b64 v[19:20], v15
	v_mov_b32_e32 v15, s13
	s_lshl_b32 s9, s9, 3
	s_lshl_b32 s5, s5, 3
	v_add_nc_u32_e32 v11, 0x2000, v11
	v_add_nc_u32_e32 v13, 0x2000, v13
	ds_load_2addr_b64 v[15:18], v15 offset1:1
	s_addk_i32 s1, 0xfc00
	s_waitcnt lgkmcnt(1)
	v_div_scale_f64 v[21:22], null, v[19:20], v[19:20], v[7:8]
	v_div_scale_f64 v[27:28], vcc_lo, v[7:8], v[19:20], v[7:8]
	s_delay_alu instid0(VALU_DEP_2) | instskip(SKIP_2) | instid1(VALU_DEP_1)
	v_rcp_f64_e32 v[23:24], v[21:22]
	s_waitcnt_depctr 0xfff
	v_fma_f64 v[25:26], -v[21:22], v[23:24], 1.0
	v_fma_f64 v[23:24], v[23:24], v[25:26], v[23:24]
	s_delay_alu instid0(VALU_DEP_1) | instskip(NEXT) | instid1(VALU_DEP_1)
	v_fma_f64 v[25:26], -v[21:22], v[23:24], 1.0
	v_fma_f64 v[23:24], v[23:24], v[25:26], v[23:24]
	s_delay_alu instid0(VALU_DEP_1) | instskip(NEXT) | instid1(VALU_DEP_1)
	v_mul_f64 v[25:26], v[27:28], v[23:24]
	v_fma_f64 v[21:22], -v[21:22], v[25:26], v[27:28]
	s_delay_alu instid0(VALU_DEP_1) | instskip(NEXT) | instid1(VALU_DEP_1)
	v_div_fmas_f64 v[21:22], v[21:22], v[23:24], v[25:26]
	v_div_fixup_f64 v[23:24], v[21:22], v[19:20], v[7:8]
	s_waitcnt lgkmcnt(0)
	s_delay_alu instid0(VALU_DEP_1) | instskip(NEXT) | instid1(VALU_DEP_1)
	v_fma_f64 v[17:18], -v[23:24], v[17:18], v[5:6]
	v_div_scale_f64 v[5:6], null, v[15:16], v[15:16], v[17:18]
	v_div_scale_f64 v[21:22], vcc_lo, v[17:18], v[15:16], v[17:18]
	s_delay_alu instid0(VALU_DEP_2) | instskip(SKIP_2) | instid1(VALU_DEP_1)
	v_rcp_f64_e32 v[7:8], v[5:6]
	s_waitcnt_depctr 0xfff
	v_fma_f64 v[19:20], -v[5:6], v[7:8], 1.0
	v_fma_f64 v[7:8], v[7:8], v[19:20], v[7:8]
	s_delay_alu instid0(VALU_DEP_1) | instskip(NEXT) | instid1(VALU_DEP_1)
	v_fma_f64 v[19:20], -v[5:6], v[7:8], 1.0
	v_fma_f64 v[7:8], v[7:8], v[19:20], v[7:8]
	s_delay_alu instid0(VALU_DEP_1) | instskip(NEXT) | instid1(VALU_DEP_1)
	v_mul_f64 v[19:20], v[21:22], v[7:8]
	v_fma_f64 v[5:6], -v[5:6], v[19:20], v[21:22]
	s_delay_alu instid0(VALU_DEP_1)
	v_div_fmas_f64 v[19:20], v[5:6], v[7:8], v[19:20]
	v_mov_b32_e32 v5, s9
	s_add_i32 s9, s12, 0xfffffdf0
	ds_load_b64 v[21:22], v5
	v_mov_b32_e32 v5, s9
	ds_load_2addr_b64 v[5:8], v5 offset1:1
	s_waitcnt lgkmcnt(1)
	v_fma_f64 v[3:4], -v[23:24], v[21:22], v[3:4]
	v_div_fixup_f64 v[25:26], v[19:20], v[15:16], v[17:18]
	s_waitcnt lgkmcnt(0)
	s_delay_alu instid0(VALU_DEP_1) | instskip(NEXT) | instid1(VALU_DEP_1)
	v_fma_f64 v[3:4], -v[25:26], v[7:8], v[3:4]
	v_div_scale_f64 v[7:8], null, v[5:6], v[5:6], v[3:4]
	v_div_scale_f64 v[19:20], vcc_lo, v[3:4], v[5:6], v[3:4]
	s_delay_alu instid0(VALU_DEP_2) | instskip(SKIP_2) | instid1(VALU_DEP_1)
	v_rcp_f64_e32 v[15:16], v[7:8]
	s_waitcnt_depctr 0xfff
	v_fma_f64 v[17:18], -v[7:8], v[15:16], 1.0
	v_fma_f64 v[15:16], v[15:16], v[17:18], v[15:16]
	s_delay_alu instid0(VALU_DEP_1) | instskip(NEXT) | instid1(VALU_DEP_1)
	v_fma_f64 v[17:18], -v[7:8], v[15:16], 1.0
	v_fma_f64 v[27:28], v[15:16], v[17:18], v[15:16]
	v_mov_b32_e32 v15, s5
	s_add_i32 s5, s12, 0xfffffce8
	ds_load_2addr_b64 v[15:18], v15 offset1:1
	v_mul_f64 v[29:30], v[19:20], v[27:28]
	s_delay_alu instid0(VALU_DEP_1)
	v_fma_f64 v[7:8], -v[7:8], v[29:30], v[19:20]
	v_mov_b32_e32 v19, s5
	s_add_i32 s5, s4, -4
	s_cmp_lt_i32 s4, 7
	ds_load_2addr_b64 v[19:22], v19 offset1:1
	s_waitcnt lgkmcnt(1)
	v_fma_f64 v[1:2], -v[23:24], v[17:18], v[1:2]
	v_div_fmas_f64 v[7:8], v[7:8], v[27:28], v[29:30]
	s_delay_alu instid0(VALU_DEP_2) | instskip(NEXT) | instid1(VALU_DEP_2)
	v_fma_f64 v[1:2], -v[25:26], v[15:16], v[1:2]
	v_div_fixup_f64 v[3:4], v[7:8], v[5:6], v[3:4]
	s_waitcnt lgkmcnt(0)
	s_delay_alu instid0(VALU_DEP_1) | instskip(NEXT) | instid1(VALU_DEP_1)
	v_fma_f64 v[1:2], -v[3:4], v[21:22], v[1:2]
	v_div_scale_f64 v[5:6], null, v[19:20], v[19:20], v[1:2]
	s_delay_alu instid0(VALU_DEP_1) | instskip(SKIP_2) | instid1(VALU_DEP_1)
	v_rcp_f64_e32 v[7:8], v[5:6]
	s_waitcnt_depctr 0xfff
	v_fma_f64 v[15:16], -v[5:6], v[7:8], 1.0
	v_fma_f64 v[7:8], v[7:8], v[15:16], v[7:8]
	s_delay_alu instid0(VALU_DEP_1) | instskip(NEXT) | instid1(VALU_DEP_1)
	v_fma_f64 v[15:16], -v[5:6], v[7:8], 1.0
	v_fma_f64 v[7:8], v[7:8], v[15:16], v[7:8]
	v_div_scale_f64 v[15:16], vcc_lo, v[1:2], v[19:20], v[1:2]
	s_delay_alu instid0(VALU_DEP_1) | instskip(NEXT) | instid1(VALU_DEP_1)
	v_mul_f64 v[17:18], v[15:16], v[7:8]
	v_fma_f64 v[5:6], -v[5:6], v[17:18], v[15:16]
	s_delay_alu instid0(VALU_DEP_1) | instskip(NEXT) | instid1(VALU_DEP_1)
	v_div_fmas_f64 v[5:6], v[5:6], v[7:8], v[17:18]
	v_div_fixup_f64 v[1:2], v[5:6], v[19:20], v[1:2]
	ds_store_b64 v11, v[23:24]
	ds_store_b64 v12, v[25:26]
	;; [unrolled: 1-line block ×4, first 2 shown]
	s_cbranch_scc1 .LBB106_66
; %bb.65:                               ;   in Loop: Header=BB106_62 Depth=1
	s_mov_b32 s4, s5
	s_branch .LBB106_62
.LBB106_66:
	s_cmp_lt_i32 s5, 0
	s_cbranch_scc1 .LBB106_79
; %bb.67:
	s_bitcmp1_b32 s5, 0
	s_cselect_b32 s1, -1, 0
	s_delay_alu instid0(SALU_CYCLE_1)
	s_and_b32 vcc_lo, exec_lo, s1
	s_mov_b32 s1, s5
	s_cbranch_vccnz .LBB106_72
; %bb.68:
	v_lshlrev_b32_e32 v4, 3, v0
	s_cmp_le_i32 s30, s5
	s_delay_alu instid0(VALU_DEP_1)
	v_lshl_or_b32 v3, s5, 8, v4
	ds_load_b64 v[1:2], v3 offset:8192
	s_cbranch_scc1 .LBB106_71
; %bb.69:
	v_lshl_or_b32 v4, s29, 8, v4
	s_lshl_b32 s1, s5, 8
	s_lshl_b32 s4, s29, 3
	s_delay_alu instid0(SALU_CYCLE_1) | instskip(NEXT) | instid1(VALU_DEP_1)
	s_add_i32 s1, s1, s4
	v_add_nc_u32_e32 v4, 0x1f00, v4
	s_add_i32 s1, s1, -8
	s_mov_b32 s4, s30
.LBB106_70:                             ; =>This Inner Loop Header: Depth=1
	v_mov_b32_e32 v7, s1
	s_add_i32 s4, s4, -1
	s_add_i32 s1, s1, -8
	s_cmp_gt_i32 s4, s5
	ds_load_b64 v[5:6], v4
	ds_load_b64 v[7:8], v7
	v_add_nc_u32_e32 v4, 0xffffff00, v4
	s_waitcnt lgkmcnt(0)
	v_fma_f64 v[1:2], -v[5:6], v[7:8], v[1:2]
	s_cbranch_scc1 .LBB106_70
.LBB106_71:
	s_mul_i32 s1, s5, 0x108
	s_delay_alu instid0(SALU_CYCLE_1) | instskip(SKIP_4) | instid1(VALU_DEP_1)
	v_dual_mov_b32 v4, s1 :: v_dual_add_nc_u32 v3, 0x2000, v3
	s_add_i32 s1, s5, -1
	ds_load_b64 v[4:5], v4
	s_waitcnt lgkmcnt(0)
	v_div_scale_f64 v[6:7], null, v[4:5], v[4:5], v[1:2]
	v_rcp_f64_e32 v[8:9], v[6:7]
	s_waitcnt_depctr 0xfff
	v_fma_f64 v[10:11], -v[6:7], v[8:9], 1.0
	s_delay_alu instid0(VALU_DEP_1) | instskip(NEXT) | instid1(VALU_DEP_1)
	v_fma_f64 v[8:9], v[8:9], v[10:11], v[8:9]
	v_fma_f64 v[10:11], -v[6:7], v[8:9], 1.0
	s_delay_alu instid0(VALU_DEP_1) | instskip(SKIP_1) | instid1(VALU_DEP_1)
	v_fma_f64 v[8:9], v[8:9], v[10:11], v[8:9]
	v_div_scale_f64 v[10:11], vcc_lo, v[1:2], v[4:5], v[1:2]
	v_mul_f64 v[12:13], v[10:11], v[8:9]
	s_delay_alu instid0(VALU_DEP_1) | instskip(NEXT) | instid1(VALU_DEP_1)
	v_fma_f64 v[6:7], -v[6:7], v[12:13], v[10:11]
	v_div_fmas_f64 v[6:7], v[6:7], v[8:9], v[12:13]
	s_delay_alu instid0(VALU_DEP_1)
	v_div_fixup_f64 v[1:2], v[6:7], v[4:5], v[1:2]
	ds_store_b64 v3, v[1:2]
.LBB106_72:
	s_cmp_eq_u32 s5, 0
	s_cbranch_scc1 .LBB106_79
; %bb.73:
	v_lshlrev_b32_e32 v5, 3, v0
	s_lshl_b32 s4, s1, 8
	s_lshl_b32 s5, s29, 3
	s_delay_alu instid0(SALU_CYCLE_1) | instskip(NEXT) | instid1(VALU_DEP_1)
	s_add_i32 s5, s4, s5
	v_lshl_or_b32 v1, s29, 8, v5
	s_add_i32 s4, s5, -8
	s_addk_i32 s5, 0xfef8
	s_delay_alu instid0(VALU_DEP_1)
	v_add_nc_u32_e32 v6, 0x1f00, v1
	s_branch .LBB106_75
.LBB106_74:                             ;   in Loop: Header=BB106_75 Depth=1
	s_addk_i32 s8, 0xfef8
	s_delay_alu instid0(SALU_CYCLE_1)
	v_dual_mov_b32 v2, s8 :: v_dual_add_nc_u32 v1, 0x2000, v7
	s_add_i32 s8, s1, -2
	s_addk_i32 s4, 0xfe00
	s_addk_i32 s5, 0xfe00
	s_cmp_lt_i32 s1, 2
	ds_load_b64 v[7:8], v2
	s_mov_b32 s1, s8
	s_waitcnt lgkmcnt(0)
	v_div_scale_f64 v[9:10], null, v[7:8], v[7:8], v[3:4]
	s_delay_alu instid0(VALU_DEP_1) | instskip(SKIP_2) | instid1(VALU_DEP_1)
	v_rcp_f64_e32 v[11:12], v[9:10]
	s_waitcnt_depctr 0xfff
	v_fma_f64 v[13:14], -v[9:10], v[11:12], 1.0
	v_fma_f64 v[11:12], v[11:12], v[13:14], v[11:12]
	s_delay_alu instid0(VALU_DEP_1) | instskip(NEXT) | instid1(VALU_DEP_1)
	v_fma_f64 v[13:14], -v[9:10], v[11:12], 1.0
	v_fma_f64 v[11:12], v[11:12], v[13:14], v[11:12]
	v_div_scale_f64 v[13:14], vcc_lo, v[3:4], v[7:8], v[3:4]
	s_delay_alu instid0(VALU_DEP_1) | instskip(NEXT) | instid1(VALU_DEP_1)
	v_mul_f64 v[15:16], v[13:14], v[11:12]
	v_fma_f64 v[9:10], -v[9:10], v[15:16], v[13:14]
	s_delay_alu instid0(VALU_DEP_1) | instskip(NEXT) | instid1(VALU_DEP_1)
	v_div_fmas_f64 v[9:10], v[9:10], v[11:12], v[15:16]
	v_div_fixup_f64 v[2:3], v[9:10], v[7:8], v[3:4]
	ds_store_b64 v1, v[2:3]
	s_cbranch_scc1 .LBB106_79
.LBB106_75:                             ; =>This Loop Header: Depth=1
                                        ;     Child Loop BB106_76 Depth 2
                                        ;     Child Loop BB106_78 Depth 2
	v_lshl_or_b32 v3, s1, 8, v5
	s_delay_alu instid0(VALU_DEP_2)
	v_mov_b32_e32 v4, v6
	s_cmp_le_i32 s30, s1
	s_mov_b32 s8, s4
	s_mov_b32 s9, s30
	ds_load_b64 v[1:2], v3 offset:8192
	s_cbranch_scc1 .LBB106_77
.LBB106_76:                             ;   Parent Loop BB106_75 Depth=1
                                        ; =>  This Inner Loop Header: Depth=2
	v_mov_b32_e32 v9, s8
	s_add_i32 s9, s9, -1
	s_add_i32 s8, s8, -8
	s_cmp_le_i32 s9, s1
	ds_load_b64 v[7:8], v4
	ds_load_b64 v[9:10], v9
	v_add_nc_u32_e32 v4, 0xffffff00, v4
	s_waitcnt lgkmcnt(0)
	v_fma_f64 v[1:2], -v[7:8], v[9:10], v[1:2]
	s_cbranch_scc0 .LBB106_76
.LBB106_77:                             ;   in Loop: Header=BB106_75 Depth=1
	s_mul_i32 s8, s1, 0x108
	s_delay_alu instid0(SALU_CYCLE_1)
	v_dual_mov_b32 v3, s8 :: v_dual_add_nc_u32 v8, 0x2000, v3
	s_lshl_b32 s9, s1, 8
	s_mov_b32 s12, s29
	s_addk_i32 s9, 0xff00
	s_cmp_lt_i32 s30, s1
	ds_load_b64 v[9:10], v3
	v_lshl_or_b32 v7, v0, 3, s9
	s_mov_b32 s9, s5
	ds_load_b64 v[3:4], v7 offset:8192
	s_waitcnt lgkmcnt(1)
	v_div_scale_f64 v[11:12], null, v[9:10], v[9:10], v[1:2]
	s_delay_alu instid0(VALU_DEP_1) | instskip(SKIP_2) | instid1(VALU_DEP_1)
	v_rcp_f64_e32 v[13:14], v[11:12]
	s_waitcnt_depctr 0xfff
	v_fma_f64 v[15:16], -v[11:12], v[13:14], 1.0
	v_fma_f64 v[13:14], v[13:14], v[15:16], v[13:14]
	s_delay_alu instid0(VALU_DEP_1) | instskip(NEXT) | instid1(VALU_DEP_1)
	v_fma_f64 v[15:16], -v[11:12], v[13:14], 1.0
	v_fma_f64 v[13:14], v[13:14], v[15:16], v[13:14]
	v_div_scale_f64 v[15:16], vcc_lo, v[1:2], v[9:10], v[1:2]
	s_delay_alu instid0(VALU_DEP_1) | instskip(NEXT) | instid1(VALU_DEP_1)
	v_mul_f64 v[17:18], v[15:16], v[13:14]
	v_fma_f64 v[11:12], -v[11:12], v[17:18], v[15:16]
	s_delay_alu instid0(VALU_DEP_1) | instskip(NEXT) | instid1(VALU_DEP_1)
	v_div_fmas_f64 v[11:12], v[11:12], v[13:14], v[17:18]
	v_div_fixup_f64 v[9:10], v[11:12], v[9:10], v[1:2]
	v_mov_b32_e32 v1, v6
	ds_store_b64 v8, v[9:10]
	s_cbranch_scc1 .LBB106_74
.LBB106_78:                             ;   Parent Loop BB106_75 Depth=1
                                        ; =>  This Inner Loop Header: Depth=2
	v_mov_b32_e32 v2, s9
	s_add_i32 s12, s12, -1
	s_add_i32 s9, s9, -8
	s_cmp_gt_i32 s12, s1
	ds_load_b64 v[8:9], v1
	ds_load_b64 v[10:11], v2
	v_add_nc_u32_e32 v1, 0xffffff00, v1
	s_waitcnt lgkmcnt(0)
	v_fma_f64 v[3:4], -v[8:9], v[10:11], v[3:4]
	s_cbranch_scc1 .LBB106_78
	s_branch .LBB106_74
.LBB106_79:
	s_mov_b32 s8, 0
.LBB106_80:
	s_delay_alu instid0(SALU_CYCLE_1)
	s_and_not1_b32 vcc_lo, exec_lo, s8
	s_cbranch_vccnz .LBB106_99
; %bb.81:
	s_cmp_lt_i32 s28, 4
	s_mov_b32 s5, 0
	s_cbranch_scc1 .LBB106_88
; %bb.82:
	v_lshl_or_b32 v9, v0, 3, 0x2000
	s_mov_b32 s1, 0
	s_mov_b32 s4, 0
.LBB106_83:                             ; =>This Loop Header: Depth=1
                                        ;     Child Loop BB106_85 Depth 2
	s_delay_alu instid0(SALU_CYCLE_1) | instskip(NEXT) | instid1(SALU_CYCLE_1)
	s_lshl_b32 s5, s4, 5
	s_or_b32 s9, s5, 32
	v_or_b32_e32 v1, s5, v0
	s_or_b32 s8, s5, 64
	v_or_b32_e32 v2, s9, v0
	;; [unrolled: 2-line block ×3, first 2 shown]
	v_or_b32_e32 v4, s5, v0
	v_lshlrev_b32_e32 v10, 3, v1
	v_lshlrev_b32_e32 v11, 3, v2
	s_cmp_eq_u32 s4, 0
	v_lshlrev_b32_e32 v12, 3, v3
	v_lshlrev_b32_e32 v13, 3, v4
	ds_load_b64 v[7:8], v10 offset:8192
	ds_load_b64 v[5:6], v11 offset:8192
	;; [unrolled: 1-line block ×4, first 2 shown]
	s_cbranch_scc1 .LBB106_86
; %bb.84:                               ;   in Loop: Header=BB106_83 Depth=1
	v_mov_b32_e32 v14, v9
	s_mov_b32 s12, 0
	s_mov_b32 s13, s1
.LBB106_85:                             ;   Parent Loop BB106_83 Depth=1
                                        ; =>  This Inner Loop Header: Depth=2
	s_delay_alu instid0(SALU_CYCLE_1)
	v_mov_b32_e32 v47, s13
	s_add_i32 s12, s12, 4
	s_add_i32 s13, s13, 32
	s_cmp_ge_u32 s12, s4
	ds_load_2addr_b64 v[15:18], v14 offset1:32
	ds_load_b128 v[19:22], v47
	ds_load_b128 v[23:26], v47 offset:256
	ds_load_b128 v[27:30], v47 offset:512
	;; [unrolled: 1-line block ×7, first 2 shown]
	s_waitcnt lgkmcnt(7)
	v_fma_f64 v[7:8], -v[15:16], v[19:20], v[7:8]
	s_waitcnt lgkmcnt(6)
	v_fma_f64 v[5:6], -v[15:16], v[23:24], v[5:6]
	;; [unrolled: 2-line block ×4, first 2 shown]
	s_delay_alu instid0(VALU_DEP_4) | instskip(NEXT) | instid1(VALU_DEP_4)
	v_fma_f64 v[7:8], -v[17:18], v[21:22], v[7:8]
	v_fma_f64 v[5:6], -v[17:18], v[25:26], v[5:6]
	s_delay_alu instid0(VALU_DEP_4) | instskip(NEXT) | instid1(VALU_DEP_4)
	v_fma_f64 v[3:4], -v[17:18], v[29:30], v[3:4]
	v_fma_f64 v[1:2], -v[17:18], v[33:34], v[1:2]
	ds_load_2addr_b64 v[15:18], v14 offset0:64 offset1:96
	v_add_nc_u32_e32 v14, 0x400, v14
	s_waitcnt lgkmcnt(0)
	v_fma_f64 v[7:8], -v[15:16], v[35:36], v[7:8]
	v_fma_f64 v[5:6], -v[15:16], v[39:40], v[5:6]
	;; [unrolled: 1-line block ×4, first 2 shown]
	s_delay_alu instid0(VALU_DEP_4) | instskip(NEXT) | instid1(VALU_DEP_4)
	v_fma_f64 v[7:8], -v[17:18], v[37:38], v[7:8]
	v_fma_f64 v[5:6], -v[17:18], v[41:42], v[5:6]
	s_delay_alu instid0(VALU_DEP_4) | instskip(NEXT) | instid1(VALU_DEP_4)
	v_fma_f64 v[3:4], -v[17:18], v[45:46], v[3:4]
	v_fma_f64 v[1:2], -v[17:18], v[49:50], v[1:2]
	s_cbranch_scc0 .LBB106_85
.LBB106_86:                             ;   in Loop: Header=BB106_83 Depth=1
	s_mul_i32 s12, s4, 0x108
	s_delay_alu instid0(SALU_CYCLE_1)
	v_dual_mov_b32 v14, s12 :: v_dual_add_nc_u32 v11, 0x2000, v11
	s_add_i32 s9, s9, s4
	s_add_i32 s8, s8, s4
	s_lshl_b32 s9, s9, 3
	v_add_nc_u32_e32 v13, 0x2000, v13
	ds_load_2addr_b64 v[14:17], v14 offset1:66
	s_lshl_b32 s8, s8, 3
	s_add_i32 s5, s5, s4
	v_add_nc_u32_e32 v10, 0x2000, v10
	s_lshl_b32 s5, s5, 3
	v_add_nc_u32_e32 v12, 0x2000, v12
	s_addk_i32 s1, 0x400
	s_waitcnt lgkmcnt(0)
	v_div_scale_f64 v[18:19], null, v[14:15], v[14:15], v[7:8]
	v_div_scale_f64 v[24:25], vcc_lo, v[7:8], v[14:15], v[7:8]
	s_delay_alu instid0(VALU_DEP_2) | instskip(SKIP_2) | instid1(VALU_DEP_1)
	v_rcp_f64_e32 v[20:21], v[18:19]
	s_waitcnt_depctr 0xfff
	v_fma_f64 v[22:23], -v[18:19], v[20:21], 1.0
	v_fma_f64 v[20:21], v[20:21], v[22:23], v[20:21]
	s_delay_alu instid0(VALU_DEP_1) | instskip(NEXT) | instid1(VALU_DEP_1)
	v_fma_f64 v[22:23], -v[18:19], v[20:21], 1.0
	v_fma_f64 v[20:21], v[20:21], v[22:23], v[20:21]
	s_delay_alu instid0(VALU_DEP_1) | instskip(NEXT) | instid1(VALU_DEP_1)
	v_mul_f64 v[22:23], v[24:25], v[20:21]
	v_fma_f64 v[18:19], -v[18:19], v[22:23], v[24:25]
	s_delay_alu instid0(VALU_DEP_1) | instskip(NEXT) | instid1(VALU_DEP_1)
	v_div_fmas_f64 v[18:19], v[18:19], v[20:21], v[22:23]
	v_div_fixup_f64 v[7:8], v[18:19], v[14:15], v[7:8]
	v_mov_b32_e32 v14, s9
	ds_load_b128 v[18:21], v14
	v_mov_b32_e32 v14, s8
	ds_load_b128 v[22:25], v14
	s_waitcnt lgkmcnt(1)
	v_fma_f64 v[5:6], -v[7:8], v[18:19], v[5:6]
	s_waitcnt lgkmcnt(0)
	v_fma_f64 v[3:4], -v[7:8], v[22:23], v[3:4]
	s_delay_alu instid0(VALU_DEP_2) | instskip(SKIP_1) | instid1(VALU_DEP_2)
	v_div_scale_f64 v[14:15], null, v[20:21], v[20:21], v[5:6]
	v_div_scale_f64 v[28:29], vcc_lo, v[5:6], v[20:21], v[5:6]
	v_rcp_f64_e32 v[18:19], v[14:15]
	s_waitcnt_depctr 0xfff
	v_fma_f64 v[26:27], -v[14:15], v[18:19], 1.0
	s_delay_alu instid0(VALU_DEP_1) | instskip(NEXT) | instid1(VALU_DEP_1)
	v_fma_f64 v[18:19], v[18:19], v[26:27], v[18:19]
	v_fma_f64 v[26:27], -v[14:15], v[18:19], 1.0
	s_delay_alu instid0(VALU_DEP_1) | instskip(NEXT) | instid1(VALU_DEP_1)
	v_fma_f64 v[18:19], v[18:19], v[26:27], v[18:19]
	v_mul_f64 v[26:27], v[28:29], v[18:19]
	s_delay_alu instid0(VALU_DEP_1) | instskip(NEXT) | instid1(VALU_DEP_1)
	v_fma_f64 v[14:15], -v[14:15], v[26:27], v[28:29]
	v_div_fmas_f64 v[14:15], v[14:15], v[18:19], v[26:27]
	s_delay_alu instid0(VALU_DEP_1) | instskip(NEXT) | instid1(VALU_DEP_1)
	v_div_fixup_f64 v[14:15], v[14:15], v[20:21], v[5:6]
	v_fma_f64 v[22:23], -v[14:15], v[24:25], v[3:4]
	s_delay_alu instid0(VALU_DEP_1) | instskip(SKIP_1) | instid1(VALU_DEP_2)
	v_div_scale_f64 v[3:4], null, v[16:17], v[16:17], v[22:23]
	v_div_scale_f64 v[20:21], vcc_lo, v[22:23], v[16:17], v[22:23]
	v_rcp_f64_e32 v[5:6], v[3:4]
	s_waitcnt_depctr 0xfff
	v_fma_f64 v[18:19], -v[3:4], v[5:6], 1.0
	s_delay_alu instid0(VALU_DEP_1) | instskip(NEXT) | instid1(VALU_DEP_1)
	v_fma_f64 v[5:6], v[5:6], v[18:19], v[5:6]
	v_fma_f64 v[18:19], -v[3:4], v[5:6], 1.0
	s_delay_alu instid0(VALU_DEP_1) | instskip(SKIP_3) | instid1(SALU_CYCLE_1)
	v_fma_f64 v[24:25], v[5:6], v[18:19], v[5:6]
	v_mov_b32_e32 v18, s5
	s_add_i32 s5, s4, 4
	s_add_i32 s4, s4, 7
	s_cmp_ge_i32 s4, s29
	s_delay_alu instid0(VALU_DEP_2) | instskip(NEXT) | instid1(VALU_DEP_1)
	v_mul_f64 v[26:27], v[20:21], v[24:25]
	v_fma_f64 v[28:29], -v[3:4], v[26:27], v[20:21]
	ds_load_b128 v[3:6], v18
	ds_load_b128 v[18:21], v18 offset:16
	s_waitcnt lgkmcnt(1)
	v_fma_f64 v[1:2], -v[7:8], v[3:4], v[1:2]
	v_div_fmas_f64 v[3:4], v[28:29], v[24:25], v[26:27]
	s_delay_alu instid0(VALU_DEP_2) | instskip(NEXT) | instid1(VALU_DEP_2)
	v_fma_f64 v[1:2], -v[14:15], v[5:6], v[1:2]
	v_div_fixup_f64 v[3:4], v[3:4], v[16:17], v[22:23]
	s_waitcnt lgkmcnt(0)
	s_delay_alu instid0(VALU_DEP_1) | instskip(NEXT) | instid1(VALU_DEP_1)
	v_fma_f64 v[1:2], -v[3:4], v[18:19], v[1:2]
	v_div_scale_f64 v[5:6], null, v[20:21], v[20:21], v[1:2]
	s_delay_alu instid0(VALU_DEP_1) | instskip(SKIP_2) | instid1(VALU_DEP_1)
	v_rcp_f64_e32 v[16:17], v[5:6]
	s_waitcnt_depctr 0xfff
	v_fma_f64 v[18:19], -v[5:6], v[16:17], 1.0
	v_fma_f64 v[16:17], v[16:17], v[18:19], v[16:17]
	s_delay_alu instid0(VALU_DEP_1) | instskip(NEXT) | instid1(VALU_DEP_1)
	v_fma_f64 v[18:19], -v[5:6], v[16:17], 1.0
	v_fma_f64 v[16:17], v[16:17], v[18:19], v[16:17]
	v_div_scale_f64 v[18:19], vcc_lo, v[1:2], v[20:21], v[1:2]
	s_delay_alu instid0(VALU_DEP_1) | instskip(NEXT) | instid1(VALU_DEP_1)
	v_mul_f64 v[22:23], v[18:19], v[16:17]
	v_fma_f64 v[5:6], -v[5:6], v[22:23], v[18:19]
	s_delay_alu instid0(VALU_DEP_1) | instskip(NEXT) | instid1(VALU_DEP_1)
	v_div_fmas_f64 v[5:6], v[5:6], v[16:17], v[22:23]
	v_div_fixup_f64 v[1:2], v[5:6], v[20:21], v[1:2]
	ds_store_b64 v10, v[7:8]
	ds_store_b64 v11, v[14:15]
	;; [unrolled: 1-line block ×4, first 2 shown]
	s_cbranch_scc1 .LBB106_88
; %bb.87:                               ;   in Loop: Header=BB106_83 Depth=1
	s_mov_b32 s4, s5
	s_branch .LBB106_83
.LBB106_88:
	s_cmp_ge_i32 s5, s29
	s_cbranch_scc1 .LBB106_99
; %bb.89:
	v_lshl_or_b32 v3, v0, 3, 0x2000
	v_lshlrev_b32_e32 v4, 3, v0
	s_add_i32 s1, s5, -1
	s_lshl_b32 s4, s5, 8
	s_mov_b32 s8, 0
	s_mov_b32 s9, s5
	s_branch .LBB106_91
.LBB106_90:                             ;   in Loop: Header=BB106_91 Depth=1
	s_mul_i32 s12, s5, 0x108
	s_delay_alu instid0(SALU_CYCLE_1)
	v_dual_mov_b32 v6, s12 :: v_dual_add_nc_u32 v5, 0x2000, v5
	s_add_i32 s5, s5, 1
	s_add_i32 s8, s8, 1
	s_addk_i32 s4, 0x100
	s_cmp_ge_i32 s5, s29
	ds_load_b64 v[6:7], v6
	s_waitcnt lgkmcnt(0)
	v_div_scale_f64 v[8:9], null, v[6:7], v[6:7], v[1:2]
	s_delay_alu instid0(VALU_DEP_1) | instskip(SKIP_2) | instid1(VALU_DEP_1)
	v_rcp_f64_e32 v[10:11], v[8:9]
	s_waitcnt_depctr 0xfff
	v_fma_f64 v[12:13], -v[8:9], v[10:11], 1.0
	v_fma_f64 v[10:11], v[10:11], v[12:13], v[10:11]
	s_delay_alu instid0(VALU_DEP_1) | instskip(NEXT) | instid1(VALU_DEP_1)
	v_fma_f64 v[12:13], -v[8:9], v[10:11], 1.0
	v_fma_f64 v[10:11], v[10:11], v[12:13], v[10:11]
	v_div_scale_f64 v[12:13], vcc_lo, v[1:2], v[6:7], v[1:2]
	s_delay_alu instid0(VALU_DEP_1) | instskip(NEXT) | instid1(VALU_DEP_1)
	v_mul_f64 v[14:15], v[12:13], v[10:11]
	v_fma_f64 v[8:9], -v[8:9], v[14:15], v[12:13]
	s_delay_alu instid0(VALU_DEP_1) | instskip(NEXT) | instid1(VALU_DEP_1)
	v_div_fmas_f64 v[8:9], v[8:9], v[10:11], v[14:15]
	v_div_fixup_f64 v[1:2], v[8:9], v[6:7], v[1:2]
	v_add_nc_u16 v6, s9, 1
	s_delay_alu instid0(VALU_DEP_1)
	v_readfirstlane_b32 s9, v6
	ds_store_b64 v5, v[1:2]
	s_cbranch_scc1 .LBB106_99
.LBB106_91:                             ; =>This Loop Header: Depth=1
                                        ;     Child Loop BB106_94 Depth 2
                                        ;     Child Loop BB106_98 Depth 2
	v_lshl_or_b32 v5, s5, 8, v4
	s_cmp_eq_u32 s5, 0
	ds_load_b64 v[1:2], v5 offset:8192
	s_cbranch_scc1 .LBB106_90
; %bb.92:                               ;   in Loop: Header=BB106_91 Depth=1
	s_add_i32 s12, s1, s8
	s_delay_alu instid0(SALU_CYCLE_1)
	s_cmp_lt_u32 s12, 7
	s_cbranch_scc1 .LBB106_96
; %bb.93:                               ;   in Loop: Header=BB106_91 Depth=1
	v_mov_b32_e32 v6, v3
	s_and_b32 s12, s5, -8
	s_mov_b32 s13, 0
	s_mov_b32 s14, s4
	s_set_inst_prefetch_distance 0x1
	.p2align	6
.LBB106_94:                             ;   Parent Loop BB106_91 Depth=1
                                        ; =>  This Inner Loop Header: Depth=2
	v_mov_b32_e32 v19, s14
	s_add_i32 s13, s13, 8
	s_add_i32 s14, s14, 64
	s_cmp_eq_u32 s12, s13
	ds_load_2addr_b64 v[7:10], v6 offset1:32
	ds_load_b128 v[11:14], v19
	ds_load_b128 v[15:18], v19 offset:16
	s_waitcnt lgkmcnt(1)
	v_fma_f64 v[1:2], -v[7:8], v[11:12], v[1:2]
	s_delay_alu instid0(VALU_DEP_1) | instskip(SKIP_3) | instid1(VALU_DEP_1)
	v_fma_f64 v[1:2], -v[9:10], v[13:14], v[1:2]
	ds_load_2addr_b64 v[7:10], v6 offset0:64 offset1:96
	s_waitcnt lgkmcnt(0)
	v_fma_f64 v[1:2], -v[7:8], v[15:16], v[1:2]
	v_fma_f64 v[1:2], -v[9:10], v[17:18], v[1:2]
	ds_load_2addr_b64 v[7:10], v6 offset0:128 offset1:160
	ds_load_b128 v[11:14], v19 offset:32
	ds_load_b128 v[15:18], v19 offset:48
	s_waitcnt lgkmcnt(1)
	v_fma_f64 v[1:2], -v[7:8], v[11:12], v[1:2]
	s_delay_alu instid0(VALU_DEP_1) | instskip(SKIP_4) | instid1(VALU_DEP_1)
	v_fma_f64 v[1:2], -v[9:10], v[13:14], v[1:2]
	ds_load_2addr_b64 v[7:10], v6 offset0:192 offset1:224
	v_add_nc_u32_e32 v6, 0x800, v6
	s_waitcnt lgkmcnt(0)
	v_fma_f64 v[1:2], -v[7:8], v[15:16], v[1:2]
	v_fma_f64 v[1:2], -v[9:10], v[17:18], v[1:2]
	s_cbranch_scc0 .LBB106_94
; %bb.95:                               ;   in Loop: Header=BB106_91 Depth=1
	s_set_inst_prefetch_distance 0x2
	s_and_b32 s13, s5, 7
	s_delay_alu instid0(SALU_CYCLE_1)
	s_cmp_eq_u32 s13, 0
	s_cbranch_scc0 .LBB106_97
	s_branch .LBB106_90
.LBB106_96:                             ;   in Loop: Header=BB106_91 Depth=1
	s_mov_b32 s12, 0
	s_and_b32 s13, s5, 7
	s_delay_alu instid0(SALU_CYCLE_1)
	s_cmp_eq_u32 s13, 0
	s_cbranch_scc1 .LBB106_90
.LBB106_97:                             ;   in Loop: Header=BB106_91 Depth=1
	v_lshl_add_u32 v6, s12, 8, v3
	s_and_b32 s13, s9, 7
	s_lshl_b32 s12, s12, 3
.LBB106_98:                             ;   Parent Loop BB106_91 Depth=1
                                        ; =>  This Inner Loop Header: Depth=2
	s_delay_alu instid0(SALU_CYCLE_1)
	s_add_i32 s14, s4, s12
	s_add_i32 s13, s13, -1
	v_mov_b32_e32 v9, s14
	s_add_i32 s12, s12, 8
	s_cmp_lg_u32 s13, 0
	ds_load_b64 v[7:8], v6
	ds_load_b64 v[9:10], v9
	v_add_nc_u32_e32 v6, 0x100, v6
	s_waitcnt lgkmcnt(0)
	v_fma_f64 v[1:2], -v[7:8], v[9:10], v[1:2]
	s_cbranch_scc1 .LBB106_98
	s_branch .LBB106_90
.LBB106_99:
	s_and_saveexec_b32 s1, s20
	s_cbranch_execz .LBB106_106
; %bb.100:
	v_lshlrev_b32_e32 v3, 3, v0
	s_ashr_i32 s1, s0, 31
	s_cmp_lt_u32 s28, 4
	s_mov_b32 s14, 0
	s_cbranch_scc1 .LBB106_103
; %bb.101:
	v_add_co_u32 v1, s4, s18, v3
	s_delay_alu instid0(VALU_DEP_1)
	v_add_co_ci_u32_e64 v2, null, s19, 0, s4
	v_lshl_or_b32 v0, v0, 3, 0x2000
	s_and_b32 s14, s28, 0x7ffffffc
	s_mul_hi_i32 s15, s0, 24
	s_mul_i32 s16, s0, 24
	s_lshl_b64 s[4:5], s[0:1], 5
	s_lshl_b64 s[8:9], s[0:1], 4
	s_lshl_b64 s[12:13], s[0:1], 3
	s_mov_b32 s17, 0
	.p2align	6
.LBB106_102:                            ; =>This Inner Loop Header: Depth=1
	ds_load_2addr_b64 v[4:7], v0 offset1:32
	ds_load_2addr_b64 v[8:11], v0 offset0:64 offset1:96
	v_add_co_u32 v12, vcc_lo, v1, s12
	v_add_co_ci_u32_e32 v13, vcc_lo, s13, v2, vcc_lo
	v_add_co_u32 v14, vcc_lo, v1, s8
	v_add_co_ci_u32_e32 v15, vcc_lo, s9, v2, vcc_lo
	;; [unrolled: 2-line block ×3, first 2 shown]
	v_add_nc_u32_e32 v0, 0x400, v0
	s_add_i32 s17, s17, 4
	s_delay_alu instid0(SALU_CYCLE_1)
	s_cmp_lg_u32 s14, s17
	s_waitcnt lgkmcnt(1)
	global_store_b64 v[1:2], v[4:5], off
	v_add_co_u32 v1, vcc_lo, v1, s4
	v_add_co_ci_u32_e32 v2, vcc_lo, s5, v2, vcc_lo
	global_store_b64 v[12:13], v[6:7], off
	s_waitcnt lgkmcnt(0)
	s_clause 0x1
	global_store_b64 v[14:15], v[8:9], off
	global_store_b64 v[16:17], v[10:11], off
	s_cbranch_scc1 .LBB106_102
.LBB106_103:
	s_and_b32 s4, s28, 3
	s_delay_alu instid0(SALU_CYCLE_1)
	s_cmp_eq_u32 s4, 0
	s_cbranch_scc1 .LBB106_106
; %bb.104:
	s_mul_hi_i32 s9, s0, s14
	s_mul_i32 s8, s0, s14
	v_lshl_or_b32 v2, s14, 8, v3
	s_lshl_b64 s[8:9], s[8:9], 3
	s_delay_alu instid0(SALU_CYCLE_1)
	s_add_u32 s5, s8, s6
	s_addc_u32 s6, s9, s7
	s_add_u32 s5, s5, s10
	s_addc_u32 s6, s6, s11
	;; [unrolled: 2-line block ×3, first 2 shown]
	v_add_co_u32 v0, s2, s2, v3
	s_delay_alu instid0(VALU_DEP_1)
	v_add_co_ci_u32_e64 v1, null, s3, 0, s2
	v_add_nc_u32_e32 v2, 0x2000, v2
	s_lshl_b64 s[0:1], s[0:1], 3
.LBB106_105:                            ; =>This Inner Loop Header: Depth=1
	ds_load_b64 v[3:4], v2
	v_add_nc_u32_e32 v2, 0x100, v2
	s_add_i32 s4, s4, -1
	s_delay_alu instid0(SALU_CYCLE_1)
	s_cmp_lg_u32 s4, 0
	s_waitcnt lgkmcnt(0)
	global_store_b64 v[0:1], v[3:4], off
	v_add_co_u32 v0, vcc_lo, v0, s0
	v_add_co_ci_u32_e32 v1, vcc_lo, s1, v1, vcc_lo
	s_cbranch_scc1 .LBB106_105
.LBB106_106:
	s_nop 0
	s_sendmsg sendmsg(MSG_DEALLOC_VGPRS)
	s_endpgm
	.section	.rodata,"a",@progbits
	.p2align	6, 0x0
	.amdhsa_kernel _ZL31rocblas_trsm_small_right_deviceIddPKPKdPKPdLi32EEv13rocblas_fill_18rocblas_operation_17rocblas_diagonal_iiT0_T1_lilT2_lili
		.amdhsa_group_segment_fixed_size 16384
		.amdhsa_private_segment_fixed_size 0
		.amdhsa_kernarg_size 360
		.amdhsa_user_sgpr_count 14
		.amdhsa_user_sgpr_dispatch_ptr 0
		.amdhsa_user_sgpr_queue_ptr 0
		.amdhsa_user_sgpr_kernarg_segment_ptr 1
		.amdhsa_user_sgpr_dispatch_id 0
		.amdhsa_user_sgpr_private_segment_size 0
		.amdhsa_wavefront_size32 1
		.amdhsa_uses_dynamic_stack 0
		.amdhsa_enable_private_segment 0
		.amdhsa_system_sgpr_workgroup_id_x 1
		.amdhsa_system_sgpr_workgroup_id_y 0
		.amdhsa_system_sgpr_workgroup_id_z 1
		.amdhsa_system_sgpr_workgroup_info 0
		.amdhsa_system_vgpr_workitem_id 0
		.amdhsa_next_free_vgpr 52
		.amdhsa_next_free_sgpr 34
		.amdhsa_reserve_vcc 1
		.amdhsa_float_round_mode_32 0
		.amdhsa_float_round_mode_16_64 0
		.amdhsa_float_denorm_mode_32 3
		.amdhsa_float_denorm_mode_16_64 3
		.amdhsa_dx10_clamp 1
		.amdhsa_ieee_mode 1
		.amdhsa_fp16_overflow 0
		.amdhsa_workgroup_processor_mode 1
		.amdhsa_memory_ordered 1
		.amdhsa_forward_progress 0
		.amdhsa_shared_vgpr_count 0
		.amdhsa_exception_fp_ieee_invalid_op 0
		.amdhsa_exception_fp_denorm_src 0
		.amdhsa_exception_fp_ieee_div_zero 0
		.amdhsa_exception_fp_ieee_overflow 0
		.amdhsa_exception_fp_ieee_underflow 0
		.amdhsa_exception_fp_ieee_inexact 0
		.amdhsa_exception_int_div_zero 0
	.end_amdhsa_kernel
	.section	.text._ZL31rocblas_trsm_small_right_deviceIddPKPKdPKPdLi32EEv13rocblas_fill_18rocblas_operation_17rocblas_diagonal_iiT0_T1_lilT2_lili,"axG",@progbits,_ZL31rocblas_trsm_small_right_deviceIddPKPKdPKPdLi32EEv13rocblas_fill_18rocblas_operation_17rocblas_diagonal_iiT0_T1_lilT2_lili,comdat
.Lfunc_end106:
	.size	_ZL31rocblas_trsm_small_right_deviceIddPKPKdPKPdLi32EEv13rocblas_fill_18rocblas_operation_17rocblas_diagonal_iiT0_T1_lilT2_lili, .Lfunc_end106-_ZL31rocblas_trsm_small_right_deviceIddPKPKdPKPdLi32EEv13rocblas_fill_18rocblas_operation_17rocblas_diagonal_iiT0_T1_lilT2_lili
                                        ; -- End function
	.section	.AMDGPU.csdata,"",@progbits
; Kernel info:
; codeLenInByte = 9020
; NumSgprs: 36
; NumVgprs: 52
; ScratchSize: 0
; MemoryBound: 0
; FloatMode: 240
; IeeeMode: 1
; LDSByteSize: 16384 bytes/workgroup (compile time only)
; SGPRBlocks: 4
; VGPRBlocks: 6
; NumSGPRsForWavesPerEU: 36
; NumVGPRsForWavesPerEU: 52
; Occupancy: 2
; WaveLimiterHint : 0
; COMPUTE_PGM_RSRC2:SCRATCH_EN: 0
; COMPUTE_PGM_RSRC2:USER_SGPR: 14
; COMPUTE_PGM_RSRC2:TRAP_HANDLER: 0
; COMPUTE_PGM_RSRC2:TGID_X_EN: 1
; COMPUTE_PGM_RSRC2:TGID_Y_EN: 0
; COMPUTE_PGM_RSRC2:TGID_Z_EN: 1
; COMPUTE_PGM_RSRC2:TIDIG_COMP_CNT: 0
	.section	.text._ZL38rocblas_trsm_small_left_device_sharedBILi64ELi32ELb0EddPKPKdPKPdEv13rocblas_fill_18rocblas_operation_17rocblas_diagonal_iiT3_T4_lilT5_lili,"axG",@progbits,_ZL38rocblas_trsm_small_left_device_sharedBILi64ELi32ELb0EddPKPKdPKPdEv13rocblas_fill_18rocblas_operation_17rocblas_diagonal_iiT3_T4_lilT5_lili,comdat
	.globl	_ZL38rocblas_trsm_small_left_device_sharedBILi64ELi32ELb0EddPKPKdPKPdEv13rocblas_fill_18rocblas_operation_17rocblas_diagonal_iiT3_T4_lilT5_lili ; -- Begin function _ZL38rocblas_trsm_small_left_device_sharedBILi64ELi32ELb0EddPKPKdPKPdEv13rocblas_fill_18rocblas_operation_17rocblas_diagonal_iiT3_T4_lilT5_lili
	.p2align	8
	.type	_ZL38rocblas_trsm_small_left_device_sharedBILi64ELi32ELb0EddPKPKdPKPdEv13rocblas_fill_18rocblas_operation_17rocblas_diagonal_iiT3_T4_lilT5_lili,@function
_ZL38rocblas_trsm_small_left_device_sharedBILi64ELi32ELb0EddPKPKdPKPdEv13rocblas_fill_18rocblas_operation_17rocblas_diagonal_iiT3_T4_lilT5_lili: ; @_ZL38rocblas_trsm_small_left_device_sharedBILi64ELi32ELb0EddPKPKdPKPdEv13rocblas_fill_18rocblas_operation_17rocblas_diagonal_iiT3_T4_lilT5_lili
; %bb.0:
	s_load_b128 s[16:19], s[0:1], 0x40
	s_mov_b32 s12, s15
	s_mov_b32 s13, 0
	s_clause 0x1
	s_load_b128 s[4:7], s[0:1], 0x4
	s_load_b64 s[20:21], s[0:1], 0x28
	s_lshl_b64 s[22:23], s[12:13], 3
	s_mov_b32 s12, exec_lo
	s_waitcnt lgkmcnt(0)
	s_add_u32 s2, s16, s22
	s_addc_u32 s3, s17, s23
	s_load_b128 s[8:11], s[0:1], 0x18
	s_load_b64 s[2:3], s[2:3], 0x0
	s_min_i32 s28, s6, 64
	s_delay_alu instid0(SALU_CYCLE_1)
	s_add_i32 s29, s28, -1
	v_cmpx_gt_i32_e64 s28, v0
	s_cbranch_execz .LBB107_10
; %bb.1:
	s_load_b32 s16, s[0:1], 0x30
	s_waitcnt lgkmcnt(0)
	s_ashr_i32 s17, s16, 31
	s_add_u32 s10, s10, s22
	s_addc_u32 s11, s11, s23
	s_cmp_lt_u32 s29, 3
	s_load_b64 s[10:11], s[10:11], 0x0
	s_cbranch_scc1 .LBB107_4
; %bb.2:
	v_lshlrev_b32_e32 v3, 3, v0
	s_lshl_b64 s[22:23], s[20:21], 3
	s_mul_i32 s30, s16, 24
	s_waitcnt lgkmcnt(0)
	s_add_u32 s13, s10, s22
	s_addc_u32 s15, s11, s23
	v_add_co_u32 v1, s13, s13, v3
	s_delay_alu instid0(VALU_DEP_1)
	v_add_co_ci_u32_e64 v2, null, s15, 0, s13
	s_and_b32 s13, s28, -4
	s_mul_hi_i32 s15, s16, 24
	s_lshl_b64 s[22:23], s[16:17], 5
	s_lshl_b64 s[24:25], s[16:17], 4
	;; [unrolled: 1-line block ×3, first 2 shown]
	s_mov_b32 s31, 0
	.p2align	6
.LBB107_3:                              ; =>This Inner Loop Header: Depth=1
	v_add_co_u32 v4, vcc_lo, v1, s26
	v_add_co_ci_u32_e32 v5, vcc_lo, s27, v2, vcc_lo
	v_add_co_u32 v6, vcc_lo, v1, s24
	v_add_co_ci_u32_e32 v7, vcc_lo, s25, v2, vcc_lo
	;; [unrolled: 2-line block ×3, first 2 shown]
	s_clause 0x3
	global_load_b64 v[10:11], v[1:2], off
	global_load_b64 v[4:5], v[4:5], off
	;; [unrolled: 1-line block ×4, first 2 shown]
	v_add_co_u32 v1, vcc_lo, v1, s22
	v_add_co_ci_u32_e32 v2, vcc_lo, s23, v2, vcc_lo
	s_add_i32 s31, s31, 4
	s_waitcnt vmcnt(2)
	ds_store_2addr_stride64_b64 v3, v[10:11], v[4:5] offset1:1
	s_waitcnt vmcnt(0)
	ds_store_2addr_stride64_b64 v3, v[6:7], v[8:9] offset0:2 offset1:3
	v_add_nc_u32_e32 v3, 0x800, v3
	s_cmp_eq_u32 s13, s31
	s_cbranch_scc0 .LBB107_3
.LBB107_4:
	s_and_b32 s15, s28, 3
	s_delay_alu instid0(SALU_CYCLE_1)
	s_cmp_eq_u32 s15, 0
	s_cbranch_scc1 .LBB107_7
; %bb.5:
	s_mul_i32 s22, s17, s13
	s_mul_hi_u32 s23, s16, s13
	v_lshlrev_b32_e32 v1, 3, v0
	s_add_i32 s23, s23, s22
	s_mul_i32 s22, s16, s13
	s_lshl_b64 s[20:21], s[20:21], 3
	s_lshl_b64 s[22:23], s[22:23], 3
	v_lshl_or_b32 v3, s13, 9, v1
	s_add_u32 s13, s22, s20
	s_addc_u32 s20, s23, s21
	s_waitcnt lgkmcnt(0)
	s_add_u32 s10, s10, s13
	s_addc_u32 s11, s11, s20
	v_add_co_u32 v1, s10, s10, v1
	s_delay_alu instid0(VALU_DEP_1)
	v_add_co_ci_u32_e64 v2, null, s11, 0, s10
	s_lshl_b64 s[10:11], s[16:17], 3
.LBB107_6:                              ; =>This Inner Loop Header: Depth=1
	global_load_b64 v[4:5], v[1:2], off
	v_add_co_u32 v1, vcc_lo, v1, s10
	v_add_co_ci_u32_e32 v2, vcc_lo, s11, v2, vcc_lo
	s_add_i32 s15, s15, -1
	s_delay_alu instid0(SALU_CYCLE_1)
	s_cmp_lg_u32 s15, 0
	s_waitcnt vmcnt(0)
	ds_store_b64 v3, v[4:5]
	v_add_nc_u32_e32 v3, 0x200, v3
	s_cbranch_scc1 .LBB107_6
.LBB107_7:
	v_mul_u32_u24_e32 v3, 0x41, v0
	v_mov_b32_e32 v1, 0
	v_mov_b32_e32 v2, 0x3ff00000
	s_cmpk_lg_i32 s5, 0x84
	s_delay_alu instid0(VALU_DEP_3)
	v_lshlrev_b32_e32 v3, 3, v3
	s_cbranch_scc0 .LBB107_9
; %bb.8:
	ds_load_b64 v[1:2], v3
	s_waitcnt lgkmcnt(0)
	v_div_scale_f64 v[4:5], null, v[1:2], v[1:2], 1.0
	s_delay_alu instid0(VALU_DEP_1) | instskip(SKIP_2) | instid1(VALU_DEP_1)
	v_rcp_f64_e32 v[6:7], v[4:5]
	s_waitcnt_depctr 0xfff
	v_fma_f64 v[8:9], -v[4:5], v[6:7], 1.0
	v_fma_f64 v[6:7], v[6:7], v[8:9], v[6:7]
	s_delay_alu instid0(VALU_DEP_1) | instskip(NEXT) | instid1(VALU_DEP_1)
	v_fma_f64 v[8:9], -v[4:5], v[6:7], 1.0
	v_fma_f64 v[6:7], v[6:7], v[8:9], v[6:7]
	v_div_scale_f64 v[8:9], vcc_lo, 1.0, v[1:2], 1.0
	s_delay_alu instid0(VALU_DEP_1) | instskip(NEXT) | instid1(VALU_DEP_1)
	v_mul_f64 v[10:11], v[8:9], v[6:7]
	v_fma_f64 v[4:5], -v[4:5], v[10:11], v[8:9]
	s_delay_alu instid0(VALU_DEP_1) | instskip(NEXT) | instid1(VALU_DEP_1)
	v_div_fmas_f64 v[4:5], v[4:5], v[6:7], v[10:11]
	v_div_fixup_f64 v[1:2], v[4:5], v[1:2], 1.0
.LBB107_9:
	ds_store_b64 v3, v[1:2]
.LBB107_10:
	s_or_b32 exec_lo, exec_lo, s12
	s_clause 0x1
	s_load_b32 s5, s[0:1], 0x68
	s_load_b32 s16, s[0:1], 0x50
	s_lshl_b64 s[0:1], s[18:19], 3
	s_waitcnt lgkmcnt(0)
	s_ashr_i32 s17, s16, 31
	s_add_u32 s15, s2, s0
	s_addc_u32 s18, s3, s1
	s_lshl_b32 s10, s14, 6
	s_add_i32 s5, s5, -1
	s_sub_i32 s7, s7, s10
	s_mul_hi_i32 s13, s16, s10
	s_cmp_ge_u32 s14, s5
	s_mul_i32 s12, s16, s10
	s_cselect_b32 s14, s7, 64
	s_lshl_b64 s[12:13], s[12:13], 3
	s_ashr_i32 s11, s10, 31
	s_add_u32 s5, s15, s12
	s_addc_u32 s7, s18, s13
	v_cmp_gt_i32_e32 vcc_lo, s14, v0
	s_cmp_gt_i32 s6, 0
	s_mov_b32 s12, 0
	s_cselect_b32 s13, -1, 0
	s_delay_alu instid0(SALU_CYCLE_1) | instskip(NEXT) | instid1(SALU_CYCLE_1)
	s_and_b32 s18, vcc_lo, s13
	s_and_saveexec_b32 s19, s18
	s_cbranch_execz .LBB107_17
; %bb.11:
	s_cmp_lt_i32 s6, 8
	s_cbranch_scc1 .LBB107_14
; %bb.12:
	v_mad_i64_i32 v[1:2], null, s16, v0, 0
	v_lshl_or_b32 v3, v0, 3, 0x8000
	s_lshl_b32 s12, s28, 3
	s_mov_b64 s[14:15], 0
	s_and_b32 s13, s12, 0x3c0
	s_mov_b32 s12, 0
	s_delay_alu instid0(VALU_DEP_2) | instskip(NEXT) | instid1(VALU_DEP_1)
	v_lshlrev_b64 v[1:2], 3, v[1:2]
	v_add_co_u32 v1, vcc_lo, s5, v1
	s_delay_alu instid0(VALU_DEP_2)
	v_add_co_ci_u32_e32 v2, vcc_lo, s7, v2, vcc_lo
	s_set_inst_prefetch_distance 0x1
	.p2align	6
.LBB107_13:                             ; =>This Inner Loop Header: Depth=1
	s_delay_alu instid0(VALU_DEP_2) | instskip(NEXT) | instid1(VALU_DEP_2)
	v_add_co_u32 v16, vcc_lo, v1, s14
	v_add_co_ci_u32_e32 v17, vcc_lo, s15, v2, vcc_lo
	s_add_i32 s12, s12, 8
	s_add_u32 s14, s14, 64
	s_addc_u32 s15, s15, 0
	s_clause 0x3
	global_load_b128 v[4:7], v[16:17], off
	global_load_b128 v[8:11], v[16:17], off offset:16
	global_load_b128 v[12:15], v[16:17], off offset:32
	;; [unrolled: 1-line block ×3, first 2 shown]
	s_cmp_lg_u32 s13, s14
	s_waitcnt vmcnt(3)
	v_mul_f64 v[4:5], v[4:5], s[8:9]
	v_mul_f64 v[6:7], v[6:7], s[8:9]
	s_waitcnt vmcnt(2)
	v_mul_f64 v[8:9], v[8:9], s[8:9]
	v_mul_f64 v[10:11], v[10:11], s[8:9]
	;; [unrolled: 3-line block ×4, first 2 shown]
	ds_store_2addr_stride64_b64 v3, v[4:5], v[6:7] offset1:1
	ds_store_2addr_stride64_b64 v3, v[8:9], v[10:11] offset0:2 offset1:3
	ds_store_2addr_stride64_b64 v3, v[12:13], v[14:15] offset0:4 offset1:5
	;; [unrolled: 1-line block ×3, first 2 shown]
	v_add_nc_u32_e32 v3, 0x1000, v3
	s_cbranch_scc1 .LBB107_13
.LBB107_14:
	s_set_inst_prefetch_distance 0x2
	s_and_b32 s14, s28, 7
	s_mov_b32 s13, 0
	s_cmp_eq_u32 s14, 0
	s_cbranch_scc1 .LBB107_17
; %bb.15:
	v_lshlrev_b32_e32 v3, 3, v0
	s_lshl_b64 s[20:21], s[10:11], 3
	s_lshl_b64 s[22:23], s[12:13], 3
	s_delay_alu instid0(VALU_DEP_1) | instskip(NEXT) | instid1(VALU_DEP_1)
	v_add_co_u32 v4, s13, s20, v3
	v_add_co_ci_u32_e64 v5, null, s21, 0, s13
	s_add_u32 s13, s2, s22
	s_addc_u32 s15, s3, s23
	s_add_u32 s20, s13, s0
	s_addc_u32 s21, s15, s1
	v_mul_lo_u32 v5, v5, s16
	v_mad_u64_u32 v[1:2], null, v4, s16, s[20:21]
	v_mul_lo_u32 v4, v4, s17
	v_lshl_or_b32 v3, s12, 9, v3
	s_delay_alu instid0(VALU_DEP_1) | instskip(NEXT) | instid1(VALU_DEP_3)
	v_add_nc_u32_e32 v3, 0x8000, v3
	v_add3_u32 v2, v5, v2, v4
.LBB107_16:                             ; =>This Inner Loop Header: Depth=1
	global_load_b64 v[4:5], v[1:2], off
	v_add_co_u32 v1, vcc_lo, v1, 8
	v_add_co_ci_u32_e32 v2, vcc_lo, 0, v2, vcc_lo
	s_add_i32 s14, s14, -1
	s_delay_alu instid0(SALU_CYCLE_1)
	s_cmp_lg_u32 s14, 0
	s_waitcnt vmcnt(0)
	v_mul_f64 v[4:5], v[4:5], s[8:9]
	ds_store_b64 v3, v[4:5]
	v_add_nc_u32_e32 v3, 0x200, v3
	s_cbranch_scc1 .LBB107_16
.LBB107_17:
	s_or_b32 exec_lo, exec_lo, s19
	s_cmpk_eq_i32 s4, 0x6f
	s_mov_b32 s4, -1
	s_waitcnt lgkmcnt(0)
	s_barrier
	buffer_gl0_inv
	s_cbranch_scc1 .LBB107_51
; %bb.18:
	s_cmp_lt_i32 s6, 32
	s_mov_b32 s9, 0
	s_cbranch_scc1 .LBB107_25
; %bb.19:
	v_lshl_or_b32 v87, v0, 3, 0x8000
	v_lshlrev_b32_e32 v88, 3, v0
	s_mov_b32 s4, 0
	s_mov_b32 s8, 0
.LBB107_20:                             ; =>This Loop Header: Depth=1
                                        ;     Child Loop BB107_22 Depth 2
	s_delay_alu instid0(VALU_DEP_1) | instid1(SALU_CYCLE_1)
	v_lshl_or_b32 v65, s8, 9, v88
	s_cmp_eq_u32 s8, 0
	ds_load_2addr_stride64_b64 v[61:64], v65 offset0:64 offset1:65
	ds_load_2addr_stride64_b64 v[57:60], v65 offset0:66 offset1:67
	ds_load_2addr_stride64_b64 v[53:56], v65 offset0:68 offset1:69
	ds_load_2addr_stride64_b64 v[49:52], v65 offset0:70 offset1:71
	ds_load_2addr_stride64_b64 v[45:48], v65 offset0:72 offset1:73
	ds_load_2addr_stride64_b64 v[41:44], v65 offset0:74 offset1:75
	ds_load_2addr_stride64_b64 v[37:40], v65 offset0:76 offset1:77
	ds_load_2addr_stride64_b64 v[33:36], v65 offset0:78 offset1:79
	ds_load_2addr_stride64_b64 v[29:32], v65 offset0:80 offset1:81
	ds_load_2addr_stride64_b64 v[25:28], v65 offset0:82 offset1:83
	ds_load_2addr_stride64_b64 v[21:24], v65 offset0:84 offset1:85
	ds_load_2addr_stride64_b64 v[17:20], v65 offset0:86 offset1:87
	ds_load_2addr_stride64_b64 v[13:16], v65 offset0:88 offset1:89
	ds_load_2addr_stride64_b64 v[9:12], v65 offset0:90 offset1:91
	ds_load_2addr_stride64_b64 v[5:8], v65 offset0:92 offset1:93
	ds_load_2addr_stride64_b64 v[1:4], v65 offset0:94 offset1:95
	s_cbranch_scc1 .LBB107_23
; %bb.21:                               ;   in Loop: Header=BB107_20 Depth=1
	v_mov_b32_e32 v66, v87
	s_mov_b32 s9, 0
	s_mov_b32 s12, s4
.LBB107_22:                             ;   Parent Loop BB107_20 Depth=1
                                        ; =>  This Inner Loop Header: Depth=2
	s_delay_alu instid0(SALU_CYCLE_1)
	v_mov_b32_e32 v129, s12
	s_add_i32 s9, s9, 1
	s_add_i32 s12, s12, 8
	s_cmp_lt_u32 s9, s8
	ds_load_b64 v[133:134], v66
	ds_load_2addr_stride64_b64 v[67:70], v129 offset1:1
	ds_load_2addr_stride64_b64 v[71:74], v129 offset0:2 offset1:3
	ds_load_2addr_stride64_b64 v[75:78], v129 offset0:4 offset1:5
	;; [unrolled: 1-line block ×15, first 2 shown]
	v_add_nc_u32_e32 v66, 0x200, v66
	s_waitcnt lgkmcnt(15)
	v_fma_f64 v[61:62], -v[133:134], v[67:68], v[61:62]
	v_fma_f64 v[63:64], -v[133:134], v[69:70], v[63:64]
	s_waitcnt lgkmcnt(14)
	v_fma_f64 v[57:58], -v[133:134], v[71:72], v[57:58]
	v_fma_f64 v[59:60], -v[133:134], v[73:74], v[59:60]
	;; [unrolled: 3-line block ×16, first 2 shown]
	s_cbranch_scc1 .LBB107_22
.LBB107_23:                             ;   in Loop: Header=BB107_20 Depth=1
	s_mul_i32 s43, s8, 0x208
	s_delay_alu instid0(SALU_CYCLE_1)
	v_dual_mov_b32 v90, s43 :: v_dual_add_nc_u32 v89, 0x8000, v65
	s_lshl_b32 s27, s8, 6
	s_or_b32 s44, s8, 14
	s_or_b32 s9, s27, 64
	;; [unrolled: 1-line block ×3, first 2 shown]
	ds_load_2addr_b64 v[65:68], v90 offset1:130
	s_add_i32 s12, s9, s8
	s_or_b32 s39, s8, 18
	s_lshl_b32 s12, s12, 3
	s_or_b32 s42, s8, 20
	s_or_b32 s45, s8, 22
	;; [unrolled: 1-line block ×6, first 2 shown]
	s_addk_i32 s4, 0x4000
	s_waitcnt lgkmcnt(0)
	v_mul_f64 v[61:62], v[65:66], v[61:62]
	v_mov_b32_e32 v65, s12
	s_or_b32 s12, s27, 0x80
	s_delay_alu instid0(SALU_CYCLE_1) | instskip(SKIP_2) | instid1(SALU_CYCLE_1)
	s_add_i32 s13, s12, s8
	ds_load_b128 v[69:72], v65
	s_lshl_b32 s13, s13, 3
	v_mov_b32_e32 v65, s13
	s_or_b32 s13, s27, 0xc0
	s_delay_alu instid0(SALU_CYCLE_1) | instskip(SKIP_2) | instid1(SALU_CYCLE_1)
	s_add_i32 s14, s13, s8
	ds_load_b128 v[73:76], v65
	s_lshl_b32 s14, s14, 3
	v_mov_b32_e32 v65, s14
	s_or_b32 s14, s27, 0x100
	s_delay_alu instid0(SALU_CYCLE_1) | instskip(NEXT) | instid1(SALU_CYCLE_1)
	s_add_i32 s15, s14, s8
	s_lshl_b32 s15, s15, 3
	s_waitcnt lgkmcnt(1)
	v_fma_f64 v[63:64], -v[61:62], v[69:70], v[63:64]
	s_waitcnt lgkmcnt(0)
	v_fma_f64 v[57:58], -v[61:62], v[73:74], v[57:58]
	v_mov_b32_e32 v73, s15
	s_or_b32 s15, s27, 0x140
	s_delay_alu instid0(SALU_CYCLE_1) | instskip(NEXT) | instid1(SALU_CYCLE_1)
	s_add_i32 s19, s15, s8
	s_lshl_b32 s19, s19, 3
	s_delay_alu instid0(SALU_CYCLE_1) | instskip(SKIP_1) | instid1(SALU_CYCLE_1)
	v_mov_b32_e32 v97, s19
	s_or_b32 s19, s27, 0x180
	s_add_i32 s20, s19, s8
	s_delay_alu instid0(SALU_CYCLE_1) | instskip(NEXT) | instid1(SALU_CYCLE_1)
	s_lshl_b32 s20, s20, 3
	v_mov_b32_e32 v91, s20
	s_or_b32 s20, s27, 0x1c0
	s_delay_alu instid0(SALU_CYCLE_1) | instskip(NEXT) | instid1(SALU_CYCLE_1)
	s_add_i32 s21, s20, s8
	s_lshl_b32 s21, s21, 3
	s_delay_alu instid0(SALU_CYCLE_1) | instskip(SKIP_1) | instid1(SALU_CYCLE_1)
	v_mov_b32_e32 v103, s21
	s_or_b32 s21, s27, 0x200
	s_add_i32 s22, s21, s8
	s_delay_alu instid0(SALU_CYCLE_1) | instskip(NEXT) | instid1(SALU_CYCLE_1)
	s_lshl_b32 s22, s22, 3
	v_mov_b32_e32 v104, s22
	s_or_b32 s22, s27, 0x240
	s_delay_alu instid0(SALU_CYCLE_1) | instskip(NEXT) | instid1(SALU_CYCLE_1)
	s_add_i32 s23, s22, s8
	s_lshl_b32 s23, s23, 3
	v_mul_f64 v[63:64], v[71:72], v[63:64]
	ds_load_b128 v[69:72], v65
	ds_load_b128 v[77:80], v65 offset:16
	s_waitcnt lgkmcnt(1)
	v_fma_f64 v[65:66], -v[61:62], v[69:70], v[59:60]
	v_fma_f64 v[69:70], -v[63:64], v[75:76], v[57:58]
	ds_load_b128 v[57:60], v73
	ds_load_b128 v[73:76], v73 offset:16
	s_waitcnt lgkmcnt(1)
	v_fma_f64 v[53:54], -v[61:62], v[57:58], v[53:54]
	v_fma_f64 v[57:58], -v[63:64], v[71:72], v[65:66]
	v_mul_f64 v[65:66], v[67:68], v[69:70]
	ds_load_b128 v[67:70], v97
	ds_load_b128 v[81:84], v97 offset:16
	s_waitcnt lgkmcnt(1)
	v_fma_f64 v[67:68], -v[61:62], v[67:68], v[55:56]
	v_fma_f64 v[59:60], -v[63:64], v[59:60], v[53:54]
	ds_load_b128 v[53:56], v91
	v_fma_f64 v[57:58], -v[65:66], v[77:78], v[57:58]
	s_waitcnt lgkmcnt(0)
	v_fma_f64 v[49:50], -v[61:62], v[53:54], v[49:50]
	v_fma_f64 v[53:54], -v[63:64], v[69:70], v[67:68]
	;; [unrolled: 1-line block ×3, first 2 shown]
	s_delay_alu instid0(VALU_DEP_4)
	v_mul_f64 v[67:68], v[79:80], v[57:58]
	ds_load_b128 v[57:60], v103
	ds_load_b128 v[71:74], v103 offset:16
	v_fma_f64 v[85:86], -v[63:64], v[55:56], v[49:50]
	s_waitcnt lgkmcnt(1)
	v_fma_f64 v[57:58], -v[61:62], v[57:58], v[51:52]
	v_fma_f64 v[95:96], -v[65:66], v[81:82], v[53:54]
	;; [unrolled: 1-line block ×3, first 2 shown]
	v_add_nc_u32_e64 v75, 0x800, s43
	ds_load_b128 v[49:52], v104
	ds_load_b128 v[53:56], v91 offset:16
	ds_load_2addr_b64 v[75:78], v75 offset0:4 offset1:134
	ds_load_b128 v[79:82], v91 offset:32
	ds_load_b128 v[91:94], v104 offset:16
	s_waitcnt lgkmcnt(4)
	v_fma_f64 v[49:50], -v[61:62], v[49:50], v[45:46]
	v_fma_f64 v[99:100], -v[63:64], v[59:60], v[57:58]
	s_waitcnt lgkmcnt(3)
	v_fma_f64 v[53:54], -v[65:66], v[53:54], v[85:86]
	v_fma_f64 v[101:102], -v[67:68], v[83:84], v[95:96]
	v_mov_b32_e32 v45, s23
	ds_load_b128 v[57:60], v45
	ds_load_b128 v[83:86], v97 offset:32
	ds_load_b128 v[95:98], v45 offset:16
	s_or_b32 s23, s27, 0x280
	s_delay_alu instid0(SALU_CYCLE_1) | instskip(NEXT) | instid1(SALU_CYCLE_1)
	s_add_i32 s24, s23, s8
	s_lshl_b32 s24, s24, 3
	s_delay_alu instid0(SALU_CYCLE_1) | instskip(SKIP_4) | instid1(SALU_CYCLE_1)
	v_mov_b32_e32 v46, s24
	s_or_b32 s24, s27, 0x2c0
	s_waitcnt lgkmcnt(5)
	v_mul_f64 v[69:70], v[75:76], v[69:70]
	s_add_i32 s25, s24, s8
	s_lshl_b32 s25, s25, 3
	s_waitcnt lgkmcnt(2)
	v_fma_f64 v[57:58], -v[61:62], v[57:58], v[47:48]
	v_fma_f64 v[51:52], -v[63:64], v[51:52], v[49:50]
	;; [unrolled: 1-line block ×4, first 2 shown]
	ds_load_b128 v[47:50], v46
	s_waitcnt lgkmcnt(2)
	v_fma_f64 v[55:56], -v[69:70], v[83:84], v[101:102]
	s_waitcnt lgkmcnt(0)
	v_fma_f64 v[47:48], -v[61:62], v[47:48], v[41:42]
	v_mov_b32_e32 v42, s25
	s_or_b32 s25, s27, 0x300
	v_fma_f64 v[59:60], -v[63:64], v[59:60], v[57:58]
	s_add_i32 s26, s25, s8
	s_delay_alu instid0(SALU_CYCLE_1) | instskip(NEXT) | instid1(SALU_CYCLE_1)
	s_lshl_b32 s26, s26, 3
	v_mov_b32_e32 v41, s26
	s_or_b32 s26, s27, 0x340
	s_delay_alu instid0(SALU_CYCLE_1) | instskip(NEXT) | instid1(SALU_CYCLE_1)
	s_add_i32 s30, s26, s8
	s_lshl_b32 s30, s30, 3
	v_fma_f64 v[75:76], -v[65:66], v[91:92], v[51:52]
	v_fma_f64 v[73:74], -v[67:68], v[73:74], v[71:72]
	;; [unrolled: 1-line block ×3, first 2 shown]
	v_mul_f64 v[71:72], v[85:86], v[55:56]
	ds_load_b128 v[51:54], v42
	ds_load_b128 v[55:58], v103 offset:32
	ds_load_b64 v[111:112], v103 offset:48
	ds_load_b128 v[83:86], v42 offset:16
	v_fma_f64 v[59:60], -v[65:66], v[95:96], v[59:60]
	s_waitcnt lgkmcnt(3)
	v_fma_f64 v[43:44], -v[61:62], v[51:52], v[43:44]
	v_fma_f64 v[51:52], -v[63:64], v[49:50], v[47:48]
	;; [unrolled: 1-line block ×3, first 2 shown]
	s_waitcnt lgkmcnt(2)
	v_fma_f64 v[55:56], -v[69:70], v[55:56], v[73:74]
	v_fma_f64 v[107:108], -v[71:72], v[81:82], v[79:80]
	ds_load_b128 v[47:50], v41
	ds_load_b128 v[73:76], v46 offset:16
	ds_load_b128 v[79:82], v104 offset:32
	;; [unrolled: 1-line block ×5, first 2 shown]
	v_fma_f64 v[59:60], -v[67:68], v[97:98], v[59:60]
	s_waitcnt lgkmcnt(5)
	v_fma_f64 v[47:48], -v[61:62], v[47:48], v[37:38]
	v_mov_b32_e32 v37, s30
	v_fma_f64 v[43:44], -v[63:64], v[53:54], v[43:44]
	s_waitcnt lgkmcnt(4)
	v_fma_f64 v[113:114], -v[65:66], v[73:74], v[51:52]
	s_waitcnt lgkmcnt(3)
	v_fma_f64 v[95:96], -v[69:70], v[79:80], v[95:96]
	v_fma_f64 v[97:98], -v[71:72], v[57:58], v[55:56]
	ds_load_b128 v[51:54], v37
	ds_load_b128 v[55:58], v45 offset:32
	s_lshl_b32 s30, s44, 6
	s_mulk_i32 s44, 0x208
	s_add_i32 s31, s30, s8
	s_delay_alu instid0(SALU_CYCLE_1) | instskip(NEXT) | instid1(SALU_CYCLE_1)
	s_lshl_b32 s31, s31, 3
	v_mov_b32_e32 v38, s31
	s_or_b32 s31, s27, 0x3c0
	s_delay_alu instid0(SALU_CYCLE_1) | instskip(NEXT) | instid1(SALU_CYCLE_1)
	s_add_i32 s33, s31, s8
	s_lshl_b32 s33, s33, 3
	v_mul_f64 v[73:74], v[77:78], v[107:108]
	ds_load_b128 v[77:80], v45 offset:48
	ds_load_b128 v[107:110], v37 offset:16
	s_waitcnt lgkmcnt(3)
	v_fma_f64 v[39:40], -v[61:62], v[51:52], v[39:40]
	s_waitcnt lgkmcnt(2)
	v_fma_f64 v[55:56], -v[69:70], v[55:56], v[59:60]
	v_fma_f64 v[51:52], -v[63:64], v[49:50], v[47:48]
	ds_load_b128 v[47:50], v38
	v_fma_f64 v[43:44], -v[65:66], v[83:84], v[43:44]
	v_fma_f64 v[75:76], -v[67:68], v[75:76], v[113:114]
	;; [unrolled: 1-line block ×3, first 2 shown]
	v_add_nc_u32_e64 v81, 0xc00, s43
	ds_load_2addr_b64 v[81:84], v81 offset0:71 offset1:136
	s_waitcnt lgkmcnt(1)
	v_fma_f64 v[33:34], -v[61:62], v[47:48], v[33:34]
	v_fma_f64 v[95:96], -v[73:74], v[111:112], v[97:98]
	;; [unrolled: 1-line block ×8, first 2 shown]
	s_waitcnt lgkmcnt(0)
	v_mul_f64 v[75:76], v[81:82], v[95:96]
	v_mov_b32_e32 v96, s33
	s_lshl_b32 s33, s41, 6
	v_fma_f64 v[39:40], -v[65:66], v[107:108], v[39:40]
	s_add_i32 s34, s33, s8
	ds_load_b128 v[51:54], v96
	ds_load_b128 v[55:58], v42 offset:32
	s_lshl_b32 s34, s34, 3
	v_fma_f64 v[81:82], -v[63:64], v[49:50], v[33:34]
	v_mov_b32_e32 v92, s34
	ds_load_b128 v[97:100], v42 offset:48
	s_or_b32 s34, s27, 0x440
	s_mulk_i32 s41, 0x208
	s_add_i32 s35, s34, s8
	s_delay_alu instid0(SALU_CYCLE_1)
	s_lshl_b32 s35, s35, 3
	v_fma_f64 v[123:124], -v[67:68], v[105:106], v[47:48]
	v_fma_f64 v[77:78], -v[73:74], v[77:78], v[103:104]
	v_mov_b32_e32 v91, s35
	s_lshl_b32 s35, s39, 6
	s_mulk_i32 s39, 0x208
	s_add_i32 s36, s35, s8
	s_delay_alu instid0(SALU_CYCLE_1)
	s_lshl_b32 s36, s36, 3
	s_waitcnt lgkmcnt(2)
	v_fma_f64 v[51:52], -v[61:62], v[51:52], v[35:36]
	s_waitcnt lgkmcnt(1)
	v_fma_f64 v[43:44], -v[69:70], v[55:56], v[43:44]
	v_fma_f64 v[55:56], -v[71:72], v[101:102], v[85:86]
	ds_load_b128 v[33:36], v92
	ds_load_b128 v[47:50], v38 offset:16
	ds_load_b128 v[101:104], v41 offset:32
	;; [unrolled: 1-line block ×6, first 2 shown]
	v_fma_f64 v[59:60], -v[75:76], v[93:94], v[59:60]
	v_fma_f64 v[39:40], -v[67:68], v[109:110], v[39:40]
	s_waitcnt lgkmcnt(6)
	v_fma_f64 v[29:30], -v[61:62], v[33:34], v[29:30]
	s_waitcnt lgkmcnt(5)
	;; [unrolled: 2-line block ×3, first 2 shown]
	v_fma_f64 v[93:94], -v[69:70], v[101:102], v[123:124]
	v_fma_f64 v[109:110], -v[75:76], v[79:80], v[77:78]
	;; [unrolled: 1-line block ×4, first 2 shown]
	s_waitcnt lgkmcnt(3)
	v_fma_f64 v[105:106], -v[73:74], v[105:106], v[55:56]
	v_mul_f64 v[77:78], v[83:84], v[59:60]
	ds_load_b128 v[51:54], v91
	ds_load_b128 v[55:58], v96 offset:16
	ds_load_b128 v[79:82], v37 offset:32
	ds_load_b64 v[59:60], v45 offset:64
	ds_load_b128 v[43:46], v37 offset:48
	ds_load_b128 v[83:86], v96 offset:32
	;; [unrolled: 1-line block ×3, first 2 shown]
	v_fma_f64 v[127:128], -v[63:64], v[35:36], v[29:30]
	v_fma_f64 v[129:130], -v[67:68], v[49:50], v[47:48]
	v_add_nc_u32_e64 v47, 0x1000, s43
	s_waitcnt lgkmcnt(6)
	v_fma_f64 v[51:52], -v[61:62], v[51:52], v[31:32]
	s_waitcnt lgkmcnt(4)
	v_fma_f64 v[39:40], -v[69:70], v[79:80], v[39:40]
	v_fma_f64 v[79:80], -v[71:72], v[103:104], v[93:94]
	v_mov_b32_e32 v94, s36
	s_or_b32 s36, s27, 0x4c0
	v_fma_f64 v[55:56], -v[65:66], v[55:56], v[33:34]
	v_fma_f64 v[97:98], -v[73:74], v[97:98], v[101:102]
	;; [unrolled: 1-line block ×3, first 2 shown]
	ds_load_b128 v[29:32], v94
	ds_load_b128 v[33:36], v92 offset:16
	ds_load_2addr_b64 v[47:50], v47 offset0:73 offset1:138
	s_add_i32 s37, s36, s8
	ds_load_b128 v[101:104], v92 offset:32
	s_lshl_b32 s37, s37, 3
	s_delay_alu instid0(SALU_CYCLE_1) | instskip(SKIP_1) | instid1(SALU_CYCLE_1)
	v_mov_b32_e32 v93, s37
	s_lshl_b32 s37, s42, 6
	s_add_i32 s38, s37, s8
	s_waitcnt lgkmcnt(7)
	v_fma_f64 v[59:60], -v[77:78], v[59:60], v[109:110]
	s_lshl_b32 s38, s38, 3
	s_delay_alu instid0(SALU_CYCLE_1) | instskip(SKIP_1) | instid1(SALU_CYCLE_1)
	v_mov_b32_e32 v95, s38
	s_or_b32 s38, s27, 0x540
	s_add_i32 s40, s38, s8
	v_fma_f64 v[109:110], -v[69:70], v[119:120], v[129:130]
	s_waitcnt lgkmcnt(3)
	v_fma_f64 v[25:26], -v[61:62], v[29:30], v[25:26]
	s_waitcnt lgkmcnt(2)
	v_fma_f64 v[33:34], -v[65:66], v[33:34], v[127:128]
	s_lshl_b32 s40, s40, 3
	v_fma_f64 v[29:30], -v[63:64], v[53:54], v[51:52]
	v_fma_f64 v[39:40], -v[71:72], v[81:82], v[39:40]
	;; [unrolled: 1-line block ×6, first 2 shown]
	ds_load_b128 v[51:54], v93
	ds_load_b128 v[55:58], v42 offset:64
	s_waitcnt lgkmcnt(3)
	v_mul_f64 v[79:80], v[47:48], v[59:60]
	ds_load_b64 v[59:60], v42 offset:80
	v_fma_f64 v[121:122], -v[71:72], v[121:122], v[109:110]
	s_waitcnt lgkmcnt(2)
	v_fma_f64 v[47:48], -v[61:62], v[51:52], v[27:28]
	v_fma_f64 v[119:120], -v[67:68], v[35:36], v[33:34]
	;; [unrolled: 1-line block ×7, first 2 shown]
	s_waitcnt lgkmcnt(1)
	v_fma_f64 v[55:56], -v[77:78], v[55:56], v[97:98]
	ds_load_b128 v[25:28], v95
	ds_load_b128 v[29:32], v94 offset:16
	ds_load_b128 v[33:36], v38 offset:48
	;; [unrolled: 1-line block ×6, first 2 shown]
	v_fma_f64 v[97:98], -v[79:80], v[113:114], v[99:100]
	s_waitcnt lgkmcnt(6)
	v_fma_f64 v[21:22], -v[61:62], v[25:26], v[21:22]
	s_waitcnt lgkmcnt(4)
	v_fma_f64 v[33:34], -v[73:74], v[33:34], v[121:122]
	v_fma_f64 v[25:26], -v[63:64], v[53:54], v[47:48]
	;; [unrolled: 1-line block ×6, first 2 shown]
	s_waitcnt lgkmcnt(3)
	v_fma_f64 v[139:140], -v[77:78], v[81:82], v[117:118]
	v_fma_f64 v[85:86], -v[71:72], v[85:86], v[123:124]
	;; [unrolled: 1-line block ×3, first 2 shown]
	v_mul_f64 v[81:82], v[49:50], v[97:98]
	v_mov_b32_e32 v97, s40
	s_lshl_b32 s40, s45, 6
	ds_load_b128 v[43:46], v97
	ds_load_b128 v[47:50], v93 offset:16
	ds_load_b128 v[51:54], v91 offset:32
	;; [unrolled: 1-line block ×4, first 2 shown]
	v_fma_f64 v[143:144], -v[63:64], v[27:28], v[21:22]
	s_add_i32 s46, s40, s8
	v_fma_f64 v[102:103], -v[71:72], v[103:104], v[135:136]
	s_lshl_b32 s46, s46, 3
	v_fma_f64 v[145:146], -v[67:68], v[31:32], v[29:30]
	ds_load_b128 v[113:116], v37 offset:80
	ds_load_b128 v[117:120], v96 offset:64
	ds_load_b128 v[121:124], v91 offset:48
	ds_load_b128 v[125:128], v93 offset:32
	ds_load_b128 v[129:132], v97 offset:16
	v_fma_f64 v[83:84], -v[79:80], v[83:84], v[139:140]
	s_waitcnt lgkmcnt(9)
	v_fma_f64 v[43:44], -v[61:62], v[43:44], v[23:24]
	s_waitcnt lgkmcnt(8)
	;; [unrolled: 2-line block ×5, first 2 shown]
	v_fma_f64 v[147:148], -v[77:78], v[98:99], v[137:138]
	v_mov_b32_e32 v98, s46
	v_fma_f64 v[85:86], -v[75:76], v[35:36], v[33:34]
	v_add_nc_u32_e64 v33, 0x1400, s43
	ds_load_b128 v[21:24], v98
	ds_load_b128 v[25:28], v95 offset:16
	ds_load_b128 v[29:32], v92 offset:48
	ds_load_2addr_b64 v[33:36], v33 offset0:75 offset1:140
	s_or_b32 s43, s27, 0x5c0
	ds_load_b128 v[133:136], v92 offset:64
	ds_load_b128 v[137:140], v95 offset:32
	s_add_i32 s46, s43, s8
	v_fma_f64 v[59:60], -v[81:82], v[59:60], v[141:142]
	s_lshl_b32 s46, s46, 3
	s_delay_alu instid0(SALU_CYCLE_1) | instskip(SKIP_1) | instid1(SALU_CYCLE_1)
	v_mov_b32_e32 v99, s46
	s_lshl_b32 s46, s48, 6
	s_add_i32 s47, s46, s8
	s_delay_alu instid0(SALU_CYCLE_1)
	s_lshl_b32 s47, s47, 3
	s_waitcnt lgkmcnt(5)
	v_fma_f64 v[17:18], -v[61:62], v[21:22], v[17:18]
	s_waitcnt lgkmcnt(4)
	v_fma_f64 v[25:26], -v[65:66], v[25:26], v[143:144]
	;; [unrolled: 2-line block ×3, first 2 shown]
	v_fma_f64 v[39:40], -v[81:82], v[39:40], v[83:84]
	v_fma_f64 v[21:22], -v[63:64], v[45:46], v[43:44]
	;; [unrolled: 1-line block ×8, first 2 shown]
	ds_load_b128 v[47:50], v99
	v_mov_b32_e32 v100, s47
	s_or_b32 s47, s27, 0x640
	s_delay_alu instid0(SALU_CYCLE_1) | instskip(NEXT) | instid1(SALU_CYCLE_1)
	s_add_i32 s49, s47, s8
	s_lshl_b32 s49, s49, 3
	s_waitcnt lgkmcnt(3)
	v_mul_f64 v[83:84], v[33:34], v[59:60]
	s_waitcnt lgkmcnt(0)
	v_fma_f64 v[33:34], -v[61:62], v[47:48], v[19:20]
	v_fma_f64 v[85:86], -v[63:64], v[23:24], v[17:18]
	v_fma_f64 v[25:26], -v[67:68], v[27:28], v[25:26]
	v_fma_f64 v[29:30], -v[75:76], v[31:32], v[29:30]
	v_fma_f64 v[109:110], -v[65:66], v[129:130], v[21:22]
	v_fma_f64 v[27:28], -v[69:70], v[125:126], v[43:44]
	v_fma_f64 v[51:52], -v[73:74], v[121:122], v[51:52]
	v_fma_f64 v[31:32], -v[77:78], v[117:118], v[53:54]
	v_fma_f64 v[43:44], -v[71:72], v[111:112], v[45:46]
	v_fma_f64 v[113:114], -v[81:82], v[113:114], v[57:58]
	v_fma_f64 v[111:112], -v[79:80], v[107:108], v[55:56]
	ds_load_b128 v[17:20], v100
	ds_load_b128 v[21:24], v98 offset:16
	ds_load_b128 v[101:104], v94 offset:48
	;; [unrolled: 1-line block ×6, first 2 shown]
	v_fma_f64 v[39:40], -v[83:84], v[41:42], v[39:40]
	s_waitcnt lgkmcnt(6)
	v_fma_f64 v[13:14], -v[61:62], v[17:18], v[13:14]
	v_fma_f64 v[17:18], -v[63:64], v[49:50], v[33:34]
	s_waitcnt lgkmcnt(5)
	v_fma_f64 v[21:22], -v[65:66], v[21:22], v[85:86]
	v_fma_f64 v[137:138], -v[69:70], v[137:138], v[25:26]
	;; [unrolled: 1-line block ×7, first 2 shown]
	s_waitcnt lgkmcnt(4)
	v_fma_f64 v[145:146], -v[73:74], v[101:102], v[43:44]
	v_mov_b32_e32 v101, s49
	s_waitcnt lgkmcnt(3)
	v_fma_f64 v[105:106], -v[81:82], v[105:106], v[111:112]
	v_fma_f64 v[151:152], -v[83:84], v[115:116], v[113:114]
	ds_load_b128 v[109:112], v101
	ds_load_b128 v[113:116], v99 offset:16
	ds_load_b128 v[117:120], v97 offset:32
	;; [unrolled: 1-line block ×5, first 2 shown]
	s_lshl_b32 s49, s50, 6
	v_mul_f64 v[85:86], v[35:36], v[39:40]
	s_add_i32 s51, s49, s8
	s_delay_alu instid0(SALU_CYCLE_1) | instskip(NEXT) | instid1(SALU_CYCLE_1)
	s_lshl_b32 s51, s51, 3
	v_mov_b32_e32 v102, s51
	ds_load_b64 v[153:154], v37 offset:96
	ds_load_b128 v[25:28], v96 offset:96
	ds_load_b128 v[29:32], v91 offset:80
	ds_load_b128 v[33:36], v93 offset:64
	ds_load_b128 v[37:40], v97 offset:48
	ds_load_b128 v[41:44], v99 offset:32
	ds_load_b128 v[49:52], v101 offset:16
	s_or_b32 s51, s27, 0x6c0
	v_fma_f64 v[157:158], -v[63:64], v[19:20], v[13:14]
	s_add_i32 s52, s51, s8
	s_delay_alu instid0(SALU_CYCLE_1)
	s_lshl_b32 s52, s52, 3
	s_waitcnt lgkmcnt(12)
	v_fma_f64 v[155:156], -v[61:62], v[109:110], v[15:16]
	s_waitcnt lgkmcnt(11)
	v_fma_f64 v[113:114], -v[65:66], v[113:114], v[17:18]
	v_fma_f64 v[159:160], -v[67:68], v[23:24], v[21:22]
	s_waitcnt lgkmcnt(10)
	v_fma_f64 v[117:118], -v[69:70], v[117:118], v[141:142]
	s_waitcnt lgkmcnt(9)
	;; [unrolled: 2-line block ×3, first 2 shown]
	v_fma_f64 v[125:126], -v[77:78], v[125:126], v[147:148]
	v_fma_f64 v[129:130], -v[81:82], v[129:130], v[149:150]
	;; [unrolled: 1-line block ×6, first 2 shown]
	ds_load_b128 v[103:106], v102
	ds_load_b128 v[107:110], v100 offset:16
	ds_load_b128 v[133:136], v95 offset:48
	;; [unrolled: 1-line block ×3, first 2 shown]
	s_waitcnt lgkmcnt(10)
	v_fma_f64 v[149:150], -v[85:86], v[153:154], v[151:152]
	ds_load_b64 v[151:152], v90 offset:6760
	v_mov_b32_e32 v90, s52
	ds_load_b128 v[13:16], v92 offset:96
	ds_load_b128 v[17:20], v95 offset:64
	;; [unrolled: 1-line block ×3, first 2 shown]
	s_lshl_b32 s52, s53, 6
	s_delay_alu instid0(SALU_CYCLE_1) | instskip(NEXT) | instid1(SALU_CYCLE_1)
	s_add_i32 s54, s52, s8
	s_lshl_b32 s54, s54, 3
	s_waitcnt lgkmcnt(7)
	v_fma_f64 v[103:104], -v[61:62], v[103:104], v[9:10]
	s_waitcnt lgkmcnt(6)
	v_fma_f64 v[107:108], -v[65:66], v[107:108], v[157:158]
	v_fma_f64 v[153:154], -v[63:64], v[111:112], v[155:156]
	v_fma_f64 v[115:116], -v[67:68], v[115:116], v[113:114]
	v_fma_f64 v[57:58], -v[69:70], v[57:58], v[159:160]
	ds_load_b128 v[111:114], v90
	v_fma_f64 v[117:118], -v[71:72], v[119:120], v[117:118]
	v_fma_f64 v[121:122], -v[75:76], v[123:124], v[121:122]
	v_fma_f64 v[123:124], -v[79:80], v[127:128], v[125:126]
	v_fma_f64 v[127:128], -v[83:84], v[131:132], v[129:130]
	v_fma_f64 v[53:54], -v[77:78], v[53:54], v[143:144]
	s_waitcnt lgkmcnt(5)
	v_fma_f64 v[125:126], -v[81:82], v[137:138], v[145:146]
	v_fma_f64 v[129:130], -v[85:86], v[45:46], v[147:148]
	;; [unrolled: 1-line block ×3, first 2 shown]
	v_mov_b32_e32 v45, s54
	s_waitcnt lgkmcnt(0)
	v_fma_f64 v[111:112], -v[61:62], v[111:112], v[11:12]
	v_mov_b32_e32 v11, s44
	v_mul_f64 v[9:10], v[151:152], v[149:150]
	s_or_b32 s44, s27, 0x740
	s_or_b32 s27, s27, 0x7c0
	s_add_i32 s54, s44, s8
	s_delay_alu instid0(SALU_CYCLE_1)
	s_lshl_b32 s54, s54, 3
	v_fma_f64 v[131:132], -v[63:64], v[105:106], v[103:104]
	v_fma_f64 v[137:138], -v[67:68], v[109:110], v[107:108]
	;; [unrolled: 1-line block ×14, first 2 shown]
	ds_load_b128 v[46:49], v45
	ds_load_b128 v[53:56], v102 offset:16
	ds_load_b128 v[103:106], v94 offset:80
	ds_load_b64 v[127:128], v11
	v_mov_b32_e32 v11, s54
	ds_load_b128 v[57:60], v98 offset:48
	ds_load_b128 v[107:110], v94 offset:96
	;; [unrolled: 1-line block ×4, first 2 shown]
	s_lshl_b32 s54, s55, 6
	s_delay_alu instid0(SALU_CYCLE_1) | instskip(NEXT) | instid1(SALU_CYCLE_1)
	s_add_i32 s56, s54, s8
	s_lshl_b32 s56, s56, 3
	v_fma_f64 v[21:22], -v[69:70], v[21:22], v[137:138]
	v_fma_f64 v[159:160], -v[67:68], v[51:52], v[133:134]
	;; [unrolled: 1-line block ×3, first 2 shown]
	v_mov_b32_e32 v12, s56
	s_waitcnt lgkmcnt(7)
	v_fma_f64 v[46:47], -v[61:62], v[46:47], v[5:6]
	s_waitcnt lgkmcnt(6)
	v_fma_f64 v[157:158], -v[65:66], v[53:54], v[131:132]
	v_fma_f64 v[163:164], -v[75:76], v[39:40], v[37:38]
	;; [unrolled: 1-line block ×5, first 2 shown]
	ds_load_b128 v[25:28], v11
	ds_load_b128 v[29:32], v96 offset:112
	ds_load_b128 v[33:36], v90 offset:16
	s_waitcnt lgkmcnt(6)
	v_fma_f64 v[57:58], -v[73:74], v[57:58], v[141:142]
	v_fma_f64 v[103:104], -v[81:82], v[103:104], v[143:144]
	;; [unrolled: 1-line block ×4, first 2 shown]
	ds_load_b128 v[37:40], v101 offset:32
	ds_load_b128 v[41:44], v99 offset:48
	ds_load_b128 v[111:114], v93 offset:80
	v_mul_f64 v[5:6], v[127:128], v[125:126]
	s_waitcnt lgkmcnt(5)
	v_fma_f64 v[7:8], -v[61:62], v[25:26], v[7:8]
	s_waitcnt lgkmcnt(3)
	v_fma_f64 v[33:34], -v[65:66], v[33:34], v[155:156]
	v_fma_f64 v[173:174], -v[71:72], v[23:24], v[21:22]
	s_waitcnt lgkmcnt(2)
	v_fma_f64 v[37:38], -v[69:70], v[37:38], v[159:160]
	s_waitcnt lgkmcnt(1)
	v_fma_f64 v[41:42], -v[73:74], v[41:42], v[161:162]
	v_fma_f64 v[25:26], -v[63:64], v[48:49], v[46:47]
	v_fma_f64 v[171:172], -v[67:68], v[55:56], v[157:158]
	s_waitcnt lgkmcnt(0)
	v_fma_f64 v[111:112], -v[81:82], v[111:112], v[165:166]
	v_fma_f64 v[58:59], -v[75:76], v[59:60], v[57:58]
	;; [unrolled: 1-line block ×3, first 2 shown]
	v_mov_b32_e32 v60, s41
	s_add_i32 s41, s27, s8
	s_delay_alu instid0(SALU_CYCLE_1)
	s_lshl_b32 s41, s41, 3
	v_fma_f64 v[29:30], -v[5:6], v[29:30], v[169:170]
	v_fma_f64 v[175:176], -v[63:64], v[27:28], v[7:8]
	v_mov_b32_e32 v8, s39
	ds_load_b128 v[50:53], v97 offset:64
	ds_load_b128 v[123:126], v91 offset:96
	;; [unrolled: 1-line block ×9, first 2 shown]
	v_fma_f64 v[33:34], -v[67:68], v[35:36], v[33:34]
	v_mov_b32_e32 v7, s41
	s_mul_i32 s39, s42, 0x208
	v_fma_f64 v[37:38], -v[71:72], v[39:40], v[37:38]
	v_fma_f64 v[39:40], -v[75:76], v[43:44], v[41:42]
	v_fma_f64 v[35:36], -v[69:70], v[119:120], v[171:172]
	s_waitcnt lgkmcnt(7)
	v_fma_f64 v[123:124], -v[85:86], v[123:124], v[167:168]
	v_fma_f64 v[167:168], -v[9:10], v[15:16], v[13:14]
	;; [unrolled: 1-line block ×5, first 2 shown]
	ds_load_b128 v[13:16], v12
	ds_load_b128 v[17:20], v45 offset:16
	ds_load_b128 v[21:24], v100 offset:48
	;; [unrolled: 1-line block ×4, first 2 shown]
	ds_load_b64 v[169:170], v60
	ds_load_b128 v[103:106], v95 offset:96
	ds_load_b128 v[155:158], v100 offset:64
	;; [unrolled: 1-line block ×3, first 2 shown]
	s_waitcnt lgkmcnt(8)
	v_fma_f64 v[13:14], -v[61:62], v[13:14], v[1:2]
	s_waitcnt lgkmcnt(7)
	v_fma_f64 v[17:18], -v[65:66], v[17:18], v[25:26]
	;; [unrolled: 2-line block ×3, first 2 shown]
	v_mul_f64 v[1:2], v[31:32], v[29:30]
	ds_load_b128 v[25:28], v7
	v_fma_f64 v[115:116], -v[69:70], v[147:148], v[33:34]
	v_fma_f64 v[119:120], -v[71:72], v[121:122], v[35:36]
	;; [unrolled: 1-line block ×4, first 2 shown]
	s_waitcnt lgkmcnt(5)
	v_fma_f64 v[54:55], -v[5:6], v[54:55], v[167:168]
	v_fma_f64 v[125:126], -v[77:78], v[139:140], v[39:40]
	;; [unrolled: 1-line block ×8, first 2 shown]
	s_waitcnt lgkmcnt(0)
	v_fma_f64 v[25:26], -v[61:62], v[25:26], v[3:4]
	v_fma_f64 v[107:108], -v[63:64], v[15:16], v[13:14]
	;; [unrolled: 1-line block ×13, first 2 shown]
	ds_load_b128 v[13:16], v12 offset:16
	ds_load_b128 v[17:20], v102 offset:48
	ds_load_b128 v[21:24], v98 offset:80
	ds_load_b128 v[29:32], v94 offset:112
	ds_load_b128 v[33:36], v94 offset:128
	ds_load_b128 v[37:40], v98 offset:96
	ds_load_b128 v[41:44], v102 offset:64
	ds_load_b128 v[46:49], v12 offset:32
	v_fma_f64 v[163:164], -v[67:68], v[153:154], v[111:112]
	s_waitcnt lgkmcnt(6)
	v_fma_f64 v[17:18], -v[73:74], v[17:18], v[119:120]
	s_waitcnt lgkmcnt(5)
	v_fma_f64 v[21:22], -v[81:82], v[21:22], v[117:118]
	v_fma_f64 v[13:14], -v[65:66], v[13:14], v[107:108]
	;; [unrolled: 1-line block ×5, first 2 shown]
	v_mul_f64 v[3:4], v[169:170], v[54:55]
	v_fma_f64 v[169:170], -v[63:64], v[27:28], v[25:26]
	v_fma_f64 v[173:174], -v[83:84], v[137:138], v[135:136]
	;; [unrolled: 1-line block ×4, first 2 shown]
	s_waitcnt lgkmcnt(4)
	v_fma_f64 v[29:30], -v[5:6], v[29:30], v[52:53]
	ds_load_b128 v[25:28], v11 offset:32
	ds_load_b128 v[50:53], v90 offset:48
	;; [unrolled: 1-line block ×15, first 2 shown]
	s_waitcnt lgkmcnt(14)
	v_fma_f64 v[25:26], -v[69:70], v[25:26], v[163:164]
	s_waitcnt lgkmcnt(13)
	v_fma_f64 v[50:51], -v[73:74], v[50:51], v[165:166]
	;; [unrolled: 2-line block ×4, first 2 shown]
	v_fma_f64 v[165:166], -v[83:84], v[23:24], v[21:22]
	v_fma_f64 v[91:92], -v[67:68], v[15:16], v[13:14]
	;; [unrolled: 1-line block ×5, first 2 shown]
	s_waitcnt lgkmcnt(9)
	v_fma_f64 v[58:59], -v[3:4], v[115:116], v[58:59]
	s_waitcnt lgkmcnt(5)
	v_fma_f64 v[115:116], -v[65:66], v[131:132], v[169:170]
	v_fma_f64 v[111:112], -v[85:86], v[111:112], v[173:174]
	;; [unrolled: 1-line block ×5, first 2 shown]
	ds_load_b128 v[13:16], v45 offset:48
	ds_load_b128 v[17:20], v100 offset:80
	;; [unrolled: 1-line block ×6, first 2 shown]
	v_fma_f64 v[25:26], -v[71:72], v[27:28], v[25:26]
	v_fma_f64 v[27:28], -v[75:76], v[52:53], v[50:51]
	;; [unrolled: 1-line block ×6, first 2 shown]
	s_waitcnt lgkmcnt(5)
	v_fma_f64 v[13:14], -v[73:74], v[13:14], v[159:160]
	v_fma_f64 v[41:42], -v[77:78], v[41:42], v[161:162]
	s_waitcnt lgkmcnt(4)
	v_fma_f64 v[17:18], -v[81:82], v[17:18], v[163:164]
	v_mul_f64 v[58:59], v[117:118], v[58:59]
	v_fma_f64 v[91:92], -v[67:68], v[133:134], v[115:116]
	v_fma_f64 v[54:55], -v[9:10], v[113:114], v[111:112]
	s_waitcnt lgkmcnt(3)
	v_fma_f64 v[21:22], -v[5:6], v[21:22], v[167:168]
	v_fma_f64 v[56:57], -v[1:2], v[121:122], v[119:120]
	;; [unrolled: 1-line block ×12, first 2 shown]
	ds_load_b128 v[13:16], v12 offset:48
	ds_load_b128 v[17:20], v102 offset:80
	v_fma_f64 v[91:92], -v[69:70], v[151:152], v[91:92]
	v_fma_f64 v[54:55], -v[5:6], v[127:128], v[54:55]
	;; [unrolled: 1-line block ×5, first 2 shown]
	ds_load_b128 v[21:24], v98 offset:112
	ds_load_b64 v[117:118], v8
	ds_load_b128 v[25:28], v98 offset:128
	ds_load_b128 v[33:36], v102 offset:96
	;; [unrolled: 1-line block ×3, first 2 shown]
	v_mov_b32_e32 v8, s39
	s_mul_i32 s39, s45, 0x208
	v_fma_f64 v[145:146], -v[79:80], v[145:146], v[109:110]
	v_fma_f64 v[147:148], -v[9:10], v[137:138], v[52:53]
	s_waitcnt lgkmcnt(6)
	v_fma_f64 v[13:14], -v[73:74], v[13:14], v[46:47]
	v_fma_f64 v[139:140], -v[75:76], v[149:150], v[48:49]
	v_fma_f64 v[143:144], -v[77:78], v[155:156], v[107:108]
	s_waitcnt lgkmcnt(5)
	v_fma_f64 v[17:18], -v[81:82], v[17:18], v[41:42]
	;; [unrolled: 4-line block ×3, first 2 shown]
	v_fma_f64 v[153:154], -v[71:72], v[153:154], v[91:92]
	v_fma_f64 v[149:150], -v[1:2], v[129:130], v[54:55]
	;; [unrolled: 1-line block ×4, first 2 shown]
	s_waitcnt lgkmcnt(3)
	v_mul_f64 v[155:156], v[117:118], v[115:116]
	ds_load_b128 v[41:44], v11 offset:64
	ds_load_b128 v[46:49], v90 offset:80
	ds_load_b128 v[50:53], v101 offset:96
	ds_load_b128 v[54:57], v99 offset:112
	ds_load_b128 v[107:110], v97 offset:128
	ds_load_b128 v[91:94], v93 offset:144
	ds_load_b128 v[111:114], v7 offset:48
	ds_load_b128 v[115:118], v97 offset:144
	ds_load_b128 v[119:122], v99 offset:128
	ds_load_b128 v[123:126], v101 offset:112
	ds_load_b128 v[127:130], v90 offset:96
	ds_load_b128 v[131:134], v11 offset:80
	ds_load_b128 v[135:138], v7 offset:64
	s_waitcnt lgkmcnt(11)
	v_fma_f64 v[46:47], -v[81:82], v[46:47], v[145:146]
	s_waitcnt lgkmcnt(9)
	v_fma_f64 v[54:55], -v[5:6], v[54:55], v[147:148]
	v_fma_f64 v[159:160], -v[75:76], v[15:16], v[13:14]
	;; [unrolled: 1-line block ×8, first 2 shown]
	ds_load_b128 v[13:16], v45 offset:80
	ds_load_b128 v[17:20], v100 offset:112
	;; [unrolled: 1-line block ×3, first 2 shown]
	s_waitcnt lgkmcnt(9)
	v_fma_f64 v[111:112], -v[73:74], v[111:112], v[153:154]
	v_fma_f64 v[107:108], -v[3:4], v[107:108], v[149:150]
	;; [unrolled: 1-line block ×3, first 2 shown]
	ds_load_b64 v[95:96], v8
	ds_load_b128 v[29:32], v100 offset:128
	ds_load_b128 v[103:106], v45 offset:96
	v_fma_f64 v[91:92], -v[155:156], v[91:92], v[151:152]
	v_mov_b32_e32 v8, s39
	s_mul_i32 s39, s48, 0x208
	v_fma_f64 v[37:38], -v[77:78], v[37:38], v[159:160]
	v_fma_f64 v[41:42], -v[79:80], v[43:44], v[41:42]
	s_waitcnt lgkmcnt(5)
	v_fma_f64 v[13:14], -v[81:82], v[13:14], v[139:140]
	v_fma_f64 v[43:44], -v[83:84], v[48:49], v[46:47]
	;; [unrolled: 1-line block ×4, first 2 shown]
	s_waitcnt lgkmcnt(4)
	v_fma_f64 v[17:18], -v[5:6], v[17:18], v[141:142]
	v_fma_f64 v[48:49], -v[1:2], v[56:57], v[54:55]
	;; [unrolled: 1-line block ×5, first 2 shown]
	s_waitcnt lgkmcnt(3)
	v_fma_f64 v[21:22], -v[155:156], v[21:22], v[147:148]
	v_mul_f64 v[139:140], v[93:94], v[91:92]
	v_fma_f64 v[54:55], -v[79:80], v[39:40], v[37:38]
	v_fma_f64 v[41:42], -v[81:82], v[131:132], v[41:42]
	;; [unrolled: 1-line block ×12, first 2 shown]
	ds_load_b128 v[13:16], v12 offset:80
	ds_load_b128 v[17:20], v102 offset:112
	;; [unrolled: 1-line block ×6, first 2 shown]
	s_waitcnt lgkmcnt(5)
	v_fma_f64 v[13:14], -v[81:82], v[13:14], v[54:55]
	v_fma_f64 v[127:128], -v[83:84], v[133:134], v[41:42]
	;; [unrolled: 1-line block ×4, first 2 shown]
	s_waitcnt lgkmcnt(4)
	v_fma_f64 v[17:18], -v[5:6], v[17:18], v[91:92]
	v_fma_f64 v[131:132], -v[1:2], v[125:126], v[46:47]
	;; [unrolled: 1-line block ×4, first 2 shown]
	s_waitcnt lgkmcnt(3)
	v_fma_f64 v[21:22], -v[155:156], v[21:22], v[107:108]
	v_fma_f64 v[137:138], -v[79:80], v[137:138], v[52:53]
	;; [unrolled: 1-line block ×3, first 2 shown]
	v_mul_f64 v[141:142], v[95:96], v[109:110]
	ds_load_b128 v[41:44], v11 offset:96
	ds_load_b128 v[46:49], v90 offset:112
	;; [unrolled: 1-line block ×11, first 2 shown]
	v_fma_f64 v[143:144], -v[83:84], v[15:16], v[13:14]
	s_waitcnt lgkmcnt(10)
	v_fma_f64 v[41:42], -v[85:86], v[41:42], v[127:128]
	v_fma_f64 v[103:104], -v[9:10], v[105:106], v[103:104]
	s_waitcnt lgkmcnt(9)
	v_fma_f64 v[46:47], -v[5:6], v[46:47], v[129:130]
	;; [unrolled: 3-line block ×4, first 2 shown]
	v_fma_f64 v[129:130], -v[139:140], v[23:24], v[21:22]
	ds_load_b128 v[13:16], v45 offset:112
	ds_load_b128 v[17:20], v100 offset:144
	;; [unrolled: 1-line block ×4, first 2 shown]
	s_waitcnt lgkmcnt(9)
	v_fma_f64 v[95:96], -v[81:82], v[95:96], v[137:138]
	v_fma_f64 v[91:92], -v[141:142], v[91:92], v[135:136]
	v_fma_f64 v[37:38], -v[85:86], v[37:38], v[143:144]
	v_fma_f64 v[41:42], -v[9:10], v[43:44], v[41:42]
	s_waitcnt lgkmcnt(3)
	v_fma_f64 v[13:14], -v[5:6], v[13:14], v[103:104]
	v_fma_f64 v[43:44], -v[1:2], v[48:49], v[46:47]
	v_fma_f64 v[33:34], -v[3:4], v[33:34], v[105:106]
	v_fma_f64 v[46:47], -v[58:59], v[52:53], v[50:51]
	s_waitcnt lgkmcnt(2)
	v_fma_f64 v[17:18], -v[155:156], v[17:18], v[127:128]
	v_fma_f64 v[48:49], -v[139:140], v[56:57], v[54:55]
	v_fma_f64 v[25:26], -v[141:142], v[25:26], v[129:130]
	v_fma_f64 v[50:51], -v[83:84], v[97:98], v[95:96]
	v_mul_f64 v[127:128], v[93:94], v[91:92]
	v_fma_f64 v[37:38], -v[9:10], v[39:40], v[37:38]
	v_fma_f64 v[39:40], -v[5:6], v[119:120], v[41:42]
	;; [unrolled: 1-line block ×8, first 2 shown]
	ds_load_b128 v[13:16], v12 offset:112
	v_fma_f64 v[50:51], -v[85:86], v[123:124], v[50:51]
	v_fma_f64 v[56:57], -v[127:128], v[27:28], v[25:26]
	ds_load_b128 v[17:20], v102 offset:144
	ds_load_b64 v[91:92], v8
	ds_load_b128 v[25:28], v102 offset:160
	ds_load_b128 v[33:36], v12 offset:128
	v_mov_b32_e32 v8, s39
	s_mul_i32 s39, s50, 0x208
	s_waitcnt lgkmcnt(4)
	v_fma_f64 v[13:14], -v[5:6], v[13:14], v[37:38]
	v_fma_f64 v[111:112], -v[1:2], v[121:122], v[39:40]
	;; [unrolled: 1-line block ×4, first 2 shown]
	s_waitcnt lgkmcnt(3)
	v_fma_f64 v[17:18], -v[155:156], v[17:18], v[52:53]
	v_fma_f64 v[113:114], -v[139:140], v[113:114], v[46:47]
	;; [unrolled: 1-line block ×5, first 2 shown]
	s_waitcnt lgkmcnt(2)
	v_mul_f64 v[119:120], v[91:92], v[56:57]
	ds_load_b128 v[37:40], v11 offset:128
	ds_load_b128 v[41:44], v90 offset:144
	;; [unrolled: 1-line block ×9, first 2 shown]
	v_fma_f64 v[123:124], -v[1:2], v[15:16], v[13:14]
	s_waitcnt lgkmcnt(8)
	v_fma_f64 v[37:38], -v[3:4], v[37:38], v[111:112]
	v_fma_f64 v[29:30], -v[58:59], v[31:32], v[29:30]
	s_waitcnt lgkmcnt(7)
	v_fma_f64 v[31:32], -v[155:156], v[41:42], v[115:116]
	;; [unrolled: 3-line block ×3, first 2 shown]
	v_fma_f64 v[111:112], -v[127:128], v[23:24], v[21:22]
	ds_load_b128 v[13:16], v45 offset:144
	ds_load_b128 v[17:20], v100 offset:176
	ds_load_b64 v[99:100], v8
	ds_load_b128 v[21:24], v45 offset:160
	v_mov_b32_e32 v8, s39
	s_mul_i32 s39, s53, 0x208
	s_waitcnt lgkmcnt(8)
	v_fma_f64 v[54:55], -v[5:6], v[54:55], v[121:122]
	v_fma_f64 v[50:51], -v[119:120], v[50:51], v[117:118]
	;; [unrolled: 1-line block ×4, first 2 shown]
	s_waitcnt lgkmcnt(3)
	v_fma_f64 v[13:14], -v[155:156], v[13:14], v[29:30]
	v_fma_f64 v[29:30], -v[139:140], v[43:44], v[31:32]
	;; [unrolled: 1-line block ×4, first 2 shown]
	s_waitcnt lgkmcnt(2)
	v_fma_f64 v[17:18], -v[119:120], v[17:18], v[111:112]
	v_fma_f64 v[39:40], -v[1:2], v[56:57], v[54:55]
	v_mul_f64 v[111:112], v[52:53], v[50:51]
	v_fma_f64 v[33:34], -v[58:59], v[35:36], v[33:34]
	v_fma_f64 v[35:36], -v[155:156], v[103:104], v[37:38]
	;; [unrolled: 1-line block ×8, first 2 shown]
	ds_load_b128 v[13:16], v12 offset:144
	ds_load_b128 v[17:20], v102 offset:176
	;; [unrolled: 1-line block ×4, first 2 shown]
	s_waitcnt lgkmcnt(3)
	v_fma_f64 v[13:14], -v[155:156], v[13:14], v[33:34]
	v_fma_f64 v[95:96], -v[139:140], v[105:106], v[35:36]
	;; [unrolled: 1-line block ×4, first 2 shown]
	s_waitcnt lgkmcnt(2)
	v_fma_f64 v[17:18], -v[119:120], v[17:18], v[43:44]
	v_fma_f64 v[102:103], -v[111:112], v[93:94], v[46:47]
	;; [unrolled: 1-line block ×3, first 2 shown]
	v_mul_f64 v[99:100], v[99:100], v[48:49]
	ds_load_b128 v[33:36], v11 offset:160
	ds_load_b128 v[37:40], v90 offset:176
	;; [unrolled: 1-line block ×7, first 2 shown]
	v_fma_f64 v[106:107], -v[139:140], v[15:16], v[13:14]
	s_waitcnt lgkmcnt(6)
	v_fma_f64 v[33:34], -v[141:142], v[33:34], v[95:96]
	v_fma_f64 v[21:22], -v[127:128], v[23:24], v[21:22]
	s_waitcnt lgkmcnt(5)
	v_fma_f64 v[23:24], -v[119:120], v[37:38], v[97:98]
	v_fma_f64 v[37:38], -v[111:112], v[19:20], v[17:18]
	ds_load_b128 v[13:16], v45 offset:176
	ds_load_b128 v[17:20], v45 offset:192
	s_waitcnt lgkmcnt(5)
	v_fma_f64 v[46:47], -v[155:156], v[46:47], v[104:105]
	v_fma_f64 v[41:42], -v[99:100], v[41:42], v[102:103]
	;; [unrolled: 1-line block ×4, first 2 shown]
	s_waitcnt lgkmcnt(1)
	v_fma_f64 v[13:14], -v[119:120], v[13:14], v[21:22]
	v_fma_f64 v[21:22], -v[111:112], v[39:40], v[23:24]
	;; [unrolled: 1-line block ×4, first 2 shown]
	v_mul_f64 v[95:96], v[43:44], v[41:42]
	v_fma_f64 v[29:30], -v[127:128], v[31:32], v[29:30]
	v_fma_f64 v[31:32], -v[119:120], v[54:55], v[33:34]
	;; [unrolled: 1-line block ×6, first 2 shown]
	ds_load_b128 v[13:16], v12 offset:176
	ds_load_b64 v[37:38], v8
	ds_load_b128 v[21:24], v12 offset:192
	v_mov_b32_e32 v8, s39
	s_mul_i32 s39, s55, 0x208
	s_waitcnt lgkmcnt(2)
	v_fma_f64 v[13:14], -v[119:120], v[13:14], v[29:30]
	v_fma_f64 v[46:47], -v[111:112], v[56:57], v[31:32]
	;; [unrolled: 1-line block ×5, first 2 shown]
	s_waitcnt lgkmcnt(1)
	v_mul_f64 v[50:51], v[37:38], v[27:28]
	ds_load_b128 v[25:28], v11 offset:192
	ds_load_b128 v[29:32], v90 offset:208
	;; [unrolled: 1-line block ×5, first 2 shown]
	v_fma_f64 v[54:55], -v[111:112], v[15:16], v[13:14]
	s_waitcnt lgkmcnt(4)
	v_fma_f64 v[25:26], -v[99:100], v[25:26], v[46:47]
	v_fma_f64 v[17:18], -v[95:96], v[19:20], v[17:18]
	ds_load_b128 v[13:16], v45 offset:208
	s_waitcnt lgkmcnt(4)
	v_fma_f64 v[19:20], -v[50:51], v[29:30], v[48:49]
	s_waitcnt lgkmcnt(3)
	v_fma_f64 v[29:30], -v[119:120], v[33:34], v[52:53]
	ds_load_b64 v[33:34], v8
	v_mov_b32_e32 v8, s39
	v_fma_f64 v[21:22], -v[99:100], v[21:22], v[54:55]
	v_fma_f64 v[25:26], -v[95:96], v[27:28], v[25:26]
	s_waitcnt lgkmcnt(1)
	v_fma_f64 v[13:14], -v[50:51], v[13:14], v[17:18]
	v_mul_f64 v[31:32], v[31:32], v[19:20]
	v_fma_f64 v[17:18], -v[111:112], v[35:36], v[29:30]
	v_fma_f64 v[21:22], -v[95:96], v[23:24], v[21:22]
	;; [unrolled: 1-line block ×3, first 2 shown]
	s_delay_alu instid0(VALU_DEP_4) | instskip(NEXT) | instid1(VALU_DEP_4)
	v_fma_f64 v[25:26], -v[31:32], v[15:16], v[13:14]
	v_fma_f64 v[27:28], -v[99:100], v[41:42], v[17:18]
	ds_load_b128 v[13:16], v12 offset:208
	ds_load_b128 v[17:20], v12 offset:224
	v_fma_f64 v[35:36], -v[31:32], v[39:40], v[23:24]
	s_waitcnt lgkmcnt(1)
	v_fma_f64 v[29:30], -v[50:51], v[13:14], v[21:22]
	v_mul_f64 v[33:34], v[33:34], v[25:26]
	v_fma_f64 v[37:38], -v[95:96], v[43:44], v[27:28]
	ds_load_b128 v[11:14], v11 offset:224
	ds_load_b128 v[21:24], v7 offset:208
	;; [unrolled: 1-line block ×3, first 2 shown]
	ds_store_b64 v89, v[61:62]
	v_fma_f64 v[15:16], -v[31:32], v[15:16], v[29:30]
	s_waitcnt lgkmcnt(3)
	v_fma_f64 v[11:12], -v[33:34], v[11:12], v[35:36]
	s_waitcnt lgkmcnt(2)
	v_fma_f64 v[21:22], -v[50:51], v[21:22], v[37:38]
	s_delay_alu instid0(VALU_DEP_3) | instskip(NEXT) | instid1(VALU_DEP_3)
	v_fma_f64 v[15:16], -v[33:34], v[17:18], v[15:16]
	v_mul_f64 v[17:18], v[13:14], v[11:12]
	s_delay_alu instid0(VALU_DEP_3)
	v_fma_f64 v[11:12], -v[31:32], v[23:24], v[21:22]
	v_or_b32_e32 v21, s12, v0
	v_or_b32_e32 v22, s13, v0
	;; [unrolled: 1-line block ×4, first 2 shown]
	v_fma_f64 v[13:14], -v[17:18], v[19:20], v[15:16]
	s_waitcnt lgkmcnt(1)
	v_fma_f64 v[11:12], -v[33:34], v[25:26], v[11:12]
	ds_load_b64 v[15:16], v8
	v_or_b32_e32 v8, s9, v0
	v_or_b32_e32 v25, s20, v0
	;; [unrolled: 1-line block ×3, first 2 shown]
	s_add_i32 s9, s8, 32
	s_add_i32 s8, s8, 63
	s_delay_alu instid0(SALU_CYCLE_1)
	s_cmp_lt_i32 s8, s28
	s_waitcnt lgkmcnt(0)
	v_mul_f64 v[15:16], v[15:16], v[13:14]
	v_fma_f64 v[19:20], -v[17:18], v[27:28], v[11:12]
	ds_load_b128 v[11:14], v7 offset:240
	v_lshlrev_b32_e32 v7, 3, v8
	v_lshlrev_b32_e32 v8, 3, v21
	;; [unrolled: 1-line block ×4, first 2 shown]
	ds_store_b64 v7, v[63:64] offset:32768
	ds_store_b64 v8, v[65:66] offset:32768
	;; [unrolled: 1-line block ×4, first 2 shown]
	v_or_b32_e32 v23, s15, v0
	v_lshlrev_b32_e32 v22, 3, v24
	v_lshlrev_b32_e32 v24, 3, v26
	v_or_b32_e32 v26, s23, v0
	s_delay_alu instid0(VALU_DEP_4)
	v_lshlrev_b32_e32 v21, 3, v23
	v_lshlrev_b32_e32 v23, 3, v25
	v_or_b32_e32 v25, s22, v0
	ds_store_b64 v21, v[71:72] offset:32768
	ds_store_b64 v22, v[73:74] offset:32768
	;; [unrolled: 1-line block ×4, first 2 shown]
	v_or_b32_e32 v21, s26, v0
	v_or_b32_e32 v22, s30, v0
	;; [unrolled: 1-line block ×4, first 2 shown]
	s_delay_alu instid0(VALU_DEP_4) | instskip(NEXT) | instid1(VALU_DEP_4)
	v_lshlrev_b32_e32 v21, 3, v21
	v_lshlrev_b32_e32 v22, 3, v22
	s_delay_alu instid0(VALU_DEP_4)
	v_lshlrev_b32_e32 v23, 3, v23
	s_waitcnt lgkmcnt(8)
	v_fma_f64 v[7:8], -v[15:16], v[11:12], v[19:20]
	v_or_b32_e32 v19, s24, v0
	v_or_b32_e32 v20, s25, v0
	v_lshlrev_b32_e32 v11, 3, v25
	v_lshlrev_b32_e32 v12, 3, v26
	s_delay_alu instid0(VALU_DEP_4) | instskip(NEXT) | instid1(VALU_DEP_4)
	v_lshlrev_b32_e32 v19, 3, v19
	v_lshlrev_b32_e32 v20, 3, v20
	ds_store_b64 v11, v[79:80] offset:32768
	ds_store_b64 v12, v[81:82] offset:32768
	;; [unrolled: 1-line block ×7, first 2 shown]
	v_lshlrev_b32_e32 v1, 3, v24
	v_or_b32_e32 v2, s34, v0
	v_or_b32_e32 v5, s35, v0
	;; [unrolled: 1-line block ×4, first 2 shown]
	ds_store_b64 v1, v[3:4] offset:32768
	v_lshlrev_b32_e32 v3, 3, v2
	v_lshlrev_b32_e32 v4, 3, v5
	;; [unrolled: 1-line block ×4, first 2 shown]
	v_or_b32_e32 v9, s38, v0
	v_or_b32_e32 v10, s40, v0
	v_or_b32_e32 v11, s43, v0
	ds_store_b64 v3, v[58:59] offset:32768
	ds_store_b64 v4, v[155:156] offset:32768
	;; [unrolled: 1-line block ×4, first 2 shown]
	v_lshlrev_b32_e32 v3, 3, v9
	v_lshlrev_b32_e32 v4, 3, v10
	v_lshlrev_b32_e32 v5, 3, v11
	v_or_b32_e32 v9, s51, v0
	v_or_b32_e32 v10, s52, v0
	v_mul_f64 v[1:2], v[13:14], v[7:8]
	v_or_b32_e32 v7, s46, v0
	v_or_b32_e32 v8, s49, v0
	s_delay_alu instid0(VALU_DEP_2)
	v_lshlrev_b32_e32 v6, 3, v7
	v_or_b32_e32 v7, s47, v0
	ds_store_b64 v3, v[127:128] offset:32768
	ds_store_b64 v4, v[119:120] offset:32768
	;; [unrolled: 1-line block ×4, first 2 shown]
	v_lshlrev_b32_e32 v4, 3, v8
	v_or_b32_e32 v8, s54, v0
	v_lshlrev_b32_e32 v5, 3, v9
	v_lshlrev_b32_e32 v3, 3, v7
	v_or_b32_e32 v7, s44, v0
	v_or_b32_e32 v9, s27, v0
	v_lshlrev_b32_e32 v6, 3, v10
	ds_store_b64 v3, v[95:96] offset:32768
	ds_store_b64 v4, v[50:51] offset:32768
	;; [unrolled: 1-line block ×4, first 2 shown]
	v_lshlrev_b32_e32 v3, 3, v7
	v_lshlrev_b32_e32 v4, 3, v8
	;; [unrolled: 1-line block ×3, first 2 shown]
	ds_store_b64 v3, v[17:18] offset:32768
	ds_store_b64 v4, v[15:16] offset:32768
	;; [unrolled: 1-line block ×3, first 2 shown]
	s_cbranch_scc0 .LBB107_25
; %bb.24:                               ;   in Loop: Header=BB107_20 Depth=1
	s_mov_b32 s8, s9
	s_branch .LBB107_20
.LBB107_25:
	s_cmp_lt_i32 s9, s28
	s_cbranch_scc0 .LBB107_50
; %bb.26:
	s_add_i32 s4, s9, 3
	s_delay_alu instid0(SALU_CYCLE_1)
	s_cmp_ge_i32 s4, s28
	s_cbranch_scc1 .LBB107_38
; %bb.27:
	v_lshl_or_b32 v9, v0, 3, 0x8000
	v_lshlrev_b32_e32 v10, 3, v0
	s_add_i32 s4, s9, -1
	s_lshl_b32 s8, s9, 9
	s_and_b32 s12, s9, -4
	s_and_b32 s13, s9, 3
	s_mov_b32 s14, 0
.LBB107_28:                             ; =>This Loop Header: Depth=1
                                        ;     Child Loop BB107_31 Depth 2
                                        ;     Child Loop BB107_35 Depth 2
	v_lshl_or_b32 v11, s9, 9, v10
	s_cmp_eq_u32 s9, 0
	ds_load_2addr_stride64_b64 v[5:8], v11 offset0:64 offset1:65
	ds_load_2addr_stride64_b64 v[1:4], v11 offset0:66 offset1:67
	s_cbranch_scc1 .LBB107_36
; %bb.29:                               ;   in Loop: Header=BB107_28 Depth=1
	s_lshl_b32 s15, s14, 2
	s_delay_alu instid0(SALU_CYCLE_1) | instskip(NEXT) | instid1(SALU_CYCLE_1)
	s_add_i32 s15, s4, s15
	s_cmp_lt_u32 s15, 3
	s_cbranch_scc1 .LBB107_33
; %bb.30:                               ;   in Loop: Header=BB107_28 Depth=1
	v_mov_b32_e32 v12, v9
	s_mov_b32 s15, 0
	s_mov_b32 s19, s8
.LBB107_31:                             ;   Parent Loop BB107_28 Depth=1
                                        ; =>  This Inner Loop Header: Depth=2
	s_delay_alu instid0(SALU_CYCLE_1)
	v_mov_b32_e32 v49, s19
	s_add_i32 s15, s15, 4
	s_add_i32 s19, s19, 32
	s_cmp_lg_u32 s12, s15
	ds_load_2addr_stride64_b64 v[13:16], v12 offset1:1
	ds_load_b128 v[17:20], v49
	ds_load_b128 v[21:24], v49 offset:512
	ds_load_b128 v[25:28], v49 offset:1024
	;; [unrolled: 1-line block ×3, first 2 shown]
	ds_load_2addr_stride64_b64 v[33:36], v12 offset0:2 offset1:3
	ds_load_b128 v[37:40], v49 offset:16
	ds_load_b128 v[41:44], v49 offset:528
	;; [unrolled: 1-line block ×4, first 2 shown]
	v_add_nc_u32_e32 v12, 0x800, v12
	s_waitcnt lgkmcnt(8)
	v_fma_f64 v[5:6], -v[13:14], v[17:18], v[5:6]
	s_waitcnt lgkmcnt(7)
	v_fma_f64 v[7:8], -v[13:14], v[21:22], v[7:8]
	s_waitcnt lgkmcnt(6)
	v_fma_f64 v[1:2], -v[13:14], v[25:26], v[1:2]
	s_waitcnt lgkmcnt(5)
	v_fma_f64 v[3:4], -v[13:14], v[29:30], v[3:4]
	s_delay_alu instid0(VALU_DEP_4) | instskip(NEXT) | instid1(VALU_DEP_4)
	v_fma_f64 v[5:6], -v[15:16], v[19:20], v[5:6]
	v_fma_f64 v[7:8], -v[15:16], v[23:24], v[7:8]
	s_delay_alu instid0(VALU_DEP_4) | instskip(NEXT) | instid1(VALU_DEP_4)
	v_fma_f64 v[1:2], -v[15:16], v[27:28], v[1:2]
	v_fma_f64 v[3:4], -v[15:16], v[31:32], v[3:4]
	s_waitcnt lgkmcnt(3)
	s_delay_alu instid0(VALU_DEP_4) | instskip(SKIP_1) | instid1(VALU_DEP_4)
	v_fma_f64 v[5:6], -v[33:34], v[37:38], v[5:6]
	s_waitcnt lgkmcnt(2)
	v_fma_f64 v[7:8], -v[33:34], v[41:42], v[7:8]
	s_waitcnt lgkmcnt(1)
	s_delay_alu instid0(VALU_DEP_4) | instskip(SKIP_1) | instid1(VALU_DEP_4)
	v_fma_f64 v[1:2], -v[33:34], v[45:46], v[1:2]
	s_waitcnt lgkmcnt(0)
	v_fma_f64 v[3:4], -v[33:34], v[49:50], v[3:4]
	s_delay_alu instid0(VALU_DEP_4) | instskip(NEXT) | instid1(VALU_DEP_4)
	v_fma_f64 v[5:6], -v[35:36], v[39:40], v[5:6]
	v_fma_f64 v[7:8], -v[35:36], v[43:44], v[7:8]
	s_delay_alu instid0(VALU_DEP_4) | instskip(NEXT) | instid1(VALU_DEP_4)
	v_fma_f64 v[1:2], -v[35:36], v[47:48], v[1:2]
	v_fma_f64 v[3:4], -v[35:36], v[51:52], v[3:4]
	s_cbranch_scc1 .LBB107_31
; %bb.32:                               ;   in Loop: Header=BB107_28 Depth=1
	s_mov_b32 s15, s12
	s_and_b32 s19, s9, 3
	s_delay_alu instid0(SALU_CYCLE_1)
	s_cmp_eq_u32 s19, 0
	s_cbranch_scc0 .LBB107_34
	s_branch .LBB107_36
.LBB107_33:                             ;   in Loop: Header=BB107_28 Depth=1
	s_mov_b32 s15, 0
	s_and_b32 s19, s9, 3
	s_delay_alu instid0(SALU_CYCLE_1)
	s_cmp_eq_u32 s19, 0
	s_cbranch_scc1 .LBB107_36
.LBB107_34:                             ;   in Loop: Header=BB107_28 Depth=1
	v_lshl_add_u32 v12, s15, 9, v9
	s_lshl_b32 s15, s15, 3
	s_mov_b32 s19, s13
	.p2align	6
.LBB107_35:                             ;   Parent Loop BB107_28 Depth=1
                                        ; =>  This Inner Loop Header: Depth=2
	s_add_i32 s20, s8, s15
	s_add_i32 s19, s19, -1
	v_mov_b32_e32 v17, s20
	s_add_i32 s15, s15, 8
	s_cmp_lg_u32 s19, 0
	ds_load_b64 v[21:22], v12
	ds_load_2addr_stride64_b64 v[13:16], v17 offset1:1
	ds_load_2addr_stride64_b64 v[17:20], v17 offset0:2 offset1:3
	v_add_nc_u32_e32 v12, 0x200, v12
	s_waitcnt lgkmcnt(1)
	v_fma_f64 v[5:6], -v[21:22], v[13:14], v[5:6]
	v_fma_f64 v[7:8], -v[21:22], v[15:16], v[7:8]
	s_waitcnt lgkmcnt(0)
	v_fma_f64 v[1:2], -v[21:22], v[17:18], v[1:2]
	v_fma_f64 v[3:4], -v[21:22], v[19:20], v[3:4]
	s_cbranch_scc1 .LBB107_35
.LBB107_36:                             ;   in Loop: Header=BB107_28 Depth=1
	s_mul_i32 s15, s9, 0x208
	s_delay_alu instid0(SALU_CYCLE_1)
	v_dual_mov_b32 v12, s15 :: v_dual_add_nc_u32 v11, 0x8000, v11
	s_lshl_b32 s15, s9, 6
	s_add_i32 s14, s14, 1
	s_add_i32 s19, s15, 64
	s_addk_i32 s8, 0x800
	ds_load_2addr_b64 v[12:15], v12 offset1:130
	s_add_i32 s20, s19, s9
	s_add_i32 s12, s12, 4
	s_lshl_b32 s20, s20, 3
	s_waitcnt lgkmcnt(0)
	v_mul_f64 v[12:13], v[12:13], v[5:6]
	v_mov_b32_e32 v5, s20
	s_add_i32 s20, s15, 0x80
	s_addk_i32 s15, 0xc0
	s_add_i32 s21, s20, s9
	ds_load_2addr_b64 v[16:19], v5 offset1:1
	s_lshl_b32 s21, s21, 3
	s_delay_alu instid0(SALU_CYCLE_1) | instskip(SKIP_1) | instid1(SALU_CYCLE_1)
	v_mov_b32_e32 v5, s21
	s_add_i32 s21, s15, s9
	s_lshl_b32 s21, s21, 3
	ds_load_2addr_b64 v[20:23], v5 offset1:1
	s_waitcnt lgkmcnt(1)
	v_fma_f64 v[5:6], -v[12:13], v[16:17], v[7:8]
	s_waitcnt lgkmcnt(0)
	v_fma_f64 v[1:2], -v[12:13], v[20:21], v[1:2]
	v_mov_b32_e32 v16, s21
	s_delay_alu instid0(VALU_DEP_3)
	v_mul_f64 v[20:21], v[18:19], v[5:6]
	ds_load_2addr_b64 v[5:8], v16 offset1:1
	ds_load_2addr_b64 v[16:19], v16 offset0:2 offset1:3
	ds_store_b64 v11, v[12:13]
	s_waitcnt lgkmcnt(2)
	v_fma_f64 v[3:4], -v[12:13], v[5:6], v[3:4]
	v_or_b32_e32 v5, s19, v0
	v_or_b32_e32 v6, s20, v0
	s_delay_alu instid0(VALU_DEP_2) | instskip(NEXT) | instid1(VALU_DEP_2)
	v_lshlrev_b32_e32 v5, 3, v5
	v_lshlrev_b32_e32 v6, 3, v6
	v_fma_f64 v[1:2], -v[20:21], v[22:23], v[1:2]
	v_fma_f64 v[3:4], -v[20:21], v[7:8], v[3:4]
	v_or_b32_e32 v7, s15, v0
	s_add_i32 s15, s9, 4
	s_add_i32 s9, s9, 7
	s_delay_alu instid0(SALU_CYCLE_1) | instskip(NEXT) | instid1(VALU_DEP_1)
	s_cmp_lt_i32 s9, s28
	v_lshlrev_b32_e32 v7, 3, v7
	s_delay_alu instid0(VALU_DEP_4) | instskip(SKIP_1) | instid1(VALU_DEP_1)
	v_mul_f64 v[1:2], v[14:15], v[1:2]
	s_waitcnt lgkmcnt(1)
	v_fma_f64 v[3:4], -v[1:2], v[16:17], v[3:4]
	s_delay_alu instid0(VALU_DEP_1)
	v_mul_f64 v[3:4], v[18:19], v[3:4]
	ds_store_b64 v5, v[20:21] offset:32768
	ds_store_b64 v6, v[1:2] offset:32768
	;; [unrolled: 1-line block ×3, first 2 shown]
	s_cbranch_scc0 .LBB107_39
; %bb.37:                               ;   in Loop: Header=BB107_28 Depth=1
	s_mov_b32 s9, s15
	s_branch .LBB107_28
.LBB107_38:
	s_mov_b32 s15, s9
.LBB107_39:
	s_delay_alu instid0(SALU_CYCLE_1)
	s_cmp_ge_i32 s15, s28
	s_cbranch_scc1 .LBB107_50
; %bb.40:
	v_lshl_or_b32 v3, v0, 3, 0x8000
	v_lshlrev_b32_e32 v4, 3, v0
	s_add_i32 s4, s15, -1
	s_lshl_b32 s8, s15, 9
	s_mov_b32 s9, 0
	s_mov_b32 s12, s15
	s_branch .LBB107_42
.LBB107_41:                             ;   in Loop: Header=BB107_42 Depth=1
	s_mul_i32 s13, s15, 0x208
	s_delay_alu instid0(SALU_CYCLE_1)
	v_dual_mov_b32 v6, s13 :: v_dual_add_nc_u32 v5, 0x8000, v5
	s_add_i32 s15, s15, 1
	s_add_i32 s9, s9, 1
	s_addk_i32 s8, 0x200
	s_cmp_ge_i32 s15, s28
	ds_load_b64 v[6:7], v6
	s_waitcnt lgkmcnt(0)
	v_mul_f64 v[1:2], v[6:7], v[1:2]
	v_add_nc_u16 v6, s12, 1
	s_delay_alu instid0(VALU_DEP_1)
	v_readfirstlane_b32 s12, v6
	ds_store_b64 v5, v[1:2]
	s_cbranch_scc1 .LBB107_50
.LBB107_42:                             ; =>This Loop Header: Depth=1
                                        ;     Child Loop BB107_45 Depth 2
                                        ;     Child Loop BB107_49 Depth 2
	v_lshl_or_b32 v5, s15, 9, v4
	s_cmp_eq_u32 s15, 0
	ds_load_b64 v[1:2], v5 offset:32768
	s_cbranch_scc1 .LBB107_41
; %bb.43:                               ;   in Loop: Header=BB107_42 Depth=1
	s_add_i32 s13, s4, s9
	s_delay_alu instid0(SALU_CYCLE_1)
	s_cmp_lt_u32 s13, 7
	s_cbranch_scc1 .LBB107_47
; %bb.44:                               ;   in Loop: Header=BB107_42 Depth=1
	v_mov_b32_e32 v6, v3
	s_and_b32 s13, s15, -8
	s_mov_b32 s14, 0
	s_mov_b32 s19, s8
	s_set_inst_prefetch_distance 0x1
	.p2align	6
.LBB107_45:                             ;   Parent Loop BB107_42 Depth=1
                                        ; =>  This Inner Loop Header: Depth=2
	v_mov_b32_e32 v23, s19
	s_add_i32 s14, s14, 8
	s_add_i32 s19, s19, 64
	s_cmp_lg_u32 s13, s14
	ds_load_2addr_stride64_b64 v[7:10], v6 offset1:1
	ds_load_b128 v[11:14], v23
	ds_load_2addr_stride64_b64 v[15:18], v6 offset0:2 offset1:3
	ds_load_b128 v[19:22], v23 offset:16
	s_waitcnt lgkmcnt(2)
	v_fma_f64 v[1:2], -v[7:8], v[11:12], v[1:2]
	s_delay_alu instid0(VALU_DEP_1) | instskip(SKIP_1) | instid1(VALU_DEP_1)
	v_fma_f64 v[1:2], -v[9:10], v[13:14], v[1:2]
	s_waitcnt lgkmcnt(0)
	v_fma_f64 v[1:2], -v[15:16], v[19:20], v[1:2]
	s_delay_alu instid0(VALU_DEP_1)
	v_fma_f64 v[1:2], -v[17:18], v[21:22], v[1:2]
	ds_load_2addr_stride64_b64 v[7:10], v6 offset0:4 offset1:5
	ds_load_b128 v[11:14], v23 offset:32
	ds_load_2addr_stride64_b64 v[15:18], v6 offset0:6 offset1:7
	ds_load_b128 v[19:22], v23 offset:48
	v_add_nc_u32_e32 v6, 0x1000, v6
	s_waitcnt lgkmcnt(2)
	v_fma_f64 v[1:2], -v[7:8], v[11:12], v[1:2]
	s_delay_alu instid0(VALU_DEP_1) | instskip(SKIP_1) | instid1(VALU_DEP_1)
	v_fma_f64 v[1:2], -v[9:10], v[13:14], v[1:2]
	s_waitcnt lgkmcnt(0)
	v_fma_f64 v[1:2], -v[15:16], v[19:20], v[1:2]
	s_delay_alu instid0(VALU_DEP_1)
	v_fma_f64 v[1:2], -v[17:18], v[21:22], v[1:2]
	s_cbranch_scc1 .LBB107_45
; %bb.46:                               ;   in Loop: Header=BB107_42 Depth=1
	s_set_inst_prefetch_distance 0x2
	s_and_b32 s14, s15, 7
	s_delay_alu instid0(SALU_CYCLE_1)
	s_cmp_eq_u32 s14, 0
	s_cbranch_scc0 .LBB107_48
	s_branch .LBB107_41
.LBB107_47:                             ;   in Loop: Header=BB107_42 Depth=1
	s_mov_b32 s13, 0
	s_and_b32 s14, s15, 7
	s_delay_alu instid0(SALU_CYCLE_1)
	s_cmp_eq_u32 s14, 0
	s_cbranch_scc1 .LBB107_41
.LBB107_48:                             ;   in Loop: Header=BB107_42 Depth=1
	v_lshl_add_u32 v6, s13, 9, v3
	s_and_b32 s14, s12, 7
	s_lshl_b32 s13, s13, 3
.LBB107_49:                             ;   Parent Loop BB107_42 Depth=1
                                        ; =>  This Inner Loop Header: Depth=2
	s_delay_alu instid0(SALU_CYCLE_1)
	s_add_i32 s19, s8, s13
	s_add_i32 s14, s14, -1
	v_mov_b32_e32 v9, s19
	s_add_i32 s13, s13, 8
	s_cmp_lg_u32 s14, 0
	ds_load_b64 v[7:8], v6
	ds_load_b64 v[9:10], v9
	v_add_nc_u32_e32 v6, 0x200, v6
	s_waitcnt lgkmcnt(0)
	v_fma_f64 v[1:2], -v[7:8], v[9:10], v[1:2]
	s_cbranch_scc1 .LBB107_49
	s_branch .LBB107_41
.LBB107_50:
	s_mov_b32 s4, 0
.LBB107_51:
	s_delay_alu instid0(SALU_CYCLE_1)
	s_and_b32 vcc_lo, exec_lo, s4
	s_cbranch_vccz .LBB107_79
; %bb.52:
	s_cmp_lt_i32 s6, 32
	s_mov_b32 s9, s29
	s_cbranch_scc1 .LBB107_58
; %bb.53:
	v_lshlrev_b32_e32 v187, 3, v0
	s_mul_i32 s4, s28, 0x208
	s_mov_b32 s8, s29
	s_addk_i32 s4, 0xfd00
	s_delay_alu instid0(VALU_DEP_1) | instskip(NEXT) | instid1(VALU_DEP_1)
	v_lshl_or_b32 v1, s28, 9, v187
	v_add_nc_u32_e32 v188, 0x7e00, v1
.LBB107_54:                             ; =>This Loop Header: Depth=1
                                        ;     Child Loop BB107_55 Depth 2
	s_lshl_b32 s12, s8, 6
	s_cmp_le_i32 s29, s8
	v_or_b32_e32 v1, s12, v0
	s_mov_b32 s9, s4
	s_mov_b32 s13, s29
	s_delay_alu instid0(VALU_DEP_1)
	v_dual_mov_b32 v66, v188 :: v_dual_lshlrev_b32 v65, 3, v1
	ds_load_2addr_stride64_b64 v[61:64], v65 offset0:63 offset1:64
	ds_load_2addr_stride64_b64 v[57:60], v65 offset0:61 offset1:62
	;; [unrolled: 1-line block ×16, first 2 shown]
	s_cbranch_scc1 .LBB107_56
.LBB107_55:                             ;   Parent Loop BB107_54 Depth=1
                                        ; =>  This Inner Loop Header: Depth=2
	v_mov_b32_e32 v127, s9
	s_add_i32 s13, s13, -1
	s_addk_i32 s9, 0xfe00
	s_cmp_gt_i32 s13, s8
	ds_load_b64 v[131:132], v66
	ds_load_2addr_b64 v[67:70], v127 offset0:30 offset1:31
	ds_load_2addr_b64 v[71:74], v127 offset0:28 offset1:29
	ds_load_2addr_b64 v[75:78], v127 offset0:26 offset1:27
	ds_load_2addr_b64 v[79:82], v127 offset0:24 offset1:25
	ds_load_2addr_b64 v[83:86], v127 offset0:22 offset1:23
	ds_load_2addr_b64 v[87:90], v127 offset0:20 offset1:21
	ds_load_2addr_b64 v[91:94], v127 offset0:18 offset1:19
	ds_load_2addr_b64 v[95:98], v127 offset0:16 offset1:17
	ds_load_2addr_b64 v[99:102], v127 offset0:14 offset1:15
	ds_load_2addr_b64 v[103:106], v127 offset0:12 offset1:13
	ds_load_2addr_b64 v[107:110], v127 offset0:10 offset1:11
	ds_load_2addr_b64 v[111:114], v127 offset0:8 offset1:9
	ds_load_2addr_b64 v[115:118], v127 offset0:6 offset1:7
	ds_load_2addr_b64 v[119:122], v127 offset0:4 offset1:5
	ds_load_2addr_b64 v[123:126], v127 offset0:2 offset1:3
	ds_load_2addr_b64 v[127:130], v127 offset1:1
	v_add_nc_u32_e32 v66, 0xfffffe00, v66
	s_waitcnt lgkmcnt(15)
	v_fma_f64 v[63:64], -v[131:132], v[69:70], v[63:64]
	v_fma_f64 v[61:62], -v[131:132], v[67:68], v[61:62]
	s_waitcnt lgkmcnt(14)
	v_fma_f64 v[59:60], -v[131:132], v[73:74], v[59:60]
	v_fma_f64 v[57:58], -v[131:132], v[71:72], v[57:58]
	;; [unrolled: 3-line block ×16, first 2 shown]
	s_cbranch_scc1 .LBB107_55
.LBB107_56:                             ;   in Loop: Header=BB107_54 Depth=1
	s_add_i32 s9, s8, -1
	s_add_i32 s15, s8, -3
	s_add_i32 s13, s9, s12
	s_lshl_b32 s14, s9, 6
	s_lshl_b32 s13, s13, 3
	s_delay_alu instid0(SALU_CYCLE_1)
	v_dual_mov_b32 v66, s13 :: v_dual_add_nc_u32 v65, 0x8000, v65
	s_mul_i32 s9, s8, 0x208
	s_add_i32 s20, s8, -5
	s_add_i32 s13, s9, 0xfffffdf8
	s_add_i32 s22, s8, -7
	ds_load_2addr_b64 v[66:69], v66 offset1:1
	s_add_i32 s23, s9, 0xfffff3d0
	s_add_i32 s24, s8, -9
	s_add_i32 s25, s9, 0xffffefc0
	s_add_i32 s26, s8, -11
	s_add_i32 s30, s8, -13
	;; [unrolled: 1-line block ×3, first 2 shown]
	s_sub_i32 s35, s8, 17
	s_sub_i32 s37, s8, 19
	;; [unrolled: 1-line block ×3, first 2 shown]
	s_addk_i32 s4, 0xff00
	s_waitcnt lgkmcnt(0)
	v_mul_f64 v[141:142], v[68:69], v[63:64]
	v_mov_b32_e32 v63, s13
	s_add_i32 s13, s15, s12
	s_delay_alu instid0(SALU_CYCLE_1)
	s_lshl_b32 s13, s13, 3
	ds_load_b64 v[63:64], v63
	v_fma_f64 v[61:62], -v[141:142], v[66:67], v[61:62]
	ds_store_b64 v65, v[141:142]
	s_waitcnt lgkmcnt(1)
	v_mul_f64 v[135:136], v[63:64], v[61:62]
	v_or_b32_e32 v61, s14, v0
	s_delay_alu instid0(VALU_DEP_1) | instskip(SKIP_3) | instid1(SALU_CYCLE_1)
	v_lshlrev_b32_e32 v61, 3, v61
	ds_store_b64 v61, v[135:136] offset:32768
	v_mov_b32_e32 v61, s13
	s_add_i32 s13, s15, s14
	s_lshl_b32 s13, s13, 3
	ds_load_2addr_b64 v[61:64], v61 offset1:1
	s_waitcnt lgkmcnt(0)
	v_fma_f64 v[59:60], -v[141:142], v[63:64], v[59:60]
	v_mov_b32_e32 v63, s13
	v_fma_f64 v[57:58], -v[141:142], v[61:62], v[57:58]
	s_add_i32 s13, s12, 0xffffff80
	s_delay_alu instid0(SALU_CYCLE_1)
	s_add_i32 s19, s15, s13
	ds_load_2addr_b64 v[63:66], v63 offset1:1
	s_lshl_b32 s19, s19, 3
	s_lshl_b32 s15, s15, 6
	s_waitcnt lgkmcnt(0)
	v_fma_f64 v[59:60], -v[135:136], v[65:66], v[59:60]
	v_mov_b32_e32 v65, s19
	v_fma_f64 v[57:58], -v[135:136], v[63:64], v[57:58]
	s_add_i32 s19, s9, 0xfffff9e8
	ds_load_2addr_b64 v[65:68], v65 offset1:1
	s_waitcnt lgkmcnt(0)
	v_mul_f64 v[133:134], v[67:68], v[59:60]
	v_or_b32_e32 v59, s13, v0
	s_delay_alu instid0(VALU_DEP_1) | instskip(NEXT) | instid1(VALU_DEP_3)
	v_lshlrev_b32_e32 v59, 3, v59
	v_fma_f64 v[57:58], -v[133:134], v[65:66], v[57:58]
	ds_store_b64 v59, v[133:134] offset:32768
	v_mov_b32_e32 v59, s19
	s_add_i32 s19, s20, s12
	s_delay_alu instid0(SALU_CYCLE_1) | instskip(SKIP_4) | instid1(VALU_DEP_1)
	s_lshl_b32 s19, s19, 3
	ds_load_b64 v[59:60], v59
	s_waitcnt lgkmcnt(0)
	v_mul_f64 v[127:128], v[59:60], v[57:58]
	v_or_b32_e32 v57, s15, v0
	v_lshlrev_b32_e32 v57, 3, v57
	ds_store_b64 v57, v[127:128] offset:32768
	v_mov_b32_e32 v57, s19
	s_add_i32 s19, s20, s14
	s_delay_alu instid0(SALU_CYCLE_1)
	s_lshl_b32 s19, s19, 3
	ds_load_2addr_b64 v[57:60], v57 offset1:1
	s_waitcnt lgkmcnt(0)
	v_fma_f64 v[55:56], -v[141:142], v[59:60], v[55:56]
	v_mov_b32_e32 v59, s19
	v_fma_f64 v[53:54], -v[141:142], v[57:58], v[53:54]
	s_add_i32 s19, s20, s13
	s_delay_alu instid0(SALU_CYCLE_1)
	s_lshl_b32 s19, s19, 3
	ds_load_2addr_b64 v[59:62], v59 offset1:1
	s_waitcnt lgkmcnt(0)
	v_fma_f64 v[55:56], -v[135:136], v[61:62], v[55:56]
	v_mov_b32_e32 v61, s19
	v_fma_f64 v[53:54], -v[135:136], v[59:60], v[53:54]
	;; [unrolled: 8-line block ×3, first 2 shown]
	s_add_i32 s19, s12, 0xffffff00
	s_delay_alu instid0(SALU_CYCLE_1)
	s_add_i32 s21, s20, s19
	ds_load_2addr_b64 v[63:66], v63 offset1:1
	s_lshl_b32 s21, s21, 3
	s_lshl_b32 s20, s20, 6
	s_waitcnt lgkmcnt(0)
	v_fma_f64 v[55:56], -v[127:128], v[65:66], v[55:56]
	v_mov_b32_e32 v65, s21
	v_fma_f64 v[53:54], -v[127:128], v[63:64], v[53:54]
	s_add_i32 s21, s9, 0xfffff5d8
	ds_load_2addr_b64 v[65:68], v65 offset1:1
	s_waitcnt lgkmcnt(0)
	v_mul_f64 v[129:130], v[67:68], v[55:56]
	v_or_b32_e32 v55, s19, v0
	s_delay_alu instid0(VALU_DEP_1) | instskip(NEXT) | instid1(VALU_DEP_3)
	v_lshlrev_b32_e32 v55, 3, v55
	v_fma_f64 v[53:54], -v[129:130], v[65:66], v[53:54]
	ds_store_b64 v55, v[129:130] offset:32768
	v_mov_b32_e32 v55, s21
	s_add_i32 s21, s22, s12
	s_delay_alu instid0(SALU_CYCLE_1) | instskip(SKIP_4) | instid1(VALU_DEP_1)
	s_lshl_b32 s21, s21, 3
	ds_load_b64 v[55:56], v55
	s_waitcnt lgkmcnt(0)
	v_mul_f64 v[131:132], v[55:56], v[53:54]
	v_or_b32_e32 v53, s20, v0
	v_lshlrev_b32_e32 v53, 3, v53
	ds_store_b64 v53, v[131:132] offset:32768
	v_mov_b32_e32 v53, s21
	s_add_i32 s21, s22, s14
	s_delay_alu instid0(SALU_CYCLE_1)
	s_lshl_b32 s21, s21, 3
	ds_load_2addr_b64 v[53:56], v53 offset1:1
	s_waitcnt lgkmcnt(0)
	v_fma_f64 v[51:52], -v[141:142], v[55:56], v[51:52]
	v_mov_b32_e32 v55, s21
	s_add_i32 s21, s22, s13
	v_fma_f64 v[49:50], -v[141:142], v[53:54], v[49:50]
	s_lshl_b32 s21, s21, 3
	ds_load_2addr_b64 v[55:58], v55 offset1:1
	s_waitcnt lgkmcnt(0)
	v_fma_f64 v[51:52], -v[135:136], v[57:58], v[51:52]
	v_mov_b32_e32 v57, s21
	s_add_i32 s21, s22, s15
	v_fma_f64 v[49:50], -v[135:136], v[55:56], v[49:50]
	;; [unrolled: 7-line block ×5, first 2 shown]
	ds_load_2addr_b64 v[63:66], v63 offset1:1
	s_waitcnt lgkmcnt(0)
	v_fma_f64 v[51:52], -v[131:132], v[65:66], v[51:52]
	v_mov_b32_e32 v65, s23
	s_add_i32 s23, s22, s21
	v_fma_f64 v[49:50], -v[131:132], v[63:64], v[49:50]
	s_lshl_b32 s23, s23, 3
	s_lshl_b32 s22, s22, 6
	ds_load_b64 v[65:66], v65
	s_waitcnt lgkmcnt(0)
	v_mul_f64 v[137:138], v[65:66], v[51:52]
	v_or_b32_e32 v51, s21, v0
	s_delay_alu instid0(VALU_DEP_1)
	v_lshlrev_b32_e32 v51, 3, v51
	ds_store_b64 v51, v[137:138] offset:32768
	v_mov_b32_e32 v51, s23
	s_add_i32 s23, s9, 0xfffff1c8
	ds_load_b64 v[51:52], v51
	s_waitcnt lgkmcnt(0)
	v_fma_f64 v[49:50], -v[137:138], v[51:52], v[49:50]
	v_mov_b32_e32 v51, s23
	s_add_i32 s23, s24, s12
	s_delay_alu instid0(SALU_CYCLE_1) | instskip(SKIP_4) | instid1(VALU_DEP_1)
	s_lshl_b32 s23, s23, 3
	ds_load_b64 v[51:52], v51
	s_waitcnt lgkmcnt(0)
	v_mul_f64 v[139:140], v[51:52], v[49:50]
	v_or_b32_e32 v49, s22, v0
	v_lshlrev_b32_e32 v49, 3, v49
	ds_store_b64 v49, v[139:140] offset:32768
	v_mov_b32_e32 v49, s23
	s_add_i32 s23, s24, s14
	s_delay_alu instid0(SALU_CYCLE_1)
	s_lshl_b32 s23, s23, 3
	ds_load_2addr_b64 v[49:52], v49 offset1:1
	s_waitcnt lgkmcnt(0)
	v_fma_f64 v[47:48], -v[141:142], v[51:52], v[47:48]
	v_mov_b32_e32 v51, s23
	s_add_i32 s23, s24, s13
	v_fma_f64 v[45:46], -v[141:142], v[49:50], v[45:46]
	s_lshl_b32 s23, s23, 3
	ds_load_2addr_b64 v[51:54], v51 offset1:1
	s_waitcnt lgkmcnt(0)
	v_fma_f64 v[47:48], -v[135:136], v[53:54], v[47:48]
	v_mov_b32_e32 v53, s23
	s_add_i32 s23, s24, s15
	v_fma_f64 v[45:46], -v[135:136], v[51:52], v[45:46]
	;; [unrolled: 7-line block ×7, first 2 shown]
	ds_load_2addr_b64 v[63:66], v63 offset1:1
	s_waitcnt lgkmcnt(0)
	v_fma_f64 v[47:48], -v[139:140], v[65:66], v[47:48]
	v_mov_b32_e32 v65, s25
	s_add_i32 s25, s24, s23
	v_fma_f64 v[45:46], -v[139:140], v[63:64], v[45:46]
	s_lshl_b32 s25, s25, 3
	s_lshl_b32 s24, s24, 6
	ds_load_b64 v[65:66], v65
	s_waitcnt lgkmcnt(0)
	v_mul_f64 v[143:144], v[65:66], v[47:48]
	v_or_b32_e32 v47, s23, v0
	s_delay_alu instid0(VALU_DEP_1)
	v_lshlrev_b32_e32 v47, 3, v47
	ds_store_b64 v47, v[143:144] offset:32768
	v_mov_b32_e32 v47, s25
	s_add_i32 s25, s9, 0xffffedb8
	ds_load_b64 v[47:48], v47
	s_waitcnt lgkmcnt(0)
	v_fma_f64 v[45:46], -v[143:144], v[47:48], v[45:46]
	v_mov_b32_e32 v47, s25
	s_add_i32 s25, s26, s12
	s_delay_alu instid0(SALU_CYCLE_1) | instskip(SKIP_4) | instid1(VALU_DEP_1)
	s_lshl_b32 s25, s25, 3
	ds_load_b64 v[47:48], v47
	s_waitcnt lgkmcnt(0)
	v_mul_f64 v[145:146], v[47:48], v[45:46]
	v_or_b32_e32 v45, s24, v0
	v_lshlrev_b32_e32 v45, 3, v45
	ds_store_b64 v45, v[145:146] offset:32768
	v_mov_b32_e32 v45, s25
	s_add_i32 s25, s26, s14
	s_delay_alu instid0(SALU_CYCLE_1)
	s_lshl_b32 s25, s25, 3
	ds_load_2addr_b64 v[45:48], v45 offset1:1
	s_waitcnt lgkmcnt(0)
	v_fma_f64 v[43:44], -v[141:142], v[47:48], v[43:44]
	v_mov_b32_e32 v47, s25
	v_fma_f64 v[41:42], -v[141:142], v[45:46], v[41:42]
	s_add_i32 s25, s26, s13
	s_delay_alu instid0(SALU_CYCLE_1)
	s_lshl_b32 s25, s25, 3
	ds_load_2addr_b64 v[47:50], v47 offset1:1
	s_waitcnt lgkmcnt(0)
	v_fma_f64 v[43:44], -v[135:136], v[49:50], v[43:44]
	v_mov_b32_e32 v49, s25
	v_fma_f64 v[41:42], -v[135:136], v[47:48], v[41:42]
	;; [unrolled: 8-line block ×9, first 2 shown]
	s_add_i32 s25, s12, 0xfffffd80
	s_delay_alu instid0(SALU_CYCLE_1)
	s_add_i32 s27, s26, s25
	ds_load_2addr_b64 v[63:66], v63 offset1:1
	s_lshl_b32 s27, s27, 3
	s_lshl_b32 s26, s26, 6
	s_waitcnt lgkmcnt(0)
	v_fma_f64 v[43:44], -v[145:146], v[65:66], v[43:44]
	v_mov_b32_e32 v65, s27
	v_fma_f64 v[41:42], -v[145:146], v[63:64], v[41:42]
	s_add_i32 s27, s9, 0xffffe9a8
	ds_load_2addr_b64 v[65:68], v65 offset1:1
	s_waitcnt lgkmcnt(0)
	v_mul_f64 v[149:150], v[67:68], v[43:44]
	v_or_b32_e32 v43, s25, v0
	s_delay_alu instid0(VALU_DEP_1) | instskip(NEXT) | instid1(VALU_DEP_3)
	v_lshlrev_b32_e32 v43, 3, v43
	v_fma_f64 v[41:42], -v[149:150], v[65:66], v[41:42]
	ds_store_b64 v43, v[149:150] offset:32768
	v_mov_b32_e32 v43, s27
	s_add_i32 s27, s30, s12
	s_delay_alu instid0(SALU_CYCLE_1) | instskip(SKIP_4) | instid1(VALU_DEP_1)
	s_lshl_b32 s27, s27, 3
	ds_load_b64 v[43:44], v43
	s_waitcnt lgkmcnt(0)
	v_mul_f64 v[147:148], v[43:44], v[41:42]
	v_or_b32_e32 v41, s26, v0
	v_lshlrev_b32_e32 v41, 3, v41
	ds_store_b64 v41, v[147:148] offset:32768
	v_mov_b32_e32 v41, s27
	s_add_i32 s27, s30, s14
	s_delay_alu instid0(SALU_CYCLE_1)
	s_lshl_b32 s27, s27, 3
	ds_load_2addr_b64 v[41:44], v41 offset1:1
	s_waitcnt lgkmcnt(0)
	v_fma_f64 v[39:40], -v[141:142], v[43:44], v[39:40]
	v_mov_b32_e32 v43, s27
	v_fma_f64 v[37:38], -v[141:142], v[41:42], v[37:38]
	s_add_i32 s27, s30, s13
	s_delay_alu instid0(SALU_CYCLE_1)
	s_lshl_b32 s27, s27, 3
	ds_load_2addr_b64 v[43:46], v43 offset1:1
	s_waitcnt lgkmcnt(0)
	v_fma_f64 v[39:40], -v[135:136], v[45:46], v[39:40]
	v_mov_b32_e32 v45, s27
	v_fma_f64 v[37:38], -v[135:136], v[43:44], v[37:38]
	;; [unrolled: 8-line block ×11, first 2 shown]
	s_add_i32 s27, s12, 0xfffffd00
	s_delay_alu instid0(SALU_CYCLE_1)
	s_add_i32 s31, s30, s27
	ds_load_2addr_b64 v[63:66], v63 offset1:1
	s_lshl_b32 s31, s31, 3
	s_lshl_b32 s30, s30, 6
	s_waitcnt lgkmcnt(0)
	v_fma_f64 v[39:40], -v[147:148], v[65:66], v[39:40]
	v_mov_b32_e32 v65, s31
	v_fma_f64 v[37:38], -v[147:148], v[63:64], v[37:38]
	s_add_i32 s31, s9, 0xffffe598
	ds_load_2addr_b64 v[65:68], v65 offset1:1
	s_waitcnt lgkmcnt(0)
	v_mul_f64 v[153:154], v[67:68], v[39:40]
	v_or_b32_e32 v39, s27, v0
	s_delay_alu instid0(VALU_DEP_1) | instskip(NEXT) | instid1(VALU_DEP_3)
	v_lshlrev_b32_e32 v39, 3, v39
	v_fma_f64 v[37:38], -v[153:154], v[65:66], v[37:38]
	ds_store_b64 v39, v[153:154] offset:32768
	v_mov_b32_e32 v39, s31
	s_add_i32 s31, s33, s12
	s_delay_alu instid0(SALU_CYCLE_1) | instskip(SKIP_4) | instid1(VALU_DEP_1)
	s_lshl_b32 s31, s31, 3
	ds_load_b64 v[39:40], v39
	s_waitcnt lgkmcnt(0)
	v_mul_f64 v[151:152], v[39:40], v[37:38]
	v_or_b32_e32 v37, s30, v0
	v_lshlrev_b32_e32 v37, 3, v37
	ds_store_b64 v37, v[151:152] offset:32768
	v_mov_b32_e32 v37, s31
	s_add_i32 s31, s33, s14
	s_delay_alu instid0(SALU_CYCLE_1)
	s_lshl_b32 s31, s31, 3
	ds_load_2addr_b64 v[37:40], v37 offset1:1
	s_waitcnt lgkmcnt(0)
	v_fma_f64 v[35:36], -v[141:142], v[39:40], v[35:36]
	v_mov_b32_e32 v39, s31
	v_fma_f64 v[33:34], -v[141:142], v[37:38], v[33:34]
	s_add_i32 s31, s33, s13
	s_delay_alu instid0(SALU_CYCLE_1)
	s_lshl_b32 s31, s31, 3
	ds_load_2addr_b64 v[39:42], v39 offset1:1
	s_waitcnt lgkmcnt(0)
	v_fma_f64 v[35:36], -v[135:136], v[41:42], v[35:36]
	v_mov_b32_e32 v41, s31
	v_fma_f64 v[33:34], -v[135:136], v[39:40], v[33:34]
	;; [unrolled: 8-line block ×13, first 2 shown]
	s_add_i32 s31, s12, 0xfffffc80
	s_delay_alu instid0(SALU_CYCLE_1)
	s_add_i32 s34, s33, s31
	ds_load_2addr_b64 v[63:66], v63 offset1:1
	s_lshl_b32 s34, s34, 3
	s_lshl_b32 s33, s33, 6
	s_waitcnt lgkmcnt(0)
	v_fma_f64 v[35:36], -v[151:152], v[65:66], v[35:36]
	v_mov_b32_e32 v65, s34
	v_fma_f64 v[33:34], -v[151:152], v[63:64], v[33:34]
	s_add_i32 s34, s9, 0xffffe188
	ds_load_2addr_b64 v[65:68], v65 offset1:1
	s_waitcnt lgkmcnt(0)
	v_mul_f64 v[157:158], v[67:68], v[35:36]
	v_or_b32_e32 v35, s31, v0
	s_delay_alu instid0(VALU_DEP_1) | instskip(NEXT) | instid1(VALU_DEP_3)
	v_lshlrev_b32_e32 v35, 3, v35
	v_fma_f64 v[33:34], -v[157:158], v[65:66], v[33:34]
	ds_store_b64 v35, v[157:158] offset:32768
	v_mov_b32_e32 v35, s34
	s_add_i32 s34, s35, s12
	s_delay_alu instid0(SALU_CYCLE_1) | instskip(SKIP_4) | instid1(VALU_DEP_1)
	s_lshl_b32 s34, s34, 3
	ds_load_b64 v[35:36], v35
	s_waitcnt lgkmcnt(0)
	v_mul_f64 v[155:156], v[35:36], v[33:34]
	v_or_b32_e32 v33, s33, v0
	v_lshlrev_b32_e32 v33, 3, v33
	ds_store_b64 v33, v[155:156] offset:32768
	v_mov_b32_e32 v33, s34
	s_add_i32 s34, s35, s14
	s_delay_alu instid0(SALU_CYCLE_1)
	s_lshl_b32 s34, s34, 3
	ds_load_2addr_b64 v[33:36], v33 offset1:1
	s_waitcnt lgkmcnt(0)
	v_fma_f64 v[31:32], -v[141:142], v[35:36], v[31:32]
	v_mov_b32_e32 v35, s34
	v_fma_f64 v[29:30], -v[141:142], v[33:34], v[29:30]
	s_add_i32 s34, s35, s13
	s_delay_alu instid0(SALU_CYCLE_1)
	s_lshl_b32 s34, s34, 3
	ds_load_2addr_b64 v[35:38], v35 offset1:1
	s_waitcnt lgkmcnt(0)
	v_fma_f64 v[31:32], -v[135:136], v[37:38], v[31:32]
	v_mov_b32_e32 v37, s34
	v_fma_f64 v[29:30], -v[135:136], v[35:36], v[29:30]
	;; [unrolled: 8-line block ×15, first 2 shown]
	s_add_i32 s34, s12, 0xfffffc00
	s_delay_alu instid0(SALU_CYCLE_1)
	s_add_i32 s36, s35, s34
	ds_load_2addr_b64 v[63:66], v63 offset1:1
	s_lshl_b32 s36, s36, 3
	s_lshl_b32 s35, s35, 6
	s_waitcnt lgkmcnt(0)
	v_fma_f64 v[31:32], -v[155:156], v[65:66], v[31:32]
	v_mov_b32_e32 v65, s36
	v_fma_f64 v[29:30], -v[155:156], v[63:64], v[29:30]
	s_add_i32 s36, s9, 0xffffdd78
	ds_load_2addr_b64 v[65:68], v65 offset1:1
	s_waitcnt lgkmcnt(0)
	v_mul_f64 v[161:162], v[67:68], v[31:32]
	v_or_b32_e32 v31, s34, v0
	s_delay_alu instid0(VALU_DEP_1) | instskip(NEXT) | instid1(VALU_DEP_3)
	v_lshlrev_b32_e32 v31, 3, v31
	v_fma_f64 v[29:30], -v[161:162], v[65:66], v[29:30]
	ds_store_b64 v31, v[161:162] offset:32768
	v_mov_b32_e32 v31, s36
	s_add_i32 s36, s37, s12
	s_delay_alu instid0(SALU_CYCLE_1) | instskip(SKIP_4) | instid1(VALU_DEP_1)
	s_lshl_b32 s36, s36, 3
	ds_load_b64 v[31:32], v31
	s_waitcnt lgkmcnt(0)
	v_mul_f64 v[159:160], v[31:32], v[29:30]
	v_or_b32_e32 v29, s35, v0
	v_lshlrev_b32_e32 v29, 3, v29
	ds_store_b64 v29, v[159:160] offset:32768
	v_mov_b32_e32 v29, s36
	s_add_i32 s36, s37, s14
	s_delay_alu instid0(SALU_CYCLE_1)
	s_lshl_b32 s36, s36, 3
	ds_load_2addr_b64 v[29:32], v29 offset1:1
	s_waitcnt lgkmcnt(0)
	v_fma_f64 v[27:28], -v[141:142], v[31:32], v[27:28]
	v_mov_b32_e32 v31, s36
	v_fma_f64 v[25:26], -v[141:142], v[29:30], v[25:26]
	s_add_i32 s36, s37, s13
	s_delay_alu instid0(SALU_CYCLE_1)
	s_lshl_b32 s36, s36, 3
	ds_load_2addr_b64 v[31:34], v31 offset1:1
	s_waitcnt lgkmcnt(0)
	v_fma_f64 v[27:28], -v[135:136], v[33:34], v[27:28]
	v_mov_b32_e32 v33, s36
	v_fma_f64 v[25:26], -v[135:136], v[31:32], v[25:26]
	;; [unrolled: 8-line block ×17, first 2 shown]
	s_add_i32 s36, s12, 0xfffffb80
	s_delay_alu instid0(SALU_CYCLE_1)
	s_add_i32 s38, s37, s36
	ds_load_2addr_b64 v[63:66], v63 offset1:1
	s_lshl_b32 s38, s38, 3
	s_lshl_b32 s37, s37, 6
	s_waitcnt lgkmcnt(0)
	v_fma_f64 v[27:28], -v[159:160], v[65:66], v[27:28]
	v_mov_b32_e32 v65, s38
	v_fma_f64 v[25:26], -v[159:160], v[63:64], v[25:26]
	s_add_i32 s38, s9, 0xffffd968
	ds_load_2addr_b64 v[65:68], v65 offset1:1
	s_waitcnt lgkmcnt(0)
	v_mul_f64 v[165:166], v[67:68], v[27:28]
	v_or_b32_e32 v27, s36, v0
	s_delay_alu instid0(VALU_DEP_1) | instskip(NEXT) | instid1(VALU_DEP_3)
	v_lshlrev_b32_e32 v27, 3, v27
	v_fma_f64 v[25:26], -v[165:166], v[65:66], v[25:26]
	ds_store_b64 v27, v[165:166] offset:32768
	v_mov_b32_e32 v27, s38
	s_add_i32 s38, s39, s12
	s_delay_alu instid0(SALU_CYCLE_1) | instskip(SKIP_4) | instid1(VALU_DEP_1)
	s_lshl_b32 s38, s38, 3
	ds_load_b64 v[27:28], v27
	s_waitcnt lgkmcnt(0)
	v_mul_f64 v[163:164], v[27:28], v[25:26]
	v_or_b32_e32 v25, s37, v0
	v_lshlrev_b32_e32 v25, 3, v25
	ds_store_b64 v25, v[163:164] offset:32768
	v_mov_b32_e32 v25, s38
	s_add_i32 s38, s39, s14
	s_delay_alu instid0(SALU_CYCLE_1)
	s_lshl_b32 s38, s38, 3
	ds_load_2addr_b64 v[25:28], v25 offset1:1
	s_waitcnt lgkmcnt(0)
	v_fma_f64 v[23:24], -v[141:142], v[27:28], v[23:24]
	v_mov_b32_e32 v27, s38
	v_fma_f64 v[21:22], -v[141:142], v[25:26], v[21:22]
	s_add_i32 s38, s39, s13
	s_delay_alu instid0(SALU_CYCLE_1)
	s_lshl_b32 s38, s38, 3
	ds_load_2addr_b64 v[27:30], v27 offset1:1
	s_waitcnt lgkmcnt(0)
	v_fma_f64 v[23:24], -v[135:136], v[29:30], v[23:24]
	v_mov_b32_e32 v29, s38
	v_fma_f64 v[21:22], -v[135:136], v[27:28], v[21:22]
	;; [unrolled: 8-line block ×19, first 2 shown]
	s_add_i32 s38, s12, 0xfffffb00
	s_delay_alu instid0(SALU_CYCLE_1)
	s_add_i32 s40, s39, s38
	ds_load_2addr_b64 v[63:66], v63 offset1:1
	s_lshl_b32 s40, s40, 3
	s_lshl_b32 s39, s39, 6
	s_waitcnt lgkmcnt(0)
	v_fma_f64 v[23:24], -v[163:164], v[65:66], v[23:24]
	v_mov_b32_e32 v65, s40
	v_fma_f64 v[21:22], -v[163:164], v[63:64], v[21:22]
	s_add_i32 s40, s9, 0xffffd558
	ds_load_2addr_b64 v[65:68], v65 offset1:1
	s_waitcnt lgkmcnt(0)
	v_mul_f64 v[169:170], v[67:68], v[23:24]
	v_or_b32_e32 v23, s38, v0
	s_delay_alu instid0(VALU_DEP_1) | instskip(NEXT) | instid1(VALU_DEP_3)
	v_lshlrev_b32_e32 v23, 3, v23
	v_fma_f64 v[21:22], -v[169:170], v[65:66], v[21:22]
	ds_store_b64 v23, v[169:170] offset:32768
	v_mov_b32_e32 v23, s40
	s_sub_i32 s40, s8, 23
	s_delay_alu instid0(SALU_CYCLE_1)
	s_add_i32 s41, s40, s12
	ds_load_b64 v[23:24], v23
	s_lshl_b32 s41, s41, 3
	s_waitcnt lgkmcnt(0)
	v_mul_f64 v[167:168], v[23:24], v[21:22]
	v_or_b32_e32 v21, s39, v0
	s_delay_alu instid0(VALU_DEP_1) | instskip(SKIP_3) | instid1(SALU_CYCLE_1)
	v_lshlrev_b32_e32 v21, 3, v21
	ds_store_b64 v21, v[167:168] offset:32768
	v_mov_b32_e32 v21, s41
	s_add_i32 s41, s40, s14
	s_lshl_b32 s41, s41, 3
	ds_load_2addr_b64 v[21:24], v21 offset1:1
	s_waitcnt lgkmcnt(0)
	v_fma_f64 v[19:20], -v[141:142], v[23:24], v[19:20]
	v_mov_b32_e32 v23, s41
	v_fma_f64 v[17:18], -v[141:142], v[21:22], v[17:18]
	s_add_i32 s41, s40, s13
	s_delay_alu instid0(SALU_CYCLE_1)
	s_lshl_b32 s41, s41, 3
	ds_load_2addr_b64 v[23:26], v23 offset1:1
	s_waitcnt lgkmcnt(0)
	v_fma_f64 v[19:20], -v[135:136], v[25:26], v[19:20]
	v_mov_b32_e32 v25, s41
	v_fma_f64 v[17:18], -v[135:136], v[23:24], v[17:18]
	s_add_i32 s41, s40, s15
	s_delay_alu instid0(SALU_CYCLE_1)
	;; [unrolled: 8-line block ×21, first 2 shown]
	s_add_i32 s42, s40, s41
	ds_load_2addr_b64 v[63:66], v63 offset1:1
	s_lshl_b32 s42, s42, 3
	s_waitcnt lgkmcnt(0)
	v_fma_f64 v[19:20], -v[167:168], v[65:66], v[19:20]
	v_mov_b32_e32 v65, s42
	v_fma_f64 v[17:18], -v[167:168], v[63:64], v[17:18]
	s_lshl_b32 s42, s40, 6
	s_add_i32 s40, s9, 0xffffd148
	ds_load_2addr_b64 v[65:68], v65 offset1:1
	s_waitcnt lgkmcnt(0)
	v_mul_f64 v[173:174], v[67:68], v[19:20]
	v_or_b32_e32 v19, s41, v0
	s_delay_alu instid0(VALU_DEP_1) | instskip(NEXT) | instid1(VALU_DEP_3)
	v_lshlrev_b32_e32 v19, 3, v19
	v_fma_f64 v[17:18], -v[173:174], v[65:66], v[17:18]
	ds_store_b64 v19, v[173:174] offset:32768
	v_mov_b32_e32 v19, s40
	s_sub_i32 s40, s8, 25
	s_delay_alu instid0(SALU_CYCLE_1)
	s_add_i32 s43, s40, s12
	ds_load_b64 v[19:20], v19
	s_lshl_b32 s43, s43, 3
	s_waitcnt lgkmcnt(0)
	v_mul_f64 v[171:172], v[19:20], v[17:18]
	v_or_b32_e32 v17, s42, v0
	s_delay_alu instid0(VALU_DEP_1) | instskip(SKIP_3) | instid1(SALU_CYCLE_1)
	v_lshlrev_b32_e32 v17, 3, v17
	ds_store_b64 v17, v[171:172] offset:32768
	v_mov_b32_e32 v17, s43
	s_add_i32 s43, s40, s14
	s_lshl_b32 s43, s43, 3
	ds_load_2addr_b64 v[17:20], v17 offset1:1
	s_waitcnt lgkmcnt(0)
	v_fma_f64 v[15:16], -v[141:142], v[19:20], v[15:16]
	v_mov_b32_e32 v19, s43
	v_fma_f64 v[13:14], -v[141:142], v[17:18], v[13:14]
	s_add_i32 s43, s40, s13
	s_delay_alu instid0(SALU_CYCLE_1)
	s_lshl_b32 s43, s43, 3
	ds_load_2addr_b64 v[19:22], v19 offset1:1
	s_waitcnt lgkmcnt(0)
	v_fma_f64 v[15:16], -v[135:136], v[21:22], v[15:16]
	v_mov_b32_e32 v21, s43
	v_fma_f64 v[13:14], -v[135:136], v[19:20], v[13:14]
	s_add_i32 s43, s40, s15
	s_delay_alu instid0(SALU_CYCLE_1)
	;; [unrolled: 8-line block ×23, first 2 shown]
	s_add_i32 s44, s40, s43
	ds_load_2addr_b64 v[63:66], v63 offset1:1
	s_lshl_b32 s44, s44, 3
	s_waitcnt lgkmcnt(0)
	v_fma_f64 v[15:16], -v[171:172], v[65:66], v[15:16]
	v_mov_b32_e32 v65, s44
	v_fma_f64 v[13:14], -v[171:172], v[63:64], v[13:14]
	s_lshl_b32 s44, s40, 6
	s_add_i32 s40, s9, 0xffffcd38
	ds_load_2addr_b64 v[65:68], v65 offset1:1
	s_waitcnt lgkmcnt(0)
	v_mul_f64 v[175:176], v[67:68], v[15:16]
	v_or_b32_e32 v15, s43, v0
	s_delay_alu instid0(VALU_DEP_1) | instskip(NEXT) | instid1(VALU_DEP_3)
	v_lshlrev_b32_e32 v15, 3, v15
	v_fma_f64 v[13:14], -v[175:176], v[65:66], v[13:14]
	ds_store_b64 v15, v[175:176] offset:32768
	v_mov_b32_e32 v15, s40
	s_sub_i32 s40, s8, 27
	s_delay_alu instid0(SALU_CYCLE_1)
	s_add_i32 s45, s40, s12
	ds_load_b64 v[15:16], v15
	s_lshl_b32 s45, s45, 3
	s_waitcnt lgkmcnt(0)
	v_mul_f64 v[177:178], v[15:16], v[13:14]
	v_or_b32_e32 v13, s44, v0
	s_delay_alu instid0(VALU_DEP_1) | instskip(SKIP_3) | instid1(SALU_CYCLE_1)
	v_lshlrev_b32_e32 v13, 3, v13
	ds_store_b64 v13, v[177:178] offset:32768
	v_mov_b32_e32 v13, s45
	s_add_i32 s45, s40, s14
	s_lshl_b32 s45, s45, 3
	ds_load_2addr_b64 v[13:16], v13 offset1:1
	s_waitcnt lgkmcnt(0)
	v_fma_f64 v[11:12], -v[141:142], v[15:16], v[11:12]
	v_mov_b32_e32 v15, s45
	v_fma_f64 v[9:10], -v[141:142], v[13:14], v[9:10]
	s_add_i32 s45, s40, s13
	s_delay_alu instid0(SALU_CYCLE_1)
	s_lshl_b32 s45, s45, 3
	ds_load_2addr_b64 v[15:18], v15 offset1:1
	s_waitcnt lgkmcnt(0)
	v_fma_f64 v[11:12], -v[135:136], v[17:18], v[11:12]
	v_mov_b32_e32 v17, s45
	v_fma_f64 v[9:10], -v[135:136], v[15:16], v[9:10]
	s_add_i32 s45, s40, s15
	s_delay_alu instid0(SALU_CYCLE_1)
	;; [unrolled: 8-line block ×25, first 2 shown]
	s_add_i32 s46, s40, s45
	ds_load_2addr_b64 v[63:66], v63 offset1:1
	s_lshl_b32 s46, s46, 3
	s_waitcnt lgkmcnt(0)
	v_fma_f64 v[11:12], -v[177:178], v[65:66], v[11:12]
	v_mov_b32_e32 v65, s46
	v_fma_f64 v[9:10], -v[177:178], v[63:64], v[9:10]
	s_lshl_b32 s46, s40, 6
	s_add_i32 s40, s9, 0xffffc928
	ds_load_2addr_b64 v[65:68], v65 offset1:1
	s_waitcnt lgkmcnt(0)
	v_mul_f64 v[179:180], v[67:68], v[11:12]
	v_or_b32_e32 v11, s45, v0
	s_delay_alu instid0(VALU_DEP_1) | instskip(NEXT) | instid1(VALU_DEP_3)
	v_lshlrev_b32_e32 v11, 3, v11
	v_fma_f64 v[9:10], -v[179:180], v[65:66], v[9:10]
	ds_store_b64 v11, v[179:180] offset:32768
	v_mov_b32_e32 v11, s40
	s_sub_i32 s40, s8, 29
	s_delay_alu instid0(SALU_CYCLE_1)
	s_add_i32 s47, s40, s12
	ds_load_b64 v[11:12], v11
	s_lshl_b32 s47, s47, 3
	s_waitcnt lgkmcnt(0)
	v_mul_f64 v[181:182], v[11:12], v[9:10]
	v_or_b32_e32 v9, s46, v0
	s_delay_alu instid0(VALU_DEP_1) | instskip(SKIP_3) | instid1(SALU_CYCLE_1)
	v_lshlrev_b32_e32 v9, 3, v9
	ds_store_b64 v9, v[181:182] offset:32768
	v_mov_b32_e32 v9, s47
	s_add_i32 s47, s40, s14
	s_lshl_b32 s47, s47, 3
	ds_load_2addr_b64 v[9:12], v9 offset1:1
	s_waitcnt lgkmcnt(0)
	v_fma_f64 v[7:8], -v[141:142], v[11:12], v[7:8]
	v_mov_b32_e32 v11, s47
	v_fma_f64 v[5:6], -v[141:142], v[9:10], v[5:6]
	s_add_i32 s47, s40, s13
	s_delay_alu instid0(SALU_CYCLE_1)
	s_lshl_b32 s47, s47, 3
	ds_load_2addr_b64 v[11:14], v11 offset1:1
	s_waitcnt lgkmcnt(0)
	v_fma_f64 v[7:8], -v[135:136], v[13:14], v[7:8]
	v_mov_b32_e32 v13, s47
	v_fma_f64 v[5:6], -v[135:136], v[11:12], v[5:6]
	s_add_i32 s47, s40, s15
	s_delay_alu instid0(SALU_CYCLE_1)
	;; [unrolled: 8-line block ×27, first 2 shown]
	s_add_i32 s48, s40, s47
	ds_load_2addr_b64 v[63:66], v63 offset1:1
	s_lshl_b32 s48, s48, 3
	s_waitcnt lgkmcnt(0)
	v_fma_f64 v[7:8], -v[181:182], v[65:66], v[7:8]
	v_mov_b32_e32 v65, s48
	v_fma_f64 v[5:6], -v[181:182], v[63:64], v[5:6]
	s_lshl_b32 s48, s40, 6
	s_add_i32 s40, s9, 0xffffc518
	s_addk_i32 s9, 0xc108
	ds_load_2addr_b64 v[65:68], v65 offset1:1
	s_waitcnt lgkmcnt(0)
	v_mul_f64 v[183:184], v[67:68], v[7:8]
	v_or_b32_e32 v7, s47, v0
	s_delay_alu instid0(VALU_DEP_1) | instskip(NEXT) | instid1(VALU_DEP_3)
	v_lshlrev_b32_e32 v7, 3, v7
	v_fma_f64 v[5:6], -v[183:184], v[65:66], v[5:6]
	ds_store_b64 v7, v[183:184] offset:32768
	v_mov_b32_e32 v7, s40
	s_sub_i32 s40, s8, 31
	s_delay_alu instid0(SALU_CYCLE_1)
	s_add_i32 s49, s40, s12
	s_add_i32 s14, s40, s14
	ds_load_b64 v[7:8], v7
	s_lshl_b32 s49, s49, 3
	s_lshl_b32 s14, s14, 3
	s_add_i32 s13, s40, s13
	s_addk_i32 s12, 0xf880
	s_lshl_b32 s13, s13, 3
	s_waitcnt lgkmcnt(0)
	v_mul_f64 v[185:186], v[7:8], v[5:6]
	v_or_b32_e32 v5, s48, v0
	s_delay_alu instid0(VALU_DEP_1)
	v_lshlrev_b32_e32 v5, 3, v5
	ds_store_b64 v5, v[185:186] offset:32768
	v_mov_b32_e32 v5, s49
	ds_load_2addr_b64 v[123:126], v5 offset1:1
	v_mov_b32_e32 v5, s14
	ds_load_2addr_b64 v[119:122], v5 offset1:1
	v_mov_b32_e32 v5, s13
	s_add_i32 s13, s40, s15
	s_delay_alu instid0(SALU_CYCLE_1) | instskip(SKIP_3) | instid1(SALU_CYCLE_1)
	s_lshl_b32 s13, s13, 3
	ds_load_2addr_b64 v[115:118], v5 offset1:1
	v_mov_b32_e32 v5, s13
	s_add_i32 s13, s40, s19
	s_lshl_b32 s13, s13, 3
	ds_load_2addr_b64 v[111:114], v5 offset1:1
	v_mov_b32_e32 v5, s13
	s_waitcnt lgkmcnt(3)
	v_fma_f64 v[3:4], -v[141:142], v[125:126], v[3:4]
	v_fma_f64 v[1:2], -v[141:142], v[123:124], v[1:2]
	s_add_i32 s13, s40, s20
	ds_load_2addr_b64 v[107:110], v5 offset1:1
	s_lshl_b32 s13, s13, 3
	s_delay_alu instid0(SALU_CYCLE_1) | instskip(SKIP_1) | instid1(SALU_CYCLE_1)
	v_mov_b32_e32 v5, s13
	s_add_i32 s13, s40, s21
	s_lshl_b32 s13, s13, 3
	ds_load_2addr_b64 v[103:106], v5 offset1:1
	v_mov_b32_e32 v5, s13
	s_add_i32 s13, s40, s22
	s_delay_alu instid0(SALU_CYCLE_1) | instskip(SKIP_3) | instid1(SALU_CYCLE_1)
	s_lshl_b32 s13, s13, 3
	ds_load_2addr_b64 v[99:102], v5 offset1:1
	v_mov_b32_e32 v5, s13
	s_add_i32 s13, s40, s23
	s_lshl_b32 s13, s13, 3
	ds_load_2addr_b64 v[95:98], v5 offset1:1
	v_mov_b32_e32 v5, s13
	s_add_i32 s13, s40, s24
	s_delay_alu instid0(SALU_CYCLE_1) | instskip(SKIP_3) | instid1(SALU_CYCLE_1)
	s_lshl_b32 s13, s13, 3
	ds_load_2addr_b64 v[91:94], v5 offset1:1
	v_mov_b32_e32 v5, s13
	s_add_i32 s13, s40, s25
	s_lshl_b32 s13, s13, 3
	ds_load_2addr_b64 v[87:90], v5 offset1:1
	v_mov_b32_e32 v5, s13
	s_waitcnt lgkmcnt(8)
	v_fma_f64 v[3:4], -v[135:136], v[121:122], v[3:4]
	v_fma_f64 v[1:2], -v[135:136], v[119:120], v[1:2]
	s_add_i32 s13, s40, s26
	ds_load_2addr_b64 v[83:86], v5 offset1:1
	s_lshl_b32 s13, s13, 3
	s_delay_alu instid0(SALU_CYCLE_1) | instskip(SKIP_1) | instid1(SALU_CYCLE_1)
	v_mov_b32_e32 v5, s13
	s_add_i32 s13, s40, s27
	s_lshl_b32 s13, s13, 3
	ds_load_2addr_b64 v[79:82], v5 offset1:1
	v_mov_b32_e32 v5, s13
	s_add_i32 s13, s40, s30
	s_delay_alu instid0(SALU_CYCLE_1) | instskip(SKIP_3) | instid1(SALU_CYCLE_1)
	s_lshl_b32 s13, s13, 3
	ds_load_2addr_b64 v[75:78], v5 offset1:1
	v_mov_b32_e32 v5, s13
	s_add_i32 s13, s40, s31
	s_lshl_b32 s13, s13, 3
	;; [unrolled: 30-line block ×4, first 2 shown]
	ds_load_2addr_b64 v[23:26], v5 offset1:1
	v_mov_b32_e32 v5, s13
	s_add_i32 s13, s40, s46
	s_delay_alu instid0(SALU_CYCLE_1) | instskip(SKIP_3) | instid1(SALU_CYCLE_1)
	s_lshl_b32 s13, s13, 3
	ds_load_2addr_b64 v[19:22], v5 offset1:1
	v_mov_b32_e32 v5, s13
	s_add_i32 s13, s40, s47
	s_lshl_b32 s13, s13, 3
	ds_load_2addr_b64 v[15:18], v5 offset1:1
	v_mov_b32_e32 v5, s13
	s_waitcnt lgkmcnt(23)
	v_fma_f64 v[3:4], -v[129:130], v[109:110], v[3:4]
	v_fma_f64 v[1:2], -v[129:130], v[107:108], v[1:2]
	s_add_i32 s13, s40, s48
	ds_load_2addr_b64 v[11:14], v5 offset1:1
	s_lshl_b32 s13, s13, 3
	s_delay_alu instid0(SALU_CYCLE_1) | instskip(SKIP_1) | instid1(SALU_CYCLE_1)
	v_mov_b32_e32 v5, s13
	s_add_i32 s13, s40, s12
	s_lshl_b32 s13, s13, 3
	ds_load_2addr_b64 v[7:10], v5 offset1:1
	s_waitcnt lgkmcnt(24)
	v_fma_f64 v[3:4], -v[131:132], v[105:106], v[3:4]
	v_fma_f64 v[1:2], -v[131:132], v[103:104], v[1:2]
	s_waitcnt lgkmcnt(23)
	s_delay_alu instid0(VALU_DEP_2) | instskip(NEXT) | instid1(VALU_DEP_2)
	v_fma_f64 v[3:4], -v[137:138], v[101:102], v[3:4]
	v_fma_f64 v[1:2], -v[137:138], v[99:100], v[1:2]
	s_waitcnt lgkmcnt(22)
	s_delay_alu instid0(VALU_DEP_2) | instskip(NEXT) | instid1(VALU_DEP_2)
	;; [unrolled: 4-line block ×23, first 2 shown]
	v_fma_f64 v[3:4], -v[183:184], v[13:14], v[3:4]
	v_fma_f64 v[1:2], -v[183:184], v[11:12], v[1:2]
	s_waitcnt lgkmcnt(0)
	s_delay_alu instid0(VALU_DEP_2) | instskip(SKIP_1) | instid1(VALU_DEP_3)
	v_fma_f64 v[9:10], -v[185:186], v[9:10], v[3:4]
	v_mov_b32_e32 v3, s13
	v_fma_f64 v[1:2], -v[185:186], v[7:8], v[1:2]
	ds_load_2addr_b64 v[3:6], v3 offset1:1
	s_waitcnt lgkmcnt(0)
	v_mul_f64 v[5:6], v[5:6], v[9:10]
	v_or_b32_e32 v9, s12, v0
	s_delay_alu instid0(VALU_DEP_1) | instskip(NEXT) | instid1(VALU_DEP_3)
	v_lshlrev_b32_e32 v9, 3, v9
	v_fma_f64 v[1:2], -v[5:6], v[3:4], v[1:2]
	v_mov_b32_e32 v3, s9
	s_sub_i32 s9, s8, 32
	s_cmp_gt_i32 s8, 62
	ds_load_b64 v[3:4], v3
	s_waitcnt lgkmcnt(0)
	v_mul_f64 v[1:2], v[3:4], v[1:2]
	v_lshl_or_b32 v3, s40, 9, v187
	ds_store_b64 v9, v[5:6] offset:32768
	ds_store_b64 v3, v[1:2] offset:32768
	s_cbranch_scc0 .LBB107_58
; %bb.57:                               ;   in Loop: Header=BB107_54 Depth=1
	s_mov_b32 s8, s9
	s_branch .LBB107_54
.LBB107_58:
	s_cmp_gt_i32 s9, -1
	s_cbranch_scc0 .LBB107_79
; %bb.59:
	s_cmp_lt_u32 s9, 3
	s_cbranch_scc1 .LBB107_65
; %bb.60:
	s_lshl_b32 s4, s28, 9
	s_lshl_b32 s8, s9, 3
	v_lshl_or_b32 v1, v0, 3, s4
	v_lshlrev_b32_e32 v10, 3, v0
	s_add_i32 s4, s4, s8
	s_delay_alu instid0(SALU_CYCLE_1) | instskip(NEXT) | instid1(VALU_DEP_2)
	s_addk_i32 s4, 0xfde8
	v_add_nc_u32_e32 v9, 0x7e00, v1
.LBB107_61:                             ; =>This Loop Header: Depth=1
                                        ;     Child Loop BB107_62 Depth 2
	s_lshl_b32 s8, s9, 6
	s_cmp_le_i32 s29, s9
	v_or_b32_e32 v1, s8, v0
	s_mov_b32 s12, s4
	s_mov_b32 s13, s29
	s_delay_alu instid0(VALU_DEP_1)
	v_dual_mov_b32 v12, v9 :: v_dual_lshlrev_b32 v11, 3, v1
	ds_load_2addr_stride64_b64 v[5:8], v11 offset0:63 offset1:64
	ds_load_2addr_stride64_b64 v[1:4], v11 offset0:61 offset1:62
	s_cbranch_scc1 .LBB107_63
	.p2align	6
.LBB107_62:                             ;   Parent Loop BB107_61 Depth=1
                                        ; =>  This Inner Loop Header: Depth=2
	v_mov_b32_e32 v17, s12
	s_add_i32 s13, s13, -1
	s_addk_i32 s12, 0xfe00
	s_cmp_gt_i32 s13, s9
	ds_load_b64 v[21:22], v12
	ds_load_2addr_b64 v[13:16], v17 offset0:2 offset1:3
	ds_load_2addr_b64 v[17:20], v17 offset1:1
	v_add_nc_u32_e32 v12, 0xfffffe00, v12
	s_waitcnt lgkmcnt(1)
	v_fma_f64 v[7:8], -v[21:22], v[15:16], v[7:8]
	v_fma_f64 v[5:6], -v[21:22], v[13:14], v[5:6]
	s_waitcnt lgkmcnt(0)
	v_fma_f64 v[3:4], -v[21:22], v[19:20], v[3:4]
	v_fma_f64 v[1:2], -v[21:22], v[17:18], v[1:2]
	s_cbranch_scc1 .LBB107_62
.LBB107_63:                             ;   in Loop: Header=BB107_61 Depth=1
	s_add_i32 s12, s9, -1
	s_sub_i32 s4, s4, 32
	s_add_i32 s13, s12, s8
	s_lshl_b32 s12, s12, 6
	s_lshl_b32 s13, s13, 3
	s_delay_alu instid0(SALU_CYCLE_1) | instskip(SKIP_1) | instid1(SALU_CYCLE_1)
	v_dual_mov_b32 v12, s13 :: v_dual_add_nc_u32 v11, 0x8000, v11
	s_mul_i32 s13, s9, 0x208
	s_add_i32 s14, s13, 0xfffffdf8
	s_addk_i32 s13, 0xf9e8
	ds_load_2addr_b64 v[12:15], v12 offset1:1
	v_mov_b32_e32 v16, s14
	s_add_i32 s14, s9, -3
	s_delay_alu instid0(SALU_CYCLE_1)
	s_add_i32 s15, s14, s8
	s_addk_i32 s8, 0xff80
	ds_load_b64 v[16:17], v16
	s_lshl_b32 s15, s15, 3
	s_waitcnt lgkmcnt(1)
	v_mul_f64 v[18:19], v[14:15], v[7:8]
	s_delay_alu instid0(VALU_DEP_1)
	v_fma_f64 v[20:21], -v[18:19], v[12:13], v[5:6]
	v_mov_b32_e32 v5, s15
	s_add_i32 s15, s14, s12
	ds_store_b64 v11, v[18:19]
	s_lshl_b32 s15, s15, 3
	v_lshl_or_b32 v11, s14, 9, v10
	ds_load_2addr_b64 v[5:8], v5 offset1:1
	v_mov_b32_e32 v12, s15
	s_add_i32 s15, s14, s8
	s_delay_alu instid0(SALU_CYCLE_1)
	s_lshl_b32 s15, s15, 3
	ds_load_2addr_b64 v[12:15], v12 offset1:1
	s_waitcnt lgkmcnt(1)
	v_fma_f64 v[3:4], -v[18:19], v[7:8], v[3:4]
	v_fma_f64 v[5:6], -v[18:19], v[5:6], v[1:2]
	v_mov_b32_e32 v1, s15
	v_mul_f64 v[7:8], v[16:17], v[20:21]
	v_mov_b32_e32 v16, s13
	ds_load_b64 v[16:17], v16
	s_waitcnt lgkmcnt(1)
	v_fma_f64 v[14:15], -v[7:8], v[14:15], v[3:4]
	ds_load_2addr_b64 v[1:4], v1 offset1:1
	v_fma_f64 v[5:6], -v[7:8], v[12:13], v[5:6]
	s_waitcnt lgkmcnt(0)
	v_mul_f64 v[3:4], v[3:4], v[14:15]
	s_delay_alu instid0(VALU_DEP_1) | instskip(SKIP_4) | instid1(VALU_DEP_2)
	v_fma_f64 v[1:2], -v[3:4], v[1:2], v[5:6]
	v_or_b32_e32 v5, s12, v0
	v_or_b32_e32 v6, s8, v0
	s_add_i32 s8, s9, -4
	s_cmp_gt_i32 s9, 6
	v_lshlrev_b32_e32 v5, 3, v5
	s_delay_alu instid0(VALU_DEP_2)
	v_lshlrev_b32_e32 v6, 3, v6
	v_mul_f64 v[1:2], v[16:17], v[1:2]
	ds_store_b64 v5, v[7:8] offset:32768
	ds_store_b64 v6, v[3:4] offset:32768
	;; [unrolled: 1-line block ×3, first 2 shown]
	s_cbranch_scc0 .LBB107_66
; %bb.64:                               ;   in Loop: Header=BB107_61 Depth=1
	s_mov_b32 s9, s8
	s_branch .LBB107_61
.LBB107_65:
	s_mov_b32 s8, s9
.LBB107_66:
	s_delay_alu instid0(SALU_CYCLE_1)
	s_cmp_lt_i32 s8, 0
	s_cbranch_scc1 .LBB107_79
; %bb.67:
	s_bitcmp1_b32 s8, 0
	s_cselect_b32 s4, -1, 0
	s_delay_alu instid0(SALU_CYCLE_1)
	s_and_b32 vcc_lo, exec_lo, s4
	s_mov_b32 s4, s8
	s_cbranch_vccnz .LBB107_72
; %bb.68:
	v_lshlrev_b32_e32 v1, 3, v0
	s_cmp_le_i32 s29, s8
	s_delay_alu instid0(VALU_DEP_1)
	v_lshl_or_b32 v3, s8, 9, v1
	ds_load_b64 v[1:2], v3 offset:32768
	s_cbranch_scc1 .LBB107_71
; %bb.69:
	s_lshl_b32 s4, s28, 9
	s_lshl_b32 s9, s8, 3
	v_lshl_or_b32 v4, v0, 3, s4
	s_add_i32 s4, s4, s9
	s_mov_b32 s9, s29
	s_addk_i32 s4, 0xfe00
	s_delay_alu instid0(VALU_DEP_1)
	v_add_nc_u32_e32 v4, 0x7e00, v4
.LBB107_70:                             ; =>This Inner Loop Header: Depth=1
	v_mov_b32_e32 v7, s4
	s_add_i32 s9, s9, -1
	s_addk_i32 s4, 0xfe00
	s_cmp_gt_i32 s9, s8
	ds_load_b64 v[5:6], v4
	ds_load_b64 v[7:8], v7
	v_add_nc_u32_e32 v4, 0xfffffe00, v4
	s_waitcnt lgkmcnt(0)
	v_fma_f64 v[1:2], -v[5:6], v[7:8], v[1:2]
	s_cbranch_scc1 .LBB107_70
.LBB107_71:
	s_mul_i32 s4, s8, 0x208
	s_delay_alu instid0(SALU_CYCLE_1)
	v_dual_mov_b32 v4, s4 :: v_dual_add_nc_u32 v3, 0x8000, v3
	s_add_i32 s4, s8, -1
	ds_load_b64 v[4:5], v4
	s_waitcnt lgkmcnt(0)
	v_mul_f64 v[1:2], v[4:5], v[1:2]
	ds_store_b64 v3, v[1:2]
.LBB107_72:
	s_cmp_eq_u32 s8, 0
	s_cbranch_scc1 .LBB107_79
; %bb.73:
	s_lshl_b32 s8, s28, 9
	s_lshl_b32 s9, s4, 3
	v_lshl_or_b32 v1, v0, 3, s8
	v_lshlrev_b32_e32 v6, 3, v0
	s_add_i32 s9, s8, s9
	s_delay_alu instid0(SALU_CYCLE_1) | instskip(NEXT) | instid1(VALU_DEP_2)
	s_add_i32 s8, s9, 0xfffffe00
	v_add_nc_u32_e32 v5, 0x7e00, v1
	s_addk_i32 s9, 0xfdf8
	s_branch .LBB107_75
.LBB107_74:                             ;   in Loop: Header=BB107_75 Depth=1
	s_addk_i32 s12, 0xfdf8
	s_delay_alu instid0(SALU_CYCLE_1)
	v_dual_mov_b32 v2, s12 :: v_dual_add_nc_u32 v1, 0x8000, v7
	s_add_i32 s12, s4, -2
	s_add_i32 s8, s8, -16
	;; [unrolled: 1-line block ×3, first 2 shown]
	s_cmp_lt_i32 s4, 2
	ds_load_b64 v[7:8], v2
	s_mov_b32 s4, s12
	s_waitcnt lgkmcnt(0)
	v_mul_f64 v[2:3], v[7:8], v[3:4]
	ds_store_b64 v1, v[2:3]
	s_cbranch_scc1 .LBB107_79
.LBB107_75:                             ; =>This Loop Header: Depth=1
                                        ;     Child Loop BB107_76 Depth 2
                                        ;     Child Loop BB107_78 Depth 2
	v_lshl_or_b32 v3, s4, 9, v6
	s_delay_alu instid0(VALU_DEP_2)
	v_mov_b32_e32 v4, v5
	s_cmp_le_i32 s29, s4
	s_mov_b32 s12, s8
	s_mov_b32 s13, s29
	ds_load_b64 v[1:2], v3 offset:32768
	s_cbranch_scc1 .LBB107_77
.LBB107_76:                             ;   Parent Loop BB107_75 Depth=1
                                        ; =>  This Inner Loop Header: Depth=2
	v_mov_b32_e32 v9, s12
	s_add_i32 s13, s13, -1
	s_addk_i32 s12, 0xfe00
	s_cmp_gt_i32 s13, s4
	ds_load_b64 v[7:8], v4
	ds_load_b64 v[9:10], v9
	v_add_nc_u32_e32 v4, 0xfffffe00, v4
	s_waitcnt lgkmcnt(0)
	v_fma_f64 v[1:2], -v[7:8], v[9:10], v[1:2]
	s_cbranch_scc1 .LBB107_76
.LBB107_77:                             ;   in Loop: Header=BB107_75 Depth=1
	s_mul_i32 s12, s4, 0x208
	s_delay_alu instid0(SALU_CYCLE_1)
	v_dual_mov_b32 v3, s12 :: v_dual_add_nc_u32 v8, 0x8000, v3
	s_lshl_b32 s13, s4, 9
	s_mov_b32 s14, s28
	s_addk_i32 s13, 0xfe00
	s_cmp_lt_i32 s29, s4
	ds_load_b64 v[9:10], v3
	v_lshl_or_b32 v7, v0, 3, s13
	s_mov_b32 s13, s9
	ds_load_b64 v[3:4], v7 offset:32768
	s_waitcnt lgkmcnt(1)
	v_mul_f64 v[9:10], v[9:10], v[1:2]
	v_mov_b32_e32 v1, v5
	ds_store_b64 v8, v[9:10]
	s_cbranch_scc1 .LBB107_74
.LBB107_78:                             ;   Parent Loop BB107_75 Depth=1
                                        ; =>  This Inner Loop Header: Depth=2
	v_mov_b32_e32 v2, s13
	s_add_i32 s14, s14, -1
	s_addk_i32 s13, 0xfe00
	s_cmp_gt_i32 s14, s4
	ds_load_b64 v[8:9], v1
	ds_load_b64 v[10:11], v2
	v_add_nc_u32_e32 v1, 0xfffffe00, v1
	s_waitcnt lgkmcnt(0)
	v_fma_f64 v[3:4], -v[8:9], v[10:11], v[3:4]
	s_cbranch_scc1 .LBB107_78
	s_branch .LBB107_74
.LBB107_79:
	s_waitcnt lgkmcnt(0)
	s_barrier
	buffer_gl0_inv
	s_and_saveexec_b32 s4, s18
	s_cbranch_execz .LBB107_86
; %bb.80:
	s_cmp_lt_i32 s6, 8
	s_mov_b32 s4, 0
	s_cbranch_scc1 .LBB107_83
; %bb.81:
	v_mad_i64_i32 v[1:2], null, s16, v0, 0
	v_lshl_or_b32 v3, v0, 3, 0x8000
	s_lshl_b32 s4, s28, 3
	s_delay_alu instid0(VALU_DEP_2) | instskip(NEXT) | instid1(VALU_DEP_1)
	v_lshlrev_b64 v[1:2], 3, v[1:2]
	v_add_co_u32 v1, vcc_lo, s5, v1
	s_delay_alu instid0(VALU_DEP_2)
	v_add_co_ci_u32_e32 v2, vcc_lo, s7, v2, vcc_lo
	s_and_b32 s5, s4, 0x3c0
	s_mov_b32 s4, 0
	s_mov_b64 s[6:7], 0
	.p2align	6
.LBB107_82:                             ; =>This Inner Loop Header: Depth=1
	ds_load_2addr_stride64_b64 v[4:7], v3 offset1:1
	ds_load_2addr_stride64_b64 v[8:11], v3 offset0:2 offset1:3
	ds_load_2addr_stride64_b64 v[12:15], v3 offset0:4 offset1:5
	;; [unrolled: 1-line block ×3, first 2 shown]
	v_add_co_u32 v20, vcc_lo, v1, s6
	v_add_co_ci_u32_e32 v21, vcc_lo, s7, v2, vcc_lo
	s_add_i32 s4, s4, 8
	v_add_nc_u32_e32 v3, 0x1000, v3
	s_add_u32 s6, s6, 64
	s_addc_u32 s7, s7, 0
	s_cmp_lg_u32 s5, s6
	s_waitcnt lgkmcnt(3)
	global_store_b128 v[20:21], v[4:7], off
	s_waitcnt lgkmcnt(2)
	global_store_b128 v[20:21], v[8:11], off offset:16
	s_waitcnt lgkmcnt(1)
	global_store_b128 v[20:21], v[12:15], off offset:32
	;; [unrolled: 2-line block ×3, first 2 shown]
	s_cbranch_scc1 .LBB107_82
.LBB107_83:
	s_and_b32 s6, s28, 7
	s_mov_b32 s5, 0
	s_cmp_eq_u32 s6, 0
	s_cbranch_scc1 .LBB107_86
; %bb.84:
	v_lshlrev_b32_e32 v2, 3, v0
	s_lshl_b64 s[8:9], s[10:11], 3
	s_lshl_b64 s[10:11], s[4:5], 3
	s_delay_alu instid0(SALU_CYCLE_1) | instskip(NEXT) | instid1(VALU_DEP_1)
	s_add_u32 s2, s2, s10
	v_add_co_u32 v3, s5, s8, v2
	s_delay_alu instid0(VALU_DEP_1) | instskip(SKIP_3) | instid1(VALU_DEP_1)
	v_add_co_ci_u32_e64 v4, null, s9, 0, s5
	s_addc_u32 s3, s3, s11
	s_add_u32 s0, s2, s0
	s_addc_u32 s1, s3, s1
	v_mul_lo_u32 v4, v4, s16
	v_mad_u64_u32 v[0:1], null, v3, s16, s[0:1]
	v_mul_lo_u32 v3, v3, s17
	v_lshl_or_b32 v2, s4, 9, v2
	s_delay_alu instid0(VALU_DEP_1) | instskip(NEXT) | instid1(VALU_DEP_3)
	v_add_nc_u32_e32 v2, 0x8000, v2
	v_add3_u32 v1, v4, v1, v3
.LBB107_85:                             ; =>This Inner Loop Header: Depth=1
	ds_load_b64 v[3:4], v2
	v_add_nc_u32_e32 v2, 0x200, v2
	s_add_i32 s6, s6, -1
	s_delay_alu instid0(SALU_CYCLE_1)
	s_cmp_lg_u32 s6, 0
	s_waitcnt lgkmcnt(0)
	global_store_b64 v[0:1], v[3:4], off
	v_add_co_u32 v0, vcc_lo, v0, 8
	v_add_co_ci_u32_e32 v1, vcc_lo, 0, v1, vcc_lo
	s_cbranch_scc1 .LBB107_85
.LBB107_86:
	s_nop 0
	s_sendmsg sendmsg(MSG_DEALLOC_VGPRS)
	s_endpgm
	.section	.rodata,"a",@progbits
	.p2align	6, 0x0
	.amdhsa_kernel _ZL38rocblas_trsm_small_left_device_sharedBILi64ELi32ELb0EddPKPKdPKPdEv13rocblas_fill_18rocblas_operation_17rocblas_diagonal_iiT3_T4_lilT5_lili
		.amdhsa_group_segment_fixed_size 65536
		.amdhsa_private_segment_fixed_size 0
		.amdhsa_kernarg_size 360
		.amdhsa_user_sgpr_count 14
		.amdhsa_user_sgpr_dispatch_ptr 0
		.amdhsa_user_sgpr_queue_ptr 0
		.amdhsa_user_sgpr_kernarg_segment_ptr 1
		.amdhsa_user_sgpr_dispatch_id 0
		.amdhsa_user_sgpr_private_segment_size 0
		.amdhsa_wavefront_size32 1
		.amdhsa_uses_dynamic_stack 0
		.amdhsa_enable_private_segment 0
		.amdhsa_system_sgpr_workgroup_id_x 1
		.amdhsa_system_sgpr_workgroup_id_y 0
		.amdhsa_system_sgpr_workgroup_id_z 1
		.amdhsa_system_sgpr_workgroup_info 0
		.amdhsa_system_vgpr_workitem_id 0
		.amdhsa_next_free_vgpr 189
		.amdhsa_next_free_sgpr 57
		.amdhsa_reserve_vcc 1
		.amdhsa_float_round_mode_32 0
		.amdhsa_float_round_mode_16_64 0
		.amdhsa_float_denorm_mode_32 3
		.amdhsa_float_denorm_mode_16_64 3
		.amdhsa_dx10_clamp 1
		.amdhsa_ieee_mode 1
		.amdhsa_fp16_overflow 0
		.amdhsa_workgroup_processor_mode 1
		.amdhsa_memory_ordered 1
		.amdhsa_forward_progress 0
		.amdhsa_shared_vgpr_count 0
		.amdhsa_exception_fp_ieee_invalid_op 0
		.amdhsa_exception_fp_denorm_src 0
		.amdhsa_exception_fp_ieee_div_zero 0
		.amdhsa_exception_fp_ieee_overflow 0
		.amdhsa_exception_fp_ieee_underflow 0
		.amdhsa_exception_fp_ieee_inexact 0
		.amdhsa_exception_int_div_zero 0
	.end_amdhsa_kernel
	.section	.text._ZL38rocblas_trsm_small_left_device_sharedBILi64ELi32ELb0EddPKPKdPKPdEv13rocblas_fill_18rocblas_operation_17rocblas_diagonal_iiT3_T4_lilT5_lili,"axG",@progbits,_ZL38rocblas_trsm_small_left_device_sharedBILi64ELi32ELb0EddPKPKdPKPdEv13rocblas_fill_18rocblas_operation_17rocblas_diagonal_iiT3_T4_lilT5_lili,comdat
.Lfunc_end107:
	.size	_ZL38rocblas_trsm_small_left_device_sharedBILi64ELi32ELb0EddPKPKdPKPdEv13rocblas_fill_18rocblas_operation_17rocblas_diagonal_iiT3_T4_lilT5_lili, .Lfunc_end107-_ZL38rocblas_trsm_small_left_device_sharedBILi64ELi32ELb0EddPKPKdPKPdEv13rocblas_fill_18rocblas_operation_17rocblas_diagonal_iiT3_T4_lilT5_lili
                                        ; -- End function
	.section	.AMDGPU.csdata,"",@progbits
; Kernel info:
; codeLenInByte = 26716
; NumSgprs: 59
; NumVgprs: 189
; ScratchSize: 0
; MemoryBound: 0
; FloatMode: 240
; IeeeMode: 1
; LDSByteSize: 65536 bytes/workgroup (compile time only)
; SGPRBlocks: 7
; VGPRBlocks: 23
; NumSGPRsForWavesPerEU: 59
; NumVGPRsForWavesPerEU: 189
; Occupancy: 1
; WaveLimiterHint : 1
; COMPUTE_PGM_RSRC2:SCRATCH_EN: 0
; COMPUTE_PGM_RSRC2:USER_SGPR: 14
; COMPUTE_PGM_RSRC2:TRAP_HANDLER: 0
; COMPUTE_PGM_RSRC2:TGID_X_EN: 1
; COMPUTE_PGM_RSRC2:TGID_Y_EN: 0
; COMPUTE_PGM_RSRC2:TGID_Z_EN: 1
; COMPUTE_PGM_RSRC2:TIDIG_COMP_CNT: 0
	.section	.text._ZL30rocblas_trsm_small_left_deviceILi64ELi32ELb0EddPKPKdPKPdEv13rocblas_fill_18rocblas_operation_17rocblas_diagonal_iiT3_T4_lilT5_lili,"axG",@progbits,_ZL30rocblas_trsm_small_left_deviceILi64ELi32ELb0EddPKPKdPKPdEv13rocblas_fill_18rocblas_operation_17rocblas_diagonal_iiT3_T4_lilT5_lili,comdat
	.globl	_ZL30rocblas_trsm_small_left_deviceILi64ELi32ELb0EddPKPKdPKPdEv13rocblas_fill_18rocblas_operation_17rocblas_diagonal_iiT3_T4_lilT5_lili ; -- Begin function _ZL30rocblas_trsm_small_left_deviceILi64ELi32ELb0EddPKPKdPKPdEv13rocblas_fill_18rocblas_operation_17rocblas_diagonal_iiT3_T4_lilT5_lili
	.p2align	8
	.type	_ZL30rocblas_trsm_small_left_deviceILi64ELi32ELb0EddPKPKdPKPdEv13rocblas_fill_18rocblas_operation_17rocblas_diagonal_iiT3_T4_lilT5_lili,@function
_ZL30rocblas_trsm_small_left_deviceILi64ELi32ELb0EddPKPKdPKPdEv13rocblas_fill_18rocblas_operation_17rocblas_diagonal_iiT3_T4_lilT5_lili: ; @_ZL30rocblas_trsm_small_left_deviceILi64ELi32ELb0EddPKPKdPKPdEv13rocblas_fill_18rocblas_operation_17rocblas_diagonal_iiT3_T4_lilT5_lili
; %bb.0:
	s_load_b128 s[16:19], s[0:1], 0x40
	s_mov_b32 s2, s15
	s_mov_b32 s3, 0
	s_clause 0x1
	s_load_b128 s[8:11], s[0:1], 0x4
	s_load_b64 s[20:21], s[0:1], 0x28
	s_lshl_b64 s[22:23], s[2:3], 3
	s_mov_b32 s28, exec_lo
	s_waitcnt lgkmcnt(0)
	s_add_u32 s12, s16, s22
	s_addc_u32 s13, s17, s23
	s_load_b128 s[4:7], s[0:1], 0x18
	s_load_b64 s[12:13], s[12:13], 0x0
	s_min_i32 s15, s10, 64
	s_delay_alu instid0(SALU_CYCLE_1)
	s_add_i32 s2, s15, -1
	v_cmpx_gt_i32_e64 s15, v0
	s_cbranch_execz .LBB108_10
; %bb.1:
	s_load_b32 s16, s[0:1], 0x30
	v_lshlrev_b32_e32 v3, 3, v0
	s_waitcnt lgkmcnt(0)
	s_ashr_i32 s17, s16, 31
	s_add_u32 s6, s6, s22
	s_addc_u32 s7, s7, s23
	s_cmp_lt_u32 s2, 3
	s_load_b64 s[6:7], s[6:7], 0x0
	s_cbranch_scc1 .LBB108_4
; %bb.2:
	s_lshl_b64 s[22:23], s[20:21], 3
	v_mov_b32_e32 v4, v3
	s_waitcnt lgkmcnt(0)
	s_add_u32 s3, s6, s22
	s_addc_u32 s22, s7, s23
	v_add_co_u32 v1, s3, s3, v3
	s_delay_alu instid0(VALU_DEP_1)
	v_add_co_ci_u32_e64 v2, null, s22, 0, s3
	s_and_b32 s3, s15, -4
	s_mul_hi_i32 s29, s16, 24
	s_mul_i32 s30, s16, 24
	s_lshl_b64 s[22:23], s[16:17], 5
	s_lshl_b64 s[24:25], s[16:17], 4
	;; [unrolled: 1-line block ×3, first 2 shown]
	s_mov_b32 s31, 0
	.p2align	6
.LBB108_3:                              ; =>This Inner Loop Header: Depth=1
	v_add_co_u32 v5, vcc_lo, v1, s26
	v_add_co_ci_u32_e32 v6, vcc_lo, s27, v2, vcc_lo
	v_add_co_u32 v7, vcc_lo, v1, s24
	v_add_co_ci_u32_e32 v8, vcc_lo, s25, v2, vcc_lo
	;; [unrolled: 2-line block ×3, first 2 shown]
	s_clause 0x3
	global_load_b64 v[11:12], v[1:2], off
	global_load_b64 v[5:6], v[5:6], off
	;; [unrolled: 1-line block ×4, first 2 shown]
	v_add_co_u32 v1, vcc_lo, v1, s22
	v_add_co_ci_u32_e32 v2, vcc_lo, s23, v2, vcc_lo
	s_add_i32 s31, s31, 4
	s_waitcnt vmcnt(2)
	ds_store_2addr_stride64_b64 v4, v[11:12], v[5:6] offset1:1
	s_waitcnt vmcnt(0)
	ds_store_2addr_stride64_b64 v4, v[7:8], v[9:10] offset0:2 offset1:3
	v_add_nc_u32_e32 v4, 0x800, v4
	s_cmp_eq_u32 s3, s31
	s_cbranch_scc0 .LBB108_3
.LBB108_4:
	s_and_b32 s22, s15, 3
	s_delay_alu instid0(SALU_CYCLE_1)
	s_cmp_eq_u32 s22, 0
	s_cbranch_scc1 .LBB108_7
; %bb.5:
	s_mul_i32 s23, s17, s3
	s_mul_hi_u32 s25, s16, s3
	s_mul_i32 s24, s16, s3
	s_add_i32 s25, s25, s23
	s_lshl_b64 s[20:21], s[20:21], 3
	s_lshl_b64 s[24:25], s[24:25], 3
	v_lshl_or_b32 v4, s3, 9, v3
	s_add_u32 s3, s24, s20
	s_addc_u32 s20, s25, s21
	s_waitcnt lgkmcnt(0)
	s_add_u32 s3, s6, s3
	s_addc_u32 s6, s7, s20
	v_add_co_u32 v1, s3, s3, v3
	s_delay_alu instid0(VALU_DEP_1)
	v_add_co_ci_u32_e64 v2, null, s6, 0, s3
	s_lshl_b64 s[6:7], s[16:17], 3
.LBB108_6:                              ; =>This Inner Loop Header: Depth=1
	global_load_b64 v[5:6], v[1:2], off
	v_add_co_u32 v1, vcc_lo, v1, s6
	v_add_co_ci_u32_e32 v2, vcc_lo, s7, v2, vcc_lo
	s_add_i32 s22, s22, -1
	s_delay_alu instid0(SALU_CYCLE_1)
	s_cmp_lg_u32 s22, 0
	s_waitcnt vmcnt(0)
	ds_store_b64 v4, v[5:6]
	v_add_nc_u32_e32 v4, 0x200, v4
	s_cbranch_scc1 .LBB108_6
.LBB108_7:
	v_mul_u32_u24_e32 v3, 0x41, v0
	v_mov_b32_e32 v1, 0
	v_mov_b32_e32 v2, 0x3ff00000
	s_cmpk_lg_i32 s9, 0x84
	s_delay_alu instid0(VALU_DEP_3)
	v_lshlrev_b32_e32 v3, 3, v3
	s_cbranch_scc0 .LBB108_9
; %bb.8:
	ds_load_b64 v[1:2], v3
	s_waitcnt lgkmcnt(0)
	v_div_scale_f64 v[4:5], null, v[1:2], v[1:2], 1.0
	s_delay_alu instid0(VALU_DEP_1) | instskip(SKIP_2) | instid1(VALU_DEP_1)
	v_rcp_f64_e32 v[6:7], v[4:5]
	s_waitcnt_depctr 0xfff
	v_fma_f64 v[8:9], -v[4:5], v[6:7], 1.0
	v_fma_f64 v[6:7], v[6:7], v[8:9], v[6:7]
	s_delay_alu instid0(VALU_DEP_1) | instskip(NEXT) | instid1(VALU_DEP_1)
	v_fma_f64 v[8:9], -v[4:5], v[6:7], 1.0
	v_fma_f64 v[6:7], v[6:7], v[8:9], v[6:7]
	v_div_scale_f64 v[8:9], vcc_lo, 1.0, v[1:2], 1.0
	s_delay_alu instid0(VALU_DEP_1) | instskip(NEXT) | instid1(VALU_DEP_1)
	v_mul_f64 v[10:11], v[8:9], v[6:7]
	v_fma_f64 v[4:5], -v[4:5], v[10:11], v[8:9]
	s_delay_alu instid0(VALU_DEP_1) | instskip(NEXT) | instid1(VALU_DEP_1)
	v_div_fmas_f64 v[4:5], v[4:5], v[6:7], v[10:11]
	v_div_fixup_f64 v[1:2], v[4:5], v[1:2], 1.0
.LBB108_9:
	ds_store_b64 v3, v[1:2]
.LBB108_10:
	s_or_b32 exec_lo, exec_lo, s28
	s_load_b32 s3, s[0:1], 0x68
	s_waitcnt lgkmcnt(0)
	s_lshl_b32 s6, s14, 6
	s_delay_alu instid0(SALU_CYCLE_1) | instskip(SKIP_3) | instid1(SALU_CYCLE_1)
	s_sub_i32 s7, s11, s6
	s_barrier
	buffer_gl0_inv
	s_add_i32 s3, s3, -1
	s_cmp_ge_u32 s14, s3
	s_cselect_b32 s3, s7, 64
	s_delay_alu instid0(SALU_CYCLE_1)
	v_cmp_gt_i32_e32 vcc_lo, s3, v0
	s_mov_b32 s3, -1
	s_and_saveexec_b32 s7, vcc_lo
	s_cbranch_execz .LBB108_73
; %bb.11:
	s_load_b32 s0, s[0:1], 0x50
	v_add_nc_u32_e32 v2, s6, v0
	s_waitcnt lgkmcnt(0)
	s_delay_alu instid0(VALU_DEP_1) | instskip(SKIP_1) | instid1(SALU_CYCLE_1)
	v_mad_i64_i32 v[0:1], null, s0, v2, 0
	s_lshl_b64 s[0:1], s[18:19], 3
	s_add_u32 s6, s12, s0
	s_addc_u32 s7, s13, s1
	s_cmpk_eq_i32 s8, 0x6f
	s_delay_alu instid0(VALU_DEP_1) | instskip(NEXT) | instid1(VALU_DEP_1)
	v_lshlrev_b64 v[54:55], 3, v[0:1]
	v_add_co_u32 v52, vcc_lo, s6, v54
	s_delay_alu instid0(VALU_DEP_2)
	v_add_co_ci_u32_e32 v53, vcc_lo, s7, v55, vcc_lo
	s_cbranch_scc1 .LBB108_45
; %bb.12:
	s_cmp_lt_i32 s10, 32
	s_mov_b32 s8, 0
	s_cbranch_scc1 .LBB108_19
; %bb.13:
	s_mov_b32 s7, 0
	s_mov_b32 s6, 0
	s_mov_b32 s3, 0
.LBB108_14:                             ; =>This Loop Header: Depth=1
                                        ;     Child Loop BB108_16 Depth 2
	s_lshl_b64 s[8:9], s[6:7], 3
	s_cmp_eq_u32 s6, 0
	v_add_co_u32 v56, vcc_lo, v52, s8
	v_add_co_ci_u32_e32 v57, vcc_lo, s9, v53, vcc_lo
	s_clause 0xf
	global_load_b128 v[0:3], v[56:57], off
	global_load_b128 v[4:7], v[56:57], off offset:16
	global_load_b128 v[8:11], v[56:57], off offset:32
	;; [unrolled: 1-line block ×15, first 2 shown]
	s_waitcnt vmcnt(15)
	v_mul_f64 v[0:1], v[0:1], s[4:5]
	v_mul_f64 v[42:43], v[2:3], s[4:5]
	s_waitcnt vmcnt(14)
	v_mul_f64 v[2:3], v[4:5], s[4:5]
	v_mul_f64 v[40:41], v[6:7], s[4:5]
	;; [unrolled: 3-line block ×16, first 2 shown]
	s_cbranch_scc1 .LBB108_17
; %bb.15:                               ;   in Loop: Header=BB108_14 Depth=1
	v_dual_mov_b32 v44, v52 :: v_dual_mov_b32 v45, v53
	s_mov_b32 s8, 0
	s_mov_b32 s9, s3
.LBB108_16:                             ;   Parent Loop BB108_14 Depth=1
                                        ; =>  This Inner Loop Header: Depth=2
	global_load_b64 v[46:47], v[44:45], off
	v_mov_b32_e32 v134, s9
	v_add_co_u32 v44, vcc_lo, v44, 8
	v_add_co_ci_u32_e32 v45, vcc_lo, 0, v45, vcc_lo
	ds_load_2addr_stride64_b64 v[74:77], v134 offset1:1
	ds_load_2addr_stride64_b64 v[78:81], v134 offset0:2 offset1:3
	ds_load_2addr_stride64_b64 v[82:85], v134 offset0:4 offset1:5
	;; [unrolled: 1-line block ×15, first 2 shown]
	s_add_i32 s8, s8, 1
	s_add_i32 s9, s9, 8
	s_cmp_lt_u32 s8, s6
	s_waitcnt vmcnt(0) lgkmcnt(15)
	v_fma_f64 v[0:1], -v[46:47], v[74:75], v[0:1]
	v_fma_f64 v[42:43], -v[46:47], v[76:77], v[42:43]
	s_waitcnt lgkmcnt(14)
	v_fma_f64 v[2:3], -v[46:47], v[78:79], v[2:3]
	v_fma_f64 v[40:41], -v[46:47], v[80:81], v[40:41]
	s_waitcnt lgkmcnt(13)
	;; [unrolled: 3-line block ×15, first 2 shown]
	v_fma_f64 v[60:61], -v[46:47], v[134:135], v[60:61]
	v_fma_f64 v[58:59], -v[46:47], v[136:137], v[58:59]
	s_cbranch_scc1 .LBB108_16
.LBB108_17:                             ;   in Loop: Header=BB108_14 Depth=1
	s_mul_i32 s9, s6, 0x208
	s_lshl_b32 s8, s6, 6
	v_mov_b32_e32 v44, s9
	s_add_i32 s8, s6, s8
	s_addk_i32 s3, 0x4000
	s_lshl_b32 s16, s8, 3
	s_or_b32 s8, s6, 16
	ds_load_2addr_b64 v[44:47], v44 offset1:130
	v_mov_b32_e32 v74, s16
	s_lshl_b32 s11, s8, 6
	s_mulk_i32 s8, 0x208
	ds_load_b128 v[75:78], v74 offset:512
	ds_load_b128 v[79:82], v74 offset:1024
	s_add_i32 s11, s11, s6
	s_delay_alu instid0(SALU_CYCLE_1) | instskip(SKIP_3) | instid1(VALU_DEP_1)
	s_lshl_b32 s11, s11, 3
	s_waitcnt lgkmcnt(2)
	v_mul_f64 v[0:1], v[44:45], v[0:1]
	s_waitcnt lgkmcnt(1)
	v_fma_f64 v[42:43], -v[0:1], v[75:76], v[42:43]
	s_waitcnt lgkmcnt(0)
	v_fma_f64 v[79:80], -v[0:1], v[79:80], v[2:3]
	s_delay_alu instid0(VALU_DEP_2)
	v_mul_f64 v[2:3], v[77:78], v[42:43]
	ds_load_b128 v[42:45], v74 offset:1536
	ds_load_b128 v[75:78], v74 offset:1552
	s_waitcnt lgkmcnt(1)
	v_fma_f64 v[83:84], -v[0:1], v[42:43], v[40:41]
	v_fma_f64 v[85:86], -v[2:3], v[81:82], v[79:80]
	ds_load_b128 v[40:43], v74 offset:2048
	ds_load_b128 v[79:82], v74 offset:2064
	s_waitcnt lgkmcnt(1)
	v_fma_f64 v[40:41], -v[0:1], v[40:41], v[4:5]
	v_fma_f64 v[87:88], -v[2:3], v[44:45], v[83:84]
	v_mul_f64 v[4:5], v[46:47], v[85:86]
	ds_load_b128 v[44:47], v74 offset:2560
	ds_load_b128 v[83:86], v74 offset:2576
	s_waitcnt lgkmcnt(1)
	v_fma_f64 v[44:45], -v[0:1], v[44:45], v[38:39]
	v_fma_f64 v[42:43], -v[2:3], v[42:43], v[40:41]
	ds_load_b128 v[38:41], v74 offset:3072
	v_fma_f64 v[75:76], -v[4:5], v[75:76], v[87:88]
	s_waitcnt lgkmcnt(0)
	v_fma_f64 v[38:39], -v[0:1], v[38:39], v[6:7]
	v_fma_f64 v[46:47], -v[2:3], v[46:47], v[44:45]
	;; [unrolled: 1-line block ×3, first 2 shown]
	s_delay_alu instid0(VALU_DEP_4)
	v_mul_f64 v[6:7], v[77:78], v[75:76]
	ds_load_b128 v[42:45], v74 offset:3584
	ds_load_b128 v[75:78], v74 offset:3600
	v_fma_f64 v[93:94], -v[2:3], v[40:41], v[38:39]
	s_waitcnt lgkmcnt(1)
	v_fma_f64 v[91:92], -v[0:1], v[42:43], v[36:37]
	v_fma_f64 v[46:47], -v[4:5], v[83:84], v[46:47]
	;; [unrolled: 1-line block ×3, first 2 shown]
	v_add_nc_u32_e64 v79, 0x800, s9
	ds_load_b128 v[36:39], v74 offset:4096
	ds_load_b128 v[40:43], v74 offset:3088
	ds_load_2addr_b64 v[79:82], v79 offset0:4 offset1:134
	ds_load_b128 v[87:90], v74 offset:3104
	v_fma_f64 v[91:92], -v[2:3], v[44:45], v[91:92]
	s_waitcnt lgkmcnt(3)
	v_fma_f64 v[36:37], -v[0:1], v[36:37], v[8:9]
	s_waitcnt lgkmcnt(2)
	v_fma_f64 v[40:41], -v[4:5], v[40:41], v[93:94]
	v_fma_f64 v[93:94], -v[6:7], v[85:86], v[46:47]
	s_waitcnt lgkmcnt(1)
	v_mul_f64 v[8:9], v[79:80], v[83:84]
	ds_load_b128 v[44:47], v74 offset:4608
	ds_load_b128 v[83:86], v74 offset:2592
	s_waitcnt lgkmcnt(1)
	v_fma_f64 v[18:19], -v[0:1], v[44:45], v[18:19]
	v_fma_f64 v[44:45], -v[2:3], v[38:39], v[36:37]
	;; [unrolled: 1-line block ×4, first 2 shown]
	s_waitcnt lgkmcnt(0)
	v_fma_f64 v[83:84], -v[8:9], v[83:84], v[93:94]
	ds_load_b128 v[36:39], v74 offset:5120
	ds_load_b128 v[40:43], v74 offset:4112
	ds_load_b128 v[91:94], v74 offset:4128
	s_waitcnt lgkmcnt(2)
	v_fma_f64 v[36:37], -v[0:1], v[36:37], v[10:11]
	v_fma_f64 v[18:19], -v[2:3], v[46:47], v[18:19]
	s_waitcnt lgkmcnt(1)
	v_fma_f64 v[40:41], -v[4:5], v[40:41], v[44:45]
	v_fma_f64 v[103:104], -v[6:7], v[77:78], v[75:76]
	v_fma_f64 v[79:80], -v[8:9], v[87:88], v[79:80]
	v_mul_f64 v[10:11], v[85:86], v[83:84]
	ds_load_b128 v[44:47], v74 offset:5632
	ds_load_b128 v[75:78], v74 offset:4624
	;; [unrolled: 1-line block ×5, first 2 shown]
	s_waitcnt lgkmcnt(4)
	v_fma_f64 v[16:17], -v[0:1], v[44:45], v[16:17]
	v_fma_f64 v[44:45], -v[2:3], v[38:39], v[36:37]
	s_waitcnt lgkmcnt(3)
	v_fma_f64 v[18:19], -v[4:5], v[75:76], v[18:19]
	v_fma_f64 v[75:76], -v[6:7], v[42:43], v[40:41]
	;; [unrolled: 3-line block ×3, first 2 shown]
	ds_load_b128 v[36:39], v74 offset:6144
	ds_load_b128 v[40:43], v74 offset:5136
	;; [unrolled: 1-line block ×3, first 2 shown]
	v_fma_f64 v[103:104], -v[2:3], v[46:47], v[16:17]
	v_add_nc_u32_e64 v16, 0xc00, s16
	s_waitcnt lgkmcnt(2)
	v_fma_f64 v[36:37], -v[0:1], v[36:37], v[12:13]
	s_waitcnt lgkmcnt(1)
	v_fma_f64 v[40:41], -v[4:5], v[40:41], v[44:45]
	v_fma_f64 v[77:78], -v[6:7], v[77:78], v[18:19]
	;; [unrolled: 1-line block ×4, first 2 shown]
	ds_load_b128 v[44:47], v74 offset:6656
	ds_load_2addr_b64 v[16:19], v16 offset0:70 offset1:200
	v_mul_f64 v[12:13], v[81:82], v[79:80]
	s_waitcnt lgkmcnt(1)
	v_fma_f64 v[85:86], -v[0:1], v[44:45], v[34:35]
	v_fma_f64 v[99:100], -v[4:5], v[99:100], v[103:104]
	;; [unrolled: 1-line block ×6, first 2 shown]
	v_add_nc_u32_e64 v77, 0xc00, s9
	ds_load_b128 v[34:37], v74 offset:7168
	s_waitcnt lgkmcnt(1)
	v_fma_f64 v[16:17], -v[12:13], v[16:17], v[83:84]
	ds_load_b128 v[38:41], v74 offset:6160
	ds_load_b128 v[42:45], v74 offset:4144
	ds_load_2addr_b64 v[77:80], v77 offset0:71 offset1:136
	ds_load_b128 v[81:84], v74 offset:6176
	s_waitcnt lgkmcnt(4)
	v_fma_f64 v[34:35], -v[0:1], v[34:35], v[14:15]
	v_fma_f64 v[46:47], -v[2:3], v[46:47], v[85:86]
	;; [unrolled: 1-line block ×3, first 2 shown]
	s_waitcnt lgkmcnt(3)
	v_fma_f64 v[38:39], -v[4:5], v[38:39], v[91:92]
	v_fma_f64 v[117:118], -v[8:9], v[87:88], v[103:104]
	;; [unrolled: 1-line block ×3, first 2 shown]
	s_waitcnt lgkmcnt(2)
	v_fma_f64 v[42:43], -v[12:13], v[42:43], v[75:76]
	ds_load_b128 v[85:88], v74 offset:7680
	ds_load_b128 v[91:94], v74 offset:6672
	;; [unrolled: 1-line block ×7, first 2 shown]
	s_waitcnt lgkmcnt(8)
	v_mul_f64 v[14:15], v[77:78], v[16:17]
	v_mov_b32_e32 v78, s11
	s_waitcnt lgkmcnt(6)
	v_fma_f64 v[16:17], -v[0:1], v[85:86], v[32:33]
	s_or_b32 s11, s6, 18
	s_delay_alu instid0(SALU_CYCLE_1) | instskip(SKIP_4) | instid1(SALU_CYCLE_1)
	s_lshl_b32 s14, s11, 6
	v_fma_f64 v[75:76], -v[2:3], v[36:37], v[34:35]
	s_waitcnt lgkmcnt(5)
	v_fma_f64 v[85:86], -v[4:5], v[91:92], v[46:47]
	s_add_i32 s14, s14, s6
	s_lshl_b32 s14, s14, 3
	s_waitcnt lgkmcnt(4)
	v_fma_f64 v[95:96], -v[8:9], v[95:96], v[115:116]
	v_fma_f64 v[121:122], -v[6:7], v[40:41], v[38:39]
	v_fma_f64 v[123:124], -v[10:11], v[89:90], v[117:118]
	s_waitcnt lgkmcnt(3)
	v_fma_f64 v[99:100], -v[12:13], v[99:100], v[119:120]
	v_fma_f64 v[119:120], -v[14:15], v[44:45], v[42:43]
	ds_load_b128 v[32:35], v78
	ds_load_b128 v[36:39], v74 offset:7184
	ds_load_b128 v[40:43], v74 offset:5168
	;; [unrolled: 1-line block ×5, first 2 shown]
	s_waitcnt lgkmcnt(5)
	v_fma_f64 v[22:23], -v[0:1], v[32:33], v[22:23]
	v_fma_f64 v[32:33], -v[2:3], v[87:88], v[16:17]
	s_waitcnt lgkmcnt(4)
	v_fma_f64 v[36:37], -v[4:5], v[36:37], v[75:76]
	v_fma_f64 v[75:76], -v[6:7], v[93:94], v[85:86]
	v_fma_f64 v[93:94], -v[8:9], v[81:82], v[121:122]
	v_fma_f64 v[95:96], -v[10:11], v[97:98], v[95:96]
	s_waitcnt lgkmcnt(3)
	v_fma_f64 v[40:41], -v[12:13], v[40:41], v[123:124]
	v_fma_f64 v[97:98], -v[14:15], v[101:102], v[99:100]
	ds_load_b128 v[85:88], v74 offset:8720
	v_mul_f64 v[16:17], v[79:80], v[119:120]
	ds_load_b128 v[79:82], v74 offset:8704
	v_fma_f64 v[99:100], -v[2:3], v[34:35], v[22:23]
	v_fma_f64 v[101:102], -v[4:5], v[111:112], v[32:33]
	;; [unrolled: 1-line block ×5, first 2 shown]
	s_waitcnt lgkmcnt(0)
	v_fma_f64 v[79:80], -v[0:1], v[79:80], v[20:21]
	v_fma_f64 v[103:104], -v[12:13], v[103:104], v[95:96]
	;; [unrolled: 1-line block ×3, first 2 shown]
	v_mov_b32_e32 v75, s14
	v_add_nc_u32_e64 v20, 0x1000, s9
	s_or_b32 s14, s6, 20
	s_delay_alu instid0(SALU_CYCLE_1)
	s_lshl_b32 s17, s14, 6
	ds_load_b128 v[32:35], v75
	ds_load_b128 v[36:39], v74 offset:6192
	ds_load_2addr_b64 v[93:96], v20 offset0:73 offset1:138
	ds_load_b128 v[20:23], v74 offset:6208
	s_add_i32 s17, s17, s6
	s_delay_alu instid0(SALU_CYCLE_1)
	s_lshl_b32 s17, s17, 3
	v_fma_f64 v[18:19], -v[16:17], v[18:19], v[97:98]
	s_waitcnt lgkmcnt(3)
	v_fma_f64 v[42:43], -v[0:1], v[32:33], v[30:31]
	v_fma_f64 v[115:116], -v[4:5], v[115:116], v[99:100]
	;; [unrolled: 1-line block ×5, first 2 shown]
	s_waitcnt lgkmcnt(2)
	v_fma_f64 v[36:37], -v[12:13], v[36:37], v[83:84]
	v_fma_f64 v[119:120], -v[2:3], v[81:82], v[79:80]
	;; [unrolled: 1-line block ×4, first 2 shown]
	ds_load_b128 v[30:33], v74 offset:9728
	ds_load_b128 v[79:82], v74 offset:7712
	;; [unrolled: 1-line block ×6, first 2 shown]
	s_waitcnt lgkmcnt(7)
	v_mul_f64 v[18:19], v[93:94], v[18:19]
	s_waitcnt lgkmcnt(5)
	v_fma_f64 v[26:27], -v[0:1], v[30:31], v[26:27]
	v_fma_f64 v[30:31], -v[2:3], v[34:35], v[42:43]
	;; [unrolled: 1-line block ×3, first 2 shown]
	s_waitcnt lgkmcnt(4)
	v_fma_f64 v[79:80], -v[8:9], v[79:80], v[113:114]
	v_fma_f64 v[121:122], -v[10:11], v[91:92], v[89:90]
	s_waitcnt lgkmcnt(3)
	v_fma_f64 v[97:98], -v[12:13], v[97:98], v[76:77]
	v_fma_f64 v[123:124], -v[14:15], v[38:39], v[36:37]
	;; [unrolled: 1-line block ×3, first 2 shown]
	s_waitcnt lgkmcnt(2)
	v_fma_f64 v[101:102], -v[16:17], v[101:102], v[83:84]
	v_mov_b32_e32 v76, s17
	v_fma_f64 v[125:126], -v[18:19], v[46:47], v[40:41]
	ds_load_b128 v[83:86], v76
	ds_load_b128 v[89:92], v75 offset:16
	ds_load_b128 v[113:116], v78 offset:32
	;; [unrolled: 1-line block ×6, first 2 shown]
	v_fma_f64 v[32:33], -v[2:3], v[32:33], v[26:27]
	s_waitcnt lgkmcnt(6)
	v_fma_f64 v[83:84], -v[0:1], v[83:84], v[24:25]
	s_waitcnt lgkmcnt(5)
	v_fma_f64 v[30:31], -v[4:5], v[89:90], v[30:31]
	s_waitcnt lgkmcnt(4)
	v_fma_f64 v[113:114], -v[8:9], v[113:114], v[93:94]
	v_fma_f64 v[127:128], -v[10:11], v[81:82], v[79:80]
	s_waitcnt lgkmcnt(3)
	v_fma_f64 v[117:118], -v[12:13], v[117:118], v[121:122]
	v_fma_f64 v[121:122], -v[14:15], v[99:100], v[97:98]
	;; [unrolled: 1-line block ×5, first 2 shown]
	v_add_nc_u32_e64 v24, 0x1400, s16
	s_or_b32 s16, s6, 22
	s_delay_alu instid0(SALU_CYCLE_1) | instskip(NEXT) | instid1(SALU_CYCLE_1)
	s_lshl_b32 s17, s16, 6
	s_add_i32 s17, s17, s6
	s_delay_alu instid0(SALU_CYCLE_1) | instskip(NEXT) | instid1(SALU_CYCLE_1)
	s_lshl_b32 s17, s17, 3
	v_mov_b32_e32 v77, s17
	s_or_b32 s17, s6, 24
	s_delay_alu instid0(SALU_CYCLE_1) | instskip(NEXT) | instid1(SALU_CYCLE_1)
	s_lshl_b32 s18, s17, 6
	s_add_i32 s18, s18, s6
	v_mul_f64 v[20:21], v[95:96], v[125:126]
	ds_load_b128 v[79:82], v74 offset:10752
	ds_load_b128 v[87:90], v74 offset:9744
	;; [unrolled: 1-line block ×3, first 2 shown]
	ds_load_2addr_b64 v[24:27], v24 offset0:74 offset1:204
	ds_load_b128 v[97:100], v74 offset:8752
	ds_load_b128 v[101:104], v74 offset:9760
	s_lshl_b32 s18, s18, 3
	v_fma_f64 v[125:126], -v[2:3], v[85:86], v[83:84]
	v_fma_f64 v[131:132], -v[6:7], v[91:92], v[30:31]
	;; [unrolled: 1-line block ×5, first 2 shown]
	s_waitcnt lgkmcnt(5)
	v_fma_f64 v[79:80], -v[0:1], v[79:80], v[28:29]
	s_waitcnt lgkmcnt(4)
	v_fma_f64 v[87:88], -v[4:5], v[87:88], v[32:33]
	;; [unrolled: 2-line block ×3, first 2 shown]
	v_fma_f64 v[105:106], -v[16:17], v[105:106], v[121:122]
	v_fma_f64 v[119:120], -v[18:19], v[22:23], v[123:124]
	v_add_nc_u32_e64 v28, 0x1400, s9
	s_waitcnt lgkmcnt(2)
	v_fma_f64 v[121:122], -v[20:21], v[24:25], v[129:130]
	ds_load_b128 v[22:25], v77
	ds_load_b128 v[83:86], v76 offset:16
	ds_load_b128 v[91:94], v74 offset:6224
	ds_load_2addr_b64 v[113:116], v28 offset0:75 offset1:140
	ds_load_b128 v[28:31], v76 offset:32
	ds_load_b128 v[32:35], v77 offset:16
	v_fma_f64 v[44:45], -v[8:9], v[44:45], v[131:132]
	v_fma_f64 v[40:41], -v[12:13], v[40:41], v[135:136]
	;; [unrolled: 1-line block ×5, first 2 shown]
	s_waitcnt lgkmcnt(5)
	v_fma_f64 v[50:51], -v[0:1], v[22:23], v[50:51]
	s_waitcnt lgkmcnt(4)
	v_fma_f64 v[83:84], -v[4:5], v[83:84], v[125:126]
	v_fma_f64 v[137:138], -v[6:7], v[89:90], v[87:88]
	;; [unrolled: 1-line block ×4, first 2 shown]
	s_waitcnt lgkmcnt(3)
	v_fma_f64 v[91:92], -v[20:21], v[91:92], v[119:120]
	ds_load_b128 v[79:82], v74 offset:11776
	ds_load_b128 v[87:90], v74 offset:10768
	;; [unrolled: 1-line block ×4, first 2 shown]
	s_waitcnt lgkmcnt(6)
	v_mul_f64 v[22:23], v[113:114], v[121:122]
	ds_load_b128 v[117:120], v74 offset:7760
	ds_load_b128 v[121:124], v74 offset:10784
	;; [unrolled: 1-line block ×3, first 2 shown]
	s_waitcnt lgkmcnt(6)
	v_fma_f64 v[113:114], -v[0:1], v[79:80], v[48:49]
	v_mov_b32_e32 v79, s18
	s_or_b32 s18, s6, 26
	s_delay_alu instid0(SALU_CYCLE_1) | instskip(NEXT) | instid1(SALU_CYCLE_1)
	s_lshl_b32 s19, s18, 6
	s_add_i32 s19, s19, s6
	s_delay_alu instid0(SALU_CYCLE_1)
	s_lshl_b32 s19, s19, 3
	v_fma_f64 v[141:142], -v[14:15], v[42:43], v[40:41]
	s_waitcnt lgkmcnt(4)
	v_fma_f64 v[105:106], -v[16:17], v[105:106], v[131:132]
	v_fma_f64 v[143:144], -v[18:19], v[38:39], v[36:37]
	;; [unrolled: 1-line block ×8, first 2 shown]
	s_waitcnt lgkmcnt(3)
	v_fma_f64 v[109:110], -v[20:21], v[109:110], v[133:134]
	v_fma_f64 v[133:134], -v[22:23], v[93:94], v[91:92]
	ds_load_b128 v[83:86], v79
	ds_load_b128 v[91:94], v75 offset:48
	ds_load_b128 v[95:98], v78 offset:64
	;; [unrolled: 1-line block ×7, first 2 shown]
	v_fma_f64 v[147:148], -v[2:3], v[81:82], v[113:114]
	s_waitcnt lgkmcnt(7)
	v_fma_f64 v[145:146], -v[0:1], v[83:84], v[72:73]
	v_mov_b32_e32 v72, s19
	s_waitcnt lgkmcnt(5)
	v_fma_f64 v[95:96], -v[16:17], v[95:96], v[141:142]
	s_waitcnt lgkmcnt(4)
	v_fma_f64 v[129:130], -v[20:21], v[129:130], v[143:144]
	v_fma_f64 v[149:150], -v[6:7], v[89:90], v[87:88]
	;; [unrolled: 1-line block ×9, first 2 shown]
	ds_load_b128 v[80:83], v74 offset:12800
	ds_load_b128 v[87:90], v74 offset:9776
	;; [unrolled: 1-line block ×6, first 2 shown]
	v_mul_f64 v[24:25], v[115:116], v[133:134]
	v_fma_f64 v[125:126], -v[4:5], v[125:126], v[147:148]
	s_waitcnt lgkmcnt(5)
	v_fma_f64 v[70:71], -v[0:1], v[80:81], v[70:71]
	v_fma_f64 v[80:81], -v[2:3], v[85:86], v[145:146]
	;; [unrolled: 1-line block ×6, first 2 shown]
	s_waitcnt lgkmcnt(4)
	v_fma_f64 v[135:136], -v[12:13], v[87:88], v[135:136]
	v_fma_f64 v[145:146], -v[14:15], v[93:94], v[91:92]
	s_waitcnt lgkmcnt(3)
	v_fma_f64 v[99:100], -v[16:17], v[99:100], v[137:138]
	v_fma_f64 v[137:138], -v[18:19], v[97:98], v[95:96]
	;; [unrolled: 1-line block ×3, first 2 shown]
	v_add_nc_u32_e64 v28, 0x1800, s9
	ds_load_b128 v[84:87], v72
	ds_load_b128 v[91:94], v77 offset:32
	ds_load_b128 v[95:98], v76 offset:48
	ds_load_2addr_b64 v[115:118], v28 offset0:77 offset1:142
	ds_load_b128 v[28:31], v76 offset:64
	ds_load_b128 v[32:35], v77 offset:48
	s_or_b32 s9, s6, 28
	s_delay_alu instid0(SALU_CYCLE_1) | instskip(NEXT) | instid1(SALU_CYCLE_1)
	s_lshl_b32 s19, s9, 6
	s_add_i32 s19, s19, s6
	v_fma_f64 v[26:27], -v[24:25], v[26:27], v[141:142]
	s_lshl_b32 s19, s19, 3
	v_fma_f64 v[141:142], -v[6:7], v[127:128], v[125:126]
	s_waitcnt lgkmcnt(5)
	v_fma_f64 v[84:85], -v[0:1], v[84:85], v[68:69]
	v_fma_f64 v[69:70], -v[2:3], v[82:83], v[70:71]
	v_mov_b32_e32 v68, s19
	s_or_b32 s19, s6, 30
	s_delay_alu instid0(SALU_CYCLE_1) | instskip(SKIP_2) | instid1(SALU_CYCLE_1)
	s_lshl_b32 s20, s19, 6
	v_fma_f64 v[48:49], -v[4:5], v[48:49], v[80:81]
	s_add_i32 s20, s20, s6
	s_lshl_b32 s20, s20, 3
	v_fma_f64 v[36:37], -v[24:25], v[36:37], v[129:130]
	v_fma_f64 v[149:150], -v[10:11], v[123:124], v[121:122]
	s_waitcnt lgkmcnt(4)
	v_fma_f64 v[147:148], -v[8:9], v[91:92], v[133:134]
	s_waitcnt lgkmcnt(3)
	v_fma_f64 v[95:96], -v[12:13], v[95:96], v[143:144]
	v_fma_f64 v[135:136], -v[14:15], v[89:90], v[135:136]
	;; [unrolled: 1-line block ×6, first 2 shown]
	ds_load_b128 v[80:83], v74 offset:13824
	ds_load_b128 v[88:91], v74 offset:11808
	;; [unrolled: 1-line block ×7, first 2 shown]
	s_waitcnt lgkmcnt(9)
	v_mul_f64 v[26:27], v[115:116], v[26:27]
	s_waitcnt lgkmcnt(6)
	v_fma_f64 v[66:67], -v[0:1], v[80:81], v[66:67]
	v_fma_f64 v[80:81], -v[2:3], v[86:87], v[84:85]
	;; [unrolled: 1-line block ×3, first 2 shown]
	s_waitcnt lgkmcnt(5)
	v_fma_f64 v[88:89], -v[8:9], v[88:89], v[141:142]
	v_fma_f64 v[111:112], -v[6:7], v[50:51], v[48:49]
	s_waitcnt lgkmcnt(4)
	v_fma_f64 v[145:146], -v[12:13], v[99:100], v[149:150]
	v_fma_f64 v[115:116], -v[10:11], v[93:94], v[147:148]
	;; [unrolled: 1-line block ×7, first 2 shown]
	s_waitcnt lgkmcnt(3)
	v_fma_f64 v[119:120], -v[24:25], v[119:120], v[137:138]
	v_fma_f64 v[151:152], -v[26:27], v[38:39], v[36:37]
	ds_load_b128 v[84:87], v68
	ds_load_b128 v[92:95], v72 offset:16
	ds_load_b128 v[96:99], v79 offset:32
	;; [unrolled: 1-line block ×8, first 2 shown]
	v_fma_f64 v[69:70], -v[6:7], v[113:114], v[69:70]
	v_fma_f64 v[153:154], -v[10:11], v[90:91], v[88:89]
	s_waitcnt lgkmcnt(8)
	v_fma_f64 v[84:85], -v[0:1], v[84:85], v[64:65]
	v_fma_f64 v[65:66], -v[2:3], v[82:83], v[66:67]
	s_waitcnt lgkmcnt(7)
	v_fma_f64 v[92:93], -v[4:5], v[92:93], v[80:81]
	s_waitcnt lgkmcnt(6)
	v_fma_f64 v[96:97], -v[8:9], v[96:97], v[111:112]
	v_mov_b32_e32 v64, s20
	v_fma_f64 v[155:156], -v[14:15], v[101:102], v[145:146]
	v_fma_f64 v[32:33], -v[12:13], v[32:33], v[115:116]
	;; [unrolled: 1-line block ×4, first 2 shown]
	s_waitcnt lgkmcnt(5)
	v_fma_f64 v[135:136], -v[20:21], v[135:136], v[149:150]
	v_fma_f64 v[161:162], -v[22:23], v[105:106], v[103:104]
	s_waitcnt lgkmcnt(4)
	v_fma_f64 v[139:140], -v[24:25], v[139:140], v[143:144]
	v_fma_f64 v[120:121], -v[26:27], v[121:122], v[119:120]
	ds_load_b128 v[80:83], v74 offset:14848
	ds_load_b128 v[88:91], v74 offset:13840
	;; [unrolled: 1-line block ×5, first 2 shown]
	v_mul_f64 v[28:29], v[117:118], v[151:152]
	ds_load_b128 v[112:115], v74 offset:8816
	ds_load_b128 v[116:119], v74 offset:9824
	;; [unrolled: 1-line block ×4, first 2 shown]
	s_waitcnt lgkmcnt(8)
	v_fma_f64 v[62:63], -v[0:1], v[80:81], v[62:63]
	s_waitcnt lgkmcnt(6)
	v_fma_f64 v[69:70], -v[8:9], v[100:101], v[69:70]
	v_fma_f64 v[131:132], -v[12:13], v[131:132], v[153:154]
	;; [unrolled: 1-line block ×9, first 2 shown]
	s_waitcnt lgkmcnt(5)
	v_fma_f64 v[104:105], -v[20:21], v[104:105], v[159:160]
	v_fma_f64 v[157:158], -v[22:23], v[137:138], v[135:136]
	s_waitcnt lgkmcnt(4)
	v_fma_f64 v[108:109], -v[24:25], v[108:109], v[161:162]
	v_fma_f64 v[159:160], -v[26:27], v[141:142], v[139:140]
	;; [unrolled: 1-line block ×3, first 2 shown]
	ds_load_b128 v[30:33], v64
	ds_load_b128 v[84:87], v68 offset:16
	ds_load_b128 v[92:95], v77 offset:64
	;; [unrolled: 1-line block ×7, first 2 shown]
	v_fma_f64 v[165:166], -v[2:3], v[82:83], v[62:63]
	v_fma_f64 v[69:70], -v[10:11], v[102:103], v[69:70]
	;; [unrolled: 1-line block ×4, first 2 shown]
	s_waitcnt lgkmcnt(7)
	v_fma_f64 v[163:164], -v[0:1], v[30:31], v[60:61]
	s_waitcnt lgkmcnt(6)
	v_fma_f64 v[84:85], -v[4:5], v[84:85], v[80:81]
	v_fma_f64 v[48:49], -v[8:9], v[48:49], v[88:89]
	;; [unrolled: 1-line block ×4, first 2 shown]
	s_waitcnt lgkmcnt(5)
	v_fma_f64 v[92:93], -v[16:17], v[92:93], v[34:35]
	s_waitcnt lgkmcnt(4)
	v_fma_f64 v[96:97], -v[20:21], v[96:97], v[155:156]
	v_fma_f64 v[133:134], -v[22:23], v[106:107], v[104:105]
	;; [unrolled: 1-line block ×5, first 2 shown]
	v_mul_f64 v[30:31], v[125:126], v[161:162]
	ds_load_b128 v[34:37], v74 offset:14864
	ds_load_b128 v[60:63], v74 offset:11840
	;; [unrolled: 1-line block ×8, first 2 shown]
	v_fma_f64 v[69:70], -v[12:13], v[143:144], v[69:70]
	v_fma_f64 v[65:66], -v[8:9], v[147:148], v[65:66]
	;; [unrolled: 1-line block ×3, first 2 shown]
	s_waitcnt lgkmcnt(7)
	v_fma_f64 v[161:162], -v[4:5], v[34:35], v[165:166]
	v_fma_f64 v[163:164], -v[6:7], v[86:87], v[84:85]
	;; [unrolled: 1-line block ×4, first 2 shown]
	s_waitcnt lgkmcnt(6)
	v_fma_f64 v[130:131], -v[16:17], v[60:61], v[131:132]
	v_fma_f64 v[92:93], -v[18:19], v[94:95], v[92:93]
	s_waitcnt lgkmcnt(5)
	v_fma_f64 v[80:81], -v[20:21], v[80:81], v[128:129]
	v_fma_f64 v[94:95], -v[22:23], v[98:99], v[96:97]
	;; [unrolled: 1-line block ×5, first 2 shown]
	s_waitcnt lgkmcnt(4)
	v_fma_f64 v[88:89], -v[0:1], v[88:89], v[58:59]
	v_mov_b32_e32 v46, s8
	s_mul_i32 s8, s11, 0x208
	v_fma_f64 v[116:117], -v[30:31], v[38:39], v[157:158]
	ds_load_b128 v[32:35], v72 offset:48
	ds_load_b128 v[38:41], v79 offset:64
	;; [unrolled: 1-line block ×3, first 2 shown]
	ds_load_b64 v[128:129], v46
	ds_load_b128 v[46:49], v75 offset:128
	ds_load_b128 v[58:61], v79 offset:80
	;; [unrolled: 1-line block ×3, first 2 shown]
	v_fma_f64 v[69:70], -v[14:15], v[145:146], v[69:70]
	v_fma_f64 v[65:66], -v[10:11], v[149:150], v[65:66]
	;; [unrolled: 1-line block ×5, first 2 shown]
	s_waitcnt lgkmcnt(6)
	v_fma_f64 v[50:51], -v[12:13], v[32:33], v[50:51]
	s_waitcnt lgkmcnt(5)
	v_fma_f64 v[143:144], -v[16:17], v[38:39], v[143:144]
	v_fma_f64 v[62:63], -v[18:19], v[62:63], v[130:131]
	;; [unrolled: 1-line block ×6, first 2 shown]
	s_waitcnt lgkmcnt(4)
	v_fma_f64 v[42:43], -v[28:29], v[42:43], v[98:99]
	v_fma_f64 v[149:150], -v[30:31], v[114:115], v[112:113]
	s_waitcnt lgkmcnt(3)
	v_mul_f64 v[32:33], v[128:129], v[116:117]
	v_fma_f64 v[128:129], -v[2:3], v[90:91], v[88:89]
	ds_load_b128 v[36:39], v74 offset:13872
	ds_load_b128 v[80:83], v74 offset:12864
	;; [unrolled: 1-line block ×7, first 2 shown]
	v_fma_f64 v[151:152], -v[6:7], v[153:154], v[132:133]
	v_fma_f64 v[108:109], -v[8:9], v[108:109], v[147:148]
	;; [unrolled: 1-line block ×3, first 2 shown]
	s_waitcnt lgkmcnt(6)
	v_fma_f64 v[65:66], -v[12:13], v[36:37], v[65:66]
	s_waitcnt lgkmcnt(5)
	v_fma_f64 v[69:70], -v[16:17], v[80:81], v[69:70]
	v_fma_f64 v[50:51], -v[14:15], v[34:35], v[50:51]
	;; [unrolled: 1-line block ×7, first 2 shown]
	s_waitcnt lgkmcnt(4)
	v_fma_f64 v[88:89], -v[28:29], v[88:89], v[145:146]
	v_fma_f64 v[44:45], -v[30:31], v[44:45], v[42:43]
	s_waitcnt lgkmcnt(3)
	v_fma_f64 v[92:93], -v[32:33], v[92:93], v[149:150]
	v_fma_f64 v[124:125], -v[4:5], v[124:125], v[128:129]
	ds_load_b128 v[34:37], v64 offset:32
	ds_load_b128 v[40:43], v68 offset:48
	;; [unrolled: 1-line block ×8, first 2 shown]
	s_waitcnt lgkmcnt(7)
	v_fma_f64 v[148:149], -v[8:9], v[34:35], v[151:152]
	v_fma_f64 v[150:151], -v[10:11], v[110:111], v[108:109]
	s_waitcnt lgkmcnt(6)
	v_fma_f64 v[152:153], -v[12:13], v[40:41], v[153:154]
	v_fma_f64 v[65:66], -v[14:15], v[38:39], v[65:66]
	;; [unrolled: 1-line block ×6, first 2 shown]
	s_waitcnt lgkmcnt(5)
	v_fma_f64 v[84:85], -v[24:25], v[120:121], v[104:105]
	v_fma_f64 v[120:121], -v[26:27], v[102:103], v[100:101]
	s_waitcnt lgkmcnt(4)
	v_fma_f64 v[128:129], -v[28:29], v[128:129], v[155:156]
	v_fma_f64 v[154:155], -v[30:31], v[90:91], v[88:89]
	;; [unrolled: 1-line block ×3, first 2 shown]
	v_mul_f64 v[34:35], v[94:95], v[92:93]
	v_fma_f64 v[124:125], -v[6:7], v[126:127], v[124:125]
	ds_load_b128 v[38:41], v74 offset:14896
	ds_load_b128 v[44:47], v74 offset:11872
	ds_load_b128 v[80:83], v74 offset:10864
	ds_load_b128 v[88:91], v74 offset:15904
	ds_load_b128 v[92:95], v74 offset:10880
	ds_load_b128 v[100:103], v74 offset:11888
	ds_load_b128 v[104:107], v74 offset:14912
	ds_load_b128 v[108:111], v74 offset:15920
	v_fma_f64 v[126:127], -v[10:11], v[36:37], v[148:149]
	s_waitcnt lgkmcnt(7)
	v_fma_f64 v[148:149], -v[12:13], v[38:39], v[150:151]
	v_fma_f64 v[150:151], -v[14:15], v[42:43], v[152:153]
	;; [unrolled: 1-line block ×6, first 2 shown]
	s_waitcnt lgkmcnt(6)
	v_fma_f64 v[62:63], -v[24:25], v[44:45], v[62:63]
	v_fma_f64 v[84:85], -v[26:27], v[122:123], v[84:85]
	s_waitcnt lgkmcnt(5)
	v_fma_f64 v[80:81], -v[28:29], v[80:81], v[120:121]
	v_fma_f64 v[116:117], -v[30:31], v[130:131], v[128:129]
	;; [unrolled: 1-line block ×3, first 2 shown]
	ds_load_b128 v[36:39], v72 offset:80
	ds_load_b128 v[42:45], v79 offset:96
	v_fma_f64 v[120:121], -v[34:35], v[48:49], v[156:157]
	s_waitcnt lgkmcnt(6)
	v_fma_f64 v[88:89], -v[8:9], v[88:89], v[124:125]
	v_mov_b32_e32 v48, s8
	s_mul_i32 s8, s14, 0x208
	ds_load_b64 v[122:123], v48
	ds_load_b128 v[48:51], v79 offset:112
	ds_load_b128 v[58:61], v72 offset:96
	v_mov_b32_e32 v67, s8
	s_mul_i32 s8, s16, 0x208
	v_fma_f64 v[124:125], -v[12:13], v[144:145], v[126:127]
	v_fma_f64 v[126:127], -v[14:15], v[40:41], v[148:149]
	;; [unrolled: 1-line block ×5, first 2 shown]
	s_waitcnt lgkmcnt(4)
	v_fma_f64 v[118:119], -v[20:21], v[36:37], v[86:87]
	s_waitcnt lgkmcnt(3)
	v_fma_f64 v[112:113], -v[24:25], v[42:43], v[112:113]
	v_fma_f64 v[46:47], -v[26:27], v[46:47], v[62:63]
	;; [unrolled: 1-line block ×6, first 2 shown]
	s_waitcnt lgkmcnt(2)
	v_mul_f64 v[36:37], v[122:123], v[120:121]
	v_fma_f64 v[120:121], -v[10:11], v[90:91], v[88:89]
	ds_load_b128 v[40:43], v74 offset:13904
	ds_load_b128 v[80:83], v74 offset:12896
	;; [unrolled: 1-line block ×5, first 2 shown]
	v_fma_f64 v[132:133], -v[14:15], v[146:147], v[124:125]
	v_fma_f64 v[104:105], -v[16:17], v[104:105], v[126:127]
	v_fma_f64 v[136:137], -v[18:19], v[142:143], v[128:129]
	s_waitcnt lgkmcnt(4)
	v_fma_f64 v[65:66], -v[20:21], v[40:41], v[65:66]
	s_waitcnt lgkmcnt(3)
	v_fma_f64 v[69:70], -v[24:25], v[80:81], v[69:70]
	v_fma_f64 v[140:141], -v[22:23], v[38:39], v[118:119]
	;; [unrolled: 1-line block ×7, first 2 shown]
	ds_load_b128 v[38:41], v64 offset:64
	ds_load_b128 v[44:47], v68 offset:80
	;; [unrolled: 1-line block ×4, first 2 shown]
	s_waitcnt lgkmcnt(6)
	v_fma_f64 v[84:85], -v[36:37], v[84:85], v[130:131]
	v_fma_f64 v[108:109], -v[12:13], v[108:109], v[120:121]
	ds_load_b64 v[75:76], v67
	ds_load_b128 v[120:123], v77 offset:144
	ds_load_b128 v[124:127], v68 offset:96
	;; [unrolled: 1-line block ×3, first 2 shown]
	v_mov_b32_e32 v67, s8
	s_mul_i32 s8, s17, 0x208
	s_waitcnt lgkmcnt(7)
	v_fma_f64 v[138:139], -v[16:17], v[38:39], v[132:133]
	v_fma_f64 v[142:143], -v[18:19], v[106:107], v[104:105]
	s_waitcnt lgkmcnt(6)
	v_fma_f64 v[136:137], -v[20:21], v[44:45], v[136:137]
	v_fma_f64 v[65:66], -v[22:23], v[42:43], v[65:66]
	;; [unrolled: 1-line block ×6, first 2 shown]
	s_waitcnt lgkmcnt(5)
	v_fma_f64 v[62:63], -v[32:33], v[112:113], v[62:63]
	v_fma_f64 v[112:113], -v[34:35], v[94:95], v[92:93]
	s_waitcnt lgkmcnt(4)
	v_fma_f64 v[116:117], -v[36:37], v[116:117], v[134:135]
	v_mul_f64 v[38:39], v[86:87], v[84:85]
	v_fma_f64 v[144:145], -v[14:15], v[110:111], v[108:109]
	ds_load_b128 v[42:45], v74 offset:14928
	ds_load_b128 v[80:83], v74 offset:11904
	ds_load_b128 v[84:87], v74 offset:10896
	ds_load_b128 v[92:95], v74 offset:15936
	ds_load_b128 v[100:103], v74 offset:10912
	ds_load_b128 v[104:107], v74 offset:11920
	ds_load_b128 v[108:111], v74 offset:14944
	ds_load_b128 v[132:135], v74 offset:15952
	v_fma_f64 v[138:139], -v[18:19], v[40:41], v[138:139]
	s_waitcnt lgkmcnt(7)
	v_fma_f64 v[142:143], -v[20:21], v[42:43], v[142:143]
	v_fma_f64 v[136:137], -v[22:23], v[46:47], v[136:137]
	;; [unrolled: 1-line block ×6, first 2 shown]
	s_waitcnt lgkmcnt(6)
	v_fma_f64 v[80:81], -v[32:33], v[80:81], v[140:141]
	v_fma_f64 v[62:63], -v[34:35], v[114:115], v[62:63]
	s_waitcnt lgkmcnt(5)
	v_fma_f64 v[84:85], -v[36:37], v[84:85], v[112:113]
	ds_load_b128 v[40:43], v72 offset:112
	ds_load_b128 v[46:49], v79 offset:128
	;; [unrolled: 1-line block ×4, first 2 shown]
	v_fma_f64 v[88:89], -v[38:39], v[118:119], v[116:117]
	s_waitcnt lgkmcnt(8)
	v_fma_f64 v[92:93], -v[16:17], v[92:93], v[144:145]
	v_fma_f64 v[116:117], -v[20:21], v[128:129], v[138:139]
	;; [unrolled: 1-line block ×6, first 2 shown]
	s_waitcnt lgkmcnt(3)
	v_fma_f64 v[96:97], -v[28:29], v[40:41], v[96:97]
	s_waitcnt lgkmcnt(2)
	v_fma_f64 v[50:51], -v[32:33], v[46:47], v[50:51]
	v_fma_f64 v[98:99], -v[34:35], v[82:83], v[80:81]
	;; [unrolled: 1-line block ×4, first 2 shown]
	v_mul_f64 v[40:41], v[75:76], v[88:89]
	v_fma_f64 v[75:76], -v[18:19], v[94:95], v[92:93]
	ds_load_b128 v[44:47], v74 offset:13936
	ds_load_b128 v[80:83], v74 offset:12928
	;; [unrolled: 1-line block ×4, first 2 shown]
	v_fma_f64 v[116:117], -v[22:23], v[130:131], v[116:117]
	v_fma_f64 v[108:109], -v[24:25], v[108:109], v[118:119]
	;; [unrolled: 1-line block ×3, first 2 shown]
	s_waitcnt lgkmcnt(3)
	v_fma_f64 v[65:66], -v[28:29], v[44:45], v[65:66]
	v_fma_f64 v[124:125], -v[30:31], v[42:43], v[96:97]
	s_waitcnt lgkmcnt(2)
	v_fma_f64 v[69:70], -v[32:33], v[80:81], v[69:70]
	v_fma_f64 v[80:81], -v[34:35], v[48:49], v[50:51]
	v_fma_f64 v[104:105], -v[36:37], v[104:105], v[98:99]
	v_fma_f64 v[62:63], -v[38:39], v[122:123], v[62:63]
	v_fma_f64 v[100:101], -v[40:41], v[100:101], v[120:121]
	v_fma_f64 v[120:121], -v[20:21], v[132:133], v[75:76]
	ds_load_b128 v[42:45], v64 offset:96
	ds_load_b128 v[48:51], v68 offset:112
	;; [unrolled: 1-line block ×3, first 2 shown]
	ds_load_b64 v[122:123], v67
	ds_load_b128 v[92:95], v68 offset:128
	ds_load_b128 v[96:99], v64 offset:112
	v_fma_f64 v[128:129], -v[26:27], v[110:111], v[108:109]
	v_fma_f64 v[65:66], -v[30:31], v[46:47], v[65:66]
	s_waitcnt lgkmcnt(5)
	v_fma_f64 v[126:127], -v[24:25], v[42:43], v[116:117]
	s_waitcnt lgkmcnt(4)
	v_fma_f64 v[130:131], -v[28:29], v[48:49], v[118:119]
	v_fma_f64 v[112:113], -v[32:33], v[112:113], v[124:125]
	;; [unrolled: 1-line block ×5, first 2 shown]
	s_waitcnt lgkmcnt(3)
	v_fma_f64 v[62:63], -v[40:41], v[75:76], v[62:63]
	v_mul_f64 v[42:43], v[102:103], v[100:101]
	v_fma_f64 v[75:76], -v[22:23], v[134:135], v[120:121]
	ds_load_b128 v[46:49], v74 offset:14960
	ds_load_b128 v[80:83], v74 offset:11936
	;; [unrolled: 1-line block ×6, first 2 shown]
	v_fma_f64 v[65:66], -v[32:33], v[88:89], v[65:66]
	v_fma_f64 v[120:121], -v[26:27], v[44:45], v[126:127]
	s_waitcnt lgkmcnt(5)
	v_fma_f64 v[126:127], -v[28:29], v[46:47], v[128:129]
	v_fma_f64 v[50:51], -v[30:31], v[50:51], v[130:131]
	;; [unrolled: 1-line block ×5, first 2 shown]
	s_waitcnt lgkmcnt(4)
	v_fma_f64 v[80:81], -v[40:41], v[80:81], v[124:125]
	v_fma_f64 v[62:63], -v[42:43], v[77:78], v[62:63]
	s_waitcnt lgkmcnt(3)
	v_fma_f64 v[100:101], -v[24:25], v[100:101], v[75:76]
	ds_load_b128 v[44:47], v72 offset:144
	ds_load_b128 v[58:61], v79 offset:160
	;; [unrolled: 1-line block ×4, first 2 shown]
	v_fma_f64 v[65:66], -v[34:35], v[90:91], v[65:66]
	v_fma_f64 v[96:97], -v[28:29], v[96:97], v[120:121]
	;; [unrolled: 1-line block ×4, first 2 shown]
	s_waitcnt lgkmcnt(3)
	v_fma_f64 v[124:125], -v[36:37], v[44:45], v[88:89]
	v_fma_f64 v[69:70], -v[38:39], v[86:87], v[69:70]
	s_waitcnt lgkmcnt(2)
	v_fma_f64 v[58:59], -v[40:41], v[58:59], v[84:85]
	v_fma_f64 v[126:127], -v[42:43], v[82:83], v[80:81]
	ds_load_b128 v[48:51], v74 offset:13968
	ds_load_b128 v[79:82], v74 offset:12960
	ds_load_b128 v[83:86], v74 offset:12976
	ds_load_b128 v[87:90], v74 offset:13984
	v_mul_f64 v[44:45], v[122:123], v[62:63]
	v_fma_f64 v[62:63], -v[26:27], v[102:103], v[100:101]
	s_waitcnt lgkmcnt(3)
	v_fma_f64 v[65:66], -v[36:37], v[48:49], v[65:66]
	v_fma_f64 v[99:100], -v[30:31], v[98:99], v[96:97]
	;; [unrolled: 1-line block ×5, first 2 shown]
	s_waitcnt lgkmcnt(2)
	v_fma_f64 v[69:70], -v[40:41], v[79:80], v[69:70]
	v_fma_f64 v[79:80], -v[42:43], v[60:61], v[58:59]
	ds_load_b128 v[46:49], v64 offset:128
	ds_load_b128 v[58:61], v68 offset:144
	;; [unrolled: 1-line block ×4, first 2 shown]
	v_fma_f64 v[103:104], -v[44:45], v[104:105], v[126:127]
	v_fma_f64 v[62:63], -v[28:29], v[116:117], v[62:63]
	v_fma_f64 v[50:51], -v[38:39], v[50:51], v[65:66]
	s_waitcnt lgkmcnt(3)
	v_fma_f64 v[116:117], -v[32:33], v[46:47], v[99:100]
	v_fma_f64 v[122:123], -v[34:35], v[110:111], v[101:102]
	s_waitcnt lgkmcnt(2)
	v_fma_f64 v[58:59], -v[36:37], v[58:59], v[108:109]
	v_fma_f64 v[65:66], -v[40:41], v[112:113], v[120:121]
	;; [unrolled: 1-line block ×4, first 2 shown]
	v_mul_f64 v[46:47], v[106:107], v[103:104]
	v_fma_f64 v[62:63], -v[30:31], v[118:119], v[62:63]
	ds_load_b128 v[79:82], v74 offset:14992
	ds_load_b128 v[99:102], v74 offset:16000
	;; [unrolled: 1-line block ×4, first 2 shown]
	v_fma_f64 v[87:88], -v[40:41], v[87:88], v[50:51]
	v_fma_f64 v[111:112], -v[34:35], v[48:49], v[116:117]
	s_waitcnt lgkmcnt(3)
	v_fma_f64 v[79:80], -v[36:37], v[79:80], v[122:123]
	v_fma_f64 v[116:117], -v[38:39], v[60:61], v[58:59]
	;; [unrolled: 1-line block ×4, first 2 shown]
	v_mov_b32_e32 v58, s8
	s_mul_i32 s8, s18, 0x208
	v_fma_f64 v[75:76], -v[46:47], v[77:78], v[75:76]
	s_waitcnt lgkmcnt(2)
	v_fma_f64 v[62:63], -v[32:33], v[99:100], v[62:63]
	ds_load_b128 v[48:51], v72 offset:176
	ds_load_b64 v[77:78], v58
	ds_load_b128 v[58:61], v72 offset:192
	v_fma_f64 v[87:88], -v[42:43], v[89:90], v[87:88]
	v_fma_f64 v[83:84], -v[36:37], v[95:96], v[111:112]
	;; [unrolled: 1-line block ×4, first 2 shown]
	s_waitcnt lgkmcnt(2)
	v_fma_f64 v[65:66], -v[44:45], v[48:49], v[65:66]
	v_fma_f64 v[85:86], -v[46:47], v[85:86], v[69:70]
	s_waitcnt lgkmcnt(1)
	v_mul_f64 v[48:49], v[77:78], v[75:76]
	v_fma_f64 v[62:63], -v[34:35], v[101:102], v[62:63]
	ds_load_b128 v[69:72], v74 offset:14000
	ds_load_b128 v[75:78], v74 offset:12992
	;; [unrolled: 1-line block ×3, first 2 shown]
	v_fma_f64 v[99:100], -v[38:39], v[97:98], v[83:84]
	v_fma_f64 v[101:102], -v[40:41], v[103:104], v[95:96]
	;; [unrolled: 1-line block ×3, first 2 shown]
	s_waitcnt lgkmcnt(2)
	v_fma_f64 v[69:70], -v[44:45], v[69:70], v[87:88]
	v_fma_f64 v[50:51], -v[46:47], v[50:51], v[65:66]
	s_waitcnt lgkmcnt(1)
	v_fma_f64 v[65:66], -v[48:49], v[75:76], v[85:86]
	v_fma_f64 v[62:63], -v[36:37], v[107:108], v[62:63]
	ds_load_b128 v[83:86], v64 offset:160
	ds_load_b128 v[87:90], v68 offset:176
	;; [unrolled: 1-line block ×4, first 2 shown]
	s_waitcnt lgkmcnt(3)
	v_fma_f64 v[83:84], -v[40:41], v[83:84], v[99:100]
	v_fma_f64 v[107:108], -v[42:43], v[105:106], v[101:102]
	s_waitcnt lgkmcnt(2)
	v_fma_f64 v[87:88], -v[44:45], v[87:88], v[103:104]
	v_fma_f64 v[111:112], -v[46:47], v[71:72], v[69:70]
	;; [unrolled: 1-line block ×3, first 2 shown]
	v_mul_f64 v[50:51], v[77:78], v[65:66]
	v_fma_f64 v[62:63], -v[38:39], v[109:110], v[62:63]
	ds_load_b128 v[69:72], v74 offset:15024
	ds_load_b128 v[75:78], v74 offset:16032
	;; [unrolled: 1-line block ×4, first 2 shown]
	v_fma_f64 v[65:66], -v[42:43], v[85:86], v[83:84]
	s_waitcnt lgkmcnt(3)
	v_fma_f64 v[69:70], -v[44:45], v[69:70], v[107:108]
	v_fma_f64 v[83:84], -v[46:47], v[89:90], v[87:88]
	;; [unrolled: 1-line block ×4, first 2 shown]
	s_waitcnt lgkmcnt(2)
	v_fma_f64 v[60:61], -v[40:41], v[75:76], v[62:63]
	v_mov_b32_e32 v62, s8
	s_mul_i32 s8, s9, 0x208
	s_delay_alu instid0(SALU_CYCLE_1)
	v_mov_b32_e32 v73, s8
	s_mul_i32 s8, s19, 0x208
	ds_load_b64 v[62:63], v62
	v_fma_f64 v[65:66], -v[44:45], v[95:96], v[65:66]
	v_fma_f64 v[69:70], -v[46:47], v[71:72], v[69:70]
	;; [unrolled: 1-line block ×4, first 2 shown]
	s_waitcnt lgkmcnt(0)
	v_mul_f64 v[58:59], v[62:63], v[58:59]
	v_fma_f64 v[77:78], -v[42:43], v[77:78], v[60:61]
	ds_load_b128 v[60:63], v74 offset:14032
	v_fma_f64 v[79:80], -v[46:47], v[97:98], v[65:66]
	v_fma_f64 v[81:82], -v[48:49], v[99:100], v[69:70]
	;; [unrolled: 1-line block ×3, first 2 shown]
	ds_load_b128 v[69:72], v64 offset:192
	ds_load_b128 v[65:68], v68 offset:208
	s_waitcnt lgkmcnt(2)
	v_fma_f64 v[60:61], -v[58:59], v[60:61], v[75:76]
	v_fma_f64 v[85:86], -v[44:45], v[103:104], v[77:78]
	ds_load_b64 v[95:96], v73
	ds_load_b128 v[75:78], v64 offset:208
	s_waitcnt lgkmcnt(3)
	v_fma_f64 v[69:70], -v[48:49], v[69:70], v[79:80]
	v_fma_f64 v[97:98], -v[50:51], v[101:102], v[81:82]
	s_waitcnt lgkmcnt(2)
	v_fma_f64 v[65:66], -v[58:59], v[65:66], v[83:84]
	v_mul_f64 v[60:61], v[62:63], v[60:61]
	v_fma_f64 v[62:63], -v[46:47], v[105:106], v[85:86]
	ds_load_b128 v[79:82], v74 offset:15056
	ds_load_b128 v[83:86], v74 offset:16064
	;; [unrolled: 1-line block ×4, first 2 shown]
	v_fma_f64 v[69:70], -v[50:51], v[71:72], v[69:70]
	s_waitcnt lgkmcnt(3)
	v_fma_f64 v[71:72], -v[58:59], v[79:80], v[97:98]
	v_fma_f64 v[65:66], -v[60:61], v[67:68], v[65:66]
	s_waitcnt lgkmcnt(2)
	v_fma_f64 v[67:68], -v[48:49], v[83:84], v[62:63]
	s_delay_alu instid0(VALU_DEP_4) | instskip(NEXT) | instid1(VALU_DEP_4)
	v_fma_f64 v[69:70], -v[58:59], v[75:76], v[69:70]
	v_fma_f64 v[71:72], -v[60:61], v[81:82], v[71:72]
	v_mov_b32_e32 v75, s8
	s_add_i32 s8, s6, 32
	s_add_i32 s6, s6, 63
	s_delay_alu instid0(SALU_CYCLE_1)
	s_cmp_lt_i32 s6, s15
	v_mul_f64 v[62:63], v[95:96], v[65:66]
	v_fma_f64 v[65:66], -v[50:51], v[85:86], v[67:68]
	v_fma_f64 v[68:69], -v[60:61], v[77:78], v[69:70]
	ds_load_b64 v[76:77], v75
	s_waitcnt lgkmcnt(2)
	v_fma_f64 v[70:71], -v[62:63], v[87:88], v[71:72]
	s_waitcnt lgkmcnt(1)
	v_fma_f64 v[72:73], -v[58:59], v[91:92], v[65:66]
	ds_load_b128 v[64:67], v64 offset:224
	s_waitcnt lgkmcnt(0)
	v_fma_f64 v[78:79], -v[62:63], v[64:65], v[68:69]
	v_mul_f64 v[64:65], v[89:90], v[70:71]
	v_fma_f64 v[80:81], -v[60:61], v[93:94], v[72:73]
	ds_load_b128 v[68:71], v74 offset:16096
	ds_load_b128 v[72:75], v74 offset:16112
	s_clause 0xd
	global_store_b128 v[56:57], v[0:3], off
	global_store_b128 v[56:57], v[4:7], off offset:16
	global_store_b128 v[56:57], v[8:11], off offset:32
	;; [unrolled: 1-line block ×13, first 2 shown]
	v_fma_f64 v[66:67], -v[64:65], v[66:67], v[78:79]
	s_waitcnt lgkmcnt(1)
	v_fma_f64 v[68:69], -v[62:63], v[68:69], v[80:81]
	s_delay_alu instid0(VALU_DEP_2) | instskip(NEXT) | instid1(VALU_DEP_2)
	v_mul_f64 v[66:67], v[76:77], v[66:67]
	v_fma_f64 v[68:69], -v[64:65], v[70:71], v[68:69]
	s_waitcnt lgkmcnt(0)
	s_delay_alu instid0(VALU_DEP_1) | instskip(NEXT) | instid1(VALU_DEP_1)
	v_fma_f64 v[68:69], -v[66:67], v[72:73], v[68:69]
	v_mul_f64 v[68:69], v[74:75], v[68:69]
	s_clause 0x1
	global_store_b128 v[56:57], v[62:65], off offset:224
	global_store_b128 v[56:57], v[66:69], off offset:240
	s_cbranch_scc0 .LBB108_19
; %bb.18:                               ;   in Loop: Header=BB108_14 Depth=1
	s_mov_b32 s6, s8
	s_branch .LBB108_14
.LBB108_19:
	s_cmp_lt_i32 s8, s15
	s_cbranch_scc0 .LBB108_44
; %bb.20:
	s_add_i32 s3, s8, 3
	s_delay_alu instid0(SALU_CYCLE_1)
	s_cmp_ge_i32 s3, s15
	s_cbranch_scc1 .LBB108_32
; %bb.21:
	s_add_i32 s3, s8, -1
	s_lshl_b32 s11, s8, 9
	s_and_b32 s14, s8, -4
	s_add_u32 s6, s12, s0
	s_addc_u32 s7, s13, s1
	v_add_co_u32 v14, vcc_lo, s6, v54
	v_add_co_ci_u32_e32 v15, vcc_lo, s7, v55, vcc_lo
	s_and_b32 s16, s8, 3
	s_delay_alu instid0(VALU_DEP_2) | instskip(NEXT) | instid1(VALU_DEP_2)
	v_add_co_u32 v0, vcc_lo, v14, 16
	v_add_co_ci_u32_e32 v1, vcc_lo, 0, v15, vcc_lo
	s_mov_b32 s7, 0
	s_mov_b32 s17, 0
.LBB108_22:                             ; =>This Loop Header: Depth=1
                                        ;     Child Loop BB108_25 Depth 2
                                        ;     Child Loop BB108_29 Depth 2
	s_ashr_i32 s9, s8, 31
	s_delay_alu instid0(SALU_CYCLE_1)
	s_lshl_b64 s[18:19], s[8:9], 3
	s_cmp_eq_u32 s8, 0
	v_add_co_u32 v2, vcc_lo, v52, s18
	v_add_co_ci_u32_e32 v3, vcc_lo, s19, v53, vcc_lo
	s_clause 0x1
	global_load_b128 v[4:7], v[2:3], off
	global_load_b128 v[16:19], v[2:3], off offset:16
	s_waitcnt vmcnt(1)
	v_mul_f64 v[10:11], v[4:5], s[4:5]
	v_mul_f64 v[8:9], v[6:7], s[4:5]
	s_waitcnt vmcnt(0)
	v_mul_f64 v[6:7], v[16:17], s[4:5]
	v_mul_f64 v[4:5], v[18:19], s[4:5]
	s_cbranch_scc1 .LBB108_30
; %bb.23:                               ;   in Loop: Header=BB108_22 Depth=1
	s_lshl_b32 s6, s17, 2
	s_delay_alu instid0(SALU_CYCLE_1) | instskip(NEXT) | instid1(SALU_CYCLE_1)
	s_add_i32 s6, s3, s6
	s_cmp_lt_u32 s6, 3
	s_cbranch_scc1 .LBB108_27
; %bb.24:                               ;   in Loop: Header=BB108_22 Depth=1
	v_dual_mov_b32 v13, v1 :: v_dual_mov_b32 v12, v0
	s_mov_b32 s6, 0
	s_mov_b32 s9, s11
.LBB108_25:                             ;   Parent Loop BB108_22 Depth=1
                                        ; =>  This Inner Loop Header: Depth=2
	s_clause 0x1
	global_load_b128 v[16:19], v[12:13], off offset:-16
	global_load_b128 v[20:23], v[12:13], off
	v_mov_b32_e32 v56, s9
	v_add_co_u32 v12, vcc_lo, v12, 32
	v_add_co_ci_u32_e32 v13, vcc_lo, 0, v13, vcc_lo
	ds_load_b128 v[24:27], v56
	ds_load_b128 v[28:31], v56 offset:512
	ds_load_b128 v[32:35], v56 offset:1024
	;; [unrolled: 1-line block ×7, first 2 shown]
	s_add_i32 s6, s6, 4
	s_add_i32 s9, s9, 32
	s_cmp_lg_u32 s14, s6
	s_waitcnt vmcnt(1) lgkmcnt(7)
	v_fma_f64 v[10:11], -v[16:17], v[24:25], v[10:11]
	s_waitcnt lgkmcnt(6)
	v_fma_f64 v[8:9], -v[16:17], v[28:29], v[8:9]
	s_waitcnt lgkmcnt(5)
	v_fma_f64 v[6:7], -v[16:17], v[32:33], v[6:7]
	s_waitcnt lgkmcnt(4)
	v_fma_f64 v[4:5], -v[16:17], v[36:37], v[4:5]
	s_delay_alu instid0(VALU_DEP_4) | instskip(NEXT) | instid1(VALU_DEP_4)
	v_fma_f64 v[10:11], -v[18:19], v[26:27], v[10:11]
	v_fma_f64 v[8:9], -v[18:19], v[30:31], v[8:9]
	s_delay_alu instid0(VALU_DEP_4) | instskip(NEXT) | instid1(VALU_DEP_4)
	v_fma_f64 v[6:7], -v[18:19], v[34:35], v[6:7]
	v_fma_f64 v[4:5], -v[18:19], v[38:39], v[4:5]
	s_waitcnt vmcnt(0) lgkmcnt(3)
	s_delay_alu instid0(VALU_DEP_4) | instskip(SKIP_1) | instid1(VALU_DEP_4)
	v_fma_f64 v[10:11], -v[20:21], v[40:41], v[10:11]
	s_waitcnt lgkmcnt(2)
	v_fma_f64 v[8:9], -v[20:21], v[44:45], v[8:9]
	s_waitcnt lgkmcnt(1)
	s_delay_alu instid0(VALU_DEP_4) | instskip(SKIP_1) | instid1(VALU_DEP_4)
	v_fma_f64 v[6:7], -v[20:21], v[48:49], v[6:7]
	s_waitcnt lgkmcnt(0)
	v_fma_f64 v[4:5], -v[20:21], v[56:57], v[4:5]
	s_delay_alu instid0(VALU_DEP_4) | instskip(NEXT) | instid1(VALU_DEP_4)
	v_fma_f64 v[10:11], -v[22:23], v[42:43], v[10:11]
	v_fma_f64 v[8:9], -v[22:23], v[46:47], v[8:9]
	s_delay_alu instid0(VALU_DEP_4) | instskip(NEXT) | instid1(VALU_DEP_4)
	v_fma_f64 v[6:7], -v[22:23], v[50:51], v[6:7]
	v_fma_f64 v[4:5], -v[22:23], v[58:59], v[4:5]
	s_cbranch_scc1 .LBB108_25
; %bb.26:                               ;   in Loop: Header=BB108_22 Depth=1
	s_mov_b32 s6, s14
	s_and_b32 s9, s8, 3
	s_delay_alu instid0(SALU_CYCLE_1)
	s_cmp_eq_u32 s9, 0
	s_cbranch_scc0 .LBB108_28
	s_branch .LBB108_30
.LBB108_27:                             ;   in Loop: Header=BB108_22 Depth=1
	s_mov_b32 s6, 0
	s_and_b32 s9, s8, 3
	s_delay_alu instid0(SALU_CYCLE_1)
	s_cmp_eq_u32 s9, 0
	s_cbranch_scc1 .LBB108_30
.LBB108_28:                             ;   in Loop: Header=BB108_22 Depth=1
	s_lshl_b64 s[18:19], s[6:7], 3
	s_lshl_b32 s6, s6, 3
	v_add_co_u32 v12, vcc_lo, v14, s18
	v_add_co_ci_u32_e32 v13, vcc_lo, s19, v15, vcc_lo
	s_mov_b32 s9, s16
	.p2align	6
.LBB108_29:                             ;   Parent Loop BB108_22 Depth=1
                                        ; =>  This Inner Loop Header: Depth=2
	global_load_b64 v[24:25], v[12:13], off
	s_add_i32 s18, s11, s6
	v_add_co_u32 v12, vcc_lo, v12, 8
	v_mov_b32_e32 v20, s18
	v_add_co_ci_u32_e32 v13, vcc_lo, 0, v13, vcc_lo
	ds_load_2addr_stride64_b64 v[16:19], v20 offset1:1
	ds_load_2addr_stride64_b64 v[20:23], v20 offset0:2 offset1:3
	s_add_i32 s9, s9, -1
	s_add_i32 s6, s6, 8
	s_cmp_lg_u32 s9, 0
	s_waitcnt vmcnt(0) lgkmcnt(1)
	v_fma_f64 v[10:11], -v[24:25], v[16:17], v[10:11]
	v_fma_f64 v[8:9], -v[24:25], v[18:19], v[8:9]
	s_waitcnt lgkmcnt(0)
	v_fma_f64 v[6:7], -v[24:25], v[20:21], v[6:7]
	v_fma_f64 v[4:5], -v[24:25], v[22:23], v[4:5]
	s_cbranch_scc1 .LBB108_29
.LBB108_30:                             ;   in Loop: Header=BB108_22 Depth=1
	s_mul_i32 s6, s8, 0x208
	s_add_i32 s17, s17, 1
	v_mov_b32_e32 v12, s6
	s_lshl_b32 s6, s8, 6
	s_addk_i32 s11, 0x800
	s_add_i32 s6, s6, s8
	s_add_i32 s14, s14, 4
	ds_load_2addr_b64 v[16:19], v12 offset1:130
	s_lshl_b32 s6, s6, 3
	s_delay_alu instid0(SALU_CYCLE_1)
	v_mov_b32_e32 v28, s6
	s_add_i32 s6, s8, 4
	s_add_i32 s8, s8, 7
	ds_load_2addr_b64 v[20:23], v28 offset0:64 offset1:65
	ds_load_2addr_b64 v[24:27], v28 offset0:128 offset1:129
	s_cmp_lt_i32 s8, s15
	s_waitcnt lgkmcnt(2)
	v_mul_f64 v[10:11], v[16:17], v[10:11]
	s_waitcnt lgkmcnt(1)
	s_delay_alu instid0(VALU_DEP_1) | instskip(SKIP_2) | instid1(VALU_DEP_2)
	v_fma_f64 v[8:9], -v[10:11], v[20:21], v[8:9]
	s_waitcnt lgkmcnt(0)
	v_fma_f64 v[16:17], -v[10:11], v[24:25], v[6:7]
	v_mul_f64 v[12:13], v[22:23], v[8:9]
	ds_load_2addr_b64 v[6:9], v28 offset0:192 offset1:193
	ds_load_2addr_b64 v[20:23], v28 offset0:194 offset1:195
	s_waitcnt lgkmcnt(1)
	v_fma_f64 v[6:7], -v[10:11], v[6:7], v[4:5]
	v_fma_f64 v[16:17], -v[12:13], v[26:27], v[16:17]
	s_delay_alu instid0(VALU_DEP_2) | instskip(NEXT) | instid1(VALU_DEP_2)
	v_fma_f64 v[6:7], -v[12:13], v[8:9], v[6:7]
	v_mul_f64 v[4:5], v[18:19], v[16:17]
	s_waitcnt lgkmcnt(0)
	s_delay_alu instid0(VALU_DEP_1) | instskip(NEXT) | instid1(VALU_DEP_1)
	v_fma_f64 v[6:7], -v[4:5], v[20:21], v[6:7]
	v_mul_f64 v[6:7], v[22:23], v[6:7]
	s_clause 0x1
	global_store_b128 v[2:3], v[10:13], off
	global_store_b128 v[2:3], v[4:7], off offset:16
	s_cbranch_scc0 .LBB108_33
; %bb.31:                               ;   in Loop: Header=BB108_22 Depth=1
	s_mov_b32 s8, s6
	s_branch .LBB108_22
.LBB108_32:
	s_mov_b32 s6, s8
.LBB108_33:
	s_delay_alu instid0(SALU_CYCLE_1)
	s_cmp_ge_i32 s6, s15
	s_cbranch_scc1 .LBB108_44
; %bb.34:
	s_add_i32 s3, s6, -1
	s_lshl_b32 s11, s6, 9
	s_add_u32 s7, s12, s0
	s_addc_u32 s8, s13, s1
	v_add_co_u32 v8, vcc_lo, s7, v54
	v_add_co_ci_u32_e32 v9, vcc_lo, s8, v55, vcc_lo
	s_mov_b32 s9, 0
	s_delay_alu instid0(VALU_DEP_2) | instskip(NEXT) | instid1(VALU_DEP_2)
	v_add_co_u32 v0, vcc_lo, v8, 56
	v_add_co_ci_u32_e32 v1, vcc_lo, 0, v9, vcc_lo
	s_mov_b32 s16, s6
	s_mov_b32 s14, 0
	s_branch .LBB108_36
.LBB108_35:                             ;   in Loop: Header=BB108_36 Depth=1
	s_mul_i32 s7, s6, 0x208
	s_add_i32 s6, s6, 1
	v_mov_b32_e32 v6, s7
	s_add_i32 s14, s14, 1
	s_addk_i32 s11, 0x200
	s_cmp_ge_i32 s6, s15
	ds_load_b64 v[6:7], v6
	s_waitcnt lgkmcnt(0)
	v_mul_f64 v[4:5], v[6:7], v[4:5]
	v_add_nc_u16 v6, s16, 1
	s_delay_alu instid0(VALU_DEP_1)
	v_readfirstlane_b32 s16, v6
	global_store_b64 v[2:3], v[4:5], off
	s_cbranch_scc1 .LBB108_44
.LBB108_36:                             ; =>This Loop Header: Depth=1
                                        ;     Child Loop BB108_39 Depth 2
                                        ;     Child Loop BB108_43 Depth 2
	s_ashr_i32 s7, s6, 31
	s_delay_alu instid0(SALU_CYCLE_1)
	s_lshl_b64 s[18:19], s[6:7], 3
	s_cmp_eq_u32 s6, 0
	v_add_co_u32 v2, vcc_lo, v52, s18
	v_add_co_ci_u32_e32 v3, vcc_lo, s19, v53, vcc_lo
	global_load_b64 v[4:5], v[2:3], off
	s_waitcnt vmcnt(0)
	v_mul_f64 v[4:5], v[4:5], s[4:5]
	s_cbranch_scc1 .LBB108_35
; %bb.37:                               ;   in Loop: Header=BB108_36 Depth=1
	s_add_i32 s7, s3, s14
	s_delay_alu instid0(SALU_CYCLE_1)
	s_cmp_lt_u32 s7, 7
	s_cbranch_scc1 .LBB108_41
; %bb.38:                               ;   in Loop: Header=BB108_36 Depth=1
	v_dual_mov_b32 v7, v1 :: v_dual_mov_b32 v6, v0
	s_and_b32 s8, s6, -8
	s_mov_b32 s7, 0
	s_mov_b32 s17, s11
	s_set_inst_prefetch_distance 0x1
	.p2align	6
.LBB108_39:                             ;   Parent Loop BB108_36 Depth=1
                                        ; =>  This Inner Loop Header: Depth=2
	s_clause 0x3
	global_load_b128 v[10:13], v[6:7], off offset:-56
	global_load_b128 v[14:17], v[6:7], off offset:-40
	;; [unrolled: 1-line block ×4, first 2 shown]
	v_mov_b32_e32 v34, s17
	v_add_co_u32 v6, vcc_lo, v6, 64
	v_add_co_ci_u32_e32 v7, vcc_lo, 0, v7, vcc_lo
	ds_load_b128 v[26:29], v34
	ds_load_b128 v[30:33], v34 offset:16
	s_add_i32 s7, s7, 8
	s_add_i32 s17, s17, 64
	s_cmp_lg_u32 s8, s7
	s_waitcnt vmcnt(3) lgkmcnt(1)
	v_fma_f64 v[4:5], -v[10:11], v[26:27], v[4:5]
	s_delay_alu instid0(VALU_DEP_1) | instskip(SKIP_1) | instid1(VALU_DEP_1)
	v_fma_f64 v[4:5], -v[12:13], v[28:29], v[4:5]
	s_waitcnt vmcnt(2) lgkmcnt(0)
	v_fma_f64 v[4:5], -v[14:15], v[30:31], v[4:5]
	s_delay_alu instid0(VALU_DEP_1) | instskip(SKIP_4) | instid1(VALU_DEP_1)
	v_fma_f64 v[4:5], -v[16:17], v[32:33], v[4:5]
	ds_load_b128 v[10:13], v34 offset:32
	ds_load_b128 v[14:17], v34 offset:48
	s_waitcnt vmcnt(1) lgkmcnt(1)
	v_fma_f64 v[4:5], -v[18:19], v[10:11], v[4:5]
	v_fma_f64 v[4:5], -v[20:21], v[12:13], v[4:5]
	s_waitcnt vmcnt(0) lgkmcnt(0)
	s_delay_alu instid0(VALU_DEP_1) | instskip(NEXT) | instid1(VALU_DEP_1)
	v_fma_f64 v[4:5], -v[22:23], v[14:15], v[4:5]
	v_fma_f64 v[4:5], -v[24:25], v[16:17], v[4:5]
	s_cbranch_scc1 .LBB108_39
; %bb.40:                               ;   in Loop: Header=BB108_36 Depth=1
	s_set_inst_prefetch_distance 0x2
	s_and_b32 s7, s6, 7
	s_delay_alu instid0(SALU_CYCLE_1)
	s_cmp_eq_u32 s7, 0
	s_cbranch_scc0 .LBB108_42
	s_branch .LBB108_35
.LBB108_41:                             ;   in Loop: Header=BB108_36 Depth=1
	s_mov_b32 s8, 0
	s_and_b32 s7, s6, 7
	s_delay_alu instid0(SALU_CYCLE_1)
	s_cmp_eq_u32 s7, 0
	s_cbranch_scc1 .LBB108_35
.LBB108_42:                             ;   in Loop: Header=BB108_36 Depth=1
	s_lshl_b64 s[18:19], s[8:9], 3
	s_and_b32 s7, s16, 7
	v_add_co_u32 v6, vcc_lo, v8, s18
	v_add_co_ci_u32_e32 v7, vcc_lo, s19, v9, vcc_lo
	s_lshl_b32 s8, s8, 3
.LBB108_43:                             ;   Parent Loop BB108_36 Depth=1
                                        ; =>  This Inner Loop Header: Depth=2
	global_load_b64 v[10:11], v[6:7], off
	s_add_i32 s17, s11, s8
	v_add_co_u32 v6, vcc_lo, v6, 8
	v_mov_b32_e32 v12, s17
	v_add_co_ci_u32_e32 v7, vcc_lo, 0, v7, vcc_lo
	s_add_i32 s7, s7, -1
	s_add_i32 s8, s8, 8
	ds_load_b64 v[12:13], v12
	s_cmp_lg_u32 s7, 0
	s_waitcnt vmcnt(0) lgkmcnt(0)
	v_fma_f64 v[4:5], -v[10:11], v[12:13], v[4:5]
	s_cbranch_scc1 .LBB108_43
	s_branch .LBB108_35
.LBB108_44:
	s_mov_b32 s3, 0
.LBB108_45:
	s_delay_alu instid0(SALU_CYCLE_1)
	s_and_b32 vcc_lo, exec_lo, s3
	s_cbranch_vccz .LBB108_73
; %bb.46:
	s_cmp_gt_i32 s10, 31
	s_mov_b32 s8, s2
	s_cbranch_scc0 .LBB108_52
; %bb.47:
	s_ashr_i32 s3, s2, 31
	s_mul_i32 s8, s15, 0x208
	s_lshl_b64 s[6:7], s[2:3], 3
	s_add_i32 s3, s8, 0xfffffd00
	s_add_u32 s6, s12, s6
	s_addc_u32 s7, s13, s7
	s_add_u32 s6, s6, s0
	s_addc_u32 s7, s7, s1
	v_add_co_u32 v44, vcc_lo, s6, v54
	v_add_co_ci_u32_e32 v45, vcc_lo, s7, v55, vcc_lo
	s_mov_b32 s6, s2
.LBB108_48:                             ; =>This Loop Header: Depth=1
                                        ;     Child Loop BB108_49 Depth 2
	s_delay_alu instid0(SALU_CYCLE_1) | instskip(NEXT) | instid1(SALU_CYCLE_1)
	s_ashr_i32 s7, s6, 31
	s_lshl_b64 s[8:9], s[6:7], 3
	s_cmp_le_i32 s2, s6
	v_add_co_u32 v46, vcc_lo, v52, s8
	v_add_co_ci_u32_e32 v47, vcc_lo, s9, v53, vcc_lo
	s_mov_b32 s7, s3
	s_mov_b32 s8, s2
	s_clause 0xf
	global_load_b128 v[0:3], v[46:47], off offset:-8
	global_load_b128 v[4:7], v[46:47], off offset:-24
	;; [unrolled: 1-line block ×16, first 2 shown]
	s_waitcnt vmcnt(15)
	v_mul_f64 v[2:3], v[2:3], s[4:5]
	v_mul_f64 v[20:21], v[0:1], s[4:5]
	s_waitcnt vmcnt(14)
	v_mul_f64 v[0:1], v[6:7], s[4:5]
	v_mul_f64 v[18:19], v[4:5], s[4:5]
	;; [unrolled: 3-line block ×16, first 2 shown]
	v_dual_mov_b32 v22, v44 :: v_dual_mov_b32 v23, v45
	s_cbranch_scc1 .LBB108_50
.LBB108_49:                             ;   Parent Loop BB108_48 Depth=1
                                        ; =>  This Inner Loop Header: Depth=2
	global_load_b64 v[32:33], v[22:23], off
	v_mov_b32_e32 v136, s7
	v_add_co_u32 v22, vcc_lo, v22, -8
	v_add_co_ci_u32_e32 v23, vcc_lo, -1, v23, vcc_lo
	ds_load_2addr_b64 v[24:27], v136 offset0:30 offset1:31
	ds_load_2addr_b64 v[28:31], v136 offset0:28 offset1:29
	;; [unrolled: 1-line block ×15, first 2 shown]
	ds_load_2addr_b64 v[136:139], v136 offset1:1
	s_add_i32 s8, s8, -1
	s_addk_i32 s7, 0xfe00
	s_cmp_gt_i32 s8, s6
	s_waitcnt vmcnt(0) lgkmcnt(15)
	v_fma_f64 v[2:3], -v[32:33], v[26:27], v[2:3]
	v_fma_f64 v[20:21], -v[32:33], v[24:25], v[20:21]
	s_waitcnt lgkmcnt(14)
	v_fma_f64 v[0:1], -v[32:33], v[30:31], v[0:1]
	v_fma_f64 v[18:19], -v[32:33], v[28:29], v[18:19]
	s_waitcnt lgkmcnt(13)
	;; [unrolled: 3-line block ×15, first 2 shown]
	v_fma_f64 v[36:37], -v[32:33], v[138:139], v[36:37]
	v_fma_f64 v[34:35], -v[32:33], v[136:137], v[34:35]
	s_cbranch_scc1 .LBB108_49
.LBB108_50:                             ;   in Loop: Header=BB108_48 Depth=1
	s_add_i32 s9, s6, -1
	s_lshl_b32 s8, s6, 6
	s_add_i32 s23, s6, -9
	s_add_i32 s7, s9, s8
	s_add_i32 s16, s6, -3
	s_lshl_b32 s7, s7, 3
	s_add_i32 s26, s6, -15
	v_mov_b32_e32 v22, s7
	s_mul_i32 s7, s6, 0x208
	s_lshl_b32 s40, s23, 6
	s_add_i32 s10, s16, s8
	s_add_i32 s14, s8, 0xffffff80
	ds_load_2addr_b64 v[22:25], v22 offset1:1
	s_add_i32 s28, s6, -13
	s_add_i32 s49, s7, 0xffffedb8
	s_add_i32 s81, s26, s40
	s_lshl_b32 s10, s10, 3
	s_add_i32 s20, s23, s14
	s_add_i32 s11, s7, 0xfffffdf8
	s_lshl_b32 s81, s81, 3
	v_mov_b32_e32 v110, s49
	s_add_i32 s49, s28, s14
	s_lshl_b32 s20, s20, 3
	s_lshl_b32 s49, s49, 3
	v_mov_b32_e32 v26, s11
	s_lshl_b32 s11, s9, 6
	s_add_i32 s17, s16, s14
	s_add_i32 s9, s16, s11
	s_lshl_b32 s17, s17, 3
	s_lshl_b32 s9, s9, 3
	s_add_i32 s22, s6, -7
	s_add_i32 s43, s8, 0xfffffe80
	s_waitcnt lgkmcnt(0)
	v_mul_f64 v[2:3], v[24:25], v[2:3]
	s_add_i32 s19, s22, s14
	s_add_i32 s69, s28, s43
	s_lshl_b32 s19, s19, 3
	s_lshl_b32 s69, s69, 3
	s_add_i32 s25, s6, -11
	s_add_i32 s47, s7, 0xfffff1c8
	s_lshl_b32 s42, s22, 6
	v_mov_b32_e32 v98, s47
	s_add_i32 s47, s25, s40
	s_add_i32 s58, s28, s42
	s_lshl_b32 s47, s47, 3
	s_lshl_b32 s58, s58, 3
	s_add_i32 s31, s28, s8
	s_add_i32 s34, s25, s14
	s_lshl_b32 s31, s31, 3
	s_lshl_b32 s34, s34, 3
	s_add_i32 s30, s7, 0xfffff3d0
	s_sub_i32 s21, s6, 27
	s_add_i32 s55, s28, s11
	s_add_i32 s78, s21, s8
	s_lshl_b32 s55, s55, 3
	s_lshl_b32 s78, s78, 3
	s_add_i32 s48, s7, 0xffffefc0
	s_add_i32 s39, s8, 0xfffffd80
	v_mov_b32_e32 v104, s48
	s_add_i32 s52, s26, s8
	s_add_i32 s41, s8, 0xfffffe00
	s_lshl_b32 s52, s52, 3
	s_add_i32 s50, s7, 0xffffebb0
	s_add_i32 s51, s7, 0xffffe9a8
	s_lshl_b32 s38, s25, 6
	;; [unrolled: 3-line block ×3, first 2 shown]
	s_add_i32 s59, s23, s41
	s_add_i32 s63, s25, s43
	;; [unrolled: 1-line block ×3, first 2 shown]
	v_fma_f64 v[24:25], -v[2:3], v[22:23], v[20:21]
	v_mov_b32_e32 v20, s10
	s_add_i32 s10, s6, -5
	v_mov_b32_e32 v112, s50
	ds_load_2addr_b64 v[20:23], v20 offset1:1
	ds_load_b64 v[26:27], v26
	s_add_i32 s50, s25, s39
	s_sub_i32 s29, s6, 17
	s_add_i32 s35, s8, 0xfffffc80
	s_add_i32 s57, s7, 0xffffe188
	;; [unrolled: 1-line block ×16, first 2 shown]
	s_waitcnt lgkmcnt(1)
	v_fma_f64 v[28:29], -v[2:3], v[22:23], v[0:1]
	v_mov_b32_e32 v22, s9
	v_fma_f64 v[30:31], -v[2:3], v[20:21], v[18:19]
	s_add_i32 s9, s10, s8
	s_lshl_b32 s59, s59, 3
	s_lshl_b32 s9, s9, 3
	;; [unrolled: 1-line block ×3, first 2 shown]
	v_mov_b32_e32 v18, s9
	s_add_i32 s9, s10, s11
	s_sub_i32 s27, s6, 31
	s_lshl_b32 s9, s9, 3
	s_sub_i32 s24, s6, 29
	s_lshl_b32 s72, s72, 3
	s_waitcnt lgkmcnt(0)
	v_mul_f64 v[0:1], v[26:27], v[24:25]
	ds_load_2addr_b64 v[22:25], v22 offset1:1
	s_add_i32 s61, s24, s8
	s_addk_i32 s3, 0xff00
	s_waitcnt lgkmcnt(0)
	v_fma_f64 v[28:29], -v[0:1], v[24:25], v[28:29]
	v_mov_b32_e32 v24, s17
	v_fma_f64 v[30:31], -v[0:1], v[22:23], v[30:31]
	ds_load_2addr_b64 v[18:21], v18 offset1:1
	ds_load_2addr_b64 v[24:27], v24 offset1:1
	s_add_i32 s17, s10, s14
	s_delay_alu instid0(SALU_CYCLE_1) | instskip(SKIP_4) | instid1(SALU_CYCLE_1)
	s_lshl_b32 s17, s17, 3
	s_waitcnt lgkmcnt(1)
	v_fma_f64 v[32:33], -v[2:3], v[20:21], v[6:7]
	v_mov_b32_e32 v20, s9
	s_add_i32 s9, s22, s8
	s_lshl_b32 s9, s9, 3
	ds_load_2addr_b64 v[20:23], v20 offset1:1
	s_waitcnt lgkmcnt(1)
	v_mul_f64 v[6:7], v[26:27], v[28:29]
	v_fma_f64 v[26:27], -v[2:3], v[18:19], v[16:17]
	v_mov_b32_e32 v16, s9
	s_add_i32 s9, s7, 0xfffff9e8
	s_waitcnt lgkmcnt(0)
	v_fma_f64 v[28:29], -v[0:1], v[22:23], v[32:33]
	v_mov_b32_e32 v22, s17
	v_mov_b32_e32 v32, s9
	s_lshl_b32 s17, s16, 6
	s_add_i32 s9, s22, s11
	s_add_i32 s16, s10, s17
	s_lshl_b32 s9, s9, 3
	s_lshl_b32 s16, s16, 3
	s_add_i32 s54, s25, s17
	s_add_i32 s74, s26, s17
	s_lshl_b32 s54, s54, 3
	s_add_i32 s101, s29, s17
	v_fma_f64 v[30:31], -v[6:7], v[24:25], v[30:31]
	ds_load_2addr_b64 v[16:19], v16 offset1:1
	ds_load_2addr_b64 v[22:25], v22 offset1:1
	ds_load_b64 v[32:33], v32
	v_fma_f64 v[86:87], -v[0:1], v[20:21], v[26:27]
	s_waitcnt lgkmcnt(2)
	v_fma_f64 v[84:85], -v[2:3], v[18:19], v[4:5]
	v_mov_b32_e32 v18, s9
	s_add_i32 s9, s8, 0xffffff00
	s_delay_alu instid0(SALU_CYCLE_1)
	s_add_i32 s18, s10, s9
	s_waitcnt lgkmcnt(1)
	v_fma_f64 v[28:29], -v[6:7], v[24:25], v[28:29]
	v_mov_b32_e32 v24, s16
	ds_load_2addr_b64 v[18:21], v18 offset1:1
	ds_load_2addr_b64 v[24:27], v24 offset1:1
	s_add_i32 s16, s23, s8
	s_lshl_b32 s10, s10, 6
	s_lshl_b32 s16, s16, 3
	s_add_i32 s68, s26, s10
	s_add_i32 s44, s23, s10
	s_lshl_b32 s68, s68, 3
	s_lshl_b32 s44, s44, 3
	s_add_i32 s33, s23, s9
	s_waitcnt lgkmcnt(2)
	v_mul_f64 v[4:5], v[32:33], v[30:31]
	v_fma_f64 v[30:31], -v[2:3], v[16:17], v[14:15]
	v_fma_f64 v[88:89], -v[6:7], v[22:23], v[86:87]
	v_mov_b32_e32 v14, s16
	s_lshl_b32 s16, s18, 3
	s_add_i32 s18, s22, s17
	s_add_i32 s48, s25, s9
	s_lshl_b32 s18, s18, 3
	s_lshl_b32 s48, s48, 3
	s_add_i32 s62, s25, s10
	s_add_i32 s64, s28, s9
	;; [unrolled: 1-line block ×6, first 2 shown]
	s_lshl_b32 s100, s100, 3
	s_waitcnt lgkmcnt(1)
	v_fma_f64 v[32:33], -v[0:1], v[20:21], v[84:85]
	v_mov_b32_e32 v20, s19
	s_add_i32 s19, s22, s9
	s_waitcnt lgkmcnt(0)
	v_fma_f64 v[26:27], -v[4:5], v[26:27], v[28:29]
	v_mov_b32_e32 v28, s16
	ds_load_2addr_b64 v[14:17], v14 offset1:1
	ds_load_2addr_b64 v[20:23], v20 offset1:1
	ds_load_2addr_b64 v[84:87], v28 offset1:1
	v_fma_f64 v[18:19], -v[0:1], v[18:19], v[30:31]
	s_add_i32 s16, s23, s11
	s_delay_alu instid0(SALU_CYCLE_1)
	s_lshl_b32 s16, s16, 3
	s_waitcnt lgkmcnt(2)
	v_fma_f64 v[16:17], -v[2:3], v[16:17], v[10:11]
	s_waitcnt lgkmcnt(1)
	v_fma_f64 v[22:23], -v[6:7], v[22:23], v[32:33]
	v_fma_f64 v[32:33], -v[4:5], v[24:25], v[88:89]
	v_dual_mov_b32 v24, s16 :: v_dual_mov_b32 v25, s18
	s_add_i32 s18, s25, s8
	s_add_i32 s16, s7, 0xfffff5d8
	s_lshl_b32 s18, s18, 3
	s_waitcnt lgkmcnt(0)
	v_mul_f64 v[10:11], v[86:87], v[26:27]
	v_fma_f64 v[86:87], -v[2:3], v[14:15], v[12:13]
	ds_load_2addr_b64 v[28:31], v24 offset1:1
	ds_load_2addr_b64 v[24:27], v25 offset1:1
	v_mov_b32_e32 v12, s18
	s_lshl_b32 s18, s19, 3
	v_fma_f64 v[90:91], -v[6:7], v[20:21], v[18:19]
	v_dual_mov_b32 v13, s20 :: v_dual_mov_b32 v14, s18
	s_add_i32 s18, s25, s11
	s_add_i32 s19, s23, s17
	s_lshl_b32 s18, s18, 3
	s_lshl_b32 s19, s19, 3
	s_sub_i32 s20, s6, 25
	s_delay_alu instid0(SALU_CYCLE_1)
	s_add_i32 s91, s20, s8
	s_add_i32 vcc_lo, s20, s14
	s_lshl_b32 s91, s91, 3
	s_waitcnt lgkmcnt(1)
	v_fma_f64 v[30:31], -v[0:1], v[30:31], v[16:17]
	s_waitcnt lgkmcnt(0)
	v_fma_f64 v[26:27], -v[4:5], v[26:27], v[22:23]
	v_fma_f64 v[32:33], -v[10:11], v[84:85], v[32:33]
	;; [unrolled: 1-line block ×3, first 2 shown]
	v_mov_b32_e32 v84, s16
	ds_load_2addr_b64 v[20:23], v12 offset1:1
	ds_load_2addr_b64 v[16:19], v13 offset1:1
	;; [unrolled: 1-line block ×3, first 2 shown]
	ds_load_b64 v[92:93], v84
	s_add_i32 s16, s22, s10
	s_add_i32 s22, s22, s43
	s_lshl_b32 s16, s16, 3
	s_lshl_b32 s22, s22, 3
	s_waitcnt lgkmcnt(3)
	v_fma_f64 v[88:89], -v[2:3], v[22:23], v[8:9]
	s_waitcnt lgkmcnt(2)
	v_fma_f64 v[84:85], -v[6:7], v[18:19], v[30:31]
	v_fma_f64 v[18:19], -v[4:5], v[24:25], v[90:91]
	v_mov_b32_e32 v22, s18
	s_waitcnt lgkmcnt(1)
	v_fma_f64 v[14:15], -v[10:11], v[14:15], v[26:27]
	v_mov_b32_e32 v26, s19
	s_sub_i32 s18, s6, 21
	v_fma_f64 v[20:21], -v[2:3], v[20:21], v[82:83]
	ds_load_2addr_b64 v[22:25], v22 offset1:1
	s_add_i32 s46, s18, s8
	ds_load_2addr_b64 v[26:29], v26 offset1:1
	s_lshl_b32 s46, s46, 3
	v_mov_b32_e32 v30, s16
	s_sub_i32 s19, s6, 23
	v_mov_b32_e32 v90, s30
	s_sub_i32 s16, s6, 19
	s_add_i32 s99, s18, s11
	s_waitcnt lgkmcnt(2)
	v_mul_f64 v[8:9], v[92:93], v[32:33]
	v_fma_f64 v[86:87], -v[6:7], v[16:17], v[86:87]
	ds_load_2addr_b64 v[30:33], v30 offset1:1
	v_mov_b32_e32 v16, s34
	ds_load_b64 v[90:91], v90
	s_lshl_b32 s34, s26, 6
	s_add_i32 s56, s16, s8
	s_add_i32 s102, s16, s11
	;; [unrolled: 1-line block ×15, first 2 shown]
	s_waitcnt lgkmcnt(3)
	v_fma_f64 v[24:25], -v[0:1], v[24:25], v[88:89]
	s_waitcnt lgkmcnt(2)
	v_fma_f64 v[28:29], -v[4:5], v[28:29], v[84:85]
	v_fma_f64 v[88:89], -v[10:11], v[12:13], v[18:19]
	s_add_i32 s76, s16, s40
	s_add_i32 s30, s8, 0xfffffb80
	ds_load_2addr_b64 v[16:19], v16 offset1:1
	v_fma_f64 v[92:93], -v[0:1], v[22:23], v[20:21]
	v_mov_b32_e32 v22, s54
	s_add_i32 s54, s23, s43
	v_fma_f64 v[86:87], -v[4:5], v[26:27], v[86:87]
	v_mov_b32_e32 v26, s44
	s_add_i32 s44, s19, s8
	s_delay_alu instid0(SALU_CYCLE_1)
	s_lshl_b32 s44, s44, 3
	v_mov_b32_e32 v12, s31
	s_lshl_b32 s31, s33, 3
	s_add_i32 s33, s8, 0xfffffc00
	v_mov_b32_e32 v82, s31
	s_lshl_b32 s31, s29, 6
	ds_load_2addr_b64 v[82:85], v82 offset1:1
	s_waitcnt lgkmcnt(3)
	v_fma_f64 v[32:33], -v[8:9], v[32:33], v[14:15]
	ds_load_2addr_b64 v[12:15], v12 offset1:1
	s_waitcnt lgkmcnt(2)
	v_fma_f64 v[94:95], -v[6:7], v[18:19], v[24:25]
	v_mov_b32_e32 v18, s55
	v_fma_f64 v[30:31], -v[8:9], v[30:31], v[88:89]
	s_add_i32 s55, s23, s42
	s_add_i32 s23, s25, s41
	;; [unrolled: 1-line block ×3, first 2 shown]
	s_lshl_b32 s23, s23, 3
	v_fma_f64 v[16:17], -v[6:7], v[16:17], v[92:93]
	s_lshl_b32 s25, s25, 3
	ds_load_2addr_b64 v[18:21], v18 offset1:1
	ds_load_2addr_b64 v[22:25], v22 offset1:1
	s_waitcnt lgkmcnt(3)
	v_fma_f64 v[84:85], -v[10:11], v[84:85], v[28:29]
	s_waitcnt lgkmcnt(2)
	v_fma_f64 v[80:81], -v[2:3], v[14:15], v[80:81]
	v_fma_f64 v[12:13], -v[2:3], v[12:13], v[78:79]
	v_mul_f64 v[14:15], v[90:91], v[32:33]
	s_waitcnt lgkmcnt(0)
	v_fma_f64 v[92:93], -v[4:5], v[24:25], v[94:95]
	v_mov_b32_e32 v24, s48
	s_add_i32 s48, s28, s39
	v_fma_f64 v[94:95], -v[10:11], v[82:83], v[86:87]
	s_lshl_b32 s48, s48, 3
	v_mov_b32_e32 v32, s22
	s_add_i32 s22, s27, s8
	ds_load_2addr_b64 v[26:29], v26 offset1:1
	ds_load_b64 v[32:33], v32
	s_lshl_b32 s22, s22, 3
	v_fma_f64 v[90:91], -v[0:1], v[20:21], v[80:81]
	v_dual_mov_b32 v20, s52 :: v_dual_mov_b32 v21, s49
	s_lshl_b32 s49, s54, 3
	v_fma_f64 v[100:101], -v[0:1], v[18:19], v[12:13]
	s_add_i32 s54, s28, s17
	s_add_i32 s52, s28, s40
	ds_load_2addr_b64 v[78:81], v21 offset1:1
	v_fma_f64 v[21:22], -v[4:5], v[22:23], v[16:17]
	s_lshl_b32 s52, s52, 3
	s_waitcnt lgkmcnt(2)
	v_fma_f64 v[96:97], -v[8:9], v[28:29], v[84:85]
	ds_load_2addr_b64 v[82:85], v24 offset1:1
	v_mov_b32_e32 v24, s53
	s_lshl_b32 s53, s54, 3
	s_waitcnt lgkmcnt(2)
	v_fma_f64 v[32:33], -v[14:15], v[32:33], v[30:31]
	ds_load_2addr_b64 v[28:31], v20 offset1:1
	v_mov_b32_e32 v20, s49
	s_add_i32 s49, s28, s38
	s_add_i32 s54, s26, s37
	v_mov_b32_e32 v23, s53
	ds_load_2addr_b64 v[86:89], v20 offset1:1
	ds_load_b64 v[98:99], v98
	v_mov_b32_e32 v20, s51
	s_add_i32 s51, s28, s37
	s_add_i32 s28, s26, s11
	s_lshl_b32 s53, s55, 3
	s_lshl_b32 s28, s28, 3
	v_fma_f64 v[25:26], -v[8:9], v[26:27], v[94:95]
	s_lshl_b32 s54, s54, 3
	s_delay_alu instid0(SALU_CYCLE_1)
	v_dual_mov_b32 v16, s28 :: v_dual_mov_b32 v119, s54
	s_lshl_b32 s28, s62, 3
	s_add_i32 s55, s26, s39
	v_mov_b32_e32 v27, s28
	s_waitcnt lgkmcnt(3)
	v_fma_f64 v[84:85], -v[10:11], v[84:85], v[92:93]
	s_waitcnt lgkmcnt(2)
	v_fma_f64 v[76:77], -v[2:3], v[30:31], v[76:77]
	v_fma_f64 v[80:81], -v[6:7], v[80:81], v[90:91]
	v_mov_b32_e32 v92, s53
	ds_load_2addr_b64 v[16:19], v16 offset1:1
	v_fma_f64 v[100:101], -v[6:7], v[78:79], v[100:101]
	s_add_i32 s28, s26, s43
	s_add_i32 s53, s26, s38
	s_lshl_b32 s26, s60, 3
	s_add_i32 s62, s29, s11
	s_add_i32 s60, s29, s33
	s_lshl_b32 s62, s62, 3
	s_lshl_b32 s28, s28, 3
	;; [unrolled: 1-line block ×5, first 2 shown]
	v_mov_b32_e32 v116, s51
	s_lshl_b32 s51, s55, 3
	s_waitcnt lgkmcnt(2)
	v_fma_f64 v[96:97], -v[14:15], v[88:89], v[96:97]
	s_waitcnt lgkmcnt(1)
	v_mul_f64 v[12:13], v[98:99], v[32:33]
	ds_load_2addr_b64 v[30:33], v23 offset1:1
	ds_load_2addr_b64 v[88:91], v27 offset1:1
	;; [unrolled: 1-line block ×3, first 2 shown]
	v_fma_f64 v[98:99], -v[2:3], v[28:29], v[74:75]
	v_fma_f64 v[21:22], -v[10:11], v[82:83], v[21:22]
	v_mov_b32_e32 v28, s57
	s_lshl_b32 s57, s65, 3
	v_mov_b32_e32 v23, s26
	s_lshl_b32 s26, s64, 3
	v_mov_b32_e32 v27, s57
	s_lshl_b32 s57, s63, 3
	v_fma_f64 v[25:26], -v[14:15], v[86:87], v[25:26]
	v_mov_b32_e32 v29, s26
	s_add_i32 s65, s29, s36
	s_add_i32 s63, s29, s35
	;; [unrolled: 1-line block ×3, first 2 shown]
	s_lshl_b32 s26, s56, 3
	s_lshl_b32 s56, s74, 3
	;; [unrolled: 1-line block ×3, first 2 shown]
	s_waitcnt lgkmcnt(3)
	v_fma_f64 v[18:19], -v[0:1], v[18:19], v[76:77]
	s_waitcnt lgkmcnt(2)
	v_fma_f64 v[102:103], -v[4:5], v[32:33], v[80:81]
	;; [unrolled: 2-line block ×3, first 2 shown]
	v_mov_b32_e32 v32, s57
	ds_load_2addr_b64 v[74:77], v23 offset1:1
	ds_load_2addr_b64 v[78:81], v27 offset1:1
	;; [unrolled: 1-line block ×3, first 2 shown]
	ds_load_b64 v[104:105], v104
	s_add_i32 s57, s29, s40
	s_lshl_b32 s29, s66, 3
	v_mov_b32_e32 v23, s62
	v_mov_b32_e32 v27, s56
	s_lshl_b32 s63, s63, 3
	s_lshl_b32 s64, s64, 3
	;; [unrolled: 1-line block ×4, first 2 shown]
	v_mov_b32_e32 v118, s53
	s_add_i32 s80, s18, s42
	s_add_i32 s66, s16, s38
	s_waitcnt lgkmcnt(4)
	v_fma_f64 v[86:87], -v[12:13], v[94:95], v[96:97]
	ds_load_2addr_b64 v[94:97], v32 offset1:1
	v_fma_f64 v[29:30], -v[4:5], v[30:31], v[100:101]
	v_mov_b32_e32 v32, s45
	v_fma_f64 v[16:17], -v[0:1], v[16:17], v[98:99]
	s_waitcnt lgkmcnt(4)
	v_fma_f64 v[76:77], -v[2:3], v[76:77], v[72:73]
	v_fma_f64 v[21:22], -v[8:9], v[88:89], v[21:22]
	s_lshl_b32 s45, s73, 3
	v_mov_b32_e32 v31, s29
	v_mov_b32_e32 v33, s45
	s_add_i32 s73, s16, s39
	s_add_i32 s62, s16, s37
	v_fma_f64 v[25:26], -v[12:13], v[92:93], v[25:26]
	v_mov_b32_e32 v92, s59
	s_lshl_b32 s62, s62, 3
	s_add_i32 s59, s16, s36
	s_add_i32 s56, s16, s35
	;; [unrolled: 1-line block ×5, first 2 shown]
	s_waitcnt lgkmcnt(3)
	v_fma_f64 v[80:81], -v[6:7], v[80:81], v[18:19]
	s_waitcnt lgkmcnt(2)
	v_fma_f64 v[100:101], -v[10:11], v[84:85], v[102:103]
	;; [unrolled: 2-line block ×3, first 2 shown]
	s_add_i32 s53, s20, s39
	s_add_i32 s54, s21, s41
	v_mul_f64 v[18:19], v[104:105], v[86:87]
	ds_load_2addr_b64 v[84:87], v23 offset1:1
	ds_load_2addr_b64 v[88:91], v27 offset1:1
	;; [unrolled: 1-line block ×3, first 2 shown]
	v_fma_f64 v[104:105], -v[2:3], v[74:75], v[70:71]
	ds_load_2addr_b64 v[70:73], v31 offset1:1
	ds_load_b64 v[74:75], v92
	v_fma_f64 v[16:17], -v[6:7], v[78:79], v[16:17]
	v_fma_f64 v[29:30], -v[10:11], v[82:83], v[29:30]
	;; [unrolled: 1-line block ×3, first 2 shown]
	v_mov_b32_e32 v23, s26
	s_lshl_b32 s26, s77, 3
	v_mov_b32_e32 v27, s74
	v_mov_b32_e32 v31, s26
	;; [unrolled: 1-line block ×3, first 2 shown]
	s_lshl_b32 s69, s101, 3
	s_lshl_b32 s74, s102, 3
	s_add_i32 s101, s19, s11
	s_add_i32 s102, s19, s9
	;; [unrolled: 1-line block ×4, first 2 shown]
	s_waitcnt lgkmcnt(4)
	v_fma_f64 v[106:107], -v[0:1], v[86:87], v[76:77]
	s_waitcnt lgkmcnt(3)
	v_fma_f64 v[108:109], -v[4:5], v[90:91], v[80:81]
	s_waitcnt lgkmcnt(2)
	v_fma_f64 v[98:99], -v[8:9], v[98:99], v[100:101]
	s_waitcnt lgkmcnt(1)
	v_fma_f64 v[94:95], -v[12:13], v[72:73], v[102:103]
	v_mov_b32_e32 v86, s23
	s_add_i32 s23, s16, s30
	s_waitcnt lgkmcnt(0)
	v_fma_f64 v[25:26], -v[18:19], v[74:75], v[25:26]
	ds_load_2addr_b64 v[72:75], v23 offset1:1
	ds_load_2addr_b64 v[76:79], v27 offset1:1
	;; [unrolled: 1-line block ×4, first 2 shown]
	v_fma_f64 v[100:101], -v[0:1], v[84:85], v[104:105]
	ds_load_2addr_b64 v[84:87], v86 offset1:1
	ds_load_b64 v[102:103], v110
	v_fma_f64 v[104:105], -v[4:5], v[88:89], v[16:17]
	v_fma_f64 v[29:30], -v[8:9], v[96:97], v[29:30]
	v_fma_f64 v[21:22], -v[12:13], v[70:71], v[21:22]
	v_mov_b32_e32 v23, s69
	v_mov_b32_e32 v27, s47
	;; [unrolled: 1-line block ×4, first 2 shown]
	s_add_i32 s58, s18, s37
	s_add_i32 s68, s18, s39
	s_lshl_b32 s58, s58, 3
	s_add_i32 s69, s18, s38
	s_add_i32 s47, s18, s36
	s_waitcnt lgkmcnt(5)
	v_fma_f64 v[110:111], -v[2:3], v[74:75], v[68:69]
	s_waitcnt lgkmcnt(4)
	v_fma_f64 v[106:107], -v[6:7], v[78:79], v[106:107]
	s_waitcnt lgkmcnt(3)
	v_fma_f64 v[82:83], -v[10:11], v[82:83], v[108:109]
	s_waitcnt lgkmcnt(2)
	v_fma_f64 v[96:97], -v[14:15], v[92:93], v[98:99]
	s_waitcnt lgkmcnt(1)
	v_fma_f64 v[98:99], -v[18:19], v[86:87], v[94:95]
	s_waitcnt lgkmcnt(0)
	v_mul_f64 v[16:17], v[102:103], v[25:26]
	v_mov_b32_e32 v25, s74
	s_add_i32 s74, s18, s40
	ds_load_2addr_b64 v[68:71], v23 offset1:1
	ds_load_2addr_b64 v[86:89], v25 offset1:1
	v_fma_f64 v[25:26], -v[2:3], v[72:73], v[66:67]
	ds_load_2addr_b64 v[72:75], v31 offset1:1
	ds_load_2addr_b64 v[92:95], v33 offset1:1
	v_fma_f64 v[66:67], -v[6:7], v[76:77], v[100:101]
	ds_load_2addr_b64 v[76:79], v27 offset1:1
	v_fma_f64 v[102:103], -v[10:11], v[80:81], v[104:105]
	v_fma_f64 v[29:30], -v[14:15], v[90:91], v[29:30]
	;; [unrolled: 1-line block ×3, first 2 shown]
	v_mov_b32_e32 v31, s25
	s_lshl_b32 s25, s103, 3
	v_mov_b32_e32 v23, s46
	v_mov_b32_e32 v33, s28
	;; [unrolled: 1-line block ×3, first 2 shown]
	s_add_i32 s103, s19, s14
	s_add_i32 s46, s18, s35
	s_add_i32 s44, s18, s34
	s_add_i32 s28, s18, s33
	s_waitcnt lgkmcnt(4)
	v_fma_f64 v[70:71], -v[4:5], v[70:71], v[106:107]
	s_waitcnt lgkmcnt(3)
	v_fma_f64 v[104:105], -v[0:1], v[88:89], v[110:111]
	;; [unrolled: 2-line block ×4, first 2 shown]
	v_mov_b32_e32 v82, s25
	v_mov_b32_e32 v88, s100
	s_add_i32 s100, s19, s10
	s_add_i32 s25, s18, s31
	s_waitcnt lgkmcnt(0)
	v_fma_f64 v[108:109], -v[16:17], v[78:79], v[98:99]
	ds_load_2addr_b64 v[78:81], v23 offset1:1
	ds_load_2addr_b64 v[82:85], v82 offset1:1
	;; [unrolled: 1-line block ×5, first 2 shown]
	v_mov_b32_e32 v33, s78
	s_lshl_b32 s78, s84, 3
	v_mov_b32_e32 v31, s91
	v_fma_f64 v[25:26], -v[0:1], v[86:87], v[25:26]
	v_mov_b32_e32 v113, s78
	v_fma_f64 v[86:87], -v[4:5], v[68:69], v[66:67]
	ds_load_b64 v[66:67], v112
	v_fma_f64 v[102:103], -v[8:9], v[72:73], v[102:103]
	v_fma_f64 v[29:30], -v[12:13], v[92:93], v[29:30]
	s_lshl_b32 s78, s96, 3
	v_mov_b32_e32 v112, s52
	s_lshl_b32 s52, s87, 3
	s_add_i32 s96, s19, s43
	s_add_i32 s91, s19, s42
	;; [unrolled: 1-line block ×4, first 2 shown]
	s_waitcnt lgkmcnt(5)
	v_fma_f64 v[110:111], -v[2:3], v[80:81], v[64:65]
	v_mov_b32_e32 v64, s78
	v_fma_f64 v[62:63], -v[2:3], v[78:79], v[62:63]
	s_add_i32 s78, s19, s39
	s_waitcnt lgkmcnt(3)
	v_fma_f64 v[90:91], -v[10:11], v[90:91], v[70:71]
	v_fma_f64 v[84:85], -v[6:7], v[84:85], v[104:105]
	s_waitcnt lgkmcnt(2)
	v_fma_f64 v[96:97], -v[14:15], v[96:97], v[74:75]
	s_waitcnt lgkmcnt(1)
	v_fma_f64 v[92:93], -v[18:19], v[100:101], v[106:107]
	v_fma_f64 v[100:101], -v[16:17], v[76:77], v[21:22]
	v_mov_b32_e32 v21, s52
	s_lshl_b32 s52, s99, 3
	v_mov_b32_e32 v106, s50
	v_mov_b32_e32 v68, s52
	s_add_i32 s99, s20, s11
	s_add_i32 s52, s19, s38
	;; [unrolled: 1-line block ×3, first 2 shown]
	ds_load_2addr_b64 v[68:71], v68 offset1:1
	s_waitcnt lgkmcnt(1)
	v_mul_f64 v[22:23], v[66:67], v[108:109]
	ds_load_2addr_b64 v[64:67], v64 offset1:1
	ds_load_2addr_b64 v[72:75], v21 offset1:1
	;; [unrolled: 1-line block ×3, first 2 shown]
	v_mov_b32_e32 v21, s48
	s_lshl_b32 s48, s85, 3
	s_lshl_b32 s85, s94, 3
	v_fma_f64 v[25:26], -v[6:7], v[82:83], v[25:26]
	v_mov_b32_e32 v108, s48
	v_fma_f64 v[104:105], -v[10:11], v[88:89], v[86:87]
	ds_load_2addr_b64 v[80:83], v112 offset1:1
	ds_load_b64 v[86:87], v106
	v_fma_f64 v[94:95], -v[14:15], v[94:95], v[102:103]
	s_lshl_b32 s48, s98, 3
	v_fma_f64 v[29:30], -v[18:19], v[98:99], v[29:30]
	v_mov_b32_e32 v112, s49
	s_lshl_b32 s49, s89, 3
	s_add_i32 s98, s20, s17
	v_mov_b32_e32 v109, s49
	s_add_i32 s94, s20, s9
	s_add_i32 s89, s20, s43
	s_add_i32 s49, s19, s36
	s_waitcnt lgkmcnt(5)
	v_fma_f64 v[102:103], -v[0:1], v[70:71], v[110:111]
	s_waitcnt lgkmcnt(3)
	v_fma_f64 v[74:75], -v[8:9], v[74:75], v[90:91]
	v_fma_f64 v[106:107], -v[4:5], v[66:67], v[84:85]
	s_waitcnt lgkmcnt(2)
	v_fma_f64 v[78:79], -v[12:13], v[78:79], v[96:97]
	v_mov_b32_e32 v66, s48
	s_waitcnt lgkmcnt(1)
	v_fma_f64 v[96:97], -v[16:17], v[82:83], v[92:93]
	v_mov_b32_e32 v67, s85
	s_lshl_b32 s85, s97, 3
	s_add_i32 s97, s21, s14
	s_add_i32 s48, s19, s35
	s_waitcnt lgkmcnt(0)
	v_fma_f64 v[98:99], -v[22:23], v[86:87], v[100:101]
	ds_load_2addr_b64 v[82:85], v27 offset1:1
	ds_load_2addr_b64 v[86:89], v66 offset1:1
	v_fma_f64 v[100:101], -v[0:1], v[68:69], v[62:63]
	ds_load_2addr_b64 v[66:69], v67 offset1:1
	v_mov_b32_e32 v27, s81
	s_lshl_b32 s81, s86, 3
	v_fma_f64 v[25:26], -v[4:5], v[64:65], v[25:26]
	ds_load_2addr_b64 v[62:65], v109 offset1:1
	ds_load_2addr_b64 v[90:93], v108 offset1:1
	v_fma_f64 v[104:105], -v[8:9], v[72:73], v[104:105]
	ds_load_2addr_b64 v[70:73], v21 offset1:1
	ds_load_b64 v[20:21], v20
	v_mov_b32_e32 v110, s81
	s_lshl_b32 s81, s93, 3
	v_fma_f64 v[94:95], -v[12:13], v[76:77], v[94:95]
	v_mov_b32_e32 v76, s81
	s_lshl_b32 s81, s101, 3
	v_fma_f64 v[29:30], -v[16:17], v[80:81], v[29:30]
	v_mov_b32_e32 v77, s85
	s_lshl_b32 s86, s103, 3
	s_add_i32 s101, s21, s11
	s_add_i32 s103, s24, s11
	s_waitcnt lgkmcnt(6)
	v_fma_f64 v[108:109], -v[2:3], v[84:85], v[60:61]
	s_waitcnt lgkmcnt(5)
	v_fma_f64 v[88:89], -v[6:7], v[88:89], v[102:103]
	v_mov_b32_e32 v60, s81
	s_add_i32 s93, s20, s10
	s_add_i32 s85, s20, s42
	s_waitcnt lgkmcnt(4)
	v_fma_f64 v[68:69], -v[10:11], v[68:69], v[106:107]
	s_waitcnt lgkmcnt(3)
	v_fma_f64 v[102:103], -v[14:15], v[64:65], v[74:75]
	;; [unrolled: 2-line block ×4, first 2 shown]
	ds_load_2addr_b64 v[72:75], v76 offset1:1
	s_add_i32 s81, s20, s41
	s_waitcnt lgkmcnt(1)
	v_mul_f64 v[20:21], v[20:21], v[98:99]
	v_fma_f64 v[98:99], -v[2:3], v[82:83], v[58:59]
	ds_load_2addr_b64 v[58:61], v60 offset1:1
	ds_load_2addr_b64 v[80:83], v27 offset1:1
	v_fma_f64 v[100:101], -v[6:7], v[86:87], v[100:101]
	ds_load_2addr_b64 v[84:87], v112 offset1:1
	v_fma_f64 v[25:26], -v[10:11], v[66:67], v[25:26]
	ds_load_2addr_b64 v[64:67], v110 offset1:1
	ds_load_2addr_b64 v[76:79], v77 offset1:1
	v_fma_f64 v[104:105], -v[14:15], v[62:63], v[104:105]
	v_mov_b32_e32 v27, s51
	s_lshl_b32 s51, s82, 3
	v_fma_f64 v[106:107], -v[18:19], v[90:91], v[94:95]
	s_lshl_b32 s82, s90, 3
	v_mov_b32_e32 v90, s51
	v_fma_f64 v[29:30], -v[22:23], v[70:71], v[29:30]
	v_mov_b32_e32 v91, s82
	s_lshl_b32 s82, s95, 3
	s_add_i32 s95, s21, s17
	v_mov_b32_e32 v70, s82
	s_lshl_b32 s82, s88, 3
	s_add_i32 s90, s24, s17
	s_waitcnt lgkmcnt(4)
	v_fma_f64 v[108:109], -v[0:1], v[60:61], v[108:109]
	s_add_i32 s88, s21, s9
	s_add_i32 s51, s20, s38
	v_fma_f64 v[110:111], -v[8:9], v[74:75], v[68:69]
	s_waitcnt lgkmcnt(1)
	v_fma_f64 v[102:103], -v[12:13], v[66:67], v[102:103]
	s_waitcnt lgkmcnt(0)
	v_fma_f64 v[78:79], -v[4:5], v[78:79], v[88:89]
	v_mov_b32_e32 v66, s86
	v_fma_f64 v[82:83], -v[16:17], v[82:83], v[92:93]
	ds_load_2addr_b64 v[60:63], v31 offset1:1
	ds_load_2addr_b64 v[66:69], v66 offset1:1
	v_mov_b32_e32 v31, s82
	s_lshl_b32 s82, s104, 3
	s_add_i32 s86, s21, s10
	v_fma_f64 v[112:113], -v[20:21], v[86:87], v[96:97]
	v_fma_f64 v[98:99], -v[0:1], v[58:59], v[98:99]
	ds_load_2addr_b64 v[86:89], v70 offset1:1
	ds_load_2addr_b64 v[94:97], v116 offset1:1
	v_fma_f64 v[100:101], -v[4:5], v[76:77], v[100:101]
	ds_load_2addr_b64 v[74:77], v91 offset1:1
	v_fma_f64 v[114:115], -v[8:9], v[72:73], v[25:26]
	ds_load_2addr_b64 v[70:73], v90 offset1:1
	ds_load_2addr_b64 v[90:93], v27 offset1:1
	v_fma_f64 v[104:105], -v[12:13], v[64:65], v[104:105]
	v_mov_b32_e32 v25, s57
	s_lshl_b32 s57, s92, 3
	v_fma_f64 v[106:107], -v[16:17], v[80:81], v[106:107]
	v_mov_b32_e32 v80, s57
	s_waitcnt lgkmcnt(6)
	v_fma_f64 v[116:117], -v[2:3], v[62:63], v[56:57]
	s_lshl_b32 s57, s99, 3
	s_delay_alu instid0(SALU_CYCLE_1)
	v_dual_mov_b32 v64, s82 :: v_dual_mov_b32 v65, s57
	v_fma_f64 v[29:30], -v[20:21], v[84:85], v[29:30]
	v_fma_f64 v[50:51], -v[2:3], v[60:61], v[50:51]
	ds_load_2addr_b64 v[56:59], v31 offset1:1
	ds_load_2addr_b64 v[60:63], v64 offset1:1
	s_lshl_b32 s99, s61, 3
	s_waitcnt lgkmcnt(7)
	v_fma_f64 v[68:69], -v[6:7], v[68:69], v[108:109]
	s_lshl_b32 s61, s75, 3
	s_lshl_b32 s75, vcc_lo, 3
	s_waitcnt lgkmcnt(4)
	v_fma_f64 v[108:109], -v[14:15], v[76:77], v[110:111]
	v_mov_b32_e32 v31, s75
	s_waitcnt lgkmcnt(3)
	v_fma_f64 v[102:103], -v[18:19], v[72:73], v[102:103]
	v_fma_f64 v[88:89], -v[10:11], v[88:89], v[78:79]
	ds_load_2addr_b64 v[76:79], v80 offset1:1
	s_waitcnt lgkmcnt(3)
	v_fma_f64 v[92:93], -v[22:23], v[92:93], v[82:83]
	ds_load_2addr_b64 v[80:83], v118 offset1:1
	s_lshl_b32 s75, s102, 3
	s_add_i32 s92, s24, s14
	v_mov_b32_e32 v118, s72
	s_add_i32 s82, s21, s43
	s_add_i32 s57, s21, s42
	v_mul_f64 v[26:27], v[96:97], v[112:113]
	v_fma_f64 v[96:97], -v[6:7], v[66:67], v[98:99]
	ds_load_2addr_b64 v[64:67], v65 offset1:1
	v_mov_b32_e32 v112, s75
	v_fma_f64 v[86:87], -v[10:11], v[86:87], v[100:101]
	s_add_i32 s75, s24, s9
	v_fma_f64 v[98:99], -v[14:15], v[74:75], v[114:115]
	ds_load_2addr_b64 v[72:75], v25 offset1:1
	v_mov_b32_e32 v25, s61
	v_fma_f64 v[70:71], -v[18:19], v[70:71], v[104:105]
	s_lshl_b32 s61, s79, 3
	s_add_i32 s79, s27, s14
	v_fma_f64 v[106:107], -v[22:23], v[90:91], v[106:107]
	v_mov_b32_e32 v114, s61
	s_lshl_b32 s61, s83, 3
	s_add_i32 s83, s27, s11
	s_add_i32 s11, s27, s17
	s_lshl_b32 s17, s67, 3
	s_lshl_b32 s67, s71, 3
	;; [unrolled: 1-line block ×5, first 2 shown]
	s_waitcnt lgkmcnt(1)
	v_fma_f64 v[100:101], -v[0:1], v[66:67], v[116:117]
	v_fma_f64 v[104:105], -v[4:5], v[62:63], v[68:69]
	s_lshl_b32 s71, s80, 3
	v_fma_f64 v[108:109], -v[12:13], v[58:59], v[108:109]
	v_mov_b32_e32 v58, s61
	s_waitcnt lgkmcnt(0)
	v_fma_f64 v[102:103], -v[16:17], v[74:75], v[102:103]
	v_fma_f64 v[78:79], -v[8:9], v[78:79], v[88:89]
	s_lshl_b32 s80, s98, 3
	v_fma_f64 v[110:111], -v[20:21], v[82:83], v[92:93]
	ds_load_2addr_b64 v[66:69], v33 offset1:1
	ds_load_2addr_b64 v[82:85], v31 offset1:1
	v_mov_b32_e32 v33, s67
	s_lshl_b32 s98, s101, 3
	v_mov_b32_e32 v31, s14
	s_lshl_b32 s14, s65, 3
	s_lshl_b32 s65, s73, 3
	;; [unrolled: 1-line block ×3, first 2 shown]
	v_fma_f64 v[29:30], -v[26:27], v[94:95], v[29:30]
	v_fma_f64 v[94:95], -v[0:1], v[64:65], v[50:51]
	ds_load_2addr_b64 v[62:65], v112 offset1:1
	v_fma_f64 v[96:97], -v[4:5], v[60:61], v[96:97]
	ds_load_2addr_b64 v[58:61], v58 offset1:1
	;; [unrolled: 2-line block ×3, first 2 shown]
	ds_load_2addr_b64 v[86:89], v25 offset1:1
	v_fma_f64 v[98:99], -v[12:13], v[56:57], v[98:99]
	ds_load_2addr_b64 v[90:93], v119 offset1:1
	ds_load_b64 v[24:25], v24
	v_fma_f64 v[114:115], -v[16:17], v[72:73], v[70:71]
	v_dual_mov_b32 v57, s76 :: v_dual_mov_b32 v56, s71
	s_waitcnt lgkmcnt(7)
	v_fma_f64 v[116:117], -v[2:3], v[68:69], v[48:49]
	v_fma_f64 v[80:81], -v[20:21], v[80:81], v[106:107]
	v_mov_b32_e32 v72, s70
	s_lshl_b32 s70, s96, 3
	s_lshl_b32 s71, s94, 3
	;; [unrolled: 1-line block ×3, first 2 shown]
	s_add_i32 s61, s24, s10
	s_lshl_b32 s11, s11, 3
	s_add_i32 s9, s27, s9
	s_add_i32 s10, s27, s10
	s_waitcnt lgkmcnt(6)
	v_fma_f64 v[84:85], -v[6:7], v[84:85], v[100:101]
	s_waitcnt lgkmcnt(5)
	v_fma_f64 v[100:101], -v[10:11], v[64:65], v[104:105]
	s_lshl_b32 s9, s9, 3
	s_waitcnt lgkmcnt(3)
	v_fma_f64 v[108:109], -v[18:19], v[76:77], v[108:109]
	s_lshl_b32 s10, s10, 3
	s_waitcnt lgkmcnt(2)
	v_fma_f64 v[88:89], -v[22:23], v[88:89], v[102:103]
	v_fma_f64 v[104:105], -v[14:15], v[60:61], v[78:79]
	v_mov_b32_e32 v60, s80
	s_waitcnt lgkmcnt(1)
	v_fma_f64 v[92:93], -v[26:27], v[92:93], v[110:111]
	v_mov_b32_e32 v61, s98
	s_waitcnt lgkmcnt(0)
	v_mul_f64 v[24:25], v[24:25], v[29:30]
	v_fma_f64 v[29:30], -v[2:3], v[66:67], v[42:43]
	ds_load_2addr_b64 v[48:51], v33 offset1:1
	ds_load_2addr_b64 v[64:67], v57 offset1:1
	v_fma_f64 v[42:43], -v[6:7], v[82:83], v[94:95]
	ds_load_2addr_b64 v[68:71], v61 offset1:1
	v_fma_f64 v[94:95], -v[10:11], v[62:63], v[96:97]
	;; [unrolled: 2-line block ×3, first 2 shown]
	ds_load_2addr_b64 v[56:59], v56 offset1:1
	ds_load_2addr_b64 v[76:79], v72 offset1:1
	v_fma_f64 v[98:99], -v[18:19], v[74:75], v[98:99]
	ds_load_2addr_b64 v[72:75], v31 offset1:1
	v_fma_f64 v[102:103], -v[22:23], v[86:87], v[114:115]
	v_mov_b32_e32 v31, s99
	v_fma_f64 v[110:111], -v[26:27], v[90:91], v[80:81]
	v_dual_mov_b32 v86, s65 :: v_dual_mov_b32 v33, s17
	s_lshl_b32 s17, s66, 3
	s_lshl_b32 s66, s91, 3
	s_lshl_b32 s65, s74, 3
	s_waitcnt lgkmcnt(5)
	v_fma_f64 v[100:101], -v[8:9], v[66:67], v[100:101]
	s_waitcnt lgkmcnt(4)
	v_fma_f64 v[70:71], -v[0:1], v[70:71], v[116:117]
	;; [unrolled: 2-line block ×3, first 2 shown]
	v_mov_b32_e32 v63, s70
	s_waitcnt lgkmcnt(1)
	v_fma_f64 v[108:109], -v[16:17], v[78:79], v[108:109]
	v_fma_f64 v[104:105], -v[12:13], v[58:59], v[104:105]
	v_dual_mov_b32 v58, s73 :: v_dual_mov_b32 v59, s71
	v_fma_f64 v[50:51], -v[20:21], v[50:51], v[88:89]
	ds_load_2addr_b64 v[78:81], v31 offset1:1
	v_mov_b32_e32 v62, s67
	s_lshl_b32 s70, s95, 3
	s_lshl_b32 s71, s103, 3
	;; [unrolled: 1-line block ×3, first 2 shown]
	s_waitcnt lgkmcnt(1)
	v_fma_f64 v[112:113], -v[24:25], v[74:75], v[92:93]
	v_fma_f64 v[114:115], -v[0:1], v[68:69], v[29:30]
	ds_load_2addr_b64 v[66:69], v58 offset1:1
	ds_load_2addr_b64 v[82:85], v59 offset1:1
	v_fma_f64 v[42:43], -v[4:5], v[60:61], v[42:43]
	ds_load_2addr_b64 v[58:61], v63 offset1:1
	v_fma_f64 v[94:95], -v[8:9], v[64:65], v[94:95]
	ds_load_2addr_b64 v[62:65], v62 offset1:1
	ds_load_2addr_b64 v[86:89], v86 offset1:1
	;; [unrolled: 1-line block ×3, first 2 shown]
	v_fma_f64 v[96:97], -v[12:13], v[56:57], v[96:97]
	v_fma_f64 v[98:99], -v[16:17], v[76:77], v[98:99]
	ds_load_2addr_b64 v[74:77], v33 offset1:1
	v_fma_f64 v[102:103], -v[20:21], v[48:49], v[102:103]
	v_mov_b32_e32 v48, s66
	v_fma_f64 v[72:73], -v[24:25], v[72:73], v[110:111]
	v_mov_b32_e32 v57, s70
	s_waitcnt lgkmcnt(7)
	v_fma_f64 v[80:81], -v[2:3], v[80:81], v[40:41]
	v_dual_mov_b32 v56, s67 :: v_dual_mov_b32 v29, s14
	v_mov_b32_e32 v118, s65
	s_lshl_b32 s66, s89, 3
	s_lshl_b32 s67, s88, 3
	;; [unrolled: 1-line block ×5, first 2 shown]
	s_waitcnt lgkmcnt(4)
	v_fma_f64 v[100:101], -v[14:15], v[60:61], v[100:101]
	v_fma_f64 v[116:117], -v[6:7], v[68:69], v[70:71]
	;; [unrolled: 1-line block ×4, first 2 shown]
	s_waitcnt lgkmcnt(2)
	v_fma_f64 v[88:89], -v[22:23], v[88:89], v[108:109]
	v_fma_f64 v[104:105], -v[18:19], v[64:65], v[104:105]
	v_mov_b32_e32 v60, s71
	s_waitcnt lgkmcnt(1)
	v_fma_f64 v[92:93], -v[26:27], v[92:93], v[50:51]
	ds_load_2addr_b64 v[48:51], v48 offset1:1
	v_mov_b32_e32 v33, s17
	s_lshl_b32 s17, s68, 3
	s_lshl_b32 s68, s92, 3
	s_waitcnt lgkmcnt(1)
	v_mul_f64 v[30:31], v[76:77], v[112:113]
	ds_load_2addr_b64 v[38:41], v33 offset1:1
	v_fma_f64 v[108:109], -v[6:7], v[66:67], v[114:115]
	ds_load_2addr_b64 v[64:67], v57 offset1:1
	ds_load_2addr_b64 v[68:71], v60 offset1:1
	v_fma_f64 v[82:83], -v[10:11], v[82:83], v[42:43]
	v_fma_f64 v[94:95], -v[14:15], v[58:59], v[94:95]
	ds_load_2addr_b64 v[56:59], v56 offset1:1
	ds_load_2addr_b64 v[76:79], v29 offset1:1
	v_fma_f64 v[96:97], -v[18:19], v[62:63], v[96:97]
	ds_load_2addr_b64 v[60:63], v118 offset1:1
	v_fma_f64 v[86:87], -v[22:23], v[86:87], v[98:99]
	v_fma_f64 v[90:91], -v[26:27], v[90:91], v[102:103]
	v_dual_mov_b32 v118, s65 :: v_dual_mov_b32 v33, s63
	v_dual_mov_b32 v114, s62 :: v_dual_mov_b32 v115, s17
	s_lshl_b32 s17, s84, 3
	s_lshl_b32 s62, s85, 3
	;; [unrolled: 1-line block ×4, first 2 shown]
	s_waitcnt lgkmcnt(3)
	v_fma_f64 v[98:99], -v[0:1], v[70:71], v[80:81]
	v_fma_f64 v[100:101], -v[12:13], v[50:51], v[100:101]
	v_mov_b32_e32 v50, s68
	v_fma_f64 v[102:103], -v[4:5], v[66:67], v[116:117]
	v_fma_f64 v[106:107], -v[0:1], v[68:69], v[106:107]
	;; [unrolled: 1-line block ×3, first 2 shown]
	s_waitcnt lgkmcnt(0)
	v_fma_f64 v[104:105], -v[16:17], v[62:63], v[104:105]
	ds_load_2addr_b64 v[66:69], v50 offset1:1
	v_mov_b32_e32 v29, s22
	v_fma_f64 v[92:93], -v[24:25], v[78:79], v[92:93]
	v_mov_b32_e32 v51, s66
	s_lshl_b32 s66, s83, 3
	ds_load_2addr_b64 v[40:43], v29 offset1:1
	v_fma_f64 v[110:111], -v[8:9], v[58:59], v[84:85]
	v_fma_f64 v[74:75], -v[30:31], v[74:75], v[72:73]
	v_mov_b32_e32 v58, s67
	v_fma_f64 v[108:109], -v[4:5], v[64:65], v[108:109]
	s_lshl_b32 s67, s56, 3
	v_fma_f64 v[112:113], -v[8:9], v[56:57], v[82:83]
	v_fma_f64 v[94:95], -v[12:13], v[48:49], v[94:95]
	ds_load_2addr_b64 v[62:65], v58 offset1:1
	ds_load_2addr_b64 v[56:59], v51 offset1:1
	;; [unrolled: 1-line block ×5, first 2 shown]
	v_fma_f64 v[96:97], -v[16:17], v[60:61], v[96:97]
	v_fma_f64 v[86:87], -v[20:21], v[38:39], v[86:87]
	ds_load_2addr_b64 v[82:85], v33 offset1:1
	ds_load_b64 v[28:29], v28
	v_fma_f64 v[90:91], -v[24:25], v[76:77], v[90:91]
	v_dual_mov_b32 v38, s17 :: v_dual_mov_b32 v33, s64
	v_mov_b32_e32 v76, s59
	v_mov_b32_e32 v114, s14
	s_waitcnt lgkmcnt(7)
	v_fma_f64 v[42:43], -v[2:3], v[42:43], v[36:37]
	ds_load_2addr_b64 v[36:39], v38 offset1:1
	s_lshl_b32 s14, s81, 3
	s_lshl_b32 s56, s75, 3
	;; [unrolled: 1-line block ×3, first 2 shown]
	v_fma_f64 v[98:99], -v[6:7], v[68:69], v[98:99]
	v_mov_b32_e32 v68, s65
	s_lshl_b32 s59, s78, 3
	s_waitcnt lgkmcnt(7)
	v_fma_f64 v[102:103], -v[10:11], v[64:65], v[102:103]
	s_waitcnt lgkmcnt(5)
	v_fma_f64 v[100:101], -v[18:19], v[72:73], v[100:101]
	v_mov_b32_e32 v64, s66
	s_waitcnt lgkmcnt(4)
	v_fma_f64 v[104:105], -v[22:23], v[50:51], v[104:105]
	s_waitcnt lgkmcnt(3)
	v_fma_f64 v[88:89], -v[26:27], v[80:81], v[88:89]
	v_mov_b32_e32 v50, s62
	s_waitcnt lgkmcnt(2)
	v_fma_f64 v[84:85], -v[30:31], v[84:85], v[92:93]
	v_mov_b32_e32 v51, s63
	v_fma_f64 v[92:93], -v[6:7], v[66:67], v[106:107]
	s_lshl_b32 s62, s79, 3
	v_fma_f64 v[110:111], -v[14:15], v[58:59], v[110:111]
	s_waitcnt lgkmcnt(1)
	v_mul_f64 v[28:29], v[28:29], v[74:75]
	v_fma_f64 v[106:107], -v[10:11], v[62:63], v[108:109]
	ds_load_2addr_b64 v[58:61], v51 offset1:1
	ds_load_2addr_b64 v[62:65], v64 offset1:1
	v_fma_f64 v[108:109], -v[14:15], v[56:57], v[112:113]
	ds_load_2addr_b64 v[66:69], v68 offset1:1
	v_fma_f64 v[94:95], -v[18:19], v[70:71], v[94:95]
	ds_load_2addr_b64 v[70:73], v50 offset1:1
	v_fma_f64 v[96:97], -v[22:23], v[48:49], v[96:97]
	ds_load_2addr_b64 v[48:51], v76 offset1:1
	ds_load_2addr_b64 v[74:77], v114 offset1:1
	v_fma_f64 v[112:113], -v[26:27], v[78:79], v[86:87]
	ds_load_2addr_b64 v[78:81], v33 offset1:1
	v_fma_f64 v[90:91], -v[30:31], v[82:83], v[90:91]
	v_dual_mov_b32 v87, s58 :: v_dual_mov_b32 v82, s59
	v_mov_b32_e32 v86, s67
	s_waitcnt lgkmcnt(5)
	v_fma_f64 v[42:43], -v[0:1], v[64:65], v[42:43]
	s_waitcnt lgkmcnt(4)
	v_fma_f64 v[98:99], -v[4:5], v[68:69], v[98:99]
	v_fma_f64 v[60:61], -v[8:9], v[60:61], v[102:103]
	;; [unrolled: 1-line block ×3, first 2 shown]
	v_mov_b32_e32 v38, s62
	s_waitcnt lgkmcnt(2)
	v_fma_f64 v[104:105], -v[20:21], v[50:51], v[104:105]
	s_waitcnt lgkmcnt(1)
	v_fma_f64 v[76:77], -v[24:25], v[76:77], v[88:89]
	v_mov_b32_e32 v50, s17
	s_lshl_b32 s17, s47, 3
	v_fma_f64 v[92:93], -v[4:5], v[66:67], v[92:93]
	s_lshl_b32 s47, s55, 3
	s_lshl_b32 s55, s61, 3
	v_fma_f64 v[102:103], -v[12:13], v[72:73], v[110:111]
	v_fma_f64 v[110:111], -v[2:3], v[40:41], v[34:35]
	ds_load_2addr_b64 v[38:41], v38 offset1:1
	s_waitcnt lgkmcnt(1)
	v_fma_f64 v[88:89], -v[28:29], v[80:81], v[84:85]
	v_dual_mov_b32 v34, s56 :: v_dual_mov_b32 v35, s14
	v_mov_b32_e32 v33, s60
	v_fma_f64 v[106:107], -v[8:9], v[58:59], v[106:107]
	ds_load_2addr_b64 v[56:59], v34 offset1:1
	ds_load_2addr_b64 v[64:67], v50 offset1:1
	v_fma_f64 v[108:109], -v[12:13], v[70:71], v[108:109]
	ds_load_2addr_b64 v[68:71], v35 offset1:1
	ds_load_2addr_b64 v[80:83], v82 offset1:1
	v_fma_f64 v[36:37], -v[16:17], v[36:37], v[94:95]
	v_fma_f64 v[94:95], -v[20:21], v[48:49], v[96:97]
	ds_load_2addr_b64 v[48:51], v87 offset1:1
	ds_load_2addr_b64 v[84:87], v86 offset1:1
	v_fma_f64 v[96:97], -v[24:25], v[74:75], v[112:113]
	ds_load_2addr_b64 v[72:75], v33 offset1:1
	s_lshl_b32 s14, s45, 3
	s_lshl_b32 s45, s52, 3
	v_fma_f64 v[78:79], -v[28:29], v[78:79], v[90:91]
	v_mov_b32_e32 v115, s45
	s_lshl_b32 s52, s57, 3
	v_mov_b32_e32 v114, s17
	s_waitcnt lgkmcnt(7)
	v_fma_f64 v[90:91], -v[6:7], v[40:41], v[42:43]
	s_lshl_b32 s17, s29, 3
	ds_load_2addr_b64 v[40:43], v115 offset1:1
	v_mov_b32_e32 v33, s14
	s_waitcnt lgkmcnt(7)
	v_fma_f64 v[98:99], -v[10:11], v[58:59], v[98:99]
	s_waitcnt lgkmcnt(6)
	v_fma_f64 v[112:113], -v[14:15], v[66:67], v[60:61]
	v_mov_b32_e32 v66, s55
	v_mov_b32_e32 v60, s11
	s_waitcnt lgkmcnt(4)
	v_fma_f64 v[82:83], -v[22:23], v[82:83], v[100:101]
	s_add_i32 s14, s24, s43
	s_waitcnt lgkmcnt(3)
	v_fma_f64 v[100:101], -v[26:27], v[50:51], v[104:105]
	s_waitcnt lgkmcnt(2)
	v_fma_f64 v[86:87], -v[30:31], v[86:87], v[76:77]
	v_dual_mov_b32 v50, s47 :: v_dual_mov_b32 v51, s52
	v_fma_f64 v[102:103], -v[18:19], v[70:71], v[102:103]
	v_fma_f64 v[92:93], -v[10:11], v[56:57], v[92:93]
	s_lshl_b32 s29, s46, 3
	s_waitcnt lgkmcnt(1)
	v_mul_f64 v[34:35], v[74:75], v[88:89]
	v_fma_f64 v[88:89], -v[0:1], v[62:63], v[110:111]
	ds_load_2addr_b64 v[56:59], v51 offset1:1
	ds_load_2addr_b64 v[60:63], v60 offset1:1
	;; [unrolled: 1-line block ×3, first 2 shown]
	v_fma_f64 v[104:105], -v[14:15], v[64:65], v[106:107]
	ds_load_2addr_b64 v[64:67], v66 offset1:1
	s_lshl_b32 s46, s53, 3
	v_fma_f64 v[106:107], -v[18:19], v[68:69], v[108:109]
	ds_load_2addr_b64 v[68:71], v50 offset1:1
	s_lshl_b32 s14, s14, 3
	v_fma_f64 v[80:81], -v[22:23], v[80:81], v[36:37]
	v_fma_f64 v[94:95], -v[26:27], v[48:49], v[94:95]
	ds_load_2addr_b64 v[48:51], v114 offset1:1
	v_fma_f64 v[84:85], -v[30:31], v[84:85], v[96:97]
	v_mov_b32_e32 v36, s9
	s_lshl_b32 s47, s54, 3
	s_lshl_b32 s45, s50, 3
	v_mov_b32_e32 v110, s29
	s_add_i32 s11, s21, s40
	s_add_i32 s9, s24, s42
	s_lshl_b32 s11, s11, 3
	s_lshl_b32 s9, s9, 3
	s_waitcnt lgkmcnt(4)
	v_fma_f64 v[90:91], -v[4:5], v[62:63], v[90:91]
	s_lshl_b32 s29, s49, 3
	s_waitcnt lgkmcnt(2)
	v_fma_f64 v[96:97], -v[8:9], v[66:67], v[98:99]
	v_fma_f64 v[98:99], -v[12:13], v[58:59], v[112:113]
	v_dual_mov_b32 v59, s46 :: v_dual_mov_b32 v58, s47
	v_fma_f64 v[82:83], -v[20:21], v[42:43], v[82:83]
	v_dual_mov_b32 v42, s14 :: v_dual_mov_b32 v43, s45
	s_waitcnt lgkmcnt(0)
	v_fma_f64 v[50:51], -v[24:25], v[50:51], v[100:101]
	s_add_i32 s14, s20, s37
	v_fma_f64 v[102:103], -v[16:17], v[70:71], v[102:103]
	v_fma_f64 v[92:93], -v[8:9], v[64:65], v[92:93]
	s_lshl_b32 s14, s14, 3
	v_fma_f64 v[100:101], -v[34:35], v[72:73], v[78:79]
	v_fma_f64 v[88:89], -v[6:7], v[38:39], v[88:89]
	ds_load_2addr_b64 v[36:39], v36 offset1:1
	v_fma_f64 v[86:87], -v[28:29], v[76:77], v[86:87]
	ds_load_2addr_b64 v[62:65], v42 offset1:1
	ds_load_2addr_b64 v[70:73], v58 offset1:1
	v_fma_f64 v[104:105], -v[12:13], v[56:57], v[104:105]
	ds_load_2addr_b64 v[56:59], v59 offset1:1
	v_fma_f64 v[106:107], -v[16:17], v[68:69], v[106:107]
	ds_load_2addr_b64 v[66:69], v43 offset1:1
	v_mov_b32_e32 v33, s17
	v_fma_f64 v[108:109], -v[20:21], v[40:41], v[80:81]
	ds_load_2addr_b64 v[40:43], v110 offset1:1
	ds_load_2addr_b64 v[76:79], v33 offset1:1
	ds_load_b64 v[32:33], v32
	v_fma_f64 v[94:95], -v[24:25], v[48:49], v[94:95]
	v_fma_f64 v[110:111], -v[28:29], v[74:75], v[84:85]
	s_lshl_b32 s17, s26, 3
	s_lshl_b32 s26, s44, 3
	;; [unrolled: 1-line block ×3, first 2 shown]
	v_mov_b32_e32 v48, s11
	v_mov_b32_e32 v112, s17
	s_waitcnt lgkmcnt(7)
	v_fma_f64 v[38:39], -v[10:11], v[38:39], v[90:91]
	s_add_i32 s11, s27, s43
	s_lshl_b32 s17, s23, 3
	s_waitcnt lgkmcnt(6)
	v_fma_f64 v[90:91], -v[14:15], v[64:65], v[96:97]
	s_waitcnt lgkmcnt(5)
	v_fma_f64 v[96:97], -v[18:19], v[72:73], v[98:99]
	v_mov_b32_e32 v64, s9
	v_mov_b32_e32 v72, s29
	s_add_i32 s9, s21, s39
	s_lshl_b32 s11, s11, 3
	s_lshl_b32 s9, s9, 3
	s_waitcnt lgkmcnt(2)
	v_fma_f64 v[42:43], -v[30:31], v[42:43], v[50:51]
	s_lshl_b32 s23, s28, 3
	v_fma_f64 v[98:99], -v[22:23], v[58:59], v[102:103]
	v_fma_f64 v[102:103], -v[26:27], v[68:69], v[82:83]
	v_mov_b32_e32 v68, s44
	s_waitcnt lgkmcnt(0)
	v_mul_f64 v[32:33], v[32:33], v[100:101]
	v_fma_f64 v[88:89], -v[4:5], v[60:61], v[88:89]
	v_mov_b32_e32 v58, s10
	v_fma_f64 v[86:87], -v[34:35], v[78:79], v[86:87]
	v_mov_b32_e32 v78, s26
	v_fma_f64 v[92:93], -v[14:15], v[62:63], v[92:93]
	v_fma_f64 v[100:101], -v[18:19], v[70:71], v[104:105]
	;; [unrolled: 1-line block ×3, first 2 shown]
	ds_load_2addr_b64 v[48:51], v48 offset1:1
	ds_load_2addr_b64 v[58:61], v58 offset1:1
	;; [unrolled: 1-line block ×7, first 2 shown]
	v_fma_f64 v[104:105], -v[26:27], v[66:67], v[108:109]
	s_add_i32 s10, s24, s41
	v_fma_f64 v[94:95], -v[30:31], v[40:41], v[94:95]
	v_fma_f64 v[76:77], -v[34:35], v[76:77], v[110:111]
	s_lshl_b32 s10, s10, 3
	s_lshl_b32 s26, s48, 3
	v_mov_b32_e32 v40, s10
	v_mov_b32_e32 v108, s17
	s_add_i32 s10, s20, s36
	s_add_i32 s17, s27, s42
	s_lshl_b32 s10, s10, 3
	s_lshl_b32 s17, s17, 3
	s_waitcnt lgkmcnt(6)
	v_fma_f64 v[96:97], -v[16:17], v[50:51], v[96:97]
	s_waitcnt lgkmcnt(5)
	v_fma_f64 v[106:107], -v[8:9], v[60:61], v[38:39]
	;; [unrolled: 2-line block ×3, first 2 shown]
	v_dual_mov_b32 v50, s9 :: v_dual_mov_b32 v51, s14
	s_waitcnt lgkmcnt(1)
	v_fma_f64 v[80:81], -v[28:29], v[80:81], v[42:43]
	v_mov_b32_e32 v64, s26
	s_add_i32 s9, s19, s34
	v_fma_f64 v[98:99], -v[20:21], v[70:71], v[98:99]
	v_fma_f64 v[102:103], -v[24:25], v[74:75], v[102:103]
	v_mov_b32_e32 v70, s23
	s_add_i32 s14, s24, s40
	s_lshl_b32 s23, s25, 3
	s_lshl_b32 s9, s9, 3
	s_waitcnt lgkmcnt(0)
	v_fma_f64 v[84:85], -v[32:33], v[84:85], v[86:87]
	v_fma_f64 v[86:87], -v[10:11], v[36:37], v[88:89]
	v_mov_b32_e32 v36, s11
	ds_load_2addr_b64 v[36:39], v36 offset1:1
	ds_load_2addr_b64 v[40:43], v40 offset1:1
	v_fma_f64 v[88:89], -v[12:13], v[62:63], v[92:93]
	ds_load_2addr_b64 v[60:63], v50 offset1:1
	v_fma_f64 v[92:93], -v[16:17], v[48:49], v[100:101]
	v_fma_f64 v[100:101], -v[20:21], v[68:69], v[56:57]
	ds_load_2addr_b64 v[48:51], v51 offset1:1
	ds_load_2addr_b64 v[64:67], v64 offset1:1
	;; [unrolled: 1-line block ×3, first 2 shown]
	v_fma_f64 v[104:105], -v[24:25], v[72:73], v[104:105]
	ds_load_2addr_b64 v[72:75], v108 offset1:1
	v_fma_f64 v[94:95], -v[28:29], v[78:79], v[94:95]
	v_fma_f64 v[82:83], -v[32:33], v[82:83], v[76:77]
	s_add_i32 s11, s21, s38
	s_lshl_b32 s14, s14, 3
	s_lshl_b32 s11, s11, 3
	s_add_i32 s25, s27, s39
	s_delay_alu instid0(SALU_CYCLE_1)
	s_lshl_b32 s25, s25, 3
	s_waitcnt lgkmcnt(6)
	v_fma_f64 v[106:107], -v[14:15], v[38:39], v[106:107]
	s_waitcnt lgkmcnt(5)
	v_fma_f64 v[90:91], -v[18:19], v[42:43], v[90:91]
	v_mov_b32_e32 v42, s11
	s_waitcnt lgkmcnt(4)
	v_fma_f64 v[96:97], -v[22:23], v[62:63], v[96:97]
	v_dual_mov_b32 v62, s14 :: v_dual_mov_b32 v63, s10
	s_waitcnt lgkmcnt(3)
	v_fma_f64 v[98:99], -v[26:27], v[50:51], v[98:99]
	s_waitcnt lgkmcnt(2)
	v_fma_f64 v[66:67], -v[30:31], v[66:67], v[102:103]
	;; [unrolled: 2-line block ×3, first 2 shown]
	v_dual_mov_b32 v50, s23 :: v_dual_mov_b32 v51, s9
	v_mov_b32_e32 v43, s17
	s_waitcnt lgkmcnt(0)
	v_mul_f64 v[38:39], v[74:75], v[84:85]
	v_fma_f64 v[84:85], -v[8:9], v[58:59], v[86:87]
	ds_load_2addr_b64 v[56:59], v42 offset1:1
	ds_load_2addr_b64 v[74:77], v43 offset1:1
	;; [unrolled: 1-line block ×3, first 2 shown]
	s_add_i32 s11, s20, s35
	s_add_i32 s23, s27, s41
	;; [unrolled: 1-line block ×3, first 2 shown]
	v_fma_f64 v[86:87], -v[18:19], v[40:41], v[88:89]
	ds_load_2addr_b64 v[40:43], v62 offset1:1
	v_fma_f64 v[88:89], -v[22:23], v[60:61], v[92:93]
	v_fma_f64 v[92:93], -v[26:27], v[48:49], v[100:101]
	ds_load_2addr_b64 v[48:51], v50 offset1:1
	ds_load_2addr_b64 v[60:63], v63 offset1:1
	v_fma_f64 v[100:101], -v[30:31], v[64:65], v[104:105]
	s_add_i32 s14, s21, s37
	v_fma_f64 v[94:95], -v[34:35], v[68:69], v[94:95]
	s_lshl_b32 s11, s11, 3
	s_lshl_b32 s23, s23, 3
	;; [unrolled: 1-line block ×3, first 2 shown]
	s_add_i32 s9, s7, 0xffffd968
	s_lshl_b32 s14, s14, 3
	s_add_i32 s10, s19, s33
	v_mov_b32_e32 v108, s9
	s_add_i32 s9, s18, s30
	s_lshl_b32 s10, s10, 3
	s_waitcnt lgkmcnt(4)
	v_fma_f64 v[76:77], -v[12:13], v[76:77], v[106:107]
	s_lshl_b32 s9, s9, 3
	v_fma_f64 v[96:97], -v[20:21], v[58:59], v[96:97]
	s_waitcnt lgkmcnt(2)
	v_fma_f64 v[90:91], -v[16:17], v[42:43], v[90:91]
	v_dual_mov_b32 v43, s11 :: v_dual_mov_b32 v42, s14
	s_waitcnt lgkmcnt(0)
	v_fma_f64 v[98:99], -v[24:25], v[62:63], v[98:99]
	v_fma_f64 v[102:103], -v[28:29], v[80:81], v[66:67]
	v_fma_f64 v[50:51], -v[32:33], v[50:51], v[70:71]
	v_mov_b32_e32 v58, s10
	v_mov_b32_e32 v80, s9
	v_fma_f64 v[104:105], -v[38:39], v[72:73], v[82:83]
	v_fma_f64 v[84:85], -v[14:15], v[36:37], v[84:85]
	v_dual_mov_b32 v36, s23 :: v_dual_mov_b32 v37, s17
	ds_load_2addr_b64 v[62:65], v36 offset1:1
	ds_load_2addr_b64 v[66:69], v37 offset1:1
	;; [unrolled: 1-line block ×3, first 2 shown]
	v_fma_f64 v[86:87], -v[16:17], v[40:41], v[86:87]
	ds_load_2addr_b64 v[40:43], v43 offset1:1
	v_fma_f64 v[88:89], -v[20:21], v[56:57], v[88:89]
	ds_load_2addr_b64 v[56:59], v58 offset1:1
	ds_load_2addr_b64 v[80:83], v80 offset1:1
	ds_load_b64 v[36:37], v108
	v_fma_f64 v[92:93], -v[24:25], v[60:61], v[92:93]
	s_add_i32 s23, s27, s40
	s_add_i32 s17, s24, s38
	v_fma_f64 v[94:95], -v[32:33], v[48:49], v[94:95]
	s_lshl_b32 s9, s16, 6
	s_add_i32 s16, s21, s36
	s_lshl_b32 s23, s23, 3
	s_lshl_b32 s17, s17, 3
	;; [unrolled: 1-line block ×3, first 2 shown]
	v_mov_b32_e32 v48, s23
	s_add_i32 s10, s18, s9
	s_add_i32 s11, s19, s31
	;; [unrolled: 1-line block ×3, first 2 shown]
	s_waitcnt lgkmcnt(6)
	v_fma_f64 v[106:107], -v[18:19], v[64:65], v[76:77]
	v_mov_b32_e32 v64, s16
	s_lshl_b32 s10, s10, 3
	s_waitcnt lgkmcnt(4)
	v_fma_f64 v[96:97], -v[26:27], v[72:73], v[96:97]
	v_fma_f64 v[90:91], -v[22:23], v[68:69], v[90:91]
	s_lshl_b32 s11, s11, 3
	s_lshl_b32 s14, s14, 3
	s_waitcnt lgkmcnt(3)
	v_fma_f64 v[42:43], -v[30:31], v[42:43], v[98:99]
	v_fma_f64 v[98:99], -v[28:29], v[78:79], v[100:101]
	s_waitcnt lgkmcnt(2)
	v_fma_f64 v[100:101], -v[34:35], v[58:59], v[102:103]
	s_waitcnt lgkmcnt(1)
	v_fma_f64 v[82:83], -v[38:39], v[82:83], v[50:51]
	v_mov_b32_e32 v58, s17
	s_waitcnt lgkmcnt(0)
	v_mul_f64 v[36:37], v[36:37], v[104:105]
	v_fma_f64 v[84:85], -v[12:13], v[74:75], v[84:85]
	v_dual_mov_b32 v65, s11 :: v_dual_mov_b32 v68, s14
	ds_load_2addr_b64 v[48:51], v48 offset1:1
	ds_load_2addr_b64 v[58:61], v58 offset1:1
	ds_load_2addr_b64 v[72:75], v64 offset1:1
	v_mov_b32_e32 v69, s10
	s_add_i32 s23, s24, s37
	s_add_i32 s17, s21, s35
	ds_load_2addr_b64 v[76:79], v68 offset1:1
	v_fma_f64 v[86:87], -v[22:23], v[66:67], v[86:87]
	ds_load_2addr_b64 v[64:67], v65 offset1:1
	v_fma_f64 v[88:89], -v[26:27], v[70:71], v[88:89]
	;; [unrolled: 2-line block ×3, first 2 shown]
	s_add_i32 s10, s8, 0xfffffb00
	s_lshl_b32 s23, s23, 3
	v_fma_f64 v[94:95], -v[38:39], v[80:81], v[94:95]
	s_lshl_b32 s17, s17, 3
	v_mov_b32_e32 v40, s25
	s_add_i32 s11, s18, s10
	s_add_i32 s14, s19, s30
	;; [unrolled: 1-line block ×3, first 2 shown]
	s_lshl_b32 s11, s11, 3
	s_lshl_b32 s14, s14, 3
	;; [unrolled: 1-line block ×3, first 2 shown]
	v_mov_b32_e32 v104, s11
	s_waitcnt lgkmcnt(5)
	v_fma_f64 v[50:51], -v[16:17], v[50:51], v[106:107]
	s_add_i32 s11, s19, s9
	s_add_i32 s25, s27, s37
	s_waitcnt lgkmcnt(3)
	v_fma_f64 v[74:75], -v[24:25], v[74:75], v[96:97]
	v_fma_f64 v[90:91], -v[20:21], v[60:61], v[90:91]
	s_lshl_b32 s11, s11, 3
	s_lshl_b32 s25, s25, 3
	s_waitcnt lgkmcnt(2)
	v_fma_f64 v[96:97], -v[28:29], v[78:79], v[42:43]
	v_fma_f64 v[98:99], -v[34:35], v[56:57], v[98:99]
	s_waitcnt lgkmcnt(1)
	v_fma_f64 v[66:67], -v[32:33], v[66:67], v[100:101]
	v_dual_mov_b32 v56, s23 :: v_dual_mov_b32 v57, s17
	s_waitcnt lgkmcnt(0)
	v_fma_f64 v[100:101], -v[36:37], v[70:71], v[82:83]
	v_fma_f64 v[102:103], -v[18:19], v[62:63], v[84:85]
	v_dual_mov_b32 v70, s16 :: v_dual_mov_b32 v71, s14
	ds_load_2addr_b64 v[40:43], v40 offset1:1
	ds_load_2addr_b64 v[60:63], v56 offset1:1
	;; [unrolled: 1-line block ×3, first 2 shown]
	s_add_i32 s23, s27, s38
	s_add_i32 s16, s21, s34
	ds_load_2addr_b64 v[82:85], v70 offset1:1
	s_add_i32 s17, s24, s36
	v_fma_f64 v[86:87], -v[20:21], v[58:59], v[86:87]
	ds_load_2addr_b64 v[56:59], v71 offset1:1
	v_fma_f64 v[88:89], -v[24:25], v[72:73], v[88:89]
	ds_load_2addr_b64 v[70:73], v104 offset1:1
	v_fma_f64 v[76:77], -v[28:29], v[76:77], v[92:93]
	s_add_i32 s14, s20, s31
	s_lshl_b32 s23, s23, 3
	v_fma_f64 v[94:95], -v[36:37], v[68:69], v[94:95]
	s_lshl_b32 s16, s16, 3
	s_lshl_b32 s17, s17, 3
	;; [unrolled: 1-line block ×3, first 2 shown]
	s_waitcnt lgkmcnt(5)
	v_fma_f64 v[104:105], -v[22:23], v[42:43], v[50:51]
	s_waitcnt lgkmcnt(3)
	v_fma_f64 v[80:81], -v[30:31], v[80:81], v[74:75]
	v_fma_f64 v[90:91], -v[26:27], v[62:63], v[90:91]
	s_waitcnt lgkmcnt(2)
	v_fma_f64 v[84:85], -v[34:35], v[84:85], v[96:97]
	;; [unrolled: 3-line block ×3, first 2 shown]
	v_dual_mov_b32 v58, s17 :: v_dual_mov_b32 v59, s16
	s_waitcnt lgkmcnt(0)
	v_mul_f64 v[42:43], v[72:73], v[100:101]
	v_fma_f64 v[98:99], -v[16:17], v[48:49], v[102:103]
	v_mov_b32_e32 v48, s23
	v_mov_b32_e32 v72, s14
	ds_load_2addr_b64 v[48:51], v48 offset1:1
	ds_load_2addr_b64 v[62:65], v58 offset1:1
	v_mov_b32_e32 v58, s11
	ds_load_2addr_b64 v[66:69], v59 offset1:1
	ds_load_2addr_b64 v[72:75], v72 offset1:1
	v_fma_f64 v[100:101], -v[26:27], v[60:61], v[86:87]
	s_add_i32 s23, s24, s35
	s_add_i32 s17, s21, s33
	ds_load_2addr_b64 v[58:61], v58 offset1:1
	s_add_i32 s16, s20, s30
	s_lshl_b32 s23, s23, 3
	s_add_i32 s14, s19, s10
	s_lshl_b32 s17, s17, 3
	s_lshl_b32 s16, s16, 3
	s_lshl_b32 s14, s14, 3
	s_add_i32 s11, s7, 0xffffd558
	v_mov_b32_e32 v86, s14
	s_waitcnt lgkmcnt(4)
	v_fma_f64 v[50:51], -v[20:21], v[50:51], v[104:105]
	v_fma_f64 v[104:105], -v[34:35], v[82:83], v[76:77]
	v_mov_b32_e32 v82, s16
	s_waitcnt lgkmcnt(2)
	v_fma_f64 v[102:103], -v[28:29], v[68:69], v[80:81]
	v_fma_f64 v[64:65], -v[24:25], v[64:65], v[90:91]
	;; [unrolled: 1-line block ×3, first 2 shown]
	v_mov_b32_e32 v78, s17
	s_waitcnt lgkmcnt(1)
	v_fma_f64 v[106:107], -v[32:33], v[74:75], v[84:85]
	v_fma_f64 v[56:57], -v[38:39], v[56:57], v[92:93]
	s_waitcnt lgkmcnt(0)
	v_fma_f64 v[60:61], -v[36:37], v[60:61], v[96:97]
	s_add_i32 s17, s21, s31
	s_add_i32 s16, s20, s9
	v_fma_f64 v[92:93], -v[42:43], v[70:71], v[94:95]
	v_fma_f64 v[94:95], -v[22:23], v[40:41], v[98:99]
	v_dual_mov_b32 v40, s25 :: v_dual_mov_b32 v41, s23
	ds_load_2addr_b64 v[68:71], v40 offset1:1
	ds_load_2addr_b64 v[74:77], v41 offset1:1
	v_mov_b32_e32 v40, s11
	ds_load_2addr_b64 v[78:81], v78 offset1:1
	ds_load_2addr_b64 v[82:85], v82 offset1:1
	;; [unrolled: 1-line block ×3, first 2 shown]
	s_lshl_b32 s11, s18, 6
	s_add_i32 s18, s24, s34
	v_fma_f64 v[96:97], -v[24:25], v[62:63], v[100:101]
	ds_load_b64 v[40:41], v40
	s_lshl_b32 s18, s18, 3
	s_add_i32 s23, s27, s36
	s_add_i32 s14, s19, s11
	s_lshl_b32 s23, s23, 3
	s_lshl_b32 s17, s17, 3
	;; [unrolled: 1-line block ×4, first 2 shown]
	s_add_i32 s25, s27, s35
	s_delay_alu instid0(SALU_CYCLE_1)
	s_lshl_b32 s25, s25, 3
	s_waitcnt lgkmcnt(5)
	v_fma_f64 v[98:99], -v[26:27], v[70:71], v[50:51]
	v_fma_f64 v[100:101], -v[32:33], v[72:73], v[104:105]
	v_mov_b32_e32 v70, s14
	s_waitcnt lgkmcnt(3)
	v_fma_f64 v[80:81], -v[34:35], v[80:81], v[102:103]
	v_fma_f64 v[76:77], -v[30:31], v[76:77], v[64:65]
	;; [unrolled: 1-line block ×3, first 2 shown]
	v_mov_b32_e32 v64, s16
	s_waitcnt lgkmcnt(2)
	v_fma_f64 v[84:85], -v[38:39], v[84:85], v[106:107]
	v_fma_f64 v[102:103], -v[36:37], v[58:59], v[56:57]
	v_mov_b32_e32 v56, s18
	s_waitcnt lgkmcnt(1)
	v_fma_f64 v[88:89], -v[42:43], v[88:89], v[60:61]
	v_mov_b32_e32 v60, s17
	s_add_i32 s14, s8, 0xfffffa80
	s_add_i32 s18, s21, s30
	ds_load_2addr_b64 v[56:59], v56 offset1:1
	s_waitcnt lgkmcnt(1)
	v_mul_f64 v[40:41], v[40:41], v[92:93]
	v_fma_f64 v[92:93], -v[20:21], v[48:49], v[94:95]
	v_mov_b32_e32 v48, s23
	s_add_i32 s23, s24, s33
	s_add_i32 s17, s20, s10
	;; [unrolled: 1-line block ×3, first 2 shown]
	s_lshl_b32 s23, s23, 3
	ds_load_2addr_b64 v[48:51], v48 offset1:1
	ds_load_2addr_b64 v[60:63], v60 offset1:1
	;; [unrolled: 1-line block ×4, first 2 shown]
	v_fma_f64 v[94:95], -v[30:31], v[74:75], v[96:97]
	s_lshl_b32 s18, s18, 3
	s_lshl_b32 s17, s17, 3
	;; [unrolled: 1-line block ×3, first 2 shown]
	v_fma_f64 v[96:97], -v[38:39], v[82:83], v[100:101]
	s_waitcnt lgkmcnt(2)
	v_fma_f64 v[62:63], -v[32:33], v[62:63], v[80:81]
	v_fma_f64 v[50:51], -v[24:25], v[50:51], v[98:99]
	;; [unrolled: 1-line block ×4, first 2 shown]
	s_waitcnt lgkmcnt(1)
	v_fma_f64 v[98:99], -v[36:37], v[66:67], v[84:85]
	v_fma_f64 v[100:101], -v[42:43], v[86:87], v[102:103]
	v_mov_b32_e32 v66, s25
	v_mov_b32_e32 v76, s18
	;; [unrolled: 1-line block ×4, first 2 shown]
	s_add_i32 s18, s27, s34
	s_add_i32 s17, s21, s9
	s_waitcnt lgkmcnt(0)
	v_fma_f64 v[88:89], -v[40:41], v[72:73], v[88:89]
	v_fma_f64 v[92:93], -v[26:27], v[68:69], v[92:93]
	v_mov_b32_e32 v72, s23
	ds_load_2addr_b64 v[66:69], v66 offset1:1
	s_add_i32 s23, s24, s31
	s_add_i32 s16, s20, s11
	s_lshl_b32 s18, s18, 3
	ds_load_2addr_b64 v[72:75], v72 offset1:1
	ds_load_2addr_b64 v[76:79], v76 offset1:1
	;; [unrolled: 1-line block ×4, first 2 shown]
	v_fma_f64 v[94:95], -v[28:29], v[56:57], v[94:95]
	s_lshl_b32 s23, s23, 3
	s_lshl_b32 s17, s17, 3
	v_mov_b32_e32 v56, s18
	s_lshl_b32 s16, s16, 3
	s_add_i32 s18, s27, s33
	s_add_i32 s25, s24, s10
	s_lshl_b32 s18, s18, 3
	s_lshl_b32 s25, s25, 3
	v_fma_f64 v[64:65], -v[36:37], v[64:65], v[96:97]
	s_waitcnt lgkmcnt(2)
	v_fma_f64 v[78:79], -v[38:39], v[78:79], v[62:63]
	v_fma_f64 v[102:103], -v[30:31], v[68:69], v[50:51]
	;; [unrolled: 1-line block ×4, first 2 shown]
	s_waitcnt lgkmcnt(1)
	v_fma_f64 v[82:83], -v[42:43], v[82:83], v[98:99]
	v_fma_f64 v[96:97], -v[40:41], v[70:71], v[100:101]
	v_mov_b32_e32 v60, s23
	v_mov_b32_e32 v68, s17
	ds_load_2addr_b64 v[56:59], v56 offset1:1
	s_add_i32 s23, s24, s30
	s_add_i32 s17, s21, s10
	s_lshl_b32 s23, s23, 3
	s_waitcnt lgkmcnt(1)
	v_mul_f64 v[50:51], v[86:87], v[88:89]
	v_fma_f64 v[48:49], -v[24:25], v[48:49], v[92:93]
	v_mov_b32_e32 v86, s16
	ds_load_2addr_b64 v[60:63], v60 offset1:1
	ds_load_2addr_b64 v[68:71], v68 offset1:1
	;; [unrolled: 1-line block ×3, first 2 shown]
	s_add_i32 s16, s7, 0xffffd148
	s_lshl_b32 s17, s17, 3
	v_mov_b32_e32 v104, s16
	v_fma_f64 v[92:93], -v[34:35], v[72:73], v[94:95]
	s_add_i32 s16, s20, s14
	s_add_i32 s10, s27, s10
	s_lshl_b32 s16, s16, 3
	s_lshl_b32 s10, s10, 3
	v_fma_f64 v[100:101], -v[42:43], v[80:81], v[64:65]
	s_waitcnt lgkmcnt(1)
	v_fma_f64 v[98:99], -v[36:37], v[70:71], v[78:79]
	v_fma_f64 v[58:59], -v[28:29], v[58:59], v[102:103]
	;; [unrolled: 1-line block ×4, first 2 shown]
	s_waitcnt lgkmcnt(0)
	v_fma_f64 v[82:83], -v[40:41], v[88:89], v[82:83]
	v_mov_b32_e32 v74, s17
	v_fma_f64 v[84:85], -v[50:51], v[84:85], v[96:97]
	v_fma_f64 v[66:67], -v[30:31], v[66:67], v[48:49]
	v_dual_mov_b32 v48, s18 :: v_dual_mov_b32 v49, s23
	s_add_i32 s23, s24, s9
	s_add_i32 s18, s21, s11
	s_lshl_b32 s23, s23, 3
	ds_load_2addr_b64 v[62:65], v48 offset1:1
	v_mov_b32_e32 v48, s16
	ds_load_2addr_b64 v[70:73], v49 offset1:1
	ds_load_2addr_b64 v[74:77], v74 offset1:1
	;; [unrolled: 1-line block ×3, first 2 shown]
	ds_load_b64 v[48:49], v104
	v_fma_f64 v[60:61], -v[32:33], v[60:61], v[92:93]
	s_lshl_b32 s16, s19, 6
	s_add_i32 s19, s27, s31
	s_add_i32 s17, s20, s16
	s_lshl_b32 s19, s19, 3
	s_lshl_b32 s18, s18, 3
	;; [unrolled: 1-line block ×3, first 2 shown]
	s_add_i32 s9, s27, s9
	s_delay_alu instid0(SALU_CYCLE_1)
	s_lshl_b32 s9, s9, 3
	s_waitcnt lgkmcnt(4)
	v_fma_f64 v[88:89], -v[34:35], v[64:65], v[58:59]
	s_waitcnt lgkmcnt(3)
	v_fma_f64 v[72:73], -v[38:39], v[72:73], v[94:95]
	v_fma_f64 v[68:69], -v[36:37], v[68:69], v[90:91]
	s_waitcnt lgkmcnt(2)
	v_fma_f64 v[76:77], -v[42:43], v[76:77], v[98:99]
	v_fma_f64 v[90:91], -v[40:41], v[86:87], v[100:101]
	s_waitcnt lgkmcnt(1)
	v_fma_f64 v[92:93], -v[50:51], v[80:81], v[82:83]
	v_mov_b32_e32 v64, s23
	v_mov_b32_e32 v80, s18
	s_add_i32 s23, s27, s30
	s_delay_alu instid0(SALU_CYCLE_1)
	s_lshl_b32 s23, s23, 3
	s_waitcnt lgkmcnt(0)
	v_mul_f64 v[48:49], v[48:49], v[84:85]
	v_fma_f64 v[94:95], -v[28:29], v[56:57], v[66:67]
	v_mov_b32_e32 v56, s19
	v_mov_b32_e32 v84, s17
	s_add_i32 s17, s8, 0xfffffa00
	s_add_i32 s19, s21, s14
	s_add_i32 s18, s20, s17
	ds_load_2addr_b64 v[56:59], v56 offset1:1
	ds_load_2addr_b64 v[64:67], v64 offset1:1
	;; [unrolled: 1-line block ×4, first 2 shown]
	s_lshl_b32 s19, s19, 3
	s_lshl_b32 s18, s18, 3
	v_fma_f64 v[96:97], -v[38:39], v[70:71], v[60:61]
	v_mov_b32_e32 v70, s19
	s_add_i32 s19, s24, s11
	s_add_i32 s11, s27, s11
	s_lshl_b32 s19, s19, 3
	s_lshl_b32 s11, s11, 3
	s_waitcnt lgkmcnt(3)
	v_fma_f64 v[88:89], -v[32:33], v[58:59], v[88:89]
	s_waitcnt lgkmcnt(2)
	v_fma_f64 v[98:99], -v[36:37], v[66:67], v[72:73]
	v_fma_f64 v[100:101], -v[42:43], v[74:75], v[68:69]
	s_waitcnt lgkmcnt(1)
	v_fma_f64 v[82:83], -v[40:41], v[82:83], v[76:77]
	v_fma_f64 v[78:79], -v[50:51], v[78:79], v[90:91]
	v_mov_b32_e32 v58, s23
	v_mov_b32_e32 v66, s25
	;; [unrolled: 1-line block ×3, first 2 shown]
	s_add_i32 s18, s21, s16
	ds_load_2addr_b64 v[58:61], v58 offset1:1
	s_waitcnt lgkmcnt(1)
	v_fma_f64 v[86:87], -v[48:49], v[86:87], v[92:93]
	v_fma_f64 v[62:63], -v[34:35], v[62:63], v[94:95]
	ds_load_2addr_b64 v[66:69], v66 offset1:1
	ds_load_2addr_b64 v[70:73], v70 offset1:1
	;; [unrolled: 1-line block ×3, first 2 shown]
	v_fma_f64 v[90:91], -v[36:37], v[64:65], v[96:97]
	s_waitcnt lgkmcnt(3)
	v_fma_f64 v[88:89], -v[38:39], v[60:61], v[88:89]
	s_waitcnt lgkmcnt(2)
	v_fma_f64 v[68:69], -v[42:43], v[68:69], v[98:99]
	v_fma_f64 v[92:93], -v[40:41], v[80:81], v[100:101]
	s_waitcnt lgkmcnt(1)
	v_fma_f64 v[72:73], -v[50:51], v[72:73], v[82:83]
	v_fma_f64 v[84:85], -v[48:49], v[84:85], v[78:79]
	s_waitcnt lgkmcnt(0)
	v_mul_f64 v[60:61], v[76:77], v[86:87]
	v_fma_f64 v[56:57], -v[32:33], v[56:57], v[62:63]
	v_mov_b32_e32 v62, s9
	s_lshl_b32 s9, s18, 3
	v_mov_b32_e32 v76, s19
	v_mov_b32_e32 v80, s9
	ds_load_2addr_b64 v[62:65], v62 offset1:1
	ds_load_2addr_b64 v[76:79], v76 offset1:1
	;; [unrolled: 1-line block ×3, first 2 shown]
	s_add_i32 s19, s24, s14
	s_add_i32 s18, s21, s17
	s_lshl_b32 s19, s19, 3
	s_add_i32 s9, s7, 0xffffcd38
	s_add_i32 s14, s27, s14
	s_delay_alu instid0(SALU_CYCLE_1)
	s_lshl_b32 s14, s14, 3
	s_waitcnt lgkmcnt(2)
	v_fma_f64 v[86:87], -v[36:37], v[64:65], v[88:89]
	v_fma_f64 v[88:89], -v[42:43], v[66:67], v[90:91]
	s_waitcnt lgkmcnt(1)
	v_fma_f64 v[78:79], -v[40:41], v[78:79], v[68:69]
	v_fma_f64 v[90:91], -v[50:51], v[70:71], v[92:93]
	s_waitcnt lgkmcnt(0)
	v_fma_f64 v[72:73], -v[48:49], v[82:83], v[72:73]
	v_mov_b32_e32 v64, s19
	v_fma_f64 v[74:75], -v[60:61], v[74:75], v[84:85]
	v_fma_f64 v[82:83], -v[38:39], v[58:59], v[56:57]
	v_mov_b32_e32 v56, s10
	s_lshl_b32 s10, s18, 3
	v_mov_b32_e32 v84, s9
	v_mov_b32_e32 v68, s10
	ds_load_2addr_b64 v[56:59], v56 offset1:1
	ds_load_2addr_b64 v[64:67], v64 offset1:1
	;; [unrolled: 1-line block ×3, first 2 shown]
	ds_load_b64 v[84:85], v84
	s_lshl_b32 s9, s20, 6
	s_add_i32 s18, s24, s16
	s_add_i32 s10, s21, s9
	s_lshl_b32 s18, s18, 3
	s_lshl_b32 s10, s10, 3
	s_waitcnt lgkmcnt(3)
	v_fma_f64 v[86:87], -v[42:43], v[58:59], v[86:87]
	v_fma_f64 v[88:89], -v[40:41], v[76:77], v[88:89]
	s_waitcnt lgkmcnt(2)
	v_fma_f64 v[66:67], -v[50:51], v[66:67], v[78:79]
	v_fma_f64 v[90:91], -v[48:49], v[80:81], v[90:91]
	s_waitcnt lgkmcnt(1)
	v_fma_f64 v[92:93], -v[60:61], v[70:71], v[72:73]
	v_mov_b32_e32 v70, s11
	v_mov_b32_e32 v78, s10
	s_add_i32 s10, s8, 0xfffff980
	s_addk_i32 s8, 0xf900
	s_add_i32 s11, s21, s10
	s_waitcnt lgkmcnt(0)
	v_mul_f64 v[58:59], v[84:85], v[74:75]
	v_fma_f64 v[62:63], -v[36:37], v[62:63], v[82:83]
	v_mov_b32_e32 v74, s18
	ds_load_2addr_b64 v[70:73], v70 offset1:1
	ds_load_2addr_b64 v[74:77], v74 offset1:1
	;; [unrolled: 1-line block ×3, first 2 shown]
	s_add_i32 s18, s24, s17
	s_lshl_b32 s11, s11, 3
	s_lshl_b32 s18, s18, 3
	s_waitcnt lgkmcnt(2)
	v_fma_f64 v[72:73], -v[40:41], v[72:73], v[86:87]
	v_fma_f64 v[84:85], -v[50:51], v[64:65], v[88:89]
	s_waitcnt lgkmcnt(1)
	v_fma_f64 v[76:77], -v[48:49], v[76:77], v[66:67]
	v_fma_f64 v[86:87], -v[60:61], v[68:69], v[90:91]
	v_mov_b32_e32 v66, s18
	s_waitcnt lgkmcnt(0)
	v_fma_f64 v[88:89], -v[58:59], v[80:81], v[92:93]
	v_fma_f64 v[56:57], -v[42:43], v[56:57], v[62:63]
	v_mov_b32_e32 v62, s14
	v_mov_b32_e32 v80, s11
	ds_load_2addr_b64 v[62:65], v62 offset1:1
	ds_load_2addr_b64 v[66:69], v66 offset1:1
	;; [unrolled: 1-line block ×3, first 2 shown]
	s_add_i32 s11, s27, s16
	s_add_i32 s14, s24, s9
	s_lshl_b32 s11, s11, 3
	s_lshl_b32 s14, s14, 3
	s_add_i32 s9, s27, s9
	s_delay_alu instid0(SALU_CYCLE_1)
	s_lshl_b32 s9, s9, 3
	s_waitcnt lgkmcnt(2)
	v_fma_f64 v[90:91], -v[50:51], v[64:65], v[72:73]
	v_fma_f64 v[84:85], -v[48:49], v[74:75], v[84:85]
	s_waitcnt lgkmcnt(1)
	v_fma_f64 v[76:77], -v[60:61], v[68:69], v[76:77]
	v_fma_f64 v[78:79], -v[58:59], v[78:79], v[86:87]
	v_mov_b32_e32 v68, s11
	v_mov_b32_e32 v72, s14
	s_add_i32 s11, s27, s17
	s_add_i32 s14, s24, s10
	s_lshl_b32 s11, s11, 3
	s_lshl_b32 s14, s14, 3
	s_waitcnt lgkmcnt(0)
	v_mul_f64 v[64:65], v[82:83], v[88:89]
	v_fma_f64 v[56:57], -v[40:41], v[70:71], v[56:57]
	ds_load_2addr_b64 v[68:71], v68 offset1:1
	ds_load_2addr_b64 v[72:75], v72 offset1:1
	s_waitcnt lgkmcnt(1)
	v_fma_f64 v[70:71], -v[48:49], v[70:71], v[90:91]
	v_fma_f64 v[66:67], -v[60:61], v[66:67], v[84:85]
	s_waitcnt lgkmcnt(0)
	v_fma_f64 v[82:83], -v[58:59], v[74:75], v[76:77]
	v_fma_f64 v[84:85], -v[64:65], v[80:81], v[78:79]
	;; [unrolled: 1-line block ×3, first 2 shown]
	v_mov_b32_e32 v62, s11
	s_add_i32 s11, s7, 0xffffc928
	s_delay_alu instid0(SALU_CYCLE_1) | instskip(SKIP_4) | instid1(SALU_CYCLE_1)
	v_dual_mov_b32 v63, s14 :: v_dual_mov_b32 v86, s11
	ds_load_2addr_b64 v[74:77], v62 offset1:1
	ds_load_2addr_b64 v[78:81], v63 offset1:1
	ds_load_b64 v[62:63], v86
	s_lshl_b32 s11, s21, 6
	s_add_i32 s14, s24, s11
	s_delay_alu instid0(SALU_CYCLE_1)
	s_lshl_b32 s14, s14, 3
	s_waitcnt lgkmcnt(2)
	v_fma_f64 v[76:77], -v[60:61], v[76:77], v[70:71]
	v_fma_f64 v[86:87], -v[58:59], v[72:73], v[66:67]
	s_waitcnt lgkmcnt(1)
	v_fma_f64 v[80:81], -v[64:65], v[80:81], v[82:83]
	v_mov_b32_e32 v66, s9
	v_mov_b32_e32 v70, s14
	s_add_i32 s9, s27, s10
	s_add_i32 s10, s24, s8
	s_lshl_b32 s9, s9, 3
	s_lshl_b32 s10, s10, 3
	s_add_i32 s8, s27, s8
	s_waitcnt lgkmcnt(0)
	v_mul_f64 v[62:63], v[62:63], v[84:85]
	v_fma_f64 v[56:57], -v[48:49], v[68:69], v[56:57]
	ds_load_2addr_b64 v[66:69], v66 offset1:1
	ds_load_2addr_b64 v[70:73], v70 offset1:1
	s_lshl_b32 s8, s8, 3
	s_waitcnt lgkmcnt(1)
	v_fma_f64 v[68:69], -v[58:59], v[68:69], v[76:77]
	v_fma_f64 v[82:83], -v[64:65], v[78:79], v[86:87]
	v_mov_b32_e32 v76, s10
	s_waitcnt lgkmcnt(0)
	v_fma_f64 v[80:81], -v[62:63], v[72:73], v[80:81]
	v_fma_f64 v[56:57], -v[60:61], v[74:75], v[56:57]
	v_mov_b32_e32 v72, s9
	ds_load_2addr_b64 v[72:75], v72 offset1:1
	ds_load_2addr_b64 v[76:79], v76 offset1:1
	s_add_i32 s9, s27, s11
	s_delay_alu instid0(SALU_CYCLE_1)
	s_lshl_b32 s9, s9, 3
	s_waitcnt lgkmcnt(1)
	v_fma_f64 v[74:75], -v[64:65], v[74:75], v[68:69]
	v_fma_f64 v[70:71], -v[62:63], v[70:71], v[82:83]
	s_waitcnt lgkmcnt(0)
	v_mul_f64 v[68:69], v[78:79], v[80:81]
	v_fma_f64 v[56:57], -v[58:59], v[66:67], v[56:57]
	v_mov_b32_e32 v66, s9
	s_add_i32 s9, s7, 0xffffc518
	s_addk_i32 s7, 0xc108
	ds_load_2addr_b64 v[78:81], v66 offset1:1
	s_waitcnt lgkmcnt(0)
	v_fma_f64 v[66:67], -v[62:63], v[80:81], v[74:75]
	v_fma_f64 v[74:75], -v[68:69], v[76:77], v[70:71]
	;; [unrolled: 1-line block ×3, first 2 shown]
	v_mov_b32_e32 v70, s8
	v_mov_b32_e32 v76, s9
	ds_load_2addr_b64 v[70:73], v70 offset1:1
	ds_load_b64 v[76:77], v76
	s_lshl_b32 s8, s24, 6
	s_delay_alu instid0(SALU_CYCLE_1) | instskip(NEXT) | instid1(SALU_CYCLE_1)
	s_add_i32 s27, s27, s8
	s_lshl_b32 s8, s27, 3
	s_waitcnt lgkmcnt(1)
	v_fma_f64 v[80:81], -v[68:69], v[72:73], v[66:67]
	v_mov_b32_e32 v72, s8
	s_add_i32 s8, s22, 0xffffc400
	s_waitcnt lgkmcnt(0)
	v_mul_f64 v[66:67], v[76:77], v[74:75]
	v_fma_f64 v[56:57], -v[62:63], v[78:79], v[56:57]
	ds_load_2addr_b64 v[72:75], v72 offset1:1
	s_waitcnt lgkmcnt(0)
	v_fma_f64 v[78:79], -v[66:67], v[74:75], v[80:81]
	v_fma_f64 v[56:57], -v[68:69], v[70:71], v[56:57]
	v_mov_b32_e32 v70, s8
	s_sub_i32 s8, s6, 32
	s_cmp_gt_i32 s6, 62
	ds_load_2addr_b64 v[74:77], v70 offset1:1
	v_mov_b32_e32 v70, s7
	ds_load_b64 v[70:71], v70
	s_clause 0xd
	global_store_b128 v[46:47], v[0:3], off offset:-8
	global_store_b128 v[46:47], v[4:7], off offset:-24
	;; [unrolled: 1-line block ×14, first 2 shown]
	s_waitcnt lgkmcnt(1)
	v_mul_f64 v[76:77], v[76:77], v[78:79]
	v_fma_f64 v[56:57], -v[66:67], v[72:73], v[56:57]
	s_delay_alu instid0(VALU_DEP_1) | instskip(SKIP_1) | instid1(VALU_DEP_1)
	v_fma_f64 v[56:57], -v[76:77], v[74:75], v[56:57]
	s_waitcnt lgkmcnt(0)
	v_mul_f64 v[74:75], v[70:71], v[56:57]
	s_clause 0x1
	global_store_b128 v[46:47], v[66:69], off offset:-232
	global_store_b128 v[46:47], v[74:77], off offset:-248
	s_cbranch_scc0 .LBB108_52
; %bb.51:                               ;   in Loop: Header=BB108_48 Depth=1
	s_mov_b32 s6, s8
	s_branch .LBB108_48
.LBB108_52:
	s_cmp_gt_i32 s8, -1
	s_cbranch_scc0 .LBB108_73
; %bb.53:
	s_cmp_lt_u32 s8, 3
	s_cbranch_scc1 .LBB108_59
; %bb.54:
	s_lshl_b32 s6, s15, 9
	s_lshl_b32 s7, s8, 3
	s_ashr_i32 s3, s2, 31
	s_add_i32 s9, s6, s7
	s_lshl_b64 s[6:7], s[2:3], 3
	s_add_i32 s3, s9, 0xfffffde8
	s_add_u32 s6, s12, s6
	s_addc_u32 s7, s13, s7
	s_add_u32 s6, s6, s0
	s_addc_u32 s7, s7, s1
	v_add_co_u32 v0, vcc_lo, s6, v54
	v_add_co_ci_u32_e32 v1, vcc_lo, s7, v55, vcc_lo
	s_mov_b32 s9, 0
.LBB108_55:                             ; =>This Loop Header: Depth=1
                                        ;     Child Loop BB108_56 Depth 2
	s_delay_alu instid0(SALU_CYCLE_1)
	s_lshl_b64 s[6:7], s[8:9], 3
	s_cmp_le_i32 s2, s8
	v_add_co_u32 v6, vcc_lo, v52, s6
	v_add_co_ci_u32_e32 v7, vcc_lo, s7, v53, vcc_lo
	s_mov_b32 s6, s3
	s_mov_b32 s7, s2
	s_clause 0x1
	global_load_b128 v[2:5], v[6:7], off offset:-8
	global_load_b128 v[10:13], v[6:7], off offset:-24
	s_waitcnt vmcnt(1)
	v_mul_f64 v[6:7], v[4:5], s[4:5]
	v_mul_f64 v[8:9], v[2:3], s[4:5]
	s_waitcnt vmcnt(0)
	v_mul_f64 v[4:5], v[12:13], s[4:5]
	v_mul_f64 v[2:3], v[10:11], s[4:5]
	v_dual_mov_b32 v11, v1 :: v_dual_mov_b32 v10, v0
	s_cbranch_scc1 .LBB108_57
	.p2align	6
.LBB108_56:                             ;   Parent Loop BB108_55 Depth=1
                                        ; =>  This Inner Loop Header: Depth=2
	global_load_b64 v[20:21], v[10:11], off
	v_mov_b32_e32 v16, s6
	v_add_co_u32 v10, vcc_lo, v10, -8
	v_add_co_ci_u32_e32 v11, vcc_lo, -1, v11, vcc_lo
	ds_load_2addr_b64 v[12:15], v16 offset0:2 offset1:3
	ds_load_2addr_b64 v[16:19], v16 offset1:1
	s_add_i32 s7, s7, -1
	s_addk_i32 s6, 0xfe00
	s_cmp_gt_i32 s7, s8
	s_waitcnt vmcnt(0) lgkmcnt(1)
	v_fma_f64 v[6:7], -v[20:21], v[14:15], v[6:7]
	v_fma_f64 v[8:9], -v[20:21], v[12:13], v[8:9]
	s_waitcnt lgkmcnt(0)
	v_fma_f64 v[4:5], -v[20:21], v[18:19], v[4:5]
	v_fma_f64 v[2:3], -v[20:21], v[16:17], v[2:3]
	s_cbranch_scc1 .LBB108_56
.LBB108_57:                             ;   in Loop: Header=BB108_55 Depth=1
	s_add_i32 s6, s8, -1
	s_lshl_b32 s7, s8, 6
	s_sub_i32 s3, s3, 32
	s_add_i32 s10, s6, s7
	s_lshl_b32 s6, s6, 6
	s_lshl_b32 s10, s10, 3
	s_delay_alu instid0(SALU_CYCLE_1) | instskip(SKIP_1) | instid1(SALU_CYCLE_1)
	v_mov_b32_e32 v10, s10
	s_mul_i32 s10, s8, 0x208
	s_add_i32 s11, s10, 0xfffffdf8
	ds_load_2addr_b64 v[10:13], v10 offset1:1
	v_mov_b32_e32 v14, s11
	s_add_i32 s11, s8, -3
	s_delay_alu instid0(SALU_CYCLE_1)
	s_add_i32 s7, s11, s7
	s_add_i32 s11, s11, s6
	ds_load_b64 v[16:17], v14
	s_lshl_b32 s7, s7, 3
	s_lshl_b32 s6, s11, 3
	s_waitcnt lgkmcnt(1)
	v_mul_f64 v[6:7], v[12:13], v[6:7]
	v_mov_b32_e32 v12, s6
	s_add_i32 s6, s7, 0xfffffc00
	ds_load_2addr_b64 v[12:15], v12 offset1:1
	v_fma_f64 v[18:19], -v[6:7], v[10:11], v[8:9]
	v_mov_b32_e32 v8, s7
	s_ashr_i32 s7, s8, 31
	ds_load_2addr_b64 v[8:11], v8 offset1:1
	s_waitcnt lgkmcnt(0)
	v_fma_f64 v[10:11], -v[6:7], v[10:11], v[4:5]
	v_fma_f64 v[2:3], -v[6:7], v[8:9], v[2:3]
	v_mov_b32_e32 v8, s6
	s_add_i32 s6, s10, 0xfffff9e8
	s_add_i32 s10, s8, -4
	v_mul_f64 v[4:5], v[16:17], v[18:19]
	v_mov_b32_e32 v16, s6
	s_mov_b32 s6, s8
	s_delay_alu instid0(SALU_CYCLE_1)
	s_lshl_b64 s[6:7], s[6:7], 3
	s_cmp_gt_i32 s8, 6
	ds_load_b64 v[16:17], v16
	v_fma_f64 v[14:15], -v[4:5], v[14:15], v[10:11]
	ds_load_2addr_b64 v[8:11], v8 offset1:1
	v_fma_f64 v[2:3], -v[4:5], v[12:13], v[2:3]
	s_waitcnt lgkmcnt(0)
	v_mul_f64 v[10:11], v[10:11], v[14:15]
	s_delay_alu instid0(VALU_DEP_1) | instskip(NEXT) | instid1(VALU_DEP_1)
	v_fma_f64 v[2:3], -v[10:11], v[8:9], v[2:3]
	v_mul_f64 v[8:9], v[16:17], v[2:3]
	v_add_co_u32 v2, vcc_lo, v52, s6
	v_add_co_ci_u32_e32 v3, vcc_lo, s7, v53, vcc_lo
	s_clause 0x1
	global_store_b128 v[2:3], v[4:7], off offset:-8
	global_store_b128 v[2:3], v[8:11], off offset:-24
	s_cbranch_scc0 .LBB108_60
; %bb.58:                               ;   in Loop: Header=BB108_55 Depth=1
	s_mov_b32 s8, s10
	s_branch .LBB108_55
.LBB108_59:
	s_mov_b32 s10, s8
.LBB108_60:
	s_delay_alu instid0(SALU_CYCLE_1)
	s_cmp_lt_i32 s10, 0
	s_cbranch_scc1 .LBB108_73
; %bb.61:
	s_bitcmp1_b32 s10, 0
	s_mov_b32 s6, s10
	s_cselect_b32 s3, -1, 0
	s_delay_alu instid0(SALU_CYCLE_1)
	s_and_b32 vcc_lo, exec_lo, s3
	s_cbranch_vccnz .LBB108_66
; %bb.62:
	s_mov_b32 s11, 0
	s_delay_alu instid0(SALU_CYCLE_1)
	s_lshl_b64 s[6:7], s[10:11], 3
	s_cmp_le_i32 s2, s10
	v_add_co_u32 v0, vcc_lo, v52, s6
	v_add_co_ci_u32_e32 v1, vcc_lo, s7, v53, vcc_lo
	global_load_b64 v[2:3], v[0:1], off
	s_waitcnt vmcnt(0)
	v_mul_f64 v[2:3], v[2:3], s[4:5]
	s_cbranch_scc1 .LBB108_65
; %bb.63:
	s_lshl_b32 s6, s15, 9
	s_lshl_b32 s7, s10, 3
	s_ashr_i32 s3, s2, 31
	s_add_i32 s8, s6, s7
	s_lshl_b64 s[6:7], s[2:3], 3
	s_add_i32 s3, s8, 0xfffffe00
	s_add_u32 s6, s12, s6
	s_addc_u32 s7, s13, s7
	s_add_u32 s6, s6, s0
	s_addc_u32 s7, s7, s1
	v_add_co_u32 v4, vcc_lo, s6, v54
	v_add_co_ci_u32_e32 v5, vcc_lo, s7, v55, vcc_lo
	s_mov_b32 s6, s2
.LBB108_64:                             ; =>This Inner Loop Header: Depth=1
	global_load_b64 v[6:7], v[4:5], off
	v_mov_b32_e32 v8, s3
	v_add_co_u32 v4, vcc_lo, v4, -8
	v_add_co_ci_u32_e32 v5, vcc_lo, -1, v5, vcc_lo
	ds_load_b64 v[8:9], v8
	s_add_i32 s6, s6, -1
	s_addk_i32 s3, 0xfe00
	s_cmp_gt_i32 s6, s10
	s_waitcnt vmcnt(0) lgkmcnt(0)
	v_fma_f64 v[2:3], -v[6:7], v[8:9], v[2:3]
	s_cbranch_scc1 .LBB108_64
.LBB108_65:
	s_mul_i32 s3, s10, 0x208
	s_add_i32 s6, s10, -1
	v_mov_b32_e32 v4, s3
	ds_load_b64 v[4:5], v4
	s_waitcnt lgkmcnt(0)
	v_mul_f64 v[2:3], v[4:5], v[2:3]
	global_store_b64 v[0:1], v[2:3], off
.LBB108_66:
	s_cmp_eq_u32 s10, 0
	s_mov_b32 s7, 0
	s_cbranch_scc1 .LBB108_73
; %bb.67:
	s_lshl_b32 s8, s15, 9
	s_lshl_b32 s9, s6, 3
	s_ashr_i32 s3, s2, 31
	s_add_i32 s10, s8, s9
	s_lshl_b64 s[8:9], s[2:3], 3
	s_add_i32 s3, s10, 0xfffffe00
	s_add_u32 s8, s12, s8
	s_addc_u32 s9, s13, s9
	s_add_u32 s0, s8, s0
	s_addc_u32 s1, s9, s1
	v_add_co_u32 v0, vcc_lo, s0, v54
	v_add_co_ci_u32_e32 v1, vcc_lo, s1, v55, vcc_lo
	s_add_i32 s0, s10, 0xfffffdf8
	s_branch .LBB108_69
.LBB108_68:                             ;   in Loop: Header=BB108_69 Depth=1
	s_addk_i32 s1, 0xfdf8
	s_add_i32 s3, s3, -16
	v_mov_b32_e32 v6, s1
	s_add_i32 s1, s6, -2
	s_add_i32 s0, s0, -16
	s_cmp_lt_i32 s6, 2
	s_mov_b32 s6, s1
	ds_load_b64 v[6:7], v6
	s_waitcnt lgkmcnt(0)
	v_mul_f64 v[4:5], v[6:7], v[4:5]
	global_store_b64 v[2:3], v[4:5], off offset:-8
	s_cbranch_scc1 .LBB108_73
.LBB108_69:                             ; =>This Loop Header: Depth=1
                                        ;     Child Loop BB108_70 Depth 2
                                        ;     Child Loop BB108_72 Depth 2
	s_lshl_b64 s[8:9], s[6:7], 3
	s_delay_alu instid0(VALU_DEP_1)
	v_dual_mov_b32 v5, v1 :: v_dual_mov_b32 v4, v0
	v_add_co_u32 v2, vcc_lo, v52, s8
	v_add_co_ci_u32_e32 v3, vcc_lo, s9, v53, vcc_lo
	s_cmp_le_i32 s2, s6
	s_mov_b32 s1, s3
	s_mov_b32 s8, s2
	global_load_b64 v[2:3], v[2:3], off
	s_waitcnt vmcnt(0)
	v_mul_f64 v[2:3], v[2:3], s[4:5]
	s_cbranch_scc1 .LBB108_71
.LBB108_70:                             ;   Parent Loop BB108_69 Depth=1
                                        ; =>  This Inner Loop Header: Depth=2
	global_load_b64 v[6:7], v[4:5], off
	v_mov_b32_e32 v8, s1
	v_add_co_u32 v4, vcc_lo, v4, -8
	v_add_co_ci_u32_e32 v5, vcc_lo, -1, v5, vcc_lo
	ds_load_b64 v[8:9], v8
	s_add_i32 s8, s8, -1
	s_addk_i32 s1, 0xfe00
	s_cmp_gt_i32 s8, s6
	s_waitcnt vmcnt(0) lgkmcnt(0)
	v_fma_f64 v[2:3], -v[6:7], v[8:9], v[2:3]
	s_cbranch_scc1 .LBB108_70
.LBB108_71:                             ;   in Loop: Header=BB108_69 Depth=1
	s_add_i32 s8, s6, -1
	s_mov_b32 s9, s7
	s_mul_i32 s1, s6, 0x208
	s_lshl_b64 s[8:9], s[8:9], 3
	v_mov_b32_e32 v6, s1
	v_add_co_u32 v4, vcc_lo, v52, s8
	v_add_co_ci_u32_e32 v5, vcc_lo, s9, v53, vcc_lo
	ds_load_b64 v[6:7], v6
	s_ashr_i32 s9, s6, 31
	s_mov_b32 s8, s6
	global_load_b64 v[4:5], v[4:5], off
	s_lshl_b64 s[8:9], s[8:9], 3
	s_cmp_lt_i32 s2, s6
	s_waitcnt lgkmcnt(0)
	v_mul_f64 v[8:9], v[6:7], v[2:3]
	v_add_co_u32 v2, vcc_lo, v52, s8
	v_add_co_ci_u32_e32 v3, vcc_lo, s9, v53, vcc_lo
	v_dual_mov_b32 v7, v1 :: v_dual_mov_b32 v6, v0
	s_mov_b32 s8, s0
	s_mov_b32 s9, s15
	global_store_b64 v[2:3], v[8:9], off
	s_waitcnt vmcnt(0)
	v_mul_f64 v[4:5], v[4:5], s[4:5]
	s_cbranch_scc1 .LBB108_68
.LBB108_72:                             ;   Parent Loop BB108_69 Depth=1
                                        ; =>  This Inner Loop Header: Depth=2
	global_load_b64 v[8:9], v[6:7], off
	v_mov_b32_e32 v10, s8
	v_add_co_u32 v6, vcc_lo, v6, -8
	v_add_co_ci_u32_e32 v7, vcc_lo, -1, v7, vcc_lo
	ds_load_b64 v[10:11], v10
	s_add_i32 s9, s9, -1
	s_addk_i32 s8, 0xfe00
	s_cmp_gt_i32 s9, s6
	s_waitcnt vmcnt(0) lgkmcnt(0)
	v_fma_f64 v[4:5], -v[8:9], v[10:11], v[4:5]
	s_cbranch_scc1 .LBB108_72
	s_branch .LBB108_68
.LBB108_73:
	s_nop 0
	s_sendmsg sendmsg(MSG_DEALLOC_VGPRS)
	s_endpgm
	.section	.rodata,"a",@progbits
	.p2align	6, 0x0
	.amdhsa_kernel _ZL30rocblas_trsm_small_left_deviceILi64ELi32ELb0EddPKPKdPKPdEv13rocblas_fill_18rocblas_operation_17rocblas_diagonal_iiT3_T4_lilT5_lili
		.amdhsa_group_segment_fixed_size 32768
		.amdhsa_private_segment_fixed_size 0
		.amdhsa_kernarg_size 360
		.amdhsa_user_sgpr_count 14
		.amdhsa_user_sgpr_dispatch_ptr 0
		.amdhsa_user_sgpr_queue_ptr 0
		.amdhsa_user_sgpr_kernarg_segment_ptr 1
		.amdhsa_user_sgpr_dispatch_id 0
		.amdhsa_user_sgpr_private_segment_size 0
		.amdhsa_wavefront_size32 1
		.amdhsa_uses_dynamic_stack 0
		.amdhsa_enable_private_segment 0
		.amdhsa_system_sgpr_workgroup_id_x 1
		.amdhsa_system_sgpr_workgroup_id_y 0
		.amdhsa_system_sgpr_workgroup_id_z 1
		.amdhsa_system_sgpr_workgroup_info 0
		.amdhsa_system_vgpr_workitem_id 0
		.amdhsa_next_free_vgpr 167
		.amdhsa_next_free_sgpr 105
		.amdhsa_reserve_vcc 1
		.amdhsa_float_round_mode_32 0
		.amdhsa_float_round_mode_16_64 0
		.amdhsa_float_denorm_mode_32 3
		.amdhsa_float_denorm_mode_16_64 3
		.amdhsa_dx10_clamp 1
		.amdhsa_ieee_mode 1
		.amdhsa_fp16_overflow 0
		.amdhsa_workgroup_processor_mode 1
		.amdhsa_memory_ordered 1
		.amdhsa_forward_progress 0
		.amdhsa_shared_vgpr_count 0
		.amdhsa_exception_fp_ieee_invalid_op 0
		.amdhsa_exception_fp_denorm_src 0
		.amdhsa_exception_fp_ieee_div_zero 0
		.amdhsa_exception_fp_ieee_overflow 0
		.amdhsa_exception_fp_ieee_underflow 0
		.amdhsa_exception_fp_ieee_inexact 0
		.amdhsa_exception_int_div_zero 0
	.end_amdhsa_kernel
	.section	.text._ZL30rocblas_trsm_small_left_deviceILi64ELi32ELb0EddPKPKdPKPdEv13rocblas_fill_18rocblas_operation_17rocblas_diagonal_iiT3_T4_lilT5_lili,"axG",@progbits,_ZL30rocblas_trsm_small_left_deviceILi64ELi32ELb0EddPKPKdPKPdEv13rocblas_fill_18rocblas_operation_17rocblas_diagonal_iiT3_T4_lilT5_lili,comdat
.Lfunc_end108:
	.size	_ZL30rocblas_trsm_small_left_deviceILi64ELi32ELb0EddPKPKdPKPdEv13rocblas_fill_18rocblas_operation_17rocblas_diagonal_iiT3_T4_lilT5_lili, .Lfunc_end108-_ZL30rocblas_trsm_small_left_deviceILi64ELi32ELb0EddPKPKdPKPdEv13rocblas_fill_18rocblas_operation_17rocblas_diagonal_iiT3_T4_lilT5_lili
                                        ; -- End function
	.section	.AMDGPU.csdata,"",@progbits
; Kernel info:
; codeLenInByte = 24344
; NumSgprs: 107
; NumVgprs: 167
; ScratchSize: 0
; MemoryBound: 1
; FloatMode: 240
; IeeeMode: 1
; LDSByteSize: 32768 bytes/workgroup (compile time only)
; SGPRBlocks: 13
; VGPRBlocks: 20
; NumSGPRsForWavesPerEU: 107
; NumVGPRsForWavesPerEU: 167
; Occupancy: 2
; WaveLimiterHint : 1
; COMPUTE_PGM_RSRC2:SCRATCH_EN: 0
; COMPUTE_PGM_RSRC2:USER_SGPR: 14
; COMPUTE_PGM_RSRC2:TRAP_HANDLER: 0
; COMPUTE_PGM_RSRC2:TGID_X_EN: 1
; COMPUTE_PGM_RSRC2:TGID_Y_EN: 0
; COMPUTE_PGM_RSRC2:TGID_Z_EN: 1
; COMPUTE_PGM_RSRC2:TIDIG_COMP_CNT: 0
	.section	.text._ZL38rocblas_trsm_small_left_device_sharedBILi64ELi32ELb1EddPKPKdPKPdEv13rocblas_fill_18rocblas_operation_17rocblas_diagonal_iiT3_T4_lilT5_lili,"axG",@progbits,_ZL38rocblas_trsm_small_left_device_sharedBILi64ELi32ELb1EddPKPKdPKPdEv13rocblas_fill_18rocblas_operation_17rocblas_diagonal_iiT3_T4_lilT5_lili,comdat
	.globl	_ZL38rocblas_trsm_small_left_device_sharedBILi64ELi32ELb1EddPKPKdPKPdEv13rocblas_fill_18rocblas_operation_17rocblas_diagonal_iiT3_T4_lilT5_lili ; -- Begin function _ZL38rocblas_trsm_small_left_device_sharedBILi64ELi32ELb1EddPKPKdPKPdEv13rocblas_fill_18rocblas_operation_17rocblas_diagonal_iiT3_T4_lilT5_lili
	.p2align	8
	.type	_ZL38rocblas_trsm_small_left_device_sharedBILi64ELi32ELb1EddPKPKdPKPdEv13rocblas_fill_18rocblas_operation_17rocblas_diagonal_iiT3_T4_lilT5_lili,@function
_ZL38rocblas_trsm_small_left_device_sharedBILi64ELi32ELb1EddPKPKdPKPdEv13rocblas_fill_18rocblas_operation_17rocblas_diagonal_iiT3_T4_lilT5_lili: ; @_ZL38rocblas_trsm_small_left_device_sharedBILi64ELi32ELb1EddPKPKdPKPdEv13rocblas_fill_18rocblas_operation_17rocblas_diagonal_iiT3_T4_lilT5_lili
; %bb.0:
	s_load_b128 s[16:19], s[0:1], 0x40
	s_mov_b32 s12, s15
	s_mov_b32 s13, 0
	s_clause 0x1
	s_load_b128 s[4:7], s[0:1], 0x4
	s_load_b64 s[20:21], s[0:1], 0x28
	s_lshl_b64 s[22:23], s[12:13], 3
	s_mov_b32 s12, exec_lo
	s_waitcnt lgkmcnt(0)
	s_add_u32 s2, s16, s22
	s_addc_u32 s3, s17, s23
	s_load_b128 s[8:11], s[0:1], 0x18
	s_load_b64 s[2:3], s[2:3], 0x0
	s_min_i32 s28, s6, 64
	s_delay_alu instid0(SALU_CYCLE_1)
	s_add_i32 s29, s28, -1
	v_cmpx_gt_i32_e64 s28, v0
	s_cbranch_execz .LBB109_10
; %bb.1:
	s_load_b32 s16, s[0:1], 0x30
	s_waitcnt lgkmcnt(0)
	s_ashr_i32 s17, s16, 31
	s_add_u32 s10, s10, s22
	s_addc_u32 s11, s11, s23
	s_cmp_lt_u32 s29, 3
	s_load_b64 s[10:11], s[10:11], 0x0
	s_cbranch_scc1 .LBB109_4
; %bb.2:
	v_lshlrev_b32_e32 v3, 3, v0
	s_lshl_b64 s[22:23], s[20:21], 3
	s_mul_i32 s30, s16, 24
	s_waitcnt lgkmcnt(0)
	s_add_u32 s13, s10, s22
	s_addc_u32 s15, s11, s23
	v_add_co_u32 v1, s13, s13, v3
	s_delay_alu instid0(VALU_DEP_1)
	v_add_co_ci_u32_e64 v2, null, s15, 0, s13
	s_and_b32 s13, s28, -4
	s_mul_hi_i32 s15, s16, 24
	s_lshl_b64 s[22:23], s[16:17], 5
	s_lshl_b64 s[24:25], s[16:17], 4
	;; [unrolled: 1-line block ×3, first 2 shown]
	s_mov_b32 s31, 0
	.p2align	6
.LBB109_3:                              ; =>This Inner Loop Header: Depth=1
	v_add_co_u32 v4, vcc_lo, v1, s26
	v_add_co_ci_u32_e32 v5, vcc_lo, s27, v2, vcc_lo
	v_add_co_u32 v6, vcc_lo, v1, s24
	v_add_co_ci_u32_e32 v7, vcc_lo, s25, v2, vcc_lo
	;; [unrolled: 2-line block ×3, first 2 shown]
	s_clause 0x3
	global_load_b64 v[10:11], v[1:2], off
	global_load_b64 v[4:5], v[4:5], off
	;; [unrolled: 1-line block ×4, first 2 shown]
	v_add_co_u32 v1, vcc_lo, v1, s22
	v_add_co_ci_u32_e32 v2, vcc_lo, s23, v2, vcc_lo
	s_add_i32 s31, s31, 4
	s_waitcnt vmcnt(2)
	ds_store_2addr_stride64_b64 v3, v[10:11], v[4:5] offset1:1
	s_waitcnt vmcnt(0)
	ds_store_2addr_stride64_b64 v3, v[6:7], v[8:9] offset0:2 offset1:3
	v_add_nc_u32_e32 v3, 0x800, v3
	s_cmp_eq_u32 s13, s31
	s_cbranch_scc0 .LBB109_3
.LBB109_4:
	s_and_b32 s15, s28, 3
	s_delay_alu instid0(SALU_CYCLE_1)
	s_cmp_eq_u32 s15, 0
	s_cbranch_scc1 .LBB109_7
; %bb.5:
	s_mul_i32 s22, s17, s13
	s_mul_hi_u32 s23, s16, s13
	v_lshlrev_b32_e32 v1, 3, v0
	s_add_i32 s23, s23, s22
	s_mul_i32 s22, s16, s13
	s_lshl_b64 s[20:21], s[20:21], 3
	s_lshl_b64 s[22:23], s[22:23], 3
	v_lshl_or_b32 v3, s13, 9, v1
	s_add_u32 s13, s22, s20
	s_addc_u32 s20, s23, s21
	s_waitcnt lgkmcnt(0)
	s_add_u32 s10, s10, s13
	s_addc_u32 s11, s11, s20
	v_add_co_u32 v1, s10, s10, v1
	s_delay_alu instid0(VALU_DEP_1)
	v_add_co_ci_u32_e64 v2, null, s11, 0, s10
	s_lshl_b64 s[10:11], s[16:17], 3
.LBB109_6:                              ; =>This Inner Loop Header: Depth=1
	global_load_b64 v[4:5], v[1:2], off
	v_add_co_u32 v1, vcc_lo, v1, s10
	v_add_co_ci_u32_e32 v2, vcc_lo, s11, v2, vcc_lo
	s_add_i32 s15, s15, -1
	s_delay_alu instid0(SALU_CYCLE_1)
	s_cmp_lg_u32 s15, 0
	s_waitcnt vmcnt(0)
	ds_store_b64 v3, v[4:5]
	v_add_nc_u32_e32 v3, 0x200, v3
	s_cbranch_scc1 .LBB109_6
.LBB109_7:
	v_mul_u32_u24_e32 v3, 0x41, v0
	v_mov_b32_e32 v1, 0
	v_mov_b32_e32 v2, 0x3ff00000
	s_cmpk_lg_i32 s5, 0x84
	s_delay_alu instid0(VALU_DEP_3)
	v_lshlrev_b32_e32 v3, 3, v3
	s_cbranch_scc0 .LBB109_9
; %bb.8:
	ds_load_b64 v[1:2], v3
	s_waitcnt lgkmcnt(0)
	v_div_scale_f64 v[4:5], null, v[1:2], v[1:2], 1.0
	s_delay_alu instid0(VALU_DEP_1) | instskip(SKIP_2) | instid1(VALU_DEP_1)
	v_rcp_f64_e32 v[6:7], v[4:5]
	s_waitcnt_depctr 0xfff
	v_fma_f64 v[8:9], -v[4:5], v[6:7], 1.0
	v_fma_f64 v[6:7], v[6:7], v[8:9], v[6:7]
	s_delay_alu instid0(VALU_DEP_1) | instskip(NEXT) | instid1(VALU_DEP_1)
	v_fma_f64 v[8:9], -v[4:5], v[6:7], 1.0
	v_fma_f64 v[6:7], v[6:7], v[8:9], v[6:7]
	v_div_scale_f64 v[8:9], vcc_lo, 1.0, v[1:2], 1.0
	s_delay_alu instid0(VALU_DEP_1) | instskip(NEXT) | instid1(VALU_DEP_1)
	v_mul_f64 v[10:11], v[8:9], v[6:7]
	v_fma_f64 v[4:5], -v[4:5], v[10:11], v[8:9]
	s_delay_alu instid0(VALU_DEP_1) | instskip(NEXT) | instid1(VALU_DEP_1)
	v_div_fmas_f64 v[4:5], v[4:5], v[6:7], v[10:11]
	v_div_fixup_f64 v[1:2], v[4:5], v[1:2], 1.0
.LBB109_9:
	ds_store_b64 v3, v[1:2]
.LBB109_10:
	s_or_b32 exec_lo, exec_lo, s12
	s_clause 0x1
	s_load_b32 s5, s[0:1], 0x68
	s_load_b32 s16, s[0:1], 0x50
	s_lshl_b64 s[0:1], s[18:19], 3
	s_waitcnt lgkmcnt(0)
	s_ashr_i32 s17, s16, 31
	s_add_u32 s15, s2, s0
	s_addc_u32 s18, s3, s1
	s_lshl_b32 s10, s14, 6
	s_add_i32 s5, s5, -1
	s_sub_i32 s7, s7, s10
	s_mul_hi_i32 s13, s16, s10
	s_cmp_ge_u32 s14, s5
	s_mul_i32 s12, s16, s10
	s_cselect_b32 s14, s7, 64
	s_lshl_b64 s[12:13], s[12:13], 3
	s_ashr_i32 s11, s10, 31
	s_add_u32 s5, s15, s12
	s_addc_u32 s7, s18, s13
	v_cmp_gt_i32_e32 vcc_lo, s14, v0
	s_cmp_gt_i32 s6, 0
	s_mov_b32 s12, 0
	s_cselect_b32 s13, -1, 0
	s_delay_alu instid0(SALU_CYCLE_1) | instskip(NEXT) | instid1(SALU_CYCLE_1)
	s_and_b32 s18, vcc_lo, s13
	s_and_saveexec_b32 s19, s18
	s_cbranch_execz .LBB109_17
; %bb.11:
	s_cmp_lt_i32 s6, 8
	s_cbranch_scc1 .LBB109_14
; %bb.12:
	v_mad_i64_i32 v[1:2], null, s16, v0, 0
	v_lshl_or_b32 v3, v0, 3, 0x8000
	s_lshl_b32 s12, s28, 3
	s_mov_b64 s[14:15], 0
	s_and_b32 s13, s12, 0x3c0
	s_mov_b32 s12, 0
	s_delay_alu instid0(VALU_DEP_2) | instskip(NEXT) | instid1(VALU_DEP_1)
	v_lshlrev_b64 v[1:2], 3, v[1:2]
	v_add_co_u32 v1, vcc_lo, s5, v1
	s_delay_alu instid0(VALU_DEP_2)
	v_add_co_ci_u32_e32 v2, vcc_lo, s7, v2, vcc_lo
	s_set_inst_prefetch_distance 0x1
	.p2align	6
.LBB109_13:                             ; =>This Inner Loop Header: Depth=1
	s_delay_alu instid0(VALU_DEP_2) | instskip(NEXT) | instid1(VALU_DEP_2)
	v_add_co_u32 v16, vcc_lo, v1, s14
	v_add_co_ci_u32_e32 v17, vcc_lo, s15, v2, vcc_lo
	s_add_i32 s12, s12, 8
	s_add_u32 s14, s14, 64
	s_addc_u32 s15, s15, 0
	s_clause 0x3
	global_load_b128 v[4:7], v[16:17], off
	global_load_b128 v[8:11], v[16:17], off offset:16
	global_load_b128 v[12:15], v[16:17], off offset:32
	;; [unrolled: 1-line block ×3, first 2 shown]
	s_cmp_lg_u32 s13, s14
	s_waitcnt vmcnt(3)
	v_mul_f64 v[4:5], v[4:5], s[8:9]
	v_mul_f64 v[6:7], v[6:7], s[8:9]
	s_waitcnt vmcnt(2)
	v_mul_f64 v[8:9], v[8:9], s[8:9]
	v_mul_f64 v[10:11], v[10:11], s[8:9]
	;; [unrolled: 3-line block ×4, first 2 shown]
	ds_store_2addr_stride64_b64 v3, v[4:5], v[6:7] offset1:1
	ds_store_2addr_stride64_b64 v3, v[8:9], v[10:11] offset0:2 offset1:3
	ds_store_2addr_stride64_b64 v3, v[12:13], v[14:15] offset0:4 offset1:5
	;; [unrolled: 1-line block ×3, first 2 shown]
	v_add_nc_u32_e32 v3, 0x1000, v3
	s_cbranch_scc1 .LBB109_13
.LBB109_14:
	s_set_inst_prefetch_distance 0x2
	s_and_b32 s14, s28, 7
	s_mov_b32 s13, 0
	s_cmp_eq_u32 s14, 0
	s_cbranch_scc1 .LBB109_17
; %bb.15:
	v_lshlrev_b32_e32 v3, 3, v0
	s_lshl_b64 s[20:21], s[10:11], 3
	s_lshl_b64 s[22:23], s[12:13], 3
	s_delay_alu instid0(VALU_DEP_1) | instskip(NEXT) | instid1(VALU_DEP_1)
	v_add_co_u32 v4, s13, s20, v3
	v_add_co_ci_u32_e64 v5, null, s21, 0, s13
	s_add_u32 s13, s2, s22
	s_addc_u32 s15, s3, s23
	s_add_u32 s20, s13, s0
	s_addc_u32 s21, s15, s1
	v_mul_lo_u32 v5, v5, s16
	v_mad_u64_u32 v[1:2], null, v4, s16, s[20:21]
	v_mul_lo_u32 v4, v4, s17
	v_lshl_or_b32 v3, s12, 9, v3
	s_delay_alu instid0(VALU_DEP_1) | instskip(NEXT) | instid1(VALU_DEP_3)
	v_add_nc_u32_e32 v3, 0x8000, v3
	v_add3_u32 v2, v5, v2, v4
.LBB109_16:                             ; =>This Inner Loop Header: Depth=1
	global_load_b64 v[4:5], v[1:2], off
	v_add_co_u32 v1, vcc_lo, v1, 8
	v_add_co_ci_u32_e32 v2, vcc_lo, 0, v2, vcc_lo
	s_add_i32 s14, s14, -1
	s_delay_alu instid0(SALU_CYCLE_1)
	s_cmp_lg_u32 s14, 0
	s_waitcnt vmcnt(0)
	v_mul_f64 v[4:5], v[4:5], s[8:9]
	ds_store_b64 v3, v[4:5]
	v_add_nc_u32_e32 v3, 0x200, v3
	s_cbranch_scc1 .LBB109_16
.LBB109_17:
	s_or_b32 exec_lo, exec_lo, s19
	s_cmpk_eq_i32 s4, 0x6f
	s_mov_b32 s4, -1
	s_waitcnt lgkmcnt(0)
	s_barrier
	buffer_gl0_inv
	s_cbranch_scc1 .LBB109_46
; %bb.18:
	s_cmp_lt_i32 s6, 32
	s_mov_b32 s9, s29
	s_cbranch_scc1 .LBB109_24
; %bb.19:
	v_lshlrev_b32_e32 v1, 3, v0
	s_mul_i32 s4, s28, 0x208
	s_mov_b32 s8, s29
	s_addk_i32 s4, 0xbff8
	s_delay_alu instid0(VALU_DEP_1) | instskip(NEXT) | instid1(VALU_DEP_1)
	v_lshl_or_b32 v1, s28, 9, v1
	v_add_nc_u32_e32 v123, 0x7e00, v1
.LBB109_20:                             ; =>This Loop Header: Depth=1
                                        ;     Child Loop BB109_21 Depth 2
	s_lshl_b32 s9, s8, 6
	s_mov_b32 s47, s29
	s_sub_i32 s12, s9, 64
	v_or_b32_e32 v1, s9, v0
	s_add_i32 s46, s9, 0xffffff80
	v_or_b32_e32 v2, s12, v0
	s_add_i32 s45, s9, 0xffffff40
	v_or_b32_e32 v3, s46, v0
	v_or_b32_e32 v4, s45, v0
	v_lshlrev_b32_e32 v39, 3, v1
	v_lshlrev_b32_e32 v1, 3, v2
	s_add_i32 s41, s9, 0xfffffe40
	v_lshlrev_b32_e32 v124, 3, v3
	v_lshlrev_b32_e32 v125, 3, v4
	s_add_i32 s44, s9, 0xffffff00
	s_add_i32 s43, s9, 0xfffffec0
	ds_load_b64 v[37:38], v39 offset:32768
	ds_load_b64 v[35:36], v1 offset:32768
	;; [unrolled: 1-line block ×4, first 2 shown]
	v_or_b32_e32 v1, s41, v0
	v_or_b32_e32 v2, s44, v0
	s_add_i32 s42, s9, 0xfffffe80
	s_add_i32 s31, s9, 0xfffffb00
	v_or_b32_e32 v3, s43, v0
	s_add_i32 s35, s9, 0xfffffac0
	v_or_b32_e32 v4, s42, v0
	s_add_i32 s40, s9, 0xfffffe00
	v_or_b32_e32 v40, s31, v0
	s_add_i32 s34, s9, 0xfffffa80
	s_add_i32 s39, s9, 0xfffffdc0
	v_or_b32_e32 v41, s35, v0
	v_lshlrev_b32_e32 v129, 3, v1
	v_or_b32_e32 v1, s40, v0
	s_add_i32 s38, s9, 0xfffffd80
	v_or_b32_e32 v42, s34, v0
	v_lshlrev_b32_e32 v126, 3, v2
	v_or_b32_e32 v2, s39, v0
	s_add_i32 s36, s9, 0xfffffd40
	s_add_i32 s26, s9, 0xfffffa00
	v_lshlrev_b32_e32 v127, 3, v3
	v_or_b32_e32 v3, s38, v0
	s_add_i32 s23, s9, 0xfffff9c0
	v_lshlrev_b32_e32 v128, 3, v4
	v_or_b32_e32 v4, s36, v0
	s_add_i32 s37, s9, 0xfffffd00
	s_add_i32 s25, s9, 0xfffffc00
	;; [unrolled: 1-line block ×3, first 2 shown]
	v_lshlrev_b32_e32 v142, 3, v40
	v_or_b32_e32 v40, s26, v0
	s_add_i32 s19, s9, 0xfffff980
	s_add_i32 s20, s9, 0xfffffcc0
	;; [unrolled: 1-line block ×3, first 2 shown]
	v_lshlrev_b32_e32 v143, 3, v41
	v_or_b32_e32 v41, s23, v0
	v_lshlrev_b32_e32 v130, 3, v1
	v_or_b32_e32 v1, s37, v0
	s_add_i32 s21, s9, 0xfffffc80
	v_or_b32_e32 v5, s25, v0
	s_add_i32 s24, s9, 0xfffffb80
	v_or_b32_e32 v43, s30, v0
	v_lshlrev_b32_e32 v144, 3, v42
	v_or_b32_e32 v42, s19, v0
	v_lshlrev_b32_e32 v131, 3, v2
	v_or_b32_e32 v2, s20, v0
	s_add_i32 s22, s9, 0xfffffc40
	v_or_b32_e32 v6, s27, v0
	s_add_i32 s33, s9, 0xfffffb40
	s_add_i32 s15, s9, 0xfffff940
	v_lshlrev_b32_e32 v132, 3, v3
	v_or_b32_e32 v3, s21, v0
	v_or_b32_e32 v25, s24, v0
	s_add_i32 s14, s9, 0xfffff900
	v_lshlrev_b32_e32 v133, 3, v4
	v_or_b32_e32 v4, s22, v0
	v_or_b32_e32 v26, s33, v0
	v_lshlrev_b32_e32 v146, 3, v40
	v_or_b32_e32 v40, s15, v0
	s_add_i32 s13, s9, 0xfffff8c0
	s_add_i32 s12, s9, 0xfffff880
	s_addk_i32 s9, 0xf840
	v_lshlrev_b32_e32 v147, 3, v41
	v_or_b32_e32 v41, s14, v0
	v_lshlrev_b32_e32 v134, 3, v1
	v_lshlrev_b32_e32 v138, 3, v5
	;; [unrolled: 1-line block ×4, first 2 shown]
	v_or_b32_e32 v42, s13, v0
	v_or_b32_e32 v43, s12, v0
	;; [unrolled: 1-line block ×3, first 2 shown]
	v_lshlrev_b32_e32 v135, 3, v2
	v_lshlrev_b32_e32 v139, 3, v6
	;; [unrolled: 1-line block ×8, first 2 shown]
	ds_load_b64 v[31:32], v126 offset:32768
	ds_load_b64 v[23:24], v127 offset:32768
	;; [unrolled: 1-line block ×20, first 2 shown]
	v_lshlrev_b32_e32 v151, 3, v42
	v_lshlrev_b32_e32 v152, 3, v43
	;; [unrolled: 1-line block ×3, first 2 shown]
	ds_load_b64 v[103:104], v146 offset:32768
	ds_load_b64 v[101:102], v147 offset:32768
	;; [unrolled: 1-line block ×8, first 2 shown]
	v_mov_b32_e32 v40, v123
	s_cmp_le_i32 s29, s8
	s_mov_b32 s9, s4
	s_cbranch_scc1 .LBB109_22
.LBB109_21:                             ;   Parent Loop BB109_20 Depth=1
                                        ; =>  This Inner Loop Header: Depth=2
	v_mov_b32_e32 v95, s9
	s_add_i32 s47, s47, -1
	s_add_i32 s9, s9, -8
	s_cmp_gt_i32 s47, s8
	ds_load_b64 v[85:86], v40
	ds_load_2addr_stride64_b64 v[41:44], v95 offset0:30 offset1:31
	ds_load_2addr_stride64_b64 v[45:48], v95 offset0:28 offset1:29
	;; [unrolled: 1-line block ×15, first 2 shown]
	ds_load_2addr_stride64_b64 v[165:168], v95 offset1:1
	v_add_nc_u32_e32 v40, 0xfffffe00, v40
	s_waitcnt lgkmcnt(15)
	v_fma_f64 v[37:38], -v[85:86], v[43:44], v[37:38]
	v_fma_f64 v[35:36], -v[85:86], v[41:42], v[35:36]
	s_waitcnt lgkmcnt(14)
	v_fma_f64 v[33:34], -v[85:86], v[47:48], v[33:34]
	v_fma_f64 v[29:30], -v[85:86], v[45:46], v[29:30]
	;; [unrolled: 3-line block ×16, first 2 shown]
	s_cbranch_scc1 .LBB109_21
.LBB109_22:                             ;   in Loop: Header=BB109_20 Depth=1
	s_mul_i32 s9, s8, 0x208
	v_add_nc_u32_e32 v153, 0x8000, v39
	v_mov_b32_e32 v39, s9
	s_add_i32 s47, s9, 0xfffffdf8
	s_add_i32 s46, s46, s8
	;; [unrolled: 1-line block ×3, first 2 shown]
	s_lshl_b32 s46, s46, 3
	ds_load_b64 v[43:44], v39
	v_mov_b32_e32 v39, s47
	s_lshl_b32 s45, s45, 3
	s_add_i32 s44, s44, s8
	s_add_i32 s45, s45, -8
	s_add_i32 s27, s27, s8
	ds_load_2addr_b64 v[39:42], v39 offset1:1
	s_lshl_b32 s44, s44, 3
	s_lshl_b32 s27, s27, 3
	s_add_i32 s43, s43, s8
	s_add_i32 s42, s42, s8
	s_lshl_b32 s43, s43, 3
	s_lshl_b32 s42, s42, 3
	s_add_i32 s41, s41, s8
	s_add_i32 s40, s40, s8
	;; [unrolled: 4-line block ×3, first 2 shown]
	s_lshl_b32 s39, s39, 3
	s_waitcnt lgkmcnt(1)
	v_mul_f64 v[77:78], v[43:44], v[37:38]
	s_add_i32 s14, s14, s8
	s_lshl_b32 s38, s38, 3
	s_lshl_b32 s14, s14, 3
	s_add_i32 s36, s36, s8
	s_add_i32 s37, s37, s8
	s_lshl_b32 s36, s36, 3
	s_lshl_b32 s37, s37, 3
	s_add_i32 s20, s20, s8
	;; [unrolled: 4-line block ×4, first 2 shown]
	s_add_i32 s24, s24, s8
	s_add_i32 s35, s35, s8
	s_lshl_b32 s24, s24, 3
	s_add_i32 s34, s34, s8
	s_add_i32 s30, s30, s8
	;; [unrolled: 1-line block ×8, first 2 shown]
	s_addk_i32 s4, 0xc000
	s_lshl_b32 s13, s13, 3
	v_mov_b32_e32 v196, s14
	s_waitcnt lgkmcnt(0)
	s_delay_alu instid0(VALU_DEP_2)
	v_fma_f64 v[41:42], -v[77:78], v[41:42], v[35:36]
	v_mov_b32_e32 v35, s46
	s_add_i32 s46, s9, 0xfffffbf0
	ds_load_b64 v[43:44], v35
	v_mul_f64 v[75:76], v[39:40], v[41:42]
	v_mov_b32_e32 v39, s45
	s_add_i32 s45, s9, 0xfffff9e8
	ds_load_2addr_b64 v[39:42], v39 offset1:1
	s_waitcnt lgkmcnt(1)
	v_fma_f64 v[33:34], -v[77:78], v[43:44], v[33:34]
	v_mov_b32_e32 v35, s46
	v_mov_b32_e32 v43, s45
	s_sub_i32 s45, s27, 24
	s_sub_i32 s46, s27, 40
	ds_load_2addr_b64 v[35:38], v35 offset1:1
	ds_load_2addr_b64 v[43:46], v43 offset1:1
	s_waitcnt lgkmcnt(2)
	v_fma_f64 v[29:30], -v[77:78], v[41:42], v[29:30]
	s_waitcnt lgkmcnt(1)
	v_fma_f64 v[33:34], -v[75:76], v[37:38], v[33:34]
	v_mov_b32_e32 v37, s44
	s_add_i32 s44, s44, -16
	s_delay_alu instid0(SALU_CYCLE_1)
	v_mov_b32_e32 v41, s44
	s_add_i32 s44, s43, -8
	ds_load_b64 v[37:38], v37
	s_sub_i32 s43, s43, 24
	ds_load_2addr_b64 v[47:50], v41 offset1:1
	v_fma_f64 v[39:40], -v[75:76], v[39:40], v[29:30]
	v_mov_b32_e32 v29, s44
	s_add_i32 s44, s42, -8
	s_waitcnt lgkmcnt(1)
	v_fma_f64 v[37:38], -v[77:78], v[37:38], v[31:32]
	ds_load_2addr_b64 v[29:32], v29 offset1:1
	v_mul_f64 v[79:80], v[35:36], v[33:34]
	s_waitcnt lgkmcnt(0)
	v_fma_f64 v[23:24], -v[77:78], v[31:32], v[23:24]
	v_mov_b32_e32 v31, s44
	s_sub_i32 s44, s42, 24
	s_sub_i32 s42, s42, 40
	v_mov_b32_e32 v35, s44
	s_add_i32 s44, s9, 0xfffff7e0
	ds_load_2addr_b64 v[31:34], v31 offset1:1
	v_fma_f64 v[41:42], -v[75:76], v[49:50], v[37:38]
	ds_load_2addr_b64 v[35:38], v35 offset1:1
	s_waitcnt lgkmcnt(1)
	v_fma_f64 v[33:34], -v[77:78], v[33:34], v[21:22]
	v_dual_mov_b32 v21, s41 :: v_dual_mov_b32 v22, s43
	v_fma_f64 v[39:40], -v[79:80], v[45:46], v[39:40]
	s_add_i32 s43, s9, 0xfffff5d8
	v_fma_f64 v[29:30], -v[75:76], v[29:30], v[23:24]
	v_fma_f64 v[51:52], -v[79:80], v[47:48], v[41:42]
	;; [unrolled: 1-line block ×3, first 2 shown]
	s_delay_alu instid0(VALU_DEP_4)
	v_mul_f64 v[81:82], v[43:44], v[39:40]
	v_mov_b32_e32 v39, s44
	ds_load_b64 v[53:54], v21
	ds_load_2addr_b64 v[21:24], v22 offset1:1
	ds_load_2addr_b64 v[39:42], v39 offset1:1
	v_mov_b32_e32 v43, s43
	s_add_i32 s43, s40, -8
	s_add_i32 s44, s41, -16
	s_delay_alu instid0(SALU_CYCLE_1)
	v_mov_b32_e32 v47, s44
	ds_load_2addr_b64 v[43:46], v43 offset1:1
	ds_load_2addr_b64 v[47:50], v47 offset1:1
	s_sub_i32 s44, s25, 32
	s_waitcnt lgkmcnt(4)
	v_fma_f64 v[19:20], -v[77:78], v[53:54], v[19:20]
	s_waitcnt lgkmcnt(3)
	v_fma_f64 v[23:24], -v[79:80], v[23:24], v[29:30]
	v_mov_b32_e32 v29, s43
	s_sub_i32 s43, s40, 24
	ds_load_2addr_b64 v[29:32], v29 offset1:1
	v_fma_f64 v[33:34], -v[79:80], v[37:38], v[33:34]
	s_waitcnt lgkmcnt(3)
	v_fma_f64 v[41:42], -v[81:82], v[41:42], v[51:52]
	v_mov_b32_e32 v51, s43
	s_add_i32 s43, s39, -16
	ds_load_2addr_b64 v[51:54], v51 offset1:1
	s_waitcnt lgkmcnt(1)
	v_fma_f64 v[31:32], -v[77:78], v[31:32], v[17:18]
	v_mov_b32_e32 v17, s39
	v_fma_f64 v[49:50], -v[75:76], v[49:50], v[19:20]
	v_fma_f64 v[21:22], -v[81:82], v[21:22], v[23:24]
	ds_load_b64 v[23:24], v17
	v_mov_b32_e32 v17, s43
	s_sub_i32 s43, s41, 32
	s_sub_i32 s41, s41, 48
	ds_load_2addr_b64 v[17:20], v17 offset1:1
	v_mul_f64 v[83:84], v[39:40], v[41:42]
	s_waitcnt lgkmcnt(1)
	v_fma_f64 v[15:16], -v[77:78], v[23:24], v[15:16]
	v_fma_f64 v[41:42], -v[75:76], v[29:30], v[31:32]
	v_mov_b32_e32 v29, s42
	s_add_i32 s42, s38, -16
	s_delay_alu instid0(SALU_CYCLE_1)
	v_mov_b32_e32 v37, s42
	s_sub_i32 s42, s39, 32
	v_fma_f64 v[47:48], -v[79:80], v[47:48], v[49:50]
	v_fma_f64 v[49:50], -v[81:82], v[35:36], v[33:34]
	v_mov_b32_e32 v33, s41
	s_add_i32 s41, s36, -8
	v_fma_f64 v[45:46], -v[83:84], v[45:46], v[21:22]
	v_dual_mov_b32 v21, s38 :: v_dual_mov_b32 v22, s43
	ds_load_b64 v[55:56], v21
	ds_load_2addr_b64 v[21:24], v22 offset1:1
	ds_load_2addr_b64 v[29:32], v29 offset1:1
	s_waitcnt lgkmcnt(3)
	v_fma_f64 v[19:20], -v[75:76], v[19:20], v[15:16]
	ds_load_2addr_b64 v[33:36], v33 offset1:1
	ds_load_2addr_b64 v[37:40], v37 offset1:1
	s_sub_i32 s43, s40, 40
	s_sub_i32 s40, s40, 56
	v_fma_f64 v[53:54], -v[79:80], v[53:54], v[41:42]
	s_waitcnt lgkmcnt(4)
	v_fma_f64 v[55:56], -v[77:78], v[55:56], v[13:14]
	s_waitcnt lgkmcnt(3)
	;; [unrolled: 2-line block ×3, first 2 shown]
	v_fma_f64 v[31:32], -v[83:84], v[31:32], v[49:50]
	v_mov_b32_e32 v13, s41
	s_sub_i32 s41, s36, 24
	s_delay_alu instid0(SALU_CYCLE_1)
	v_mov_b32_e32 v41, s41
	s_add_i32 s41, s9, 0xfffff3d0
	ds_load_2addr_b64 v[13:16], v13 offset1:1
	v_mul_f64 v[85:86], v[43:44], v[45:46]
	ds_load_2addr_b64 v[41:44], v41 offset1:1
	v_fma_f64 v[53:54], -v[81:82], v[51:52], v[53:54]
	s_waitcnt lgkmcnt(1)
	v_fma_f64 v[11:12], -v[77:78], v[15:16], v[11:12]
	v_dual_mov_b32 v15, s37 :: v_dual_mov_b32 v16, s42
	s_add_i32 s42, s37, -16
	s_delay_alu instid0(SALU_CYCLE_1)
	v_mov_b32_e32 v49, s42
	ds_load_b64 v[59:60], v15
	s_sub_i32 s42, s20, 24
	v_fma_f64 v[39:40], -v[75:76], v[39:40], v[55:56]
	v_fma_f64 v[55:56], -v[79:80], v[17:18], v[19:20]
	;; [unrolled: 1-line block ×3, first 2 shown]
	v_mov_b32_e32 v19, s43
	s_sub_i32 s43, s22, 24
	v_fma_f64 v[57:58], -v[85:86], v[29:30], v[31:32]
	v_mov_b32_e32 v29, s41
	ds_load_2addr_b64 v[15:18], v16 offset1:1
	ds_load_2addr_b64 v[19:22], v19 offset1:1
	ds_load_b64 v[61:62], v29
	v_mov_b32_e32 v29, s40
	s_add_i32 s40, s20, -8
	s_sub_i32 s41, s39, 48
	s_waitcnt lgkmcnt(3)
	v_fma_f64 v[59:60], -v[77:78], v[59:60], v[9:10]
	v_mov_b32_e32 v9, s40
	s_sub_i32 s40, s38, 32
	v_mov_b32_e32 v45, s41
	ds_load_2addr_b64 v[29:32], v29 offset1:1
	ds_load_2addr_b64 v[45:48], v45 offset1:1
	;; [unrolled: 1-line block ×3, first 2 shown]
	v_fma_f64 v[13:14], -v[75:76], v[13:14], v[11:12]
	s_add_i32 s41, s22, -8
	s_sub_i32 s39, s39, 64
	s_waitcnt lgkmcnt(4)
	v_fma_f64 v[53:54], -v[83:84], v[21:22], v[53:54]
	v_mov_b32_e32 v21, s40
	v_fma_f64 v[17:18], -v[81:82], v[17:18], v[55:56]
	v_fma_f64 v[55:56], -v[85:86], v[35:36], v[23:24]
	ds_load_2addr_b64 v[9:12], v9 offset1:1
	ds_load_2addr_b64 v[21:24], v21 offset1:1
	v_fma_f64 v[39:40], -v[79:80], v[37:38], v[39:40]
	s_sub_i32 s40, s38, 48
	s_sub_i32 s38, s38, 64
	v_mov_b32_e32 v35, s40
	s_add_i32 s40, s9, 0xfffff1c8
	ds_load_2addr_b64 v[35:38], v35 offset1:1
	s_waitcnt lgkmcnt(6)
	v_mul_f64 v[95:96], v[61:62], v[57:58]
	s_waitcnt lgkmcnt(2)
	v_fma_f64 v[3:4], -v[77:78], v[11:12], v[3:4]
	v_fma_f64 v[11:12], -v[75:76], v[51:52], v[59:60]
	;; [unrolled: 1-line block ×5, first 2 shown]
	s_waitcnt lgkmcnt(1)
	v_fma_f64 v[23:24], -v[81:82], v[23:24], v[39:40]
	v_mov_b32_e32 v39, s40
	s_add_i32 s40, s21, -16
	s_delay_alu instid0(SALU_CYCLE_1)
	v_mov_b32_e32 v43, s40
	s_sub_i32 s40, s36, 40
	ds_load_b64 v[39:40], v39
	v_fma_f64 v[19:20], -v[95:96], v[33:34], v[55:56]
	v_mov_b32_e32 v33, s21
	ds_load_2addr_b64 v[51:54], v43 offset1:1
	ds_load_b64 v[33:34], v33
	v_fma_f64 v[55:56], -v[75:76], v[9:10], v[3:4]
	v_mov_b32_e32 v4, s40
	v_fma_f64 v[57:58], -v[79:80], v[49:50], v[11:12]
	s_sub_i32 s40, s36, 56
	v_fma_f64 v[59:60], -v[81:82], v[41:42], v[13:14]
	v_fma_f64 v[63:64], -v[85:86], v[47:48], v[15:16]
	s_waitcnt lgkmcnt(0)
	v_fma_f64 v[43:44], -v[77:78], v[33:34], v[1:2]
	v_mov_b32_e32 v1, s41
	s_sub_i32 s41, s37, 32
	s_delay_alu instid0(SALU_CYCLE_1)
	v_dual_mov_b32 v2, s42 :: v_dual_mov_b32 v3, s41
	v_fma_f64 v[65:66], -v[95:96], v[31:32], v[17:18]
	v_fma_f64 v[61:62], -v[83:84], v[21:22], v[23:24]
	s_sub_i32 s41, s37, 48
	s_sub_i32 s42, s20, 40
	v_mov_b32_e32 v13, s41
	v_mov_b32_e32 v17, s42
	;; [unrolled: 1-line block ×3, first 2 shown]
	v_mul_f64 v[113:114], v[39:40], v[19:20]
	ds_load_2addr_b64 v[9:12], v1 offset1:1
	ds_load_2addr_b64 v[31:34], v2 offset1:1
	;; [unrolled: 1-line block ×4, first 2 shown]
	v_mov_b32_e32 v1, s40
	s_add_i32 s40, s9, 0xffffefc0
	ds_load_2addr_b64 v[1:4], v1 offset1:1
	ds_load_2addr_b64 v[13:16], v13 offset1:1
	;; [unrolled: 1-line block ×4, first 2 shown]
	s_add_i32 s43, s24, -16
	s_sub_i32 s41, s22, 40
	s_sub_i32 s42, s22, 56
	s_waitcnt lgkmcnt(7)
	v_fma_f64 v[7:8], -v[77:78], v[11:12], v[7:8]
	s_waitcnt lgkmcnt(6)
	v_fma_f64 v[33:34], -v[79:80], v[33:34], v[55:56]
	;; [unrolled: 2-line block ×4, first 2 shown]
	v_mov_b32_e32 v41, s25
	v_fma_f64 v[45:46], -v[95:96], v[45:46], v[63:64]
	v_fma_f64 v[11:12], -v[75:76], v[53:54], v[43:44]
	ds_load_b64 v[59:60], v41
	v_mov_b32_e32 v41, s39
	v_mov_b32_e32 v53, s40
	s_add_i32 s39, s25, -16
	s_add_i32 s40, s9, 0xffffe9a8
	v_fma_f64 v[37:38], -v[85:86], v[37:38], v[61:62]
	ds_load_2addr_b64 v[41:44], v41 offset1:1
	ds_load_b64 v[61:62], v53
	v_mov_b32_e32 v53, s39
	s_add_i32 s39, s27, -8
	v_mov_b32_e32 v121, s40
	s_add_i32 s40, s20, 0xffffffb8
	v_fma_f64 v[29:30], -v[113:114], v[29:30], v[65:66]
	ds_load_2addr_b64 v[53:56], v53 offset1:1
	s_waitcnt lgkmcnt(3)
	v_fma_f64 v[59:60], -v[77:78], v[59:60], v[5:6]
	v_mov_b32_e32 v5, s39
	s_sub_i32 s39, s21, 32
	s_delay_alu instid0(SALU_CYCLE_1)
	v_mov_b32_e32 v6, s39
	s_sub_i32 s39, s21, 48
	v_fma_f64 v[63:64], -v[75:76], v[9:10], v[7:8]
	v_fma_f64 v[65:66], -v[81:82], v[31:32], v[33:34]
	;; [unrolled: 1-line block ×4, first 2 shown]
	v_mov_b32_e32 v9, s39
	s_add_i32 s39, s9, 0xffffedb8
	s_waitcnt lgkmcnt(2)
	v_fma_f64 v[43:44], -v[113:114], v[43:44], v[45:46]
	v_fma_f64 v[51:52], -v[79:80], v[51:52], v[11:12]
	;; [unrolled: 1-line block ×3, first 2 shown]
	s_waitcnt lgkmcnt(1)
	v_mul_f64 v[115:116], v[61:62], v[29:30]
	ds_load_2addr_b64 v[29:32], v5 offset1:1
	v_mov_b32_e32 v5, s38
	ds_load_2addr_b64 v[33:36], v6 offset1:1
	ds_load_2addr_b64 v[37:40], v5 offset1:1
	s_add_i32 s38, s9, 0xffffebb0
	s_delay_alu instid0(SALU_CYCLE_1)
	v_mov_b32_e32 v5, s38
	s_add_i32 s38, s31, s8
	s_lshl_b32 s31, s33, 3
	ds_load_2addr_b64 v[5:8], v5 offset1:1
	ds_load_2addr_b64 v[9:12], v9 offset1:1
	s_add_i32 s47, s31, -8
	s_add_i32 s33, s36, 0xffffffb8
	s_sub_i32 s36, s37, 64
	v_fma_f64 v[23:24], -v[79:80], v[23:24], v[63:64]
	v_fma_f64 v[19:20], -v[83:84], v[19:20], v[65:66]
	;; [unrolled: 1-line block ×3, first 2 shown]
	s_waitcnt lgkmcnt(4)
	v_fma_f64 v[27:28], -v[77:78], v[31:32], v[27:28]
	v_fma_f64 v[3:4], -v[95:96], v[3:4], v[47:48]
	;; [unrolled: 1-line block ×3, first 2 shown]
	s_addk_i32 s37, 0xffb0
	s_sub_i32 s48, s31, 24
	s_waitcnt lgkmcnt(3)
	v_fma_f64 v[35:36], -v[81:82], v[35:36], v[51:52]
	s_waitcnt lgkmcnt(2)
	v_fma_f64 v[39:40], -v[113:114], v[39:40], v[49:50]
	v_fma_f64 v[41:42], -v[115:116], v[41:42], v[43:44]
	v_mov_b32_e32 v43, s24
	ds_load_b64 v[47:48], v43
	v_fma_f64 v[160:161], -v[81:82], v[21:22], v[23:24]
	v_fma_f64 v[164:165], -v[85:86], v[17:18], v[19:20]
	v_mov_b32_e32 v17, s47
	v_fma_f64 v[156:157], -v[75:76], v[29:30], v[27:28]
	v_fma_f64 v[1:2], -v[113:114], v[1:2], v[3:4]
	;; [unrolled: 1-line block ×4, first 2 shown]
	ds_load_2addr_b64 v[71:74], v17 offset1:1
	v_mov_b32_e32 v43, s39
	s_waitcnt lgkmcnt(1)
	v_fma_f64 v[154:155], -v[77:78], v[47:48], v[25:26]
	v_fma_f64 v[162:163], -v[83:84], v[33:34], v[35:36]
	s_sub_i32 s39, s20, 56
	v_mov_b32_e32 v18, s45
	ds_load_b64 v[49:50], v43
	v_fma_f64 v[3:4], -v[115:116], v[37:38], v[39:40]
	v_mov_b32_e32 v43, s43
	v_dual_mov_b32 v17, s39 :: v_dual_mov_b32 v16, s36
	v_dual_mov_b32 v20, s44 :: v_dual_mov_b32 v15, s33
	v_mov_b32_e32 v21, s41
	ds_load_2addr_b64 v[43:46], v43 offset1:1
	ds_load_2addr_b64 v[67:70], v18 offset1:1
	;; [unrolled: 1-line block ×4, first 2 shown]
	v_mov_b32_e32 v19, s37
	s_sub_i32 s43, s25, 48
	v_mov_b32_e32 v23, s40
	v_mov_b32_e32 v27, s42
	;; [unrolled: 1-line block ×5, first 2 shown]
	s_lshl_b32 s33, s38, 3
	s_add_i32 s36, s9, 0xffffe7a0
	s_waitcnt lgkmcnt(4)
	v_mul_f64 v[117:118], v[49:50], v[41:42]
	ds_load_2addr_b64 v[55:58], v17 offset1:1
	ds_load_2addr_b64 v[51:54], v16 offset1:1
	;; [unrolled: 1-line block ×10, first 2 shown]
	v_fma_f64 v[121:122], -v[77:78], v[73:74], v[119:120]
	s_add_i32 s37, s9, 0xffffdf80
	s_sub_i32 s42, s24, 48
	s_sub_i32 s44, s27, 56
	;; [unrolled: 1-line block ×3, first 2 shown]
	s_waitcnt lgkmcnt(12)
	v_fma_f64 v[73:74], -v[79:80], v[69:70], v[156:157]
	s_sub_i32 s46, s31, 40
	s_waitcnt lgkmcnt(11)
	v_fma_f64 v[69:70], -v[81:82], v[65:66], v[158:159]
	s_waitcnt lgkmcnt(10)
	v_fma_f64 v[65:66], -v[83:84], v[61:62], v[160:161]
	s_add_i32 s38, s9, 0xffffe598
	s_add_i32 s43, s25, 0xffffffb0
	v_fma_f64 v[119:120], -v[75:76], v[45:46], v[154:155]
	v_fma_f64 v[61:62], -v[85:86], v[11:12], v[162:163]
	s_add_i32 s45, s27, 0xffffffb8
	s_sub_i32 s47, s31, 56
	s_sub_i32 s49, s33, 48
	s_waitcnt lgkmcnt(9)
	v_fma_f64 v[57:58], -v[95:96], v[57:58], v[164:165]
	s_waitcnt lgkmcnt(8)
	v_fma_f64 v[53:54], -v[113:114], v[53:54], v[13:14]
	;; [unrolled: 2-line block ×3, first 2 shown]
	v_dual_mov_b32 v1, s33 :: v_dual_mov_b32 v2, s36
	s_add_i32 s36, s33, -16
	s_add_i32 s39, s9, 0xffffe390
	v_mov_b32_e32 v154, s36
	s_lshl_b32 s36, s35, 3
	s_add_i32 s40, s9, 0xffffe188
	s_add_i32 s35, s36, -8
	s_sub_i32 s50, s36, 24
	s_sub_i32 s51, s36, 40
	s_add_i32 s41, s9, 0xffffdd78
	s_delay_alu instid0(SALU_CYCLE_1)
	v_mov_b32_e32 v204, s41
	s_add_i32 s41, s24, 0xffffffa0
	v_fma_f64 v[7:8], -v[117:118], v[7:8], v[3:4]
	v_mov_b32_e32 v3, s37
	ds_load_b64 v[49:50], v1
	ds_load_2addr_b64 v[11:14], v2 offset1:1
	ds_load_2addr_b64 v[1:4], v3 offset1:1
	v_fma_f64 v[71:72], -v[75:76], v[71:72], v[121:122]
	ds_load_2addr_b64 v[154:157], v154 offset1:1
	s_sub_i32 s37, s8, 31
	v_fma_f64 v[67:68], -v[81:82], v[67:68], v[73:74]
	v_fma_f64 v[63:64], -v[83:84], v[63:64], v[69:70]
	v_fma_f64 v[59:60], -v[85:86], v[59:60], v[65:66]
	v_fma_f64 v[119:120], -v[79:80], v[43:44], v[119:120]
	v_fma_f64 v[61:62], -v[95:96], v[9:10], v[61:62]
	v_fma_f64 v[65:66], -v[113:114], v[55:56], v[57:58]
	v_fma_f64 v[69:70], -v[115:116], v[51:52], v[53:54]
	v_fma_f64 v[73:74], -v[117:118], v[47:48], v[45:46]
	s_waitcnt lgkmcnt(3)
	v_fma_f64 v[111:112], -v[77:78], v[49:50], v[111:112]
	v_mov_b32_e32 v55, s42
	s_sub_i32 s42, s25, 64
	v_mul_f64 v[5:6], v[5:6], v[7:8]
	v_mov_b32_e32 v7, s35
	s_sub_i32 s35, s24, 32
	s_delay_alu instid0(SALU_CYCLE_1)
	v_mov_b32_e32 v43, s35
	s_sub_i32 s35, s21, 64
	ds_load_2addr_b64 v[7:10], v7 offset1:1
	v_mov_b32_e32 v47, s35
	v_fma_f64 v[41:42], -v[79:80], v[41:42], v[71:72]
	ds_load_2addr_b64 v[43:46], v43 offset1:1
	v_fma_f64 v[37:38], -v[83:84], v[37:38], v[67:68]
	v_fma_f64 v[33:34], -v[85:86], v[33:34], v[63:64]
	ds_load_2addr_b64 v[47:50], v47 offset1:1
	v_fma_f64 v[29:30], -v[95:96], v[29:30], v[59:60]
	s_lshl_b32 s35, s34, 3
	s_lshl_b32 s34, s30, 3
	;; [unrolled: 1-line block ×5, first 2 shown]
	v_fma_f64 v[25:26], -v[115:116], v[25:26], v[65:66]
	v_fma_f64 v[21:22], -v[117:118], v[21:22], v[69:70]
	s_add_i32 s19, s21, 0xffffffb0
	v_mov_b32_e32 v59, s35
	v_mov_b32_e32 v51, s19
	ds_load_2addr_b64 v[51:54], v51 offset1:1
	ds_load_2addr_b64 v[55:58], v55 offset1:1
	s_waitcnt lgkmcnt(4)
	v_fma_f64 v[9:10], -v[77:78], v[9:10], v[109:110]
	v_fma_f64 v[109:110], -v[75:76], v[156:157], v[111:112]
	s_waitcnt lgkmcnt(3)
	v_fma_f64 v[45:46], -v[81:82], v[45:46], v[119:120]
	s_waitcnt lgkmcnt(2)
	v_fma_f64 v[49:50], -v[113:114], v[49:50], v[61:62]
	ds_load_b64 v[63:64], v59
	s_add_i32 s53, s34, -8
	s_lshl_b32 s19, s15, 3
	s_add_i32 s15, s20, 0xffffffa8
	s_add_i32 s52, s35, -16
	v_fma_f64 v[17:18], -v[5:6], v[17:18], v[73:74]
	s_add_i32 s20, s22, 0xffffffb8
	v_dual_mov_b32 v66, s15 :: v_dual_mov_b32 v69, s42
	v_mov_b32_e32 v67, s20
	v_mov_b32_e32 v65, s38
	s_add_i32 s38, s22, 0xffffffa8
	s_sub_i32 s54, s34, 24
	v_fma_f64 v[164:165], -v[81:82], v[39:40], v[41:42]
	v_mov_b32_e32 v68, s38
	v_fma_f64 v[168:169], -v[85:86], v[35:36], v[37:38]
	v_fma_f64 v[170:171], -v[95:96], v[31:32], v[33:34]
	v_mov_b32_e32 v31, s44
	v_fma_f64 v[172:173], -v[113:114], v[27:28], v[29:30]
	v_dual_mov_b32 v27, s46 :: v_dual_mov_b32 v70, s43
	v_mov_b32_e32 v71, s45
	v_dual_mov_b32 v119, s49 :: v_dual_mov_b32 v158, s54
	v_fma_f64 v[176:177], -v[117:118], v[23:24], v[25:26]
	v_fma_f64 v[178:179], -v[5:6], v[19:20], v[21:22]
	v_mov_b32_e32 v19, s50
	v_mov_b32_e32 v23, s48
	s_add_i32 s42, s30, -16
	s_add_i32 s46, s26, -8
	s_add_i32 s20, s21, 0xffffffa0
	s_add_i32 s54, s23, -16
	s_add_i32 s55, s19, -8
	s_sub_i32 s50, s34, 40
	v_fma_f64 v[9:10], -v[75:76], v[7:8], v[9:10]
	v_fma_f64 v[162:163], -v[79:80], v[154:155], v[109:110]
	;; [unrolled: 1-line block ×4, first 2 shown]
	v_mov_b32_e32 v154, s51
	s_lshl_b32 s15, s12, 3
	s_lshl_b32 s12, s37, 6
	s_add_i32 s21, s22, 0xffffff98
	s_add_i32 s22, s25, 0xffffffa0
	v_mul_f64 v[7:8], v[15:16], v[17:18]
	v_mov_b32_e32 v15, s53
	s_addk_i32 s25, 0xff90
	s_add_i32 s37, s27, 0xffffffa8
	s_add_i32 s38, s27, 0xffffff98
	;; [unrolled: 1-line block ×3, first 2 shown]
	ds_load_2addr_b64 v[15:18], v15 offset1:1
	s_waitcnt lgkmcnt(1)
	v_fma_f64 v[111:112], -v[77:78], v[63:64], v[107:108]
	v_mov_b32_e32 v59, s52
	v_mov_b32_e32 v107, s47
	s_sub_i32 s52, s30, 32
	s_add_i32 s48, s33, 0xffffffb0
	s_add_i32 s49, s36, 0xffffffb8
	ds_load_2addr_b64 v[59:62], v59 offset1:1
	ds_load_2addr_b64 v[19:22], v19 offset1:1
	;; [unrolled: 1-line block ×16, first 2 shown]
	s_sub_i32 s51, s34, 56
	s_sub_i32 s53, s26, 40
	;; [unrolled: 1-line block ×3, first 2 shown]
	s_add_i32 s43, s24, 0xffffff90
	s_addk_i32 s27, 0xff88
	s_add_i32 s45, s31, 0xffffff98
	v_mov_b32_e32 v205, s27
	s_add_i32 s47, s31, 0xffffff88
	s_waitcnt lgkmcnt(16)
	v_fma_f64 v[17:18], -v[77:78], v[17:18], v[105:106]
	v_mov_b32_e32 v105, s42
	s_add_i32 s42, s31, 0xffffffb8
	v_dual_mov_b32 v206, s45 :: v_dual_mov_b32 v207, s47
	s_sub_i32 s45, s13, 56
	s_waitcnt lgkmcnt(14)
	v_fma_f64 v[9:10], -v[79:80], v[21:22], v[9:10]
	s_waitcnt lgkmcnt(13)
	v_fma_f64 v[21:22], -v[81:82], v[25:26], v[162:163]
	;; [unrolled: 2-line block ×3, first 2 shown]
	v_fma_f64 v[29:30], -v[85:86], v[57:58], v[166:167]
	s_waitcnt lgkmcnt(11)
	v_fma_f64 v[33:34], -v[95:96], v[33:34], v[168:169]
	s_waitcnt lgkmcnt(10)
	;; [unrolled: 2-line block ×3, first 2 shown]
	v_fma_f64 v[41:42], -v[115:116], v[41:42], v[172:173]
	v_fma_f64 v[53:54], -v[117:118], v[53:54], v[174:175]
	s_waitcnt lgkmcnt(8)
	v_fma_f64 v[45:46], -v[5:6], v[45:46], v[176:177]
	v_fma_f64 v[13:14], -v[7:8], v[13:14], v[178:179]
	v_mov_b32_e32 v57, s30
	ds_load_2addr_b64 v[162:165], v105 offset1:1
	v_mov_b32_e32 v170, s39
	v_fma_f64 v[61:62], -v[75:76], v[61:62], v[111:112]
	s_sub_i32 s39, s24, 64
	ds_load_b64 v[57:58], v57
	v_mov_b32_e32 v171, s40
	s_add_i32 s40, s24, 0xffffffb0
	v_mov_b32_e32 v172, s23
	s_addk_i32 s24, 0xff80
	s_add_i32 s27, s36, 0xffffff88
	s_waitcnt lgkmcnt(0)
	v_fma_f64 v[57:58], -v[77:78], v[57:58], v[103:104]
	v_fma_f64 v[103:104], -v[75:76], v[15:16], v[17:18]
	;; [unrolled: 1-line block ×10, first 2 shown]
	v_mov_b32_e32 v23, s20
	s_sub_i32 s20, s35, 48
	v_mov_b32_e32 v31, s40
	v_mov_b32_e32 v35, s20
	v_fma_f64 v[59:60], -v[79:80], v[59:60], v[61:62]
	v_fma_f64 v[61:62], -v[81:82], v[19:20], v[9:10]
	v_mul_f64 v[9:10], v[11:12], v[13:14]
	v_mov_b32_e32 v11, s46
	s_sub_i32 s46, s35, 32
	v_mov_b32_e32 v19, s39
	v_mov_b32_e32 v15, s46
	ds_load_2addr_b64 v[23:26], v23 offset1:1
	ds_load_2addr_b64 v[11:14], v11 offset1:1
	s_sub_i32 s40, s26, 24
	ds_load_2addr_b64 v[19:22], v19 offset1:1
	ds_load_2addr_b64 v[15:18], v15 offset1:1
	;; [unrolled: 1-line block ×5, first 2 shown]
	s_sub_i32 s46, s33, 64
	s_sub_i32 s39, s36, 56
	;; [unrolled: 1-line block ×3, first 2 shown]
	v_mov_b32_e32 v170, s56
	v_fma_f64 v[45:46], -v[75:76], v[164:165], v[57:58]
	v_fma_f64 v[51:52], -v[79:80], v[160:161], v[103:104]
	v_dual_mov_b32 v103, s38 :: v_dual_mov_b32 v104, s39
	v_fma_f64 v[57:58], -v[85:86], v[121:122], v[105:106]
	v_mov_b32_e32 v105, s50
	s_waitcnt lgkmcnt(5)
	v_fma_f64 v[13:14], -v[77:78], v[13:14], v[101:102]
	v_mov_b32_e32 v106, s52
	s_waitcnt lgkmcnt(4)
	v_fma_f64 v[21:22], -v[113:114], v[21:22], v[55:56]
	v_fma_f64 v[55:56], -v[115:116], v[73:74], v[166:167]
	;; [unrolled: 1-line block ×4, first 2 shown]
	v_mov_b32_e32 v39, s54
	v_mov_b32_e32 v73, s22
	v_dual_mov_b32 v101, s25 :: v_dual_mov_b32 v74, s42
	s_waitcnt lgkmcnt(3)
	v_fma_f64 v[17:18], -v[81:82], v[17:18], v[59:60]
	v_fma_f64 v[53:54], -v[83:84], v[156:157], v[61:62]
	;; [unrolled: 1-line block ×5, first 2 shown]
	ds_load_b64 v[49:50], v172
	ds_load_2addr_b64 v[39:42], v39 offset1:1
	v_dual_mov_b32 v110, s55 :: v_dual_mov_b32 v69, s21
	v_dual_mov_b32 v70, s37 :: v_dual_mov_b32 v109, s44
	;; [unrolled: 1-line block ×3, first 2 shown]
	v_mov_b32_e32 v156, s49
	v_mov_b32_e32 v160, s51
	;; [unrolled: 1-line block ×3, first 2 shown]
	s_sub_i32 s37, s35, 64
	s_sub_i32 s49, s23, 32
	s_add_i32 s51, s14, -16
	s_add_i32 s53, s13, -8
	s_add_i32 s38, s35, 0xffffffb0
	s_sub_i32 s50, s23, 48
	v_fma_f64 v[176:177], -v[79:80], v[162:163], v[45:46]
	v_fma_f64 v[178:179], -v[81:82], v[158:159], v[51:52]
	v_mov_b32_e32 v162, s20
	s_waitcnt lgkmcnt(1)
	v_fma_f64 v[111:112], -v[77:78], v[49:50], v[99:100]
	v_fma_f64 v[184:185], -v[95:96], v[119:120], v[57:58]
	s_add_i32 s20, s33, 0xffffffa0
	v_fma_f64 v[174:175], -v[75:76], v[11:12], v[13:14]
	s_add_i32 s21, s33, 0xffffff90
	v_fma_f64 v[188:189], -v[115:116], v[19:20], v[21:22]
	v_fma_f64 v[190:191], -v[117:118], v[71:72], v[55:56]
	;; [unrolled: 1-line block ×4, first 2 shown]
	v_mov_b32_e32 v21, s40
	s_add_i32 s22, s36, 0xffffffa8
	s_sub_i32 s52, s19, 40
	v_mov_b32_e32 v208, s20
	v_fma_f64 v[180:181], -v[83:84], v[15:16], v[17:18]
	v_fma_f64 v[182:183], -v[85:86], v[154:155], v[53:54]
	;; [unrolled: 1-line block ×4, first 2 shown]
	v_mul_f64 v[11:12], v[47:48], v[43:44]
	ds_load_2addr_b64 v[13:16], v110 offset1:1
	ds_load_2addr_b64 v[17:20], v105 offset1:1
	;; [unrolled: 1-line block ×20, first 2 shown]
	s_waitcnt lgkmcnt(19)
	v_fma_f64 v[15:16], -v[77:78], v[15:16], v[97:98]
	s_add_i32 s25, s36, 0xffffff98
	s_add_i32 s39, s34, 0xffffffb8
	s_add_i32 s40, s34, 0xffffffa8
	s_sub_i32 s42, s30, 64
	s_add_i32 s44, s30, 0xffffffb0
	s_sub_i32 s46, s26, 56
	s_add_i32 s48, s26, 0xffffffb8
	s_sub_i32 s54, s14, 32
	s_sub_i32 s55, s13, 40
	s_waitcnt lgkmcnt(16)
	v_fma_f64 v[45:46], -v[81:82], v[45:46], v[176:177]
	v_fma_f64 v[19:20], -v[83:84], v[19:20], v[178:179]
	;; [unrolled: 1-line block ×3, first 2 shown]
	s_waitcnt lgkmcnt(12)
	v_fma_f64 v[61:62], -v[113:114], v[61:62], v[184:185]
	ds_load_b64 v[111:112], v196
	v_fma_f64 v[97:98], -v[79:80], v[23:24], v[174:175]
	v_mov_b32_e32 v23, s51
	v_fma_f64 v[33:34], -v[117:118], v[33:34], v[188:189]
	s_waitcnt lgkmcnt(11)
	v_fma_f64 v[69:70], -v[5:6], v[69:70], v[190:191]
	v_fma_f64 v[49:50], -v[9:10], v[49:50], v[194:195]
	s_sub_i32 s51, s19, 56
	v_fma_f64 v[37:38], -v[85:86], v[37:38], v[180:181]
	v_fma_f64 v[57:58], -v[95:96], v[57:58], v[182:183]
	;; [unrolled: 1-line block ×3, first 2 shown]
	s_waitcnt lgkmcnt(10)
	v_fma_f64 v[73:74], -v[7:8], v[73:74], v[192:193]
	v_fma_f64 v[29:30], -v[11:12], v[29:30], v[25:26]
	v_mov_b32_e32 v182, s53
	ds_load_2addr_b64 v[23:26], v23 offset1:1
	s_sub_i32 s53, s14, 48
	s_waitcnt lgkmcnt(1)
	v_fma_f64 v[93:94], -v[77:78], v[111:112], v[93:94]
	v_fma_f64 v[111:112], -v[75:76], v[13:14], v[15:16]
	;; [unrolled: 1-line block ×4, first 2 shown]
	v_mov_b32_e32 v19, s49
	v_fma_f64 v[174:175], -v[79:80], v[39:40], v[41:42]
	ds_load_2addr_b64 v[15:18], v182 offset1:1
	v_mov_b32_e32 v39, s38
	v_fma_f64 v[97:98], -v[81:82], v[21:22], v[97:98]
	ds_load_2addr_b64 v[19:22], v19 offset1:1
	v_mov_b32_e32 v43, s50
	s_sub_i32 s49, s13, 24
	v_fma_f64 v[47:48], -v[11:12], v[47:48], v[49:50]
	v_mov_b32_e32 v49, s15
	s_add_i32 s38, s35, 0xffffff90
	v_fma_f64 v[180:181], -v[95:96], v[35:36], v[37:38]
	v_fma_f64 v[55:56], -v[113:114], v[55:56], v[57:58]
	;; [unrolled: 1-line block ×7, first 2 shown]
	v_mul_f64 v[13:14], v[27:28], v[29:30]
	v_mov_b32_e32 v27, s37
	v_mov_b32_e32 v31, s41
	s_waitcnt lgkmcnt(1)
	v_fma_f64 v[17:18], -v[77:78], v[17:18], v[91:92]
	v_fma_f64 v[25:26], -v[75:76], v[25:26], v[93:94]
	;; [unrolled: 1-line block ×3, first 2 shown]
	ds_load_2addr_b64 v[27:30], v27 offset1:1
	ds_load_2addr_b64 v[31:34], v31 offset1:1
	v_mov_b32_e32 v35, s43
	ds_load_2addr_b64 v[35:38], v35 offset1:1
	ds_load_2addr_b64 v[39:42], v39 offset1:1
	;; [unrolled: 1-line block ×3, first 2 shown]
	s_add_i32 s37, s15, -16
	v_fma_f64 v[71:72], -v[85:86], v[164:165], v[176:177]
	v_fma_f64 v[73:74], -v[95:96], v[160:161], v[178:179]
	s_add_i32 s41, s12, s8
	s_waitcnt lgkmcnt(5)
	v_fma_f64 v[21:22], -v[81:82], v[21:22], v[174:175]
	s_lshl_b32 s20, s41, 3
	v_mov_b32_e32 v91, s22
	v_fma_f64 v[69:70], -v[83:84], v[168:169], v[97:98]
	s_sub_i32 s22, s20, 24
	v_dual_mov_b32 v92, s39 :: v_dual_mov_b32 v97, s42
	v_mov_b32_e32 v98, s46
	v_mov_b32_e32 v164, s51
	;; [unrolled: 1-line block ×5, first 2 shown]
	s_add_i32 s22, s9, 0xffffd968
	s_waitcnt lgkmcnt(4)
	v_fma_f64 v[29:30], -v[113:114], v[29:30], v[180:181]
	v_fma_f64 v[55:56], -v[115:116], v[156:157], v[55:56]
	;; [unrolled: 1-line block ×4, first 2 shown]
	s_waitcnt lgkmcnt(3)
	v_fma_f64 v[33:34], -v[7:8], v[33:34], v[61:62]
	v_fma_f64 v[61:62], -v[9:10], v[105:106], v[63:64]
	;; [unrolled: 1-line block ×4, first 2 shown]
	ds_load_b64 v[65:66], v49
	v_mov_b32_e32 v47, s37
	v_fma_f64 v[178:179], -v[75:76], v[15:16], v[17:18]
	v_fma_f64 v[180:181], -v[79:80], v[23:24], v[25:26]
	;; [unrolled: 1-line block ×3, first 2 shown]
	v_mov_b32_e32 v101, s21
	ds_load_2addr_b64 v[47:50], v47 offset1:1
	v_mov_b32_e32 v102, s52
	s_add_i32 s21, s20, -8
	v_dual_mov_b32 v110, s49 :: v_dual_mov_b32 v105, s25
	v_mov_b32_e32 v109, s40
	v_dual_mov_b32 v121, s44 :: v_dual_mov_b32 v156, s48
	v_fma_f64 v[188:189], -v[95:96], v[162:163], v[71:72]
	v_fma_f64 v[190:191], -v[113:114], v[158:159], v[73:74]
	v_mov_b32_e32 v106, s54
	v_fma_f64 v[184:185], -v[83:84], v[19:20], v[21:22]
	v_mov_b32_e32 v160, s21
	s_sub_i32 s37, s15, 32
	s_waitcnt lgkmcnt(1)
	v_fma_f64 v[93:94], -v[77:78], v[65:66], v[89:90]
	v_fma_f64 v[186:187], -v[85:86], v[166:167], v[69:70]
	s_add_i32 s25, s33, 0xffffff70
	s_add_i32 s21, s9, 0xffffdb70
	s_sub_i32 s42, s15, 48
	s_sub_i32 s43, s14, 64
	s_add_i32 s39, s34, 0xffffff98
	s_add_i32 s40, s30, 0xffffffa0
	;; [unrolled: 1-line block ×4, first 2 shown]
	v_fma_f64 v[192:193], -v[115:116], v[27:28], v[29:30]
	v_fma_f64 v[194:195], -v[117:118], v[154:155], v[55:56]
	v_fma_f64 v[196:197], -v[5:6], v[119:120], v[57:58]
	v_fma_f64 v[198:199], -v[7:8], v[107:108], v[59:60]
	v_fma_f64 v[33:34], -v[9:10], v[31:32], v[33:34]
	v_fma_f64 v[200:201], -v[11:12], v[103:104], v[61:62]
	v_fma_f64 v[202:203], -v[13:14], v[99:100], v[63:64]
	v_mul_f64 v[15:16], v[51:52], v[53:54]
	ds_load_2addr_b64 v[17:20], v205 offset1:1
	ds_load_2addr_b64 v[21:24], v204 offset1:1
	;; [unrolled: 1-line block ×22, first 2 shown]
	s_add_i32 s46, s13, 0xffffffb8
	s_waitcnt lgkmcnt(18)
	v_fma_f64 v[31:32], -v[79:80], v[31:32], v[178:179]
	s_waitcnt lgkmcnt(17)
	v_fma_f64 v[53:54], -v[81:82], v[53:54], v[180:181]
	v_fma_f64 v[27:28], -v[83:84], v[27:28], v[182:183]
	v_mov_b32_e32 v181, s37
	s_sub_i32 s37, s23, 64
	v_mov_b32_e32 v180, s21
	s_add_i32 s21, s31, 0xffffff78
	s_add_i32 s31, s36, 0xffffff78
	s_waitcnt lgkmcnt(13)
	v_fma_f64 v[69:70], -v[113:114], v[69:70], v[188:189]
	s_waitcnt lgkmcnt(12)
	v_fma_f64 v[73:74], -v[115:116], v[73:74], v[190:191]
	v_fma_f64 v[45:46], -v[85:86], v[45:46], v[184:185]
	;; [unrolled: 1-line block ×5, first 2 shown]
	s_waitcnt lgkmcnt(11)
	v_fma_f64 v[91:92], -v[5:6], v[91:92], v[194:195]
	s_waitcnt lgkmcnt(10)
	v_fma_f64 v[93:94], -v[7:8], v[99:100], v[196:197]
	v_fma_f64 v[57:58], -v[9:10], v[57:58], v[198:199]
	;; [unrolled: 1-line block ×4, first 2 shown]
	s_waitcnt lgkmcnt(4)
	v_fma_f64 v[37:38], -v[77:78], v[160:161], v[87:88]
	v_fma_f64 v[3:4], -v[15:16], v[3:4], v[202:203]
	v_mov_b32_e32 v192, s22
	s_add_i32 s22, s33, 0xffffff80
	v_fma_f64 v[99:100], -v[81:82], v[29:30], v[31:32]
	v_fma_f64 v[53:54], -v[83:84], v[51:52], v[53:54]
	;; [unrolled: 1-line block ×3, first 2 shown]
	s_add_i32 s33, s35, 0xffffffa0
	v_mov_b32_e32 v25, s37
	v_mov_b32_e32 v29, s33
	s_add_i32 s37, s34, 0xffffff88
	s_add_i32 s33, s30, 0xffffff90
	ds_load_2addr_b64 v[25:28], v25 offset1:1
	ds_load_2addr_b64 v[29:32], v29 offset1:1
	v_fma_f64 v[178:179], -v[95:96], v[43:44], v[45:46]
	v_fma_f64 v[87:88], -v[79:80], v[47:48], v[49:50]
	;; [unrolled: 1-line block ×5, first 2 shown]
	v_mov_b32_e32 v49, s42
	s_add_i32 s42, s19, 0xffffffa8
	v_fma_f64 v[69:70], -v[5:6], v[39:40], v[41:42]
	v_fma_f64 v[71:72], -v[7:8], v[89:90], v[91:92]
	;; [unrolled: 1-line block ×6, first 2 shown]
	v_mov_b32_e32 v33, s24
	v_mul_f64 v[1:2], v[1:2], v[3:4]
	v_fma_f64 v[3:4], -v[75:76], v[158:159], v[37:38]
	ds_load_2addr_b64 v[17:20], v181 offset1:1
	s_add_i32 s24, s23, 0xffffffb0
	ds_load_2addr_b64 v[33:36], v33 offset1:1
	s_waitcnt lgkmcnt(6)
	v_fma_f64 v[53:54], -v[85:86], v[168:169], v[53:54]
	v_fma_f64 v[91:92], -v[95:96], v[164:165], v[160:161]
	v_mov_b32_e32 v41, s38
	v_mov_b32_e32 v45, s24
	ds_load_2addr_b64 v[37:40], v180 offset1:1
	ds_load_2addr_b64 v[41:44], v41 offset1:1
	;; [unrolled: 1-line block ×4, first 2 shown]
	s_add_i32 s38, s19, 0xffffffb8
	s_add_i32 s24, s26, 0xffffff98
	v_dual_mov_b32 v93, s27 :: v_dual_mov_b32 v94, s31
	v_dual_mov_b32 v97, s37 :: v_dual_mov_b32 v98, s40
	s_waitcnt lgkmcnt(7)
	v_fma_f64 v[27:28], -v[113:114], v[27:28], v[178:179]
	v_mov_b32_e32 v158, s46
	s_add_i32 s31, s26, 0xffffff88
	s_add_i32 s40, s13, 0xffffffa8
	s_waitcnt lgkmcnt(5)
	v_fma_f64 v[19:20], -v[81:82], v[19:20], v[87:88]
	v_fma_f64 v[87:88], -v[83:84], v[172:173], v[99:100]
	;; [unrolled: 1-line block ×5, first 2 shown]
	v_dual_mov_b32 v100, s38 :: v_dual_mov_b32 v99, s41
	v_mov_b32_e32 v111, s24
	v_mov_b32_e32 v121, s42
	v_fma_f64 v[31:32], -v[7:8], v[31:32], v[69:70]
	v_fma_f64 v[69:70], -v[9:10], v[107:108], v[71:72]
	v_fma_f64 v[71:72], -v[11:12], v[103:104], v[73:74]
	v_fma_f64 v[55:56], -v[13:14], v[61:62], v[55:56]
	s_waitcnt lgkmcnt(4)
	v_fma_f64 v[35:36], -v[15:16], v[35:36], v[57:58]
	v_dual_mov_b32 v104, s45 :: v_dual_mov_b32 v61, s21
	v_fma_f64 v[23:24], -v[1:2], v[23:24], v[89:90]
	v_fma_f64 v[57:58], -v[79:80], v[176:177], v[3:4]
	v_mov_b32_e32 v89, s22
	v_mov_b32_e32 v103, s43
	s_sub_i32 s21, s20, 40
	v_fma_f64 v[166:167], -v[95:96], v[166:167], v[53:54]
	s_sub_i32 s22, s20, 56
	v_mov_b32_e32 v90, s25
	v_dual_mov_b32 v62, s39 :: v_dual_mov_b32 v107, s33
	v_mov_b32_e32 v156, s44
	s_add_i32 s24, s23, 0xffffff90
	s_add_i32 s25, s15, 0xffffffb0
	;; [unrolled: 1-line block ×7, first 2 shown]
	v_fma_f64 v[172:173], -v[115:116], v[25:26], v[27:28]
	s_add_i32 s41, s13, 0xffffff98
	v_fma_f64 v[73:74], -v[83:84], v[17:18], v[19:20]
	v_fma_f64 v[168:169], -v[85:86], v[170:171], v[87:88]
	v_fma_f64 v[170:171], -v[113:114], v[162:163], v[91:92]
	v_fma_f64 v[176:177], -v[117:118], v[154:155], v[63:64]
	v_fma_f64 v[178:179], -v[5:6], v[119:120], v[65:66]
	v_fma_f64 v[180:181], -v[7:8], v[109:110], v[67:68]
	v_mov_b32_e32 v162, s22
	s_add_i32 s22, s35, 0xffffff70
	v_fma_f64 v[182:183], -v[9:10], v[29:30], v[31:32]
	v_fma_f64 v[184:185], -v[11:12], v[105:106], v[69:70]
	;; [unrolled: 1-line block ×5, first 2 shown]
	v_mov_b32_e32 v101, s21
	s_sub_i32 s21, s15, 64
	v_mul_f64 v[3:4], v[21:22], v[23:24]
	v_fma_f64 v[174:175], -v[81:82], v[174:175], v[57:58]
	ds_load_2addr_b64 v[17:20], v100 offset1:1
	ds_load_2addr_b64 v[21:24], v104 offset1:1
	;; [unrolled: 1-line block ×20, first 2 shown]
	s_waitcnt lgkmcnt(17)
	v_fma_f64 v[27:28], -v[113:114], v[27:28], v[166:167]
	v_fma_f64 v[47:48], -v[117:118], v[47:48], v[172:173]
	;; [unrolled: 1-line block ×5, first 2 shown]
	s_waitcnt lgkmcnt(14)
	v_fma_f64 v[55:56], -v[5:6], v[55:56], v[176:177]
	s_waitcnt lgkmcnt(13)
	v_fma_f64 v[59:60], -v[7:8], v[59:60], v[178:179]
	;; [unrolled: 2-line block ×3, first 2 shown]
	v_fma_f64 v[43:44], -v[11:12], v[43:44], v[182:183]
	s_waitcnt lgkmcnt(11)
	v_fma_f64 v[67:68], -v[13:14], v[67:68], v[184:185]
	s_waitcnt lgkmcnt(10)
	v_fma_f64 v[71:72], -v[15:16], v[71:72], v[186:187]
	v_fma_f64 v[31:32], -v[1:2], v[31:32], v[188:189]
	v_fma_f64 v[39:40], -v[3:4], v[39:40], v[190:191]
	s_waitcnt lgkmcnt(6)
	v_fma_f64 v[73:74], -v[83:84], v[103:104], v[174:175]
	v_fma_f64 v[103:104], -v[115:116], v[25:26], v[27:28]
	;; [unrolled: 1-line block ×3, first 2 shown]
	v_mov_b32_e32 v45, s25
	s_add_i32 s25, s30, 0xffffff80
	v_fma_f64 v[49:50], -v[95:96], v[49:50], v[51:52]
	v_fma_f64 v[51:52], -v[113:114], v[21:22], v[23:24]
	;; [unrolled: 1-line block ×6, first 2 shown]
	v_mov_b32_e32 v19, s21
	s_add_i32 s21, s23, 0xffffffa0
	v_fma_f64 v[59:60], -v[13:14], v[41:42], v[43:44]
	v_fma_f64 v[61:62], -v[15:16], v[65:66], v[67:68]
	;; [unrolled: 1-line block ×4, first 2 shown]
	v_mov_b32_e32 v23, s21
	s_add_i32 s21, s35, 0xffffff80
	ds_load_2addr_b64 v[19:22], v19 offset1:1
	v_mul_f64 v[17:18], v[37:38], v[39:40]
	v_fma_f64 v[65:66], -v[85:86], v[101:102], v[73:74]
	ds_load_2addr_b64 v[23:26], v23 offset1:1
	v_mov_b32_e32 v27, s21
	s_add_i32 s21, s9, 0xffffd760
	v_mov_b32_e32 v37, s22
	v_mov_b32_e32 v69, s21
	;; [unrolled: 1-line block ×3, first 2 shown]
	ds_load_2addr_b64 v[27:30], v27 offset1:1
	s_add_i32 s21, s9, 0xffffd558
	s_add_i32 s22, s36, 0xffffff68
	ds_load_2addr_b64 v[37:40], v37 offset1:1
	ds_load_2addr_b64 v[41:44], v41 offset1:1
	;; [unrolled: 1-line block ×3, first 2 shown]
	s_add_i32 s36, s19, 0xffffff98
	v_mov_b32_e32 v70, s22
	v_mov_b32_e32 v72, s25
	s_add_i32 s24, s34, 0xffffff68
	v_mov_b32_e32 v101, s37
	s_add_i32 s22, s15, 0xffffff90
	s_add_i32 s25, s26, 0xffffff68
	s_waitcnt lgkmcnt(5)
	v_fma_f64 v[21:22], -v[113:114], v[21:22], v[49:50]
	v_fma_f64 v[49:50], -v[115:116], v[160:161], v[51:52]
	;; [unrolled: 1-line block ×4, first 2 shown]
	s_waitcnt lgkmcnt(4)
	v_fma_f64 v[25:26], -v[7:8], v[25:26], v[168:169]
	v_fma_f64 v[53:54], -v[9:10], v[111:112], v[53:54]
	v_fma_f64 v[55:56], -v[11:12], v[107:108], v[55:56]
	v_fma_f64 v[57:58], -v[13:14], v[99:100], v[57:58]
	v_mov_b32_e32 v99, s33
	s_waitcnt lgkmcnt(3)
	v_fma_f64 v[59:60], -v[15:16], v[29:30], v[59:60]
	v_fma_f64 v[61:62], -v[1:2], v[93:94], v[61:62]
	;; [unrolled: 1-line block ×3, first 2 shown]
	v_dual_mov_b32 v90, s31 :: v_dual_mov_b32 v89, s24
	v_mov_b32_e32 v93, s27
	s_add_i32 s33, s14, 0xffffff80
	v_fma_f64 v[35:36], -v[17:18], v[35:36], v[31:32]
	v_fma_f64 v[65:66], -v[95:96], v[164:165], v[65:66]
	ds_load_2addr_b64 v[29:32], v69 offset1:1
	v_mov_b32_e32 v69, s21
	s_add_i32 s21, s34, 0xffffff78
	s_add_i32 s24, s30, 0xffffff50
	v_mov_b32_e32 v71, s21
	s_add_i32 s21, s20, 0xffffffb8
	s_add_i32 s27, s26, 0xffffff58
	;; [unrolled: 1-line block ×3, first 2 shown]
	v_fma_f64 v[73:74], -v[115:116], v[19:20], v[21:22]
	v_fma_f64 v[156:157], -v[117:118], v[158:159], v[49:50]
	v_fma_f64 v[154:155], -v[5:6], v[154:155], v[51:52]
	v_fma_f64 v[158:159], -v[7:8], v[119:120], v[67:68]
	v_fma_f64 v[160:161], -v[9:10], v[23:24], v[25:26]
	v_fma_f64 v[164:165], -v[11:12], v[109:110], v[53:54]
	v_fma_f64 v[166:167], -v[13:14], v[105:106], v[55:56]
	v_fma_f64 v[168:169], -v[15:16], v[97:98], v[57:58]
	v_mov_b32_e32 v19, s40
	v_fma_f64 v[27:28], -v[1:2], v[27:28], v[59:60]
	v_fma_f64 v[170:171], -v[3:4], v[91:92], v[61:62]
	;; [unrolled: 1-line block ×3, first 2 shown]
	v_mov_b32_e32 v23, s38
	v_mov_b32_e32 v105, s39
	;; [unrolled: 1-line block ×3, first 2 shown]
	v_mul_f64 v[174:175], v[33:34], v[35:36]
	v_fma_f64 v[162:163], -v[113:114], v[162:163], v[65:66]
	v_mov_b32_e32 v33, s36
	ds_load_2addr_b64 v[19:22], v19 offset1:1
	ds_load_2addr_b64 v[23:26], v23 offset1:1
	;; [unrolled: 1-line block ×7, first 2 shown]
	v_mov_b32_e32 v65, s21
	s_add_i32 s21, s20, 0xffffffa8
	s_add_i32 s36, s13, 0xffffff78
	v_mov_b32_e32 v119, s21
	ds_load_2addr_b64 v[65:68], v65 offset1:1
	ds_load_2addr_b64 v[69:72], v69 offset1:1
	;; [unrolled: 1-line block ×9, first 2 shown]
	s_add_i32 s21, s15, 0xffffffa0
	s_waitcnt lgkmcnt(17)
	v_fma_f64 v[47:48], -v[117:118], v[47:48], v[73:74]
	s_waitcnt lgkmcnt(15)
	v_fma_f64 v[21:22], -v[5:6], v[21:22], v[156:157]
	;; [unrolled: 2-line block ×4, first 2 shown]
	v_fma_f64 v[43:44], -v[11:12], v[43:44], v[160:161]
	s_waitcnt lgkmcnt(12)
	v_fma_f64 v[51:52], -v[13:14], v[51:52], v[164:165]
	s_waitcnt lgkmcnt(11)
	;; [unrolled: 2-line block ×3, first 2 shown]
	v_fma_f64 v[59:60], -v[1:2], v[59:60], v[168:169]
	v_fma_f64 v[27:28], -v[3:4], v[39:40], v[27:28]
	s_waitcnt lgkmcnt(9)
	v_fma_f64 v[39:40], -v[17:18], v[63:64], v[170:171]
	v_fma_f64 v[31:32], -v[174:175], v[31:32], v[172:173]
	s_waitcnt lgkmcnt(8)
	v_fma_f64 v[63:64], -v[115:116], v[67:68], v[162:163]
	v_fma_f64 v[45:46], -v[5:6], v[45:46], v[47:48]
	;; [unrolled: 1-line block ×9, first 2 shown]
	v_mov_b32_e32 v19, s21
	v_fma_f64 v[55:56], -v[17:18], v[37:38], v[27:28]
	v_fma_f64 v[57:58], -v[174:175], v[61:62], v[39:40]
	s_add_i32 s21, s23, 0xffffff80
	v_mov_b32_e32 v39, s22
	v_mov_b32_e32 v23, s21
	s_add_i32 s21, s35, 0xffffff60
	ds_load_2addr_b64 v[19:22], v19 offset1:1
	v_mul_f64 v[154:155], v[29:30], v[31:32]
	v_fma_f64 v[59:60], -v[117:118], v[65:66], v[63:64]
	ds_load_2addr_b64 v[23:26], v23 offset1:1
	v_mov_b32_e32 v27, s21
	s_add_i32 s21, s9, 0xffffd350
	s_add_i32 s35, s13, 0xffffff88
	v_mov_b32_e32 v31, s21
	s_add_i32 s21, s23, 0xffffff70
	ds_load_2addr_b64 v[27:30], v27 offset1:1
	v_mov_b32_e32 v35, s21
	s_add_i32 s21, s9, 0xffffd148
	s_add_i32 s22, s34, 0xffffff58
	ds_load_2addr_b64 v[31:34], v31 offset1:1
	ds_load_2addr_b64 v[35:38], v35 offset1:1
	;; [unrolled: 1-line block ×3, first 2 shown]
	v_mov_b32_e32 v63, s24
	s_add_i32 s34, s14, 0xffffff70
	s_add_i32 s24, s19, 0xffffff58
	s_waitcnt lgkmcnt(5)
	v_fma_f64 v[21:22], -v[7:8], v[21:22], v[45:46]
	v_fma_f64 v[45:46], -v[9:10], v[111:112], v[47:48]
	;; [unrolled: 1-line block ×4, first 2 shown]
	s_waitcnt lgkmcnt(4)
	v_fma_f64 v[25:26], -v[15:16], v[25:26], v[43:44]
	v_fma_f64 v[43:44], -v[1:2], v[99:100], v[49:50]
	;; [unrolled: 1-line block ×4, first 2 shown]
	v_mov_b32_e32 v67, s27
	s_waitcnt lgkmcnt(3)
	v_fma_f64 v[29:30], -v[174:175], v[29:30], v[55:56]
	v_fma_f64 v[53:54], -v[154:155], v[71:72], v[57:58]
	;; [unrolled: 1-line block ×3, first 2 shown]
	v_mov_b32_e32 v59, s21
	s_add_i32 s21, s30, 0xffffff60
	s_add_i32 s30, s19, 0xffffff78
	v_mov_b32_e32 v57, s22
	v_mov_b32_e32 v71, s31
	s_add_i32 s22, s15, 0xffffff70
	v_fma_f64 v[103:104], -v[9:10], v[19:20], v[21:22]
	v_fma_f64 v[107:108], -v[11:12], v[109:110], v[45:46]
	v_fma_f64 v[105:106], -v[13:14], v[105:106], v[47:48]
	v_fma_f64 v[101:102], -v[15:16], v[101:102], v[61:62]
	v_fma_f64 v[109:110], -v[1:2], v[23:24], v[25:26]
	v_fma_f64 v[111:112], -v[3:4], v[97:98], v[43:44]
	v_fma_f64 v[121:122], -v[17:18], v[91:92], v[49:50]
	v_fma_f64 v[156:157], -v[174:175], v[87:88], v[51:52]
	v_mov_b32_e32 v47, s21
	v_fma_f64 v[158:159], -v[154:155], v[27:28], v[29:30]
	s_add_i32 s21, s20, 0xffffff98
	v_mov_b32_e32 v43, s25
	v_mov_b32_e32 v19, s35
	;; [unrolled: 1-line block ×4, first 2 shown]
	ds_load_2addr_b64 v[19:22], v19 offset1:1
	ds_load_2addr_b64 v[23:26], v23 offset1:1
	;; [unrolled: 1-line block ×3, first 2 shown]
	v_mul_f64 v[160:161], v[69:70], v[53:54]
	v_fma_f64 v[119:120], -v[7:8], v[119:120], v[55:56]
	v_mov_b32_e32 v55, s21
	ds_load_2addr_b64 v[43:46], v43 offset1:1
	ds_load_2addr_b64 v[47:50], v47 offset1:1
	;; [unrolled: 1-line block ×3, first 2 shown]
	s_add_i32 s21, s20, 0xffffff88
	v_mov_b32_e32 v87, s34
	v_mov_b32_e32 v97, s21
	ds_load_2addr_b64 v[55:58], v55 offset1:1
	s_add_i32 s21, s15, 0xffffff80
	v_mov_b32_e32 v91, s36
	ds_load_2addr_b64 v[59:62], v59 offset1:1
	ds_load_2addr_b64 v[63:66], v63 offset1:1
	;; [unrolled: 1-line block ×7, first 2 shown]
	s_add_i32 s25, s14, 0xffffff60
	s_waitcnt lgkmcnt(14)
	v_fma_f64 v[41:42], -v[11:12], v[41:42], v[103:104]
	s_waitcnt lgkmcnt(13)
	v_fma_f64 v[21:22], -v[13:14], v[21:22], v[107:108]
	;; [unrolled: 2-line block ×4, first 2 shown]
	v_fma_f64 v[37:38], -v[3:4], v[37:38], v[109:110]
	s_waitcnt lgkmcnt(10)
	v_fma_f64 v[45:46], -v[17:18], v[45:46], v[111:112]
	s_waitcnt lgkmcnt(9)
	;; [unrolled: 2-line block ×3, first 2 shown]
	v_fma_f64 v[53:54], -v[154:155], v[53:54], v[156:157]
	v_fma_f64 v[33:34], -v[160:161], v[33:34], v[158:159]
	s_waitcnt lgkmcnt(7)
	v_fma_f64 v[57:58], -v[9:10], v[57:58], v[119:120]
	v_fma_f64 v[39:40], -v[13:14], v[39:40], v[41:42]
	;; [unrolled: 1-line block ×9, first 2 shown]
	v_mov_b32_e32 v19, s21
	s_add_i32 s21, s23, 0xffffff60
	s_delay_alu instid0(SALU_CYCLE_1)
	v_mov_b32_e32 v23, s21
	ds_load_2addr_b64 v[19:22], v19 offset1:1
	ds_load_2addr_b64 v[23:26], v23 offset1:1
	s_add_i32 s21, s23, 0xffffff50
	v_mul_f64 v[105:106], v[31:32], v[33:34]
	v_fma_f64 v[47:48], -v[11:12], v[55:56], v[57:58]
	v_mov_b32_e32 v27, s21
	v_mov_b32_e32 v31, s22
	s_add_i32 s21, s9, 0xffffcf40
	s_add_i32 s22, s26, 0xffffff48
	s_add_i32 s26, s13, 0xffffff68
	ds_load_2addr_b64 v[27:30], v27 offset1:1
	ds_load_2addr_b64 v[31:34], v31 offset1:1
	s_waitcnt lgkmcnt(3)
	v_fma_f64 v[21:22], -v[15:16], v[21:22], v[39:40]
	v_fma_f64 v[39:40], -v[1:2], v[93:94], v[41:42]
	;; [unrolled: 1-line block ×4, first 2 shown]
	s_waitcnt lgkmcnt(2)
	v_fma_f64 v[25:26], -v[174:175], v[25:26], v[35:36]
	v_fma_f64 v[51:52], -v[154:155], v[69:70], v[37:38]
	;; [unrolled: 1-line block ×3, first 2 shown]
	v_mov_b32_e32 v35, s21
	s_add_i32 s21, s9, 0xffffcd38
	ds_load_2addr_b64 v[35:38], v35 offset1:1
	v_fma_f64 v[45:46], -v[105:106], v[61:62], v[45:46]
	v_fma_f64 v[47:48], -v[13:14], v[99:100], v[47:48]
	;; [unrolled: 1-line block ×9, first 2 shown]
	v_mov_b32_e32 v39, s24
	s_add_i32 s24, s20, 0xffffff78
	v_mov_b32_e32 v19, s26
	v_mov_b32_e32 v43, s22
	;; [unrolled: 1-line block ×3, first 2 shown]
	ds_load_2addr_b64 v[19:22], v19 offset1:1
	ds_load_2addr_b64 v[23:26], v23 offset1:1
	;; [unrolled: 1-line block ×3, first 2 shown]
	v_mov_b32_e32 v51, s21
	s_add_i32 s21, s19, 0xffffff48
	v_mul_f64 v[101:102], v[59:60], v[45:46]
	v_fma_f64 v[97:98], -v[15:16], v[97:98], v[47:48]
	v_mov_b32_e32 v47, s24
	ds_load_2addr_b64 v[43:46], v43 offset1:1
	v_mov_b32_e32 v55, s21
	s_add_i32 s21, s20, 0xffffff68
	s_add_i32 s22, s14, 0xffffff50
	ds_load_2addr_b64 v[47:50], v47 offset1:1
	v_mov_b32_e32 v67, s21
	s_add_i32 s21, s15, 0xffffff60
	s_add_i32 s24, s13, 0xffffff58
	v_mov_b32_e32 v59, s22
	v_mov_b32_e32 v63, s24
	ds_load_2addr_b64 v[51:54], v51 offset1:1
	ds_load_2addr_b64 v[55:58], v55 offset1:1
	;; [unrolled: 1-line block ×5, first 2 shown]
	s_add_i32 s22, s15, 0xffffff50
	s_addk_i32 s19, 0xff38
	s_waitcnt lgkmcnt(11)
	v_fma_f64 v[33:34], -v[3:4], v[33:34], v[73:74]
	s_waitcnt lgkmcnt(9)
	v_fma_f64 v[21:22], -v[17:18], v[21:22], v[89:90]
	;; [unrolled: 2-line block ×4, first 2 shown]
	v_fma_f64 v[29:30], -v[160:161], v[29:30], v[91:92]
	s_waitcnt lgkmcnt(6)
	v_fma_f64 v[45:46], -v[105:106], v[45:46], v[93:94]
	v_fma_f64 v[37:38], -v[101:102], v[37:38], v[99:100]
	s_waitcnt lgkmcnt(5)
	v_fma_f64 v[49:50], -v[1:2], v[49:50], v[97:98]
	v_fma_f64 v[71:72], -v[17:18], v[31:32], v[33:34]
	;; [unrolled: 1-line block ×7, first 2 shown]
	v_mov_b32_e32 v19, s21
	s_add_i32 s21, s23, 0xffffff40
	v_mov_b32_e32 v31, s22
	v_mov_b32_e32 v23, s21
	ds_load_2addr_b64 v[19:22], v19 offset1:1
	ds_load_2addr_b64 v[23:26], v23 offset1:1
	s_add_i32 s21, s9, 0xffffcb30
	s_add_i32 s22, s13, 0xffffff48
	v_mov_b32_e32 v27, s21
	s_add_i32 s21, s14, 0xffffff40
	v_mul_f64 v[89:90], v[35:36], v[37:38]
	v_fma_f64 v[35:36], -v[3:4], v[47:48], v[49:50]
	ds_load_2addr_b64 v[27:30], v27 offset1:1
	ds_load_2addr_b64 v[31:34], v31 offset1:1
	s_addk_i32 s14, 0xff30
	s_delay_alu instid0(SALU_CYCLE_1)
	v_mov_b32_e32 v47, s14
	s_add_i32 s14, s20, 0xffffff48
	s_waitcnt lgkmcnt(3)
	v_fma_f64 v[21:22], -v[174:175], v[21:22], v[71:72]
	v_fma_f64 v[37:38], -v[154:155], v[65:66], v[73:74]
	;; [unrolled: 1-line block ×4, first 2 shown]
	s_waitcnt lgkmcnt(2)
	v_fma_f64 v[25:26], -v[101:102], v[25:26], v[41:42]
	v_fma_f64 v[41:42], -v[89:90], v[53:54], v[43:44]
	;; [unrolled: 1-line block ×8, first 2 shown]
	v_mov_b32_e32 v19, s22
	v_mov_b32_e32 v23, s21
	;; [unrolled: 1-line block ×3, first 2 shown]
	s_add_i32 s14, s15, 0xffffff40
	v_mul_f64 v[71:72], v[51:52], v[41:42]
	v_fma_f64 v[67:68], -v[174:175], v[67:68], v[35:36]
	v_mov_b32_e32 v35, s19
	s_add_i32 s19, s20, 0xffffff58
	s_delay_alu instid0(SALU_CYCLE_1)
	v_mov_b32_e32 v39, s19
	ds_load_2addr_b64 v[19:22], v19 offset1:1
	ds_load_2addr_b64 v[23:26], v23 offset1:1
	;; [unrolled: 1-line block ×4, first 2 shown]
	s_add_i32 s19, s9, 0xffffc928
	s_delay_alu instid0(SALU_CYCLE_1)
	v_mov_b32_e32 v43, s19
	s_add_i32 s19, s13, 0xffffff38
	s_addk_i32 s13, 0xff28
	v_mov_b32_e32 v51, s19
	ds_load_2addr_b64 v[43:46], v43 offset1:1
	ds_load_2addr_b64 v[47:50], v47 offset1:1
	;; [unrolled: 1-line block ×4, first 2 shown]
	s_waitcnt lgkmcnt(8)
	v_fma_f64 v[33:34], -v[160:161], v[33:34], v[61:62]
	s_waitcnt lgkmcnt(7)
	v_fma_f64 v[21:22], -v[105:106], v[21:22], v[63:64]
	s_waitcnt lgkmcnt(6)
	v_fma_f64 v[25:26], -v[101:102], v[25:26], v[59:60]
	s_waitcnt lgkmcnt(5)
	v_fma_f64 v[37:38], -v[89:90], v[37:38], v[65:66]
	v_fma_f64 v[29:30], -v[71:72], v[29:30], v[69:70]
	s_waitcnt lgkmcnt(4)
	v_fma_f64 v[41:42], -v[154:155], v[41:42], v[67:68]
	v_fma_f64 v[31:32], -v[105:106], v[31:32], v[33:34]
	;; [unrolled: 1-line block ×5, first 2 shown]
	v_mov_b32_e32 v19, s14
	s_add_i32 s14, s15, 0xffffff30
	s_delay_alu instid0(SALU_CYCLE_1)
	v_mov_b32_e32 v23, s14
	s_add_i32 s14, s9, 0xffffc720
	ds_load_2addr_b64 v[19:22], v19 offset1:1
	ds_load_2addr_b64 v[23:26], v23 offset1:1
	v_mul_f64 v[61:62], v[27:28], v[29:30]
	v_fma_f64 v[27:28], -v[160:161], v[39:40], v[41:42]
	s_waitcnt lgkmcnt(1)
	v_fma_f64 v[21:22], -v[101:102], v[21:22], v[31:32]
	v_fma_f64 v[29:30], -v[89:90], v[53:54], v[33:34]
	;; [unrolled: 1-line block ×6, first 2 shown]
	v_mov_b32_e32 v19, s13
	s_add_i32 s13, s20, 0xffffff38
	v_fma_f64 v[49:50], -v[71:72], v[51:52], v[29:30]
	v_fma_f64 v[47:48], -v[61:62], v[47:48], v[31:32]
	v_mov_b32_e32 v31, s13
	s_add_i32 s13, s9, 0xffffc518
	s_delay_alu instid0(SALU_CYCLE_1)
	v_mov_b32_e32 v35, s13
	s_add_i32 s13, s15, 0xffffff20
	v_mul_f64 v[43:44], v[43:44], v[33:34]
	v_fma_f64 v[51:52], -v[101:102], v[55:56], v[27:28]
	v_mov_b32_e32 v27, s14
	ds_load_2addr_b64 v[19:22], v19 offset1:1
	ds_load_2addr_b64 v[27:30], v27 offset1:1
	;; [unrolled: 1-line block ×3, first 2 shown]
	s_add_i32 s14, s20, 0xffffff28
	s_delay_alu instid0(SALU_CYCLE_1)
	v_mov_b32_e32 v39, s14
	ds_load_2addr_b64 v[35:38], v35 offset1:1
	ds_load_2addr_b64 v[39:42], v39 offset1:1
	ds_store_b64 v153, v[77:78]
	s_waitcnt lgkmcnt(6)
	v_fma_f64 v[25:26], -v[71:72], v[25:26], v[45:46]
	s_waitcnt lgkmcnt(5)
	v_fma_f64 v[21:22], -v[61:62], v[21:22], v[49:50]
	;; [unrolled: 2-line block ×4, first 2 shown]
	s_delay_alu instid0(VALU_DEP_4) | instskip(NEXT) | instid1(VALU_DEP_4)
	v_fma_f64 v[45:46], -v[61:62], v[23:24], v[25:26]
	v_fma_f64 v[47:48], -v[43:44], v[19:20], v[21:22]
	v_mov_b32_e32 v19, s13
	s_add_i32 s13, s9, 0xffffc310
	s_addk_i32 s9, 0xc108
	v_mov_b32_e32 v23, s13
	s_add_i32 s13, s20, 0xffffff18
	ds_load_2addr_b64 v[19:22], v19 offset1:1
	ds_load_2addr_b64 v[23:26], v23 offset1:1
	v_mul_f64 v[49:50], v[27:28], v[29:30]
	v_fma_f64 v[27:28], -v[71:72], v[31:32], v[33:34]
	s_waitcnt lgkmcnt(1)
	v_fma_f64 v[21:22], -v[43:44], v[21:22], v[45:46]
	s_delay_alu instid0(VALU_DEP_3) | instskip(NEXT) | instid1(VALU_DEP_3)
	v_fma_f64 v[29:30], -v[49:50], v[37:38], v[47:48]
	v_fma_f64 v[27:28], -v[61:62], v[41:42], v[27:28]
	s_delay_alu instid0(VALU_DEP_3)
	v_fma_f64 v[31:32], -v[49:50], v[19:20], v[21:22]
	v_mov_b32_e32 v19, s13
	ds_load_2addr_b64 v[19:22], v19 offset1:1
	v_mul_f64 v[33:34], v[35:36], v[29:30]
	v_fma_f64 v[35:36], -v[43:44], v[39:40], v[27:28]
	v_mov_b32_e32 v27, s9
	s_lshl_b32 s9, s8, 9
	s_delay_alu instid0(SALU_CYCLE_1)
	s_addk_i32 s9, 0xfe00
	ds_load_2addr_b64 v[27:30], v27 offset1:1
	ds_store_b64 v124, v[79:80] offset:32768
	ds_store_b64 v125, v[81:82] offset:32768
	;; [unrolled: 1-line block ×24, first 2 shown]
	v_or_b32_e32 v1, s12, v0
	s_delay_alu instid0(VALU_DEP_1) | instskip(SKIP_4) | instid1(VALU_DEP_2)
	v_lshlrev_b32_e32 v1, 3, v1
	s_waitcnt lgkmcnt(26)
	v_fma_f64 v[25:26], -v[33:34], v[25:26], v[31:32]
	s_waitcnt lgkmcnt(25)
	v_fma_f64 v[21:22], -v[49:50], v[21:22], v[35:36]
	v_mul_f64 v[23:24], v[23:24], v[25:26]
	s_delay_alu instid0(VALU_DEP_2)
	v_fma_f64 v[19:20], -v[33:34], v[19:20], v[21:22]
	v_lshl_or_b32 v21, v0, 3, s9
	s_sub_i32 s9, s8, 32
	s_cmp_gt_i32 s8, 62
	ds_store_b64 v148, v[61:62] offset:32768
	ds_store_b64 v149, v[43:44] offset:32768
	;; [unrolled: 1-line block ×5, first 2 shown]
	s_waitcnt lgkmcnt(29)
	v_fma_f64 v[19:20], -v[23:24], v[29:30], v[19:20]
	s_delay_alu instid0(VALU_DEP_1)
	v_mul_f64 v[19:20], v[27:28], v[19:20]
	ds_store_b64 v21, v[75:76] offset:32768
	ds_store_b64 v1, v[19:20] offset:32768
	s_cbranch_scc0 .LBB109_24
; %bb.23:                               ;   in Loop: Header=BB109_20 Depth=1
	s_mov_b32 s8, s9
	s_branch .LBB109_20
.LBB109_24:
	s_cmp_gt_i32 s9, -1
	s_cbranch_scc0 .LBB109_45
; %bb.25:
	s_cmp_lt_u32 s9, 3
	s_cbranch_scc1 .LBB109_31
; %bb.26:
	v_lshlrev_b32_e32 v1, 3, v0
	s_lshl_b32 s4, s9, 9
	s_lshl_b32 s8, s28, 3
	s_delay_alu instid0(SALU_CYCLE_1) | instskip(NEXT) | instid1(VALU_DEP_1)
	s_add_i32 s4, s4, s8
	v_lshl_or_b32 v1, s28, 9, v1
	s_addk_i32 s4, 0xf9f8
	s_delay_alu instid0(VALU_DEP_1)
	v_add_nc_u32_e32 v9, 0x7e00, v1
.LBB109_27:                             ; =>This Loop Header: Depth=1
                                        ;     Child Loop BB109_28 Depth 2
	s_lshl_b32 s8, s9, 6
	s_mov_b32 s14, s29
	s_sub_i32 s13, s8, 64
	v_or_b32_e32 v1, s8, v0
	s_add_i32 s12, s8, 0xffffff80
	v_or_b32_e32 v2, s13, v0
	s_addk_i32 s8, 0xff40
	v_or_b32_e32 v3, s12, v0
	v_or_b32_e32 v4, s8, v0
	v_dual_mov_b32 v13, v9 :: v_dual_lshlrev_b32 v12, 3, v1
	v_lshlrev_b32_e32 v1, 3, v2
	s_delay_alu instid0(VALU_DEP_4) | instskip(NEXT) | instid1(VALU_DEP_4)
	v_lshlrev_b32_e32 v11, 3, v3
	v_lshlrev_b32_e32 v10, 3, v4
	ds_load_b64 v[7:8], v12 offset:32768
	ds_load_b64 v[5:6], v1 offset:32768
	;; [unrolled: 1-line block ×4, first 2 shown]
	s_cmp_le_i32 s29, s9
	s_mov_b32 s13, s4
	s_cbranch_scc1 .LBB109_29
	.p2align	6
.LBB109_28:                             ;   Parent Loop BB109_27 Depth=1
                                        ; =>  This Inner Loop Header: Depth=2
	v_mov_b32_e32 v18, s13
	s_add_i32 s14, s14, -1
	s_add_i32 s13, s13, -8
	s_cmp_gt_i32 s14, s9
	ds_load_b64 v[22:23], v13
	ds_load_2addr_stride64_b64 v[14:17], v18 offset0:2 offset1:3
	ds_load_2addr_stride64_b64 v[18:21], v18 offset1:1
	v_add_nc_u32_e32 v13, 0xfffffe00, v13
	s_waitcnt lgkmcnt(1)
	v_fma_f64 v[7:8], -v[22:23], v[16:17], v[7:8]
	v_fma_f64 v[5:6], -v[22:23], v[14:15], v[5:6]
	s_waitcnt lgkmcnt(0)
	v_fma_f64 v[3:4], -v[22:23], v[20:21], v[3:4]
	v_fma_f64 v[1:2], -v[22:23], v[18:19], v[1:2]
	s_cbranch_scc1 .LBB109_28
.LBB109_29:                             ;   in Loop: Header=BB109_27 Depth=1
	s_mul_i32 s13, s9, 0x208
	s_delay_alu instid0(SALU_CYCLE_1)
	v_dual_mov_b32 v13, s13 :: v_dual_add_nc_u32 v12, 0x8000, v12
	s_add_i32 s14, s13, 0xfffffdf8
	s_add_i32 s12, s12, s9
	;; [unrolled: 1-line block ×3, first 2 shown]
	s_lshl_b32 s12, s12, 3
	ds_load_b64 v[17:18], v13
	v_mov_b32_e32 v13, s14
	s_lshl_b32 s8, s8, 3
	s_addk_i32 s4, 0xf800
	s_add_i32 s8, s8, -8
	ds_load_2addr_b64 v[13:16], v13 offset1:1
	s_waitcnt lgkmcnt(1)
	v_mul_f64 v[21:22], v[17:18], v[7:8]
	s_waitcnt lgkmcnt(0)
	s_delay_alu instid0(VALU_DEP_1)
	v_fma_f64 v[15:16], -v[21:22], v[15:16], v[5:6]
	v_mov_b32_e32 v5, s12
	s_add_i32 s12, s13, 0xfffffbf0
	ds_store_b64 v12, v[21:22]
	ds_load_b64 v[17:18], v5
	v_mul_f64 v[23:24], v[13:14], v[15:16]
	v_mov_b32_e32 v13, s8
	s_add_i32 s8, s13, 0xfffff9e8
	ds_load_2addr_b64 v[13:16], v13 offset1:1
	s_waitcnt lgkmcnt(1)
	v_fma_f64 v[3:4], -v[21:22], v[17:18], v[3:4]
	v_mov_b32_e32 v5, s12
	v_mov_b32_e32 v17, s8
	s_lshl_b32 s8, s9, 9
	s_delay_alu instid0(SALU_CYCLE_1)
	s_addk_i32 s8, 0xfe00
	ds_load_2addr_b64 v[5:8], v5 offset1:1
	ds_load_2addr_b64 v[17:20], v17 offset1:1
	s_waitcnt lgkmcnt(2)
	v_fma_f64 v[1:2], -v[21:22], v[15:16], v[1:2]
	s_waitcnt lgkmcnt(1)
	v_fma_f64 v[3:4], -v[23:24], v[7:8], v[3:4]
	s_delay_alu instid0(VALU_DEP_2) | instskip(NEXT) | instid1(VALU_DEP_2)
	v_fma_f64 v[1:2], -v[23:24], v[13:14], v[1:2]
	v_mul_f64 v[3:4], v[5:6], v[3:4]
	v_lshl_or_b32 v5, v0, 3, s8
	s_add_i32 s8, s9, -4
	s_cmp_gt_i32 s9, 6
	s_waitcnt lgkmcnt(0)
	s_delay_alu instid0(VALU_DEP_2)
	v_fma_f64 v[1:2], -v[3:4], v[19:20], v[1:2]
	ds_store_b64 v11, v[3:4] offset:32768
	v_mul_f64 v[1:2], v[17:18], v[1:2]
	ds_store_b64 v5, v[23:24] offset:32768
	ds_store_b64 v10, v[1:2] offset:32768
	s_cbranch_scc0 .LBB109_32
; %bb.30:                               ;   in Loop: Header=BB109_27 Depth=1
	s_mov_b32 s9, s8
	s_branch .LBB109_27
.LBB109_31:
	s_mov_b32 s8, s9
.LBB109_32:
	s_delay_alu instid0(SALU_CYCLE_1)
	s_cmp_lt_i32 s8, 0
	s_cbranch_scc1 .LBB109_45
; %bb.33:
	s_bitcmp1_b32 s8, 0
	s_cselect_b32 s4, -1, 0
	s_delay_alu instid0(SALU_CYCLE_1)
	s_and_b32 vcc_lo, exec_lo, s4
	s_mov_b32 s4, s8
	s_cbranch_vccnz .LBB109_38
; %bb.34:
	v_lshlrev_b32_e32 v4, 3, v0
	s_cmp_le_i32 s29, s8
	s_delay_alu instid0(VALU_DEP_1)
	v_lshl_or_b32 v3, s8, 9, v4
	ds_load_b64 v[1:2], v3 offset:32768
	s_cbranch_scc1 .LBB109_37
; %bb.35:
	v_lshl_or_b32 v4, s28, 9, v4
	s_lshl_b32 s4, s8, 9
	s_lshl_b32 s9, s28, 3
	s_delay_alu instid0(SALU_CYCLE_1) | instskip(NEXT) | instid1(VALU_DEP_1)
	s_add_i32 s4, s4, s9
	v_add_nc_u32_e32 v4, 0x7e00, v4
	s_add_i32 s4, s4, -8
	s_mov_b32 s9, s29
.LBB109_36:                             ; =>This Inner Loop Header: Depth=1
	v_mov_b32_e32 v7, s4
	s_add_i32 s9, s9, -1
	s_add_i32 s4, s4, -8
	s_cmp_gt_i32 s9, s8
	ds_load_b64 v[5:6], v4
	ds_load_b64 v[7:8], v7
	v_add_nc_u32_e32 v4, 0xfffffe00, v4
	s_waitcnt lgkmcnt(0)
	v_fma_f64 v[1:2], -v[5:6], v[7:8], v[1:2]
	s_cbranch_scc1 .LBB109_36
.LBB109_37:
	s_mul_i32 s4, s8, 0x208
	s_delay_alu instid0(SALU_CYCLE_1)
	v_dual_mov_b32 v4, s4 :: v_dual_add_nc_u32 v3, 0x8000, v3
	s_add_i32 s4, s8, -1
	ds_load_b64 v[4:5], v4
	s_waitcnt lgkmcnt(0)
	v_mul_f64 v[1:2], v[4:5], v[1:2]
	ds_store_b64 v3, v[1:2]
.LBB109_38:
	s_cmp_eq_u32 s8, 0
	s_cbranch_scc1 .LBB109_45
; %bb.39:
	v_lshlrev_b32_e32 v5, 3, v0
	s_lshl_b32 s8, s4, 9
	s_lshl_b32 s9, s28, 3
	s_delay_alu instid0(SALU_CYCLE_1) | instskip(NEXT) | instid1(VALU_DEP_1)
	s_add_i32 s9, s8, s9
	v_lshl_or_b32 v1, s28, 9, v5
	s_add_i32 s8, s9, -8
	s_addk_i32 s9, 0xfdf8
	s_delay_alu instid0(VALU_DEP_1)
	v_add_nc_u32_e32 v6, 0x7e00, v1
	s_branch .LBB109_41
.LBB109_40:                             ;   in Loop: Header=BB109_41 Depth=1
	s_addk_i32 s12, 0xfdf8
	s_delay_alu instid0(SALU_CYCLE_1)
	v_dual_mov_b32 v2, s12 :: v_dual_add_nc_u32 v1, 0x8000, v7
	s_add_i32 s12, s4, -2
	s_addk_i32 s8, 0xfc00
	s_addk_i32 s9, 0xfc00
	s_cmp_lt_i32 s4, 2
	ds_load_b64 v[7:8], v2
	s_mov_b32 s4, s12
	s_waitcnt lgkmcnt(0)
	v_mul_f64 v[2:3], v[7:8], v[3:4]
	ds_store_b64 v1, v[2:3]
	s_cbranch_scc1 .LBB109_45
.LBB109_41:                             ; =>This Loop Header: Depth=1
                                        ;     Child Loop BB109_42 Depth 2
                                        ;     Child Loop BB109_44 Depth 2
	v_lshl_or_b32 v3, s4, 9, v5
	s_delay_alu instid0(VALU_DEP_2)
	v_mov_b32_e32 v4, v6
	s_cmp_le_i32 s29, s4
	s_mov_b32 s12, s8
	s_mov_b32 s13, s29
	ds_load_b64 v[1:2], v3 offset:32768
	s_cbranch_scc1 .LBB109_43
.LBB109_42:                             ;   Parent Loop BB109_41 Depth=1
                                        ; =>  This Inner Loop Header: Depth=2
	v_mov_b32_e32 v9, s12
	s_add_i32 s13, s13, -1
	s_add_i32 s12, s12, -8
	s_cmp_gt_i32 s13, s4
	ds_load_b64 v[7:8], v4
	ds_load_b64 v[9:10], v9
	v_add_nc_u32_e32 v4, 0xfffffe00, v4
	s_waitcnt lgkmcnt(0)
	v_fma_f64 v[1:2], -v[7:8], v[9:10], v[1:2]
	s_cbranch_scc1 .LBB109_42
.LBB109_43:                             ;   in Loop: Header=BB109_41 Depth=1
	s_mul_i32 s12, s4, 0x208
	s_delay_alu instid0(SALU_CYCLE_1)
	v_dual_mov_b32 v3, s12 :: v_dual_add_nc_u32 v8, 0x8000, v3
	s_lshl_b32 s13, s4, 9
	s_mov_b32 s14, s28
	s_addk_i32 s13, 0xfe00
	s_cmp_lt_i32 s29, s4
	ds_load_b64 v[9:10], v3
	v_lshl_or_b32 v7, v0, 3, s13
	s_mov_b32 s13, s9
	ds_load_b64 v[3:4], v7 offset:32768
	s_waitcnt lgkmcnt(1)
	v_mul_f64 v[9:10], v[9:10], v[1:2]
	v_mov_b32_e32 v1, v6
	ds_store_b64 v8, v[9:10]
	s_cbranch_scc1 .LBB109_40
.LBB109_44:                             ;   Parent Loop BB109_41 Depth=1
                                        ; =>  This Inner Loop Header: Depth=2
	v_mov_b32_e32 v2, s13
	s_add_i32 s14, s14, -1
	s_add_i32 s13, s13, -8
	s_cmp_gt_i32 s14, s4
	ds_load_b64 v[8:9], v1
	ds_load_b64 v[10:11], v2
	v_add_nc_u32_e32 v1, 0xfffffe00, v1
	s_waitcnt lgkmcnt(0)
	v_fma_f64 v[3:4], -v[8:9], v[10:11], v[3:4]
	s_cbranch_scc1 .LBB109_44
	s_branch .LBB109_40
.LBB109_45:
	s_mov_b32 s4, 0
.LBB109_46:
	s_delay_alu instid0(SALU_CYCLE_1)
	s_and_b32 vcc_lo, exec_lo, s4
	s_cbranch_vccz .LBB109_79
; %bb.47:
	s_cmp_lt_i32 s6, 32
	s_mov_b32 s9, 0
	s_cbranch_scc1 .LBB109_54
; %bb.48:
	v_lshl_or_b32 v87, v0, 3, 0x8000
	s_mov_b32 s4, 0
	s_mov_b32 s8, 0
.LBB109_49:                             ; =>This Loop Header: Depth=1
                                        ;     Child Loop BB109_51 Depth 2
	s_delay_alu instid0(SALU_CYCLE_1) | instskip(SKIP_2) | instid1(VALU_DEP_1)
	s_lshl_b32 s13, s8, 6
	s_cmp_eq_u32 s8, 0
	v_or_b32_e32 v1, s13, v0
	v_lshlrev_b32_e32 v61, 3, v1
	ds_load_2addr_stride64_b64 v[53:56], v61 offset0:64 offset1:65
	ds_load_2addr_stride64_b64 v[57:60], v61 offset0:66 offset1:67
	;; [unrolled: 1-line block ×16, first 2 shown]
	s_cbranch_scc1 .LBB109_52
; %bb.50:                               ;   in Loop: Header=BB109_49 Depth=1
	v_mov_b32_e32 v62, v87
	s_mov_b32 s9, 0
	s_mov_b32 s12, s4
.LBB109_51:                             ;   Parent Loop BB109_49 Depth=1
                                        ; =>  This Inner Loop Header: Depth=2
	s_delay_alu instid0(SALU_CYCLE_1)
	v_mov_b32_e32 v85, s12
	s_add_i32 s9, s9, 1
	s_addk_i32 s12, 0x200
	s_cmp_lt_u32 s9, s8
	ds_load_b64 v[67:68], v62
	ds_load_b128 v[63:66], v85
	ds_load_b128 v[73:76], v85 offset:16
	ds_load_b128 v[77:80], v85 offset:32
	;; [unrolled: 1-line block ×15, first 2 shown]
	v_add_nc_u32_e32 v62, 0x200, v62
	s_waitcnt lgkmcnt(15)
	v_fma_f64 v[53:54], -v[67:68], v[63:64], v[53:54]
	v_fma_f64 v[55:56], -v[67:68], v[65:66], v[55:56]
	s_waitcnt lgkmcnt(14)
	v_fma_f64 v[57:58], -v[67:68], v[73:74], v[57:58]
	v_fma_f64 v[59:60], -v[67:68], v[75:76], v[59:60]
	s_waitcnt lgkmcnt(13)
	v_fma_f64 v[69:70], -v[67:68], v[77:78], v[69:70]
	v_fma_f64 v[71:72], -v[67:68], v[79:80], v[71:72]
	s_waitcnt lgkmcnt(12)
	v_fma_f64 v[49:50], -v[67:68], v[81:82], v[49:50]
	v_fma_f64 v[51:52], -v[67:68], v[83:84], v[51:52]
	s_waitcnt lgkmcnt(11)
	v_fma_f64 v[45:46], -v[67:68], v[88:89], v[45:46]
	v_fma_f64 v[47:48], -v[67:68], v[90:91], v[47:48]
	s_waitcnt lgkmcnt(10)
	v_fma_f64 v[41:42], -v[67:68], v[92:93], v[41:42]
	v_fma_f64 v[43:44], -v[67:68], v[94:95], v[43:44]
	s_waitcnt lgkmcnt(9)
	v_fma_f64 v[37:38], -v[67:68], v[96:97], v[37:38]
	v_fma_f64 v[39:40], -v[67:68], v[98:99], v[39:40]
	s_waitcnt lgkmcnt(8)
	v_fma_f64 v[33:34], -v[67:68], v[100:101], v[33:34]
	v_fma_f64 v[35:36], -v[67:68], v[102:103], v[35:36]
	s_waitcnt lgkmcnt(7)
	v_fma_f64 v[29:30], -v[67:68], v[104:105], v[29:30]
	v_fma_f64 v[31:32], -v[67:68], v[106:107], v[31:32]
	s_waitcnt lgkmcnt(6)
	v_fma_f64 v[25:26], -v[67:68], v[108:109], v[25:26]
	v_fma_f64 v[27:28], -v[67:68], v[110:111], v[27:28]
	s_waitcnt lgkmcnt(5)
	v_fma_f64 v[21:22], -v[67:68], v[112:113], v[21:22]
	v_fma_f64 v[23:24], -v[67:68], v[114:115], v[23:24]
	s_waitcnt lgkmcnt(4)
	v_fma_f64 v[17:18], -v[67:68], v[116:117], v[17:18]
	v_fma_f64 v[19:20], -v[67:68], v[118:119], v[19:20]
	s_waitcnt lgkmcnt(3)
	v_fma_f64 v[13:14], -v[67:68], v[120:121], v[13:14]
	v_fma_f64 v[15:16], -v[67:68], v[122:123], v[15:16]
	s_waitcnt lgkmcnt(2)
	v_fma_f64 v[9:10], -v[67:68], v[124:125], v[9:10]
	v_fma_f64 v[11:12], -v[67:68], v[126:127], v[11:12]
	s_waitcnt lgkmcnt(1)
	v_fma_f64 v[5:6], -v[67:68], v[128:129], v[5:6]
	v_fma_f64 v[7:8], -v[67:68], v[130:131], v[7:8]
	s_waitcnt lgkmcnt(0)
	v_fma_f64 v[1:2], -v[67:68], v[132:133], v[1:2]
	v_fma_f64 v[3:4], -v[67:68], v[134:135], v[3:4]
	s_cbranch_scc1 .LBB109_51
.LBB109_52:                             ;   in Loop: Header=BB109_49 Depth=1
	s_mul_i32 s14, s8, 0x208
	s_delay_alu instid0(SALU_CYCLE_1)
	v_dual_mov_b32 v91, s14 :: v_dual_add_nc_u32 v88, 0x8000, v61
	s_or_b32 s9, s13, 64
	s_add_i32 s20, s8, s13
	s_add_i32 s12, s8, s9
	s_lshl_b32 s20, s20, 3
	ds_load_b128 v[61:64], v91
	ds_load_b128 v[65:68], v91 offset:16
	s_lshl_b32 s12, s12, 3
	v_mov_b32_e32 v163, s20
	v_mov_b32_e32 v89, s12
	s_or_b32 s12, s13, 0x80
	s_add_i32 s20, s14, 0xa28
	s_add_i32 s15, s8, s12
	s_or_b32 s24, s8, 10
	s_lshl_b32 s15, s15, 3
	s_mul_i32 s25, s24, 0x208
	v_mov_b32_e32 v90, s15
	s_or_b32 s15, s13, 0xc0
	s_addk_i32 s4, 0x100
	s_add_i32 s19, s8, s15
	s_delay_alu instid0(SALU_CYCLE_1) | instskip(NEXT) | instid1(SALU_CYCLE_1)
	s_lshl_b32 s19, s19, 3
	v_mov_b32_e32 v189, s19
	s_or_b32 s19, s13, 0x100
	s_waitcnt lgkmcnt(1)
	v_mul_f64 v[73:74], v[61:62], v[53:54]
	s_add_i32 s21, s8, s19
	s_delay_alu instid0(SALU_CYCLE_1) | instskip(NEXT) | instid1(SALU_CYCLE_1)
	s_lshl_b32 s21, s21, 3
	v_mov_b32_e32 v190, s21
	s_delay_alu instid0(VALU_DEP_2)
	v_fma_f64 v[75:76], -v[73:74], v[63:64], v[55:56]
	ds_load_2addr_b64 v[61:64], v91 offset0:65 offset1:66
	ds_load_b128 v[53:56], v91 offset:64
	s_waitcnt lgkmcnt(2)
	v_fma_f64 v[57:58], -v[73:74], v[65:66], v[57:58]
	v_fma_f64 v[81:82], -v[73:74], v[67:68], v[59:60]
	s_waitcnt lgkmcnt(0)
	v_fma_f64 v[53:54], -v[73:74], v[53:54], v[45:46]
	v_fma_f64 v[47:48], -v[73:74], v[55:56], v[47:48]
	v_mul_f64 v[75:76], v[61:62], v[75:76]
	s_delay_alu instid0(VALU_DEP_1)
	v_fma_f64 v[96:97], -v[75:76], v[63:64], v[57:58]
	ds_load_b128 v[77:80], v91 offset:32
	ds_load_2addr_b64 v[83:86], v89 offset0:3 offset1:4
	ds_load_b128 v[92:95], v91 offset:1040
	ds_load_2addr_b64 v[57:60], v91 offset0:195 offset1:196
	;; [unrolled: 2-line block ×3, first 2 shown]
	s_waitcnt lgkmcnt(5)
	v_fma_f64 v[69:70], -v[73:74], v[77:78], v[69:70]
	s_waitcnt lgkmcnt(4)
	v_fma_f64 v[98:99], -v[75:76], v[83:84], v[81:82]
	v_fma_f64 v[83:84], -v[73:74], v[79:80], v[71:72]
	s_waitcnt lgkmcnt(1)
	v_fma_f64 v[49:50], -v[73:74], v[65:66], v[49:50]
	v_mul_f64 v[77:78], v[92:93], v[96:97]
	v_fma_f64 v[81:82], -v[75:76], v[85:86], v[69:70]
	ds_load_b128 v[69:72], v90 offset:32
	ds_load_b64 v[85:86], v89 offset:248
	s_waitcnt lgkmcnt(2)
	v_fma_f64 v[61:62], -v[75:76], v[61:62], v[83:84]
	v_fma_f64 v[83:84], -v[73:74], v[67:68], v[51:52]
	;; [unrolled: 1-line block ×4, first 2 shown]
	s_waitcnt lgkmcnt(1)
	v_fma_f64 v[65:66], -v[77:78], v[69:70], v[81:82]
	v_fma_f64 v[71:72], -v[77:78], v[71:72], v[61:62]
	s_delay_alu instid0(VALU_DEP_4) | instskip(NEXT) | instid1(VALU_DEP_1)
	v_mul_f64 v[57:58], v[57:58], v[79:80]
	v_fma_f64 v[101:102], -v[57:58], v[59:60], v[65:66]
	ds_load_2addr_b64 v[59:62], v89 offset0:7 offset1:8
	ds_load_b128 v[63:66], v90 offset:48
	ds_load_2addr_b64 v[67:70], v189 offset0:5 offset1:6
	ds_load_b128 v[79:82], v91 offset:2080
	ds_load_b64 v[127:128], v91 offset:4160
	ds_load_b128 v[91:94], v90 offset:64
	ds_load_2addr_b64 v[95:98], v89 offset0:9 offset1:10
	ds_load_b128 v[49:52], v90 offset:240
	s_waitcnt lgkmcnt(7)
	v_fma_f64 v[59:60], -v[75:76], v[59:60], v[83:84]
	s_waitcnt lgkmcnt(6)
	v_fma_f64 v[63:64], -v[77:78], v[63:64], v[99:100]
	;; [unrolled: 2-line block ×3, first 2 shown]
	v_fma_f64 v[55:56], -v[75:76], v[61:62], v[53:54]
	v_mov_b32_e32 v53, s20
	s_or_b32 s20, s13, 0x140
	s_delay_alu instid0(SALU_CYCLE_1) | instskip(NEXT) | instid1(SALU_CYCLE_1)
	s_add_i32 s21, s8, s20
	s_lshl_b32 s21, s21, 3
	s_delay_alu instid0(SALU_CYCLE_1)
	v_mov_b32_e32 v191, s21
	s_waitcnt lgkmcnt(4)
	v_mul_f64 v[45:46], v[79:80], v[101:102]
	v_fma_f64 v[71:72], -v[77:78], v[65:66], v[59:60]
	v_fma_f64 v[83:84], -v[57:58], v[69:70], v[63:64]
	s_waitcnt lgkmcnt(2)
	v_fma_f64 v[55:56], -v[77:78], v[91:92], v[55:56]
	s_delay_alu instid0(VALU_DEP_4)
	v_fma_f64 v[111:112], -v[45:46], v[81:82], v[67:68]
	ds_load_b128 v[59:62], v163 offset:80
	ds_load_2addr_b64 v[63:66], v189 offset0:7 offset1:8
	ds_load_b128 v[67:70], v190 offset:48
	ds_load_2addr_b64 v[79:82], v53 offset1:1
	ds_load_b128 v[99:102], v163 offset:96
	ds_load_b128 v[103:106], v190 offset:64
	ds_load_2addr_b64 v[107:110], v189 offset0:9 offset1:10
	ds_load_b64 v[53:54], v189 offset:248
	s_waitcnt lgkmcnt(7)
	v_fma_f64 v[41:42], -v[73:74], v[59:60], v[41:42]
	v_fma_f64 v[59:60], -v[75:76], v[95:96], v[47:48]
	s_waitcnt lgkmcnt(6)
	v_fma_f64 v[63:64], -v[57:58], v[63:64], v[71:72]
	s_waitcnt lgkmcnt(5)
	v_fma_f64 v[67:68], -v[45:46], v[67:68], v[83:84]
	v_fma_f64 v[71:72], -v[73:74], v[61:62], v[43:44]
	;; [unrolled: 1-line block ×3, first 2 shown]
	s_waitcnt lgkmcnt(3)
	v_fma_f64 v[99:100], -v[73:74], v[99:100], v[37:38]
	v_fma_f64 v[39:40], -v[73:74], v[101:102], v[39:40]
	v_mul_f64 v[47:48], v[79:80], v[111:112]
	v_fma_f64 v[83:84], -v[75:76], v[97:98], v[41:42]
	v_fma_f64 v[111:112], -v[77:78], v[93:94], v[59:60]
	;; [unrolled: 1-line block ×3, first 2 shown]
	v_add_nc_u32_e64 v41, 0x800, s14
	s_or_b32 s14, s13, 0x180
	s_waitcnt lgkmcnt(2)
	v_fma_f64 v[55:56], -v[45:46], v[103:104], v[55:56]
	s_add_i32 s21, s8, s14
	s_delay_alu instid0(SALU_CYCLE_1) | instskip(NEXT) | instid1(SALU_CYCLE_1)
	s_lshl_b32 s21, s21, 3
	v_mov_b32_e32 v192, s21
	s_or_b32 s21, s13, 0x1c0
	s_bitset1_b32 s13, 9
	s_add_i32 s22, s8, s21
	s_delay_alu instid0(SALU_CYCLE_1) | instskip(NEXT) | instid1(SALU_CYCLE_1)
	s_lshl_b32 s22, s22, 3
	v_mov_b32_e32 v193, s22
	s_add_i32 s22, s8, s13
	s_delay_alu instid0(SALU_CYCLE_1) | instskip(NEXT) | instid1(SALU_CYCLE_1)
	s_lshl_b32 s22, s22, 3
	v_mov_b32_e32 v194, s22
	s_or_b32 s22, s8, 9
	v_fma_f64 v[115:116], -v[47:48], v[81:82], v[67:68]
	ds_load_2addr_b64 v[59:62], v89 offset0:11 offset1:12
	ds_load_b128 v[63:66], v90 offset:80
	ds_load_2addr_b64 v[67:70], v191 offset0:7 offset1:8
	ds_load_2addr_b64 v[79:82], v41 offset0:134 offset1:199
	ds_load_b128 v[91:94], v90 offset:96
	ds_load_2addr_b64 v[95:98], v89 offset0:13 offset1:14
	ds_load_b128 v[41:44], v190 offset:240
	s_mul_i32 s23, s22, 0x208
	s_lshl_b32 s22, s22, 6
	s_waitcnt lgkmcnt(6)
	v_fma_f64 v[59:60], -v[75:76], v[59:60], v[71:72]
	s_waitcnt lgkmcnt(5)
	v_fma_f64 v[63:64], -v[77:78], v[63:64], v[83:84]
	v_fma_f64 v[71:72], -v[57:58], v[107:108], v[111:112]
	s_waitcnt lgkmcnt(4)
	v_fma_f64 v[67:68], -v[47:48], v[67:68], v[113:114]
	v_fma_f64 v[55:56], -v[47:48], v[69:70], v[55:56]
	s_waitcnt lgkmcnt(3)
	v_mul_f64 v[37:38], v[79:80], v[115:116]
	ds_load_2addr_b64 v[111:114], v192 offset0:7 offset1:8
	ds_load_2addr_b64 v[115:118], v192 offset0:9 offset1:10
	v_fma_f64 v[79:80], -v[75:76], v[61:62], v[99:100]
	v_fma_f64 v[83:84], -v[77:78], v[65:66], v[59:60]
	v_fma_f64 v[129:130], -v[57:58], v[109:110], v[63:64]
	v_fma_f64 v[71:72], -v[45:46], v[105:106], v[71:72]
	s_waitcnt lgkmcnt(1)
	v_fma_f64 v[111:112], -v[37:38], v[111:112], v[67:68]
	ds_load_b128 v[59:62], v163 offset:112
	ds_load_2addr_b64 v[63:66], v189 offset0:11 offset1:12
	ds_load_b128 v[67:70], v190 offset:80
	ds_load_2addr_b64 v[99:102], v191 offset0:9 offset1:10
	;; [unrolled: 2-line block ×4, first 2 shown]
	v_fma_f64 v[91:92], -v[77:78], v[91:92], v[79:80]
	s_waitcnt lgkmcnt(7)
	v_fma_f64 v[33:34], -v[73:74], v[59:60], v[33:34]
	v_fma_f64 v[59:60], -v[75:76], v[95:96], v[39:40]
	s_waitcnt lgkmcnt(6)
	v_fma_f64 v[63:64], -v[57:58], v[63:64], v[83:84]
	s_waitcnt lgkmcnt(5)
	;; [unrolled: 2-line block ×3, first 2 shown]
	v_fma_f64 v[71:72], -v[47:48], v[99:100], v[71:72]
	v_fma_f64 v[83:84], -v[37:38], v[113:114], v[55:56]
	;; [unrolled: 1-line block ×3, first 2 shown]
	s_waitcnt lgkmcnt(3)
	v_fma_f64 v[139:140], -v[73:74], v[105:106], v[31:32]
	v_mov_b32_e32 v31, s23
	s_add_i32 s23, s8, s22
	s_delay_alu instid0(SALU_CYCLE_1) | instskip(NEXT) | instid1(SALU_CYCLE_1)
	s_lshl_b32 s23, s23, 3
	v_mov_b32_e32 v195, s23
	s_lshl_b32 s23, s24, 6
	s_delay_alu instid0(SALU_CYCLE_1) | instskip(NEXT) | instid1(SALU_CYCLE_1)
	s_add_i32 s24, s8, s23
	s_lshl_b32 s24, s24, 3
	s_delay_alu instid0(SALU_CYCLE_1)
	v_mov_b32_e32 v196, s24
	v_mul_f64 v[39:40], v[81:82], v[111:112]
	ds_load_b128 v[79:82], v193 offset:64
	ds_load_b64 v[55:56], v192 offset:248
	v_fma_f64 v[33:34], -v[75:76], v[97:98], v[33:34]
	v_fma_f64 v[95:96], -v[77:78], v[93:94], v[59:60]
	;; [unrolled: 1-line block ×6, first 2 shown]
	ds_load_2addr_b64 v[59:62], v89 offset0:15 offset1:16
	ds_load_b128 v[63:66], v90 offset:112
	ds_load_b128 v[67:70], v90 offset:128
	ds_load_2addr_b64 v[91:94], v89 offset0:17 offset1:18
	s_waitcnt lgkmcnt(3)
	v_fma_f64 v[59:60], -v[75:76], v[59:60], v[35:36]
	v_fma_f64 v[79:80], -v[39:40], v[79:80], v[83:84]
	;; [unrolled: 1-line block ×3, first 2 shown]
	s_waitcnt lgkmcnt(0)
	v_fma_f64 v[91:92], -v[75:76], v[91:92], v[139:140]
	v_fma_f64 v[63:64], -v[77:78], v[63:64], v[33:34]
	;; [unrolled: 1-line block ×8, first 2 shown]
	v_mul_f64 v[29:30], v[127:128], v[79:80]
	ds_load_2addr_b64 v[79:82], v192 offset0:11 offset1:12
	ds_load_b128 v[95:98], v193 offset:80
	ds_load_2addr_b64 v[99:102], v194 offset0:9 offset1:10
	ds_load_b128 v[111:114], v193 offset:96
	;; [unrolled: 2-line block ×3, first 2 shown]
	v_fma_f64 v[83:84], -v[75:76], v[61:62], v[83:84]
	ds_load_b128 v[59:62], v163 offset:144
	v_fma_f64 v[139:140], -v[77:78], v[69:70], v[91:92]
	v_mov_b32_e32 v91, s25
	s_or_b32 s25, s8, 11
	s_delay_alu instid0(SALU_CYCLE_1) | instskip(SKIP_1) | instid1(SALU_CYCLE_1)
	s_mul_i32 s26, s25, 0x208
	s_lshl_b32 s24, s25, 6
	s_add_i32 s25, s8, s24
	s_delay_alu instid0(SALU_CYCLE_1)
	s_lshl_b32 s25, s25, 3
	v_fma_f64 v[143:144], -v[57:58], v[125:126], v[63:64]
	v_fma_f64 v[145:146], -v[45:46], v[121:122], v[103:104]
	;; [unrolled: 1-line block ×3, first 2 shown]
	s_waitcnt lgkmcnt(6)
	v_fma_f64 v[79:80], -v[37:38], v[79:80], v[107:108]
	s_waitcnt lgkmcnt(5)
	v_fma_f64 v[95:96], -v[39:40], v[95:96], v[123:124]
	ds_load_2addr_b64 v[63:66], v189 offset0:15 offset1:16
	ds_load_b128 v[103:106], v190 offset:112
	ds_load_2addr_b64 v[107:110], v191 offset0:13 offset1:14
	ds_load_2addr_b64 v[119:122], v31 offset1:1
	ds_load_b128 v[123:126], v163 offset:160
	ds_load_2addr_b64 v[127:130], v191 offset0:15 offset1:16
	ds_load_b128 v[131:134], v190 offset:128
	ds_load_2addr_b64 v[135:138], v189 offset0:17 offset1:18
	ds_load_b64 v[31:32], v194 offset:248
	v_mov_b32_e32 v197, s25
	s_waitcnt lgkmcnt(9)
	v_fma_f64 v[59:60], -v[73:74], v[59:60], v[25:26]
	v_fma_f64 v[27:28], -v[73:74], v[61:62], v[27:28]
	s_waitcnt lgkmcnt(4)
	v_fma_f64 v[123:124], -v[73:74], v[123:124], v[21:22]
	v_fma_f64 v[23:24], -v[73:74], v[125:126], v[23:24]
	;; [unrolled: 1-line block ×10, first 2 shown]
	ds_load_2addr_b64 v[79:82], v194 offset0:11 offset1:12
	ds_load_2addr_b64 v[95:98], v194 offset0:13 offset1:14
	v_fma_f64 v[143:144], -v[45:46], v[105:106], v[63:64]
	v_mul_f64 v[25:26], v[119:120], v[71:72]
	v_fma_f64 v[71:72], -v[75:76], v[93:94], v[59:60]
	v_fma_f64 v[141:142], -v[57:58], v[65:66], v[67:68]
	ds_load_2addr_b64 v[59:62], v89 offset0:19 offset1:20
	ds_load_b128 v[63:66], v90 offset:144
	v_fma_f64 v[83:84], -v[47:48], v[109:110], v[83:84]
	v_fma_f64 v[115:116], -v[37:38], v[115:116], v[99:100]
	;; [unrolled: 1-line block ×3, first 2 shown]
	s_waitcnt lgkmcnt(3)
	v_fma_f64 v[79:80], -v[29:30], v[79:80], v[107:108]
	s_waitcnt lgkmcnt(1)
	v_fma_f64 v[27:28], -v[75:76], v[59:60], v[27:28]
	v_fma_f64 v[155:156], -v[75:76], v[61:62], v[123:124]
	;; [unrolled: 1-line block ×4, first 2 shown]
	ds_load_2addr_b64 v[67:70], v195 offset0:11 offset1:12
	ds_load_b128 v[91:94], v91
	ds_load_b128 v[99:102], v163 offset:240
	ds_load_b128 v[103:106], v90 offset:160
	ds_load_2addr_b64 v[107:110], v89 offset0:21 offset1:22
	ds_load_2addr_b64 v[119:122], v195 offset0:13 offset1:14
	s_waitcnt lgkmcnt(6)
	v_fma_f64 v[59:60], -v[77:78], v[63:64], v[71:72]
	v_fma_f64 v[63:64], -v[57:58], v[135:136], v[139:140]
	;; [unrolled: 1-line block ×6, first 2 shown]
	s_waitcnt lgkmcnt(5)
	v_fma_f64 v[67:68], -v[25:26], v[67:68], v[79:80]
	ds_load_2addr_b64 v[79:82], v192 offset0:15 offset1:16
	ds_load_b128 v[111:114], v193 offset:112
	ds_load_b128 v[115:118], v193 offset:128
	ds_load_2addr_b64 v[139:142], v192 offset0:17 offset1:18
	s_waitcnt lgkmcnt(7)
	v_fma_f64 v[99:100], -v[73:74], v[99:100], v[1:2]
	s_waitcnt lgkmcnt(5)
	v_fma_f64 v[23:24], -v[75:76], v[107:108], v[23:24]
	v_fma_f64 v[101:102], -v[73:74], v[101:102], v[3:4]
	;; [unrolled: 1-line block ×4, first 2 shown]
	s_waitcnt lgkmcnt(3)
	v_fma_f64 v[79:80], -v[37:38], v[79:80], v[127:128]
	v_mul_f64 v[21:22], v[91:92], v[145:146]
	v_mov_b32_e32 v127, s26
	v_fma_f64 v[157:158], -v[57:58], v[137:138], v[59:60]
	v_fma_f64 v[159:160], -v[45:46], v[133:134], v[63:64]
	;; [unrolled: 1-line block ×3, first 2 shown]
	ds_load_b128 v[59:62], v163 offset:176
	s_or_b32 s26, s8, 12
	s_delay_alu instid0(SALU_CYCLE_1) | instskip(SKIP_1) | instid1(SALU_CYCLE_1)
	s_mul_i32 s27, s26, 0x208
	s_lshl_b32 s25, s26, 6
	s_add_i32 s29, s8, s25
	s_waitcnt lgkmcnt(3)
	v_fma_f64 v[83:84], -v[39:40], v[111:112], v[83:84]
	v_fma_f64 v[95:96], -v[29:30], v[95:96], v[131:132]
	;; [unrolled: 1-line block ×4, first 2 shown]
	s_waitcnt lgkmcnt(0)
	v_fma_f64 v[59:60], -v[73:74], v[59:60], v[17:18]
	v_fma_f64 v[19:20], -v[73:74], v[61:62], v[19:20]
	v_fma_f64 v[161:162], -v[21:22], v[93:94], v[67:68]
	ds_load_2addr_b64 v[63:66], v189 offset0:19 offset1:20
	ds_load_b128 v[67:70], v190 offset:144
	ds_load_2addr_b64 v[91:94], v191 offset0:17 offset1:18
	ds_load_b128 v[123:126], v196 offset:96
	ds_load_2addr_b64 v[127:130], v127 offset1:1
	ds_load_b128 v[131:134], v163 offset:192
	ds_load_2addr_b64 v[135:138], v191 offset0:19 offset1:20
	ds_load_b128 v[143:146], v190 offset:160
	ds_load_2addr_b64 v[147:150], v189 offset0:21 offset1:22
	ds_load_b128 v[151:154], v196 offset:112
	ds_load_b64 v[175:176], v195 offset:248
	v_fma_f64 v[71:72], -v[37:38], v[81:82], v[71:72]
	v_fma_f64 v[83:84], -v[29:30], v[97:98], v[83:84]
	;; [unrolled: 1-line block ×3, first 2 shown]
	s_waitcnt lgkmcnt(7)
	v_fma_f64 v[111:112], -v[21:22], v[123:124], v[111:112]
	s_waitcnt lgkmcnt(5)
	v_fma_f64 v[131:132], -v[73:74], v[131:132], v[13:14]
	v_fma_f64 v[15:16], -v[73:74], v[133:134], v[15:16]
	;; [unrolled: 1-line block ×6, first 2 shown]
	ds_load_2addr_b64 v[79:82], v194 offset0:15 offset1:16
	ds_load_2addr_b64 v[95:98], v194 offset0:17 offset1:18
	s_waitcnt lgkmcnt(4)
	v_fma_f64 v[23:24], -v[57:58], v[147:148], v[23:24]
	v_fma_f64 v[123:124], -v[75:76], v[109:110], v[59:60]
	v_mul_f64 v[17:18], v[127:128], v[161:162]
	v_fma_f64 v[127:128], -v[57:58], v[65:66], v[103:104]
	v_mov_b32_e32 v103, s27
	s_or_b32 s27, s8, 13
	v_fma_f64 v[71:72], -v[39:40], v[115:116], v[71:72]
	s_mul_i32 s26, s27, 0x208
	v_fma_f64 v[83:84], -v[25:26], v[121:122], v[83:84]
	v_fma_f64 v[115:116], -v[21:22], v[125:126], v[107:108]
	;; [unrolled: 1-line block ×5, first 2 shown]
	s_waitcnt lgkmcnt(1)
	v_fma_f64 v[79:80], -v[29:30], v[79:80], v[91:92]
	ds_load_2addr_b64 v[59:62], v89 offset0:23 offset1:24
	ds_load_b128 v[63:66], v90 offset:176
	v_fma_f64 v[23:24], -v[45:46], v[145:146], v[23:24]
	v_fma_f64 v[125:126], -v[17:18], v[129:130], v[111:112]
	ds_load_2addr_b64 v[67:70], v195 offset0:15 offset1:16
	ds_load_2addr_b64 v[91:94], v197 offset0:13 offset1:14
	ds_load_b128 v[103:106], v103
	ds_load_b128 v[107:110], v90 offset:192
	ds_load_2addr_b64 v[111:114], v89 offset0:25 offset1:26
	ds_load_2addr_b64 v[119:122], v195 offset0:17 offset1:18
	s_waitcnt lgkmcnt(7)
	v_fma_f64 v[19:20], -v[75:76], v[59:60], v[19:20]
	s_waitcnt lgkmcnt(6)
	v_fma_f64 v[59:60], -v[77:78], v[63:64], v[123:124]
	v_fma_f64 v[63:64], -v[45:46], v[143:144], v[127:128]
	;; [unrolled: 1-line block ×5, first 2 shown]
	s_waitcnt lgkmcnt(4)
	v_fma_f64 v[91:92], -v[17:18], v[91:92], v[115:116]
	v_fma_f64 v[27:28], -v[47:48], v[135:136], v[27:28]
	;; [unrolled: 1-line block ×5, first 2 shown]
	s_waitcnt lgkmcnt(1)
	v_fma_f64 v[15:16], -v[75:76], v[111:112], v[15:16]
	v_mul_f64 v[13:14], v[103:104], v[125:126]
	v_mov_b32_e32 v103, s26
	s_lshl_b32 s26, s29, 3
	s_delay_alu instid0(SALU_CYCLE_1)
	v_mov_b32_e32 v198, s26
	ds_load_2addr_b64 v[79:82], v192 offset0:19 offset1:20
	ds_load_b128 v[115:118], v193 offset:144
	ds_load_b128 v[123:126], v193 offset:160
	ds_load_2addr_b64 v[127:130], v192 offset0:21 offset1:22
	v_fma_f64 v[19:20], -v[77:78], v[65:66], v[19:20]
	v_fma_f64 v[173:174], -v[57:58], v[149:150], v[59:60]
	;; [unrolled: 1-line block ×4, first 2 shown]
	ds_load_b128 v[59:62], v163 offset:208
	v_fma_f64 v[107:108], -v[77:78], v[107:108], v[171:172]
	s_lshl_b32 s26, s27, 6
	s_or_b32 s27, s8, 14
	v_fma_f64 v[83:84], -v[17:18], v[93:94], v[83:84]
	s_add_i32 s29, s8, s26
	s_mul_i32 s30, s27, 0x208
	s_lshl_b32 s29, s29, 3
	s_lshl_b32 s27, s27, 6
	v_mov_b32_e32 v199, s29
	s_or_b32 s29, s8, 15
	v_fma_f64 v[95:96], -v[29:30], v[95:96], v[139:140]
	s_waitcnt lgkmcnt(4)
	v_fma_f64 v[27:28], -v[37:38], v[79:80], v[27:28]
	s_waitcnt lgkmcnt(3)
	v_fma_f64 v[79:80], -v[39:40], v[115:116], v[135:136]
	v_fma_f64 v[115:116], -v[21:22], v[153:154], v[67:68]
	;; [unrolled: 1-line block ×3, first 2 shown]
	s_add_i32 s31, s8, s27
	s_waitcnt lgkmcnt(0)
	v_fma_f64 v[59:60], -v[73:74], v[59:60], v[9:10]
	v_fma_f64 v[11:12], -v[73:74], v[61:62], v[11:12]
	;; [unrolled: 1-line block ×3, first 2 shown]
	ds_load_2addr_b64 v[63:66], v189 offset0:23 offset1:24
	ds_load_b128 v[67:70], v190 offset:176
	ds_load_2addr_b64 v[91:94], v191 offset0:21 offset1:22
	ds_load_2addr_b64 v[103:106], v103 offset1:1
	ds_load_b128 v[131:134], v163 offset:224
	ds_load_b128 v[135:138], v196 offset:128
	ds_load_2addr_b64 v[139:142], v197 offset0:15 offset1:16
	ds_load_b128 v[143:146], v198 offset:112
	ds_load_2addr_b64 v[147:150], v191 offset0:23 offset1:24
	;; [unrolled: 2-line block ×4, first 2 shown]
	ds_load_b128 v[167:170], v196 offset:144
	ds_load_b64 v[181:182], v197 offset:248
	s_waitcnt lgkmcnt(10)
	v_fma_f64 v[131:132], -v[73:74], v[131:132], v[5:6]
	s_waitcnt lgkmcnt(9)
	v_fma_f64 v[71:72], -v[21:22], v[135:136], v[71:72]
	v_fma_f64 v[7:8], -v[73:74], v[133:134], v[7:8]
	s_waitcnt lgkmcnt(7)
	v_fma_f64 v[83:84], -v[13:14], v[143:144], v[83:84]
	v_fma_f64 v[19:20], -v[57:58], v[63:64], v[19:20]
	;; [unrolled: 1-line block ×9, first 2 shown]
	ds_load_2addr_b64 v[79:82], v194 offset0:19 offset1:20
	ds_load_2addr_b64 v[95:98], v194 offset0:21 offset1:22
	v_fma_f64 v[143:144], -v[57:58], v[65:66], v[107:108]
	s_waitcnt lgkmcnt(6)
	v_fma_f64 v[15:16], -v[57:58], v[155:156], v[15:16]
	v_fma_f64 v[139:140], -v[75:76], v[113:114], v[59:60]
	v_mul_f64 v[9:10], v[103:104], v[179:180]
	v_mov_b32_e32 v103, s30
	s_mul_i32 s30, s29, 0x208
	s_lshl_b32 s29, s29, 6
	v_fma_f64 v[71:72], -v[17:18], v[141:142], v[71:72]
	v_fma_f64 v[19:20], -v[45:46], v[69:70], v[19:20]
	;; [unrolled: 1-line block ×5, first 2 shown]
	s_waitcnt lgkmcnt(1)
	v_fma_f64 v[27:28], -v[29:30], v[79:80], v[27:28]
	v_fma_f64 v[79:80], -v[25:26], v[121:122], v[91:92]
	;; [unrolled: 1-line block ×4, first 2 shown]
	ds_load_2addr_b64 v[59:62], v89 offset0:27 offset1:28
	ds_load_b128 v[63:66], v90 offset:208
	v_fma_f64 v[15:16], -v[45:46], v[153:154], v[15:16]
	v_fma_f64 v[83:84], -v[9:10], v[105:106], v[83:84]
	ds_load_2addr_b64 v[67:70], v195 offset0:19 offset1:20
	ds_load_2addr_b64 v[91:94], v199 offset0:15 offset1:16
	ds_load_b128 v[103:106], v103
	ds_load_b128 v[107:110], v90 offset:224
	ds_load_2addr_b64 v[111:114], v89 offset0:29 offset1:30
	ds_load_2addr_b64 v[115:118], v199 offset0:17 offset1:18
	;; [unrolled: 1-line block ×3, first 2 shown]
	ds_load_b128 v[135:138], v198 offset:240
	s_waitcnt lgkmcnt(9)
	v_fma_f64 v[11:12], -v[75:76], v[59:60], v[11:12]
	s_waitcnt lgkmcnt(8)
	v_fma_f64 v[59:60], -v[77:78], v[63:64], v[139:140]
	v_fma_f64 v[63:64], -v[45:46], v[151:152], v[143:144]
	;; [unrolled: 1-line block ×3, first 2 shown]
	s_waitcnt lgkmcnt(3)
	v_fma_f64 v[7:8], -v[75:76], v[111:112], v[7:8]
	v_fma_f64 v[19:20], -v[47:48], v[147:148], v[19:20]
	;; [unrolled: 1-line block ×9, first 2 shown]
	ds_load_2addr_b64 v[79:82], v192 offset0:23 offset1:24
	ds_load_b128 v[89:92], v193 offset:176
	ds_load_b128 v[123:126], v193 offset:192
	ds_load_2addr_b64 v[127:130], v192 offset0:25 offset1:26
	v_fma_f64 v[113:114], -v[75:76], v[113:114], v[99:100]
	v_mul_f64 v[5:6], v[103:104], v[83:84]
	v_fma_f64 v[83:84], -v[75:76], v[61:62], v[131:132]
	v_fma_f64 v[11:12], -v[77:78], v[65:66], v[11:12]
	;; [unrolled: 1-line block ×5, first 2 shown]
	v_mov_b32_e32 v93, s30
	s_lshl_b32 s30, s31, 3
	s_add_i32 s31, s8, s29
	v_mov_b32_e32 v200, s30
	v_fma_f64 v[7:8], -v[77:78], v[109:110], v[7:8]
	s_waitcnt lgkmcnt(3)
	v_fma_f64 v[19:20], -v[37:38], v[79:80], v[19:20]
	s_waitcnt lgkmcnt(2)
	v_fma_f64 v[79:80], -v[39:40], v[89:90], v[139:140]
	v_fma_f64 v[23:24], -v[29:30], v[95:96], v[23:24]
	;; [unrolled: 1-line block ×6, first 2 shown]
	ds_load_2addr_b64 v[59:62], v189 offset0:27 offset1:28
	ds_load_b128 v[63:66], v190 offset:208
	ds_load_2addr_b64 v[67:70], v191 offset0:25 offset1:26
	s_or_b32 s30, s8, 16
	s_lshl_b32 s31, s31, 3
	s_mul_i32 s33, s30, 0x208
	v_fma_f64 v[49:50], -v[77:78], v[49:50], v[113:114]
	v_mov_b32_e32 v3, s33
	s_lshl_b32 s30, s30, 6
	s_delay_alu instid0(SALU_CYCLE_1)
	s_add_i32 s34, s8, s30
	v_fma_f64 v[187:188], -v[5:6], v[105:106], v[141:142]
	ds_load_2addr_b64 v[93:96], v93 offset1:1
	ds_load_2addr_b64 v[103:106], v191 offset0:27 offset1:28
	ds_load_b128 v[131:134], v190 offset:224
	ds_load_b128 v[139:142], v196 offset:160
	ds_load_2addr_b64 v[143:146], v197 offset0:19 offset1:20
	ds_load_b128 v[147:150], v198 offset:144
	ds_load_2addr_b64 v[151:154], v189 offset0:29 offset1:30
	ds_load_b128 v[155:158], v200 offset:128
	ds_load_b128 v[159:162], v200 offset:144
	;; [unrolled: 1-line block ×3, first 2 shown]
	ds_load_2addr_b64 v[167:170], v197 offset0:21 offset1:22
	ds_load_b128 v[171:174], v196 offset:176
	ds_load_b64 v[189:190], v199 offset:248
	v_fma_f64 v[83:84], -v[77:78], v[107:108], v[83:84]
	s_waitcnt lgkmcnt(15)
	v_fma_f64 v[11:12], -v[57:58], v[59:60], v[11:12]
	s_waitcnt lgkmcnt(14)
	;; [unrolled: 2-line block ×3, first 2 shown]
	v_fma_f64 v[15:16], -v[47:48], v[67:68], v[15:16]
	v_fma_f64 v[63:64], -v[37:38], v[81:82], v[179:180]
	v_mov_b32_e32 v177, s31
	s_or_b32 s31, s8, 17
	s_delay_alu instid0(SALU_CYCLE_1)
	s_mul_i32 s33, s31, 0x208
	s_waitcnt lgkmcnt(5)
	v_fma_f64 v[71:72], -v[5:6], v[155:156], v[71:72]
	s_lshl_b32 s31, s31, 6
	v_fma_f64 v[7:8], -v[57:58], v[151:152], v[7:8]
	v_fma_f64 v[19:20], -v[39:40], v[91:92], v[19:20]
	;; [unrolled: 1-line block ×8, first 2 shown]
	ds_load_2addr_b64 v[79:82], v194 offset0:23 offset1:24
	ds_load_2addr_b64 v[89:92], v194 offset0:25 offset1:26
	s_add_i32 s35, s8, s31
	s_delay_alu instid0(SALU_CYCLE_1)
	s_lshl_b32 s35, s35, 3
	v_fma_f64 v[155:156], -v[57:58], v[153:154], v[49:50]
	v_mul_f64 v[1:2], v[93:94], v[187:188]
	v_fma_f64 v[83:84], -v[57:58], v[61:62], v[83:84]
	v_fma_f64 v[11:12], -v[45:46], v[65:66], v[11:12]
	;; [unrolled: 1-line block ×5, first 2 shown]
	ds_load_2addr_b64 v[59:62], v195 offset0:23 offset1:24
	v_fma_f64 v[7:8], -v[45:46], v[133:134], v[7:8]
	s_waitcnt lgkmcnt(2)
	v_fma_f64 v[19:20], -v[29:30], v[79:80], v[19:20]
	v_fma_f64 v[79:80], -v[25:26], v[121:122], v[67:68]
	;; [unrolled: 1-line block ×9, first 2 shown]
	ds_load_2addr_b64 v[63:66], v199 offset0:19 offset1:20
	ds_load_2addr_b64 v[67:70], v177 offset0:17 offset1:18
	ds_load_b128 v[93:96], v3
	ds_load_2addr_b64 v[97:100], v199 offset0:21 offset1:22
	ds_load_2addr_b64 v[107:110], v195 offset0:25 offset1:26
	v_fma_f64 v[123:124], -v[45:46], v[131:132], v[83:84]
	v_fma_f64 v[11:12], -v[47:48], v[103:104], v[11:12]
	;; [unrolled: 1-line block ×5, first 2 shown]
	s_waitcnt lgkmcnt(5)
	v_fma_f64 v[19:20], -v[25:26], v[59:60], v[19:20]
	v_fma_f64 v[59:60], -v[21:22], v[171:172], v[79:80]
	;; [unrolled: 1-line block ×4, first 2 shown]
	s_waitcnt lgkmcnt(4)
	v_fma_f64 v[27:28], -v[9:10], v[63:64], v[27:28]
	v_fma_f64 v[63:64], -v[5:6], v[159:160], v[117:118]
	s_waitcnt lgkmcnt(3)
	v_fma_f64 v[67:68], -v[1:2], v[67:68], v[111:112]
	s_waitcnt lgkmcnt(2)
	v_mul_f64 v[3:4], v[93:94], v[71:72]
	v_fma_f64 v[71:72], -v[75:76], v[85:86], v[101:102]
	ds_load_2addr_b64 v[79:82], v192 offset0:27 offset1:28
	ds_load_b128 v[83:86], v193 offset:208
	v_fma_f64 v[105:106], -v[47:48], v[105:106], v[123:124]
	ds_load_b128 v[101:104], v193 offset:224
	ds_load_2addr_b64 v[111:114], v192 offset0:29 offset1:30
	v_fma_f64 v[15:16], -v[29:30], v[89:90], v[15:16]
	v_fma_f64 v[19:20], -v[21:22], v[173:174], v[19:20]
	;; [unrolled: 1-line block ×3, first 2 shown]
	s_waitcnt lgkmcnt(3)
	v_fma_f64 v[11:12], -v[37:38], v[79:80], v[11:12]
	s_waitcnt lgkmcnt(2)
	v_fma_f64 v[79:80], -v[39:40], v[83:84], v[115:116]
	v_fma_f64 v[83:84], -v[25:26], v[61:62], v[119:120]
	v_fma_f64 v[23:24], -v[13:14], v[165:166], v[23:24]
	v_fma_f64 v[157:158], -v[9:10], v[65:66], v[121:122]
	v_fma_f64 v[27:28], -v[5:6], v[161:162], v[27:28]
	v_fma_f64 v[159:160], -v[1:2], v[69:70], v[63:64]
	v_mov_b32_e32 v59, s33
	s_lshl_b32 s33, s34, 3
	s_delay_alu instid0(SALU_CYCLE_1) | instskip(SKIP_1) | instid1(SALU_CYCLE_1)
	v_mov_b32_e32 v167, s33
	s_or_b32 s33, s8, 18
	s_mul_i32 s34, s33, 0x208
	s_lshl_b32 s33, s33, 6
	s_delay_alu instid0(SALU_CYCLE_1)
	s_add_i32 s36, s8, s33
	v_fma_f64 v[161:162], -v[3:4], v[95:96], v[67:68]
	v_fma_f64 v[71:72], -v[77:78], v[51:52], v[71:72]
	ds_load_2addr_b64 v[49:52], v191 offset0:29 offset1:30
	ds_load_2addr_b64 v[59:62], v59 offset1:1
	ds_load_b128 v[63:66], v196 offset:192
	ds_load_2addr_b64 v[67:70], v197 offset0:23 offset1:24
	ds_load_b128 v[93:96], v198 offset:176
	ds_load_b64 v[163:164], v191 offset:248
	ds_load_b128 v[115:118], v200 offset:160
	ds_load_2addr_b64 v[119:122], v177 offset0:19 offset1:20
	ds_load_b128 v[123:126], v167 offset:144
	ds_load_b128 v[127:130], v167 offset:160
	ds_load_2addr_b64 v[131:134], v177 offset0:21 offset1:22
	ds_load_b128 v[139:142], v200 offset:176
	;; [unrolled: 3-line block ×3, first 2 shown]
	ds_load_b64 v[165:166], v177 offset:248
	v_fma_f64 v[15:16], -v[25:26], v[107:108], v[15:16]
	s_waitcnt lgkmcnt(12)
	v_fma_f64 v[19:20], -v[17:18], v[67:68], v[19:20]
	s_waitcnt lgkmcnt(11)
	v_fma_f64 v[67:68], -v[13:14], v[93:94], v[89:90]
	v_fma_f64 v[11:12], -v[39:40], v[85:86], v[11:12]
	;; [unrolled: 1-line block ×7, first 2 shown]
	s_waitcnt lgkmcnt(9)
	v_fma_f64 v[89:90], -v[5:6], v[115:116], v[157:158]
	s_waitcnt lgkmcnt(8)
	v_fma_f64 v[27:28], -v[1:2], v[119:120], v[27:28]
	s_waitcnt lgkmcnt(7)
	v_fma_f64 v[93:94], -v[3:4], v[123:124], v[159:160]
	ds_load_2addr_b64 v[79:82], v194 offset0:27 offset1:28
	ds_load_2addr_b64 v[83:86], v194 offset0:29 offset1:30
	v_mov_b32_e32 v157, s35
	v_mul_f64 v[155:156], v[59:60], v[161:162]
	v_fma_f64 v[53:54], -v[57:58], v[53:54], v[71:72]
	v_fma_f64 v[71:72], -v[47:48], v[51:52], v[41:42]
	;; [unrolled: 1-line block ×5, first 2 shown]
	s_waitcnt lgkmcnt(1)
	v_fma_f64 v[11:12], -v[29:30], v[79:80], v[11:12]
	v_fma_f64 v[7:8], -v[37:38], v[111:112], v[7:8]
	;; [unrolled: 1-line block ×8, first 2 shown]
	v_mov_b32_e32 v63, s34
	s_or_b32 s34, s8, 19
	s_delay_alu instid0(SALU_CYCLE_1)
	s_mul_i32 s35, s34, 0x208
	s_lshl_b32 s34, s34, 6
	v_fma_f64 v[111:112], -v[155:156], v[61:62], v[93:94]
	v_fma_f64 v[53:54], -v[45:46], v[43:44], v[53:54]
	ds_load_2addr_b64 v[41:44], v195 offset0:27 offset1:28
	ds_load_2addr_b64 v[49:52], v199 offset0:23 offset1:24
	;; [unrolled: 1-line block ×3, first 2 shown]
	ds_load_b128 v[63:66], v63
	ds_load_2addr_b64 v[67:70], v157 offset0:21 offset1:22
	ds_load_2addr_b64 v[89:92], v199 offset0:25 offset1:26
	;; [unrolled: 1-line block ×3, first 2 shown]
	ds_load_b128 v[97:100], v167 offset:240
	v_fma_f64 v[71:72], -v[37:38], v[113:114], v[71:72]
	v_fma_f64 v[15:16], -v[17:18], v[147:148], v[15:16]
	s_waitcnt lgkmcnt(6)
	v_fma_f64 v[19:20], -v[9:10], v[49:50], v[19:20]
	v_fma_f64 v[49:50], -v[5:6], v[139:140], v[107:108]
	;; [unrolled: 1-line block ×9, first 2 shown]
	s_waitcnt lgkmcnt(5)
	v_fma_f64 v[27:28], -v[155:156], v[59:60], v[27:28]
	v_mov_b32_e32 v105, s35
	s_lshl_b32 s35, s36, 3
	s_add_i32 s36, s8, s34
	s_delay_alu instid0(SALU_CYCLE_1)
	s_lshl_b32 s36, s36, 3
	s_waitcnt lgkmcnt(4)
	v_mul_f64 v[143:144], v[63:64], v[111:112]
	v_fma_f64 v[53:54], -v[47:48], v[163:164], v[53:54]
	v_fma_f64 v[33:34], -v[39:40], v[33:34], v[71:72]
	;; [unrolled: 1-line block ×12, first 2 shown]
	v_mov_b32_e32 v153, s35
	s_or_b32 s35, s8, 20
	s_delay_alu instid0(SALU_CYCLE_1)
	s_mul_i32 s37, s35, 0x208
	s_lshl_b32 s35, s35, 6
	v_fma_f64 v[27:28], -v[143:144], v[65:66], v[27:28]
	v_fma_f64 v[149:150], -v[37:38], v[55:56], v[53:54]
	ds_load_b128 v[41:44], v196 offset:224
	ds_load_2addr_b64 v[49:52], v197 offset0:27 offset1:28
	ds_load_b128 v[53:56], v198 offset:208
	ds_load_b128 v[59:62], v200 offset:192
	ds_load_2addr_b64 v[63:66], v177 offset0:23 offset1:24
	ds_load_b128 v[79:82], v167 offset:176
	ds_load_b128 v[101:104], v153 offset:160
	ds_load_2addr_b64 v[105:108], v105 offset1:1
	ds_load_b128 v[109:112], v153 offset:176
	ds_load_b128 v[113:116], v167 offset:192
	ds_load_2addr_b64 v[117:120], v177 offset0:25 offset1:26
	ds_load_b128 v[121:124], v200 offset:208
	ds_load_b128 v[125:128], v198 offset:224
	ds_load_2addr_b64 v[129:132], v197 offset0:29 offset1:30
	ds_load_b128 v[139:142], v196 offset:240
	ds_load_b64 v[151:152], v157 offset:248
	v_fma_f64 v[33:34], -v[29:30], v[85:86], v[33:34]
	s_waitcnt lgkmcnt(18)
	v_fma_f64 v[15:16], -v[9:10], v[89:90], v[15:16]
	s_waitcnt lgkmcnt(11)
	v_fma_f64 v[19:20], -v[1:2], v[63:64], v[19:20]
	v_fma_f64 v[7:8], -v[25:26], v[93:94], v[7:8]
	;; [unrolled: 1-line block ×6, first 2 shown]
	s_waitcnt lgkmcnt(10)
	v_fma_f64 v[59:60], -v[3:4], v[79:80], v[133:134]
	v_fma_f64 v[23:24], -v[155:156], v[67:68], v[23:24]
	s_waitcnt lgkmcnt(9)
	v_fma_f64 v[63:64], -v[143:144], v[101:102], v[147:148]
	v_mov_b32_e32 v133, s36
	s_or_b32 s36, s8, 21
	s_delay_alu instid0(SALU_CYCLE_1)
	s_mul_i32 s38, s36, 0x208
	s_lshl_b32 s36, s36, 6
	s_waitcnt lgkmcnt(8)
	v_mul_f64 v[27:28], v[105:106], v[27:28]
	v_fma_f64 v[35:36], -v[39:40], v[35:36], v[149:150]
	v_fma_f64 v[67:68], -v[25:26], v[95:96], v[33:34]
	;; [unrolled: 1-line block ×11, first 2 shown]
	v_mov_b32_e32 v53, s37
	s_add_i32 s37, s8, s35
	s_delay_alu instid0(SALU_CYCLE_1)
	s_lshl_b32 s37, s37, 3
	v_fma_f64 v[81:82], -v[27:28], v[107:108], v[63:64]
	v_fma_f64 v[35:36], -v[29:30], v[31:32], v[35:36]
	ds_load_2addr_b64 v[31:34], v199 offset0:27 offset1:28
	ds_load_2addr_b64 v[41:44], v157 offset0:23 offset1:24
	;; [unrolled: 1-line block ×3, first 2 shown]
	ds_load_b128 v[53:56], v53
	ds_load_2addr_b64 v[59:62], v157 offset0:25 offset1:26
	ds_load_2addr_b64 v[63:66], v199 offset0:29 offset1:30
	s_waitcnt lgkmcnt(7)
	v_fma_f64 v[67:68], -v[21:22], v[139:140], v[67:68]
	v_fma_f64 v[15:16], -v[1:2], v[117:118], v[15:16]
	s_waitcnt lgkmcnt(4)
	v_fma_f64 v[19:20], -v[155:156], v[41:42], v[19:20]
	v_fma_f64 v[7:8], -v[17:18], v[129:130], v[7:8]
	;; [unrolled: 1-line block ×7, first 2 shown]
	s_waitcnt lgkmcnt(3)
	v_fma_f64 v[23:24], -v[27:28], v[49:50], v[23:24]
	v_mov_b32_e32 v83, s38
	v_mov_b32_e32 v129, s37
	s_add_i32 s38, s8, s36
	s_or_b32 s37, s8, 22
	s_lshl_b32 s38, s38, 3
	s_mul_i32 s39, s37, 0x208
	s_lshl_b32 s37, s37, 6
	s_waitcnt lgkmcnt(2)
	v_mul_f64 v[117:118], v[53:54], v[81:82]
	v_fma_f64 v[35:36], -v[25:26], v[175:176], v[35:36]
	v_fma_f64 v[121:122], -v[17:18], v[131:132], v[67:68]
	;; [unrolled: 1-line block ×12, first 2 shown]
	ds_load_b128 v[31:34], v200 offset:224
	ds_load_2addr_b64 v[41:44], v177 offset0:27 offset1:28
	ds_load_b128 v[49:52], v167 offset:208
	ds_load_b128 v[53:56], v153 offset:192
	ds_load_2addr_b64 v[67:70], v133 offset0:23 offset1:24
	ds_load_b128 v[79:82], v129 offset:176
	ds_load_2addr_b64 v[83:86], v83 offset1:1
	ds_load_b128 v[89:92], v129 offset:192
	ds_load_2addr_b64 v[93:96], v133 offset0:25 offset1:26
	ds_load_b128 v[101:104], v153 offset:208
	ds_load_b128 v[105:108], v167 offset:224
	ds_load_2addr_b64 v[109:112], v177 offset0:29 offset1:30
	ds_load_b128 v[113:116], v200 offset:240
	ds_load_b64 v[127:128], v133 offset:248
	v_fma_f64 v[121:122], -v[13:14], v[135:136], v[121:122]
	s_waitcnt lgkmcnt(15)
	v_fma_f64 v[15:16], -v[155:156], v[59:60], v[15:16]
	s_waitcnt lgkmcnt(9)
	v_fma_f64 v[19:20], -v[27:28], v[67:68], v[19:20]
	v_fma_f64 v[7:8], -v[9:10], v[63:64], v[7:8]
	;; [unrolled: 1-line block ×6, first 2 shown]
	s_waitcnt lgkmcnt(8)
	v_fma_f64 v[53:54], -v[117:118], v[79:80], v[125:126]
	v_mov_b32_e32 v119, s38
	s_or_b32 s38, s8, 23
	s_delay_alu instid0(SALU_CYCLE_1)
	s_mul_i32 s40, s38, 0x208
	s_lshl_b32 s38, s38, 6
	s_waitcnt lgkmcnt(7)
	v_mul_f64 v[23:24], v[83:84], v[23:24]
	v_fma_f64 v[35:36], -v[17:18], v[181:182], v[35:36]
	v_fma_f64 v[67:68], -v[9:10], v[65:66], v[121:122]
	;; [unrolled: 1-line block ×9, first 2 shown]
	v_mov_b32_e32 v49, s39
	s_add_i32 s39, s8, s37
	s_delay_alu instid0(SALU_CYCLE_1)
	s_lshl_b32 s39, s39, 3
	v_fma_f64 v[81:82], -v[23:24], v[85:86], v[53:54]
	v_fma_f64 v[35:36], -v[13:14], v[137:138], v[35:36]
	ds_load_2addr_b64 v[31:34], v157 offset0:27 offset1:28
	ds_load_2addr_b64 v[41:44], v119 offset0:23 offset1:24
	ds_load_b128 v[49:52], v49
	ds_load_2addr_b64 v[53:56], v119 offset0:25 offset1:26
	ds_load_2addr_b64 v[59:62], v157 offset0:29 offset1:30
	ds_load_b128 v[63:66], v129 offset:240
	s_waitcnt lgkmcnt(7)
	v_fma_f64 v[67:68], -v[5:6], v[113:114], v[67:68]
	v_fma_f64 v[15:16], -v[27:28], v[93:94], v[15:16]
	s_waitcnt lgkmcnt(4)
	v_fma_f64 v[19:20], -v[23:24], v[41:42], v[19:20]
	v_fma_f64 v[7:8], -v[1:2], v[109:110], v[7:8]
	;; [unrolled: 1-line block ×6, first 2 shown]
	v_mov_b32_e32 v79, s40
	s_or_b32 s40, s8, 24
	s_delay_alu instid0(SALU_CYCLE_1)
	s_mul_i32 s41, s40, 0x208
	s_waitcnt lgkmcnt(3)
	v_mul_f64 v[105:106], v[49:50], v[81:82]
	v_fma_f64 v[35:36], -v[9:10], v[189:190], v[35:36]
	v_fma_f64 v[109:110], -v[1:2], v[111:112], v[67:68]
	;; [unrolled: 1-line block ×10, first 2 shown]
	v_mov_b32_e32 v115, s39
	ds_load_b128 v[31:34], v153 offset:224
	ds_load_2addr_b64 v[41:44], v133 offset0:27 offset1:28
	ds_load_b128 v[49:52], v129 offset:208
	ds_load_b128 v[67:70], v115 offset:192
	ds_load_2addr_b64 v[79:82], v79 offset1:1
	ds_load_b128 v[83:86], v115 offset:208
	ds_load_b128 v[89:92], v129 offset:224
	ds_load_2addr_b64 v[93:96], v133 offset0:29 offset1:30
	ds_load_b128 v[101:104], v153 offset:240
	ds_load_b64 v[113:114], v119 offset:248
	v_fma_f64 v[97:98], -v[3:4], v[97:98], v[109:110]
	s_add_i32 s39, s8, s38
	s_delay_alu instid0(SALU_CYCLE_1)
	s_lshl_b32 s39, s39, 3
	s_waitcnt lgkmcnt(12)
	v_fma_f64 v[15:16], -v[23:24], v[53:54], v[15:16]
	s_waitcnt lgkmcnt(11)
	v_fma_f64 v[7:8], -v[155:156], v[59:60], v[7:8]
	;; [unrolled: 2-line block ×6, first 2 shown]
	s_waitcnt lgkmcnt(5)
	v_mul_f64 v[19:20], v[79:80], v[19:20]
	v_fma_f64 v[35:36], -v[1:2], v[165:166], v[35:36]
	v_fma_f64 v[59:60], -v[155:156], v[61:62], v[97:98]
	v_mov_b32_e32 v97, s39
	s_lshl_b32 s39, s40, 6
	s_delay_alu instid0(SALU_CYCLE_1) | instskip(SKIP_2) | instid1(SALU_CYCLE_1)
	s_add_i32 s40, s8, s39
	v_fma_f64 v[15:16], -v[105:106], v[69:70], v[15:16]
	s_lshl_b32 s40, s40, 3
	v_mov_b32_e32 v98, s40
	v_fma_f64 v[7:8], -v[143:144], v[33:34], v[7:8]
	v_fma_f64 v[61:62], -v[27:28], v[43:44], v[31:32]
	;; [unrolled: 1-line block ×6, first 2 shown]
	v_mov_b32_e32 v49, s41
	ds_load_2addr_b64 v[31:34], v119 offset0:27 offset1:28
	ds_load_2addr_b64 v[41:44], v97 offset0:25 offset1:26
	ds_load_b128 v[49:52], v49
	ds_load_2addr_b64 v[53:56], v119 offset0:29 offset1:30
	s_waitcnt lgkmcnt(5)
	v_fma_f64 v[59:60], -v[143:144], v[101:102], v[59:60]
	s_or_b32 s41, s8, 25
	s_delay_alu instid0(SALU_CYCLE_1) | instskip(SKIP_1) | instid1(SALU_CYCLE_1)
	s_mul_i32 s42, s41, 0x208
	s_lshl_b32 s40, s41, 6
	s_add_i32 s41, s8, s40
	s_delay_alu instid0(SALU_CYCLE_1)
	s_lshl_b32 s41, s41, 3
	v_fma_f64 v[7:8], -v[27:28], v[93:94], v[7:8]
	v_fma_f64 v[61:62], -v[117:118], v[89:90], v[61:62]
	s_waitcnt lgkmcnt(3)
	v_fma_f64 v[11:12], -v[23:24], v[31:32], v[11:12]
	v_fma_f64 v[31:32], -v[105:106], v[83:84], v[67:68]
	s_waitcnt lgkmcnt(2)
	v_fma_f64 v[15:16], -v[19:20], v[41:42], v[15:16]
	s_waitcnt lgkmcnt(1)
	v_mul_f64 v[71:72], v[49:50], v[69:70]
	v_fma_f64 v[35:36], -v[155:156], v[151:152], v[35:36]
	v_fma_f64 v[89:90], -v[27:28], v[95:96], v[59:60]
	v_mov_b32_e32 v59, s42
	s_or_b32 s42, s8, 26
	s_delay_alu instid0(SALU_CYCLE_1)
	s_mul_i32 s43, s42, 0x208
	v_fma_f64 v[7:8], -v[117:118], v[91:92], v[7:8]
	v_fma_f64 v[91:92], -v[23:24], v[33:34], v[61:62]
	;; [unrolled: 1-line block ×6, first 2 shown]
	ds_load_b128 v[31:34], v115 offset:224
	ds_load_2addr_b64 v[41:44], v97 offset0:27 offset1:28
	ds_load_b128 v[49:52], v98 offset:208
	ds_load_2addr_b64 v[59:62], v59 offset1:1
	ds_load_b128 v[67:70], v98 offset:224
	ds_load_2addr_b64 v[79:82], v97 offset0:29 offset1:30
	ds_load_b128 v[83:86], v115 offset:240
	ds_load_b64 v[95:96], v97 offset:248
	v_fma_f64 v[63:64], -v[117:118], v[63:64], v[89:90]
	v_mov_b32_e32 v89, s41
	s_lshl_b32 s41, s42, 6
	s_delay_alu instid0(SALU_CYCLE_1) | instskip(NEXT) | instid1(SALU_CYCLE_1)
	s_add_i32 s42, s8, s41
	s_lshl_b32 s42, s42, 3
	s_waitcnt lgkmcnt(8)
	v_fma_f64 v[7:8], -v[23:24], v[53:54], v[7:8]
	s_waitcnt lgkmcnt(7)
	v_fma_f64 v[31:32], -v[105:106], v[31:32], v[91:92]
	;; [unrolled: 2-line block ×4, first 2 shown]
	s_waitcnt lgkmcnt(4)
	v_mul_f64 v[15:16], v[59:60], v[15:16]
	v_fma_f64 v[35:36], -v[27:28], v[127:128], v[35:36]
	v_fma_f64 v[59:60], -v[23:24], v[55:56], v[63:64]
	;; [unrolled: 1-line block ×7, first 2 shown]
	v_mov_b32_e32 v41, s43
	s_or_b32 s43, s8, 27
	ds_load_2addr_b64 v[31:34], v89 offset0:27 offset1:28
	ds_load_b128 v[41:44], v41
	ds_load_2addr_b64 v[49:52], v89 offset0:29 offset1:30
	ds_load_b128 v[53:56], v98 offset:240
	s_waitcnt lgkmcnt(5)
	v_fma_f64 v[59:60], -v[105:106], v[83:84], v[59:60]
	s_mul_i32 s44, s43, 0x208
	v_fma_f64 v[7:8], -v[19:20], v[79:80], v[7:8]
	v_fma_f64 v[63:64], -v[71:72], v[67:68], v[63:64]
	s_waitcnt lgkmcnt(3)
	v_fma_f64 v[11:12], -v[15:16], v[31:32], v[11:12]
	s_waitcnt lgkmcnt(2)
	v_mul_f64 v[65:66], v[41:42], v[61:62]
	v_fma_f64 v[31:32], -v[23:24], v[113:114], v[35:36]
	v_mov_b32_e32 v41, s44
	s_or_b32 s44, s8, 28
	s_delay_alu instid0(SALU_CYCLE_1) | instskip(SKIP_3) | instid1(SALU_CYCLE_1)
	s_mul_i32 s45, s44, 0x208
	v_fma_f64 v[35:36], -v[19:20], v[81:82], v[59:60]
	v_mov_b32_e32 v59, s42
	s_lshl_b32 s42, s43, 6
	s_add_i32 s43, s8, s42
	s_delay_alu instid0(SALU_CYCLE_1)
	s_lshl_b32 s43, s43, 3
	v_fma_f64 v[7:8], -v[71:72], v[69:70], v[7:8]
	v_fma_f64 v[63:64], -v[15:16], v[33:34], v[63:64]
	;; [unrolled: 1-line block ×4, first 2 shown]
	ds_load_b128 v[31:34], v59 offset:224
	ds_load_2addr_b64 v[41:44], v41 offset1:1
	ds_load_b128 v[59:62], v59 offset:240
	ds_load_b64 v[69:70], v89 offset:248
	s_waitcnt lgkmcnt(4)
	v_fma_f64 v[35:36], -v[71:72], v[53:54], v[35:36]
	v_fma_f64 v[7:8], -v[15:16], v[49:50], v[7:8]
	s_waitcnt lgkmcnt(3)
	v_fma_f64 v[31:32], -v[65:66], v[31:32], v[63:64]
	v_mov_b32_e32 v63, s43
	s_lshl_b32 s43, s44, 6
	s_delay_alu instid0(SALU_CYCLE_1) | instskip(NEXT) | instid1(SALU_CYCLE_1)
	s_add_i32 s44, s8, s43
	s_lshl_b32 s44, s44, 3
	s_waitcnt lgkmcnt(2)
	v_mul_f64 v[11:12], v[41:42], v[11:12]
	v_fma_f64 v[41:42], -v[19:20], v[95:96], v[67:68]
	v_fma_f64 v[35:36], -v[15:16], v[51:52], v[35:36]
	;; [unrolled: 1-line block ×3, first 2 shown]
	s_delay_alu instid0(VALU_DEP_4) | instskip(NEXT) | instid1(VALU_DEP_4)
	v_fma_f64 v[49:50], -v[11:12], v[43:44], v[31:32]
	v_fma_f64 v[51:52], -v[71:72], v[55:56], v[41:42]
	v_mov_b32_e32 v41, s45
	s_or_b32 s45, s8, 29
	ds_load_2addr_b64 v[31:34], v63 offset0:29 offset1:30
	ds_load_b128 v[41:44], v41
	s_waitcnt lgkmcnt(3)
	v_fma_f64 v[35:36], -v[65:66], v[59:60], v[35:36]
	s_mul_i32 s46, s45, 0x208
	s_lshl_b32 s45, s45, 6
	s_waitcnt lgkmcnt(1)
	v_fma_f64 v[7:8], -v[11:12], v[31:32], v[7:8]
	s_waitcnt lgkmcnt(0)
	v_mul_f64 v[53:54], v[41:42], v[49:50]
	v_fma_f64 v[31:32], -v[15:16], v[69:70], v[51:52]
	v_mov_b32_e32 v41, s46
	v_fma_f64 v[35:36], -v[11:12], v[33:34], v[35:36]
	s_delay_alu instid0(VALU_DEP_4) | instskip(NEXT) | instid1(VALU_DEP_4)
	v_fma_f64 v[7:8], -v[53:54], v[43:44], v[7:8]
	v_fma_f64 v[55:56], -v[65:66], v[61:62], v[31:32]
	v_mov_b32_e32 v31, s44
	s_or_b32 s44, s8, 30
	ds_load_b128 v[31:34], v31 offset:240
	ds_load_2addr_b64 v[41:44], v41 offset1:1
	ds_load_b64 v[59:60], v63 offset:248
	s_mul_i32 s46, s44, 0x208
	ds_store_b64 v88, v[73:74]
	v_mov_b32_e32 v49, s46
	s_add_i32 s46, s8, s45
	s_delay_alu instid0(SALU_CYCLE_1)
	s_lshl_b32 s46, s46, 3
	ds_load_b128 v[49:52], v49
	s_waitcnt lgkmcnt(4)
	v_fma_f64 v[31:32], -v[53:54], v[31:32], v[35:36]
	s_waitcnt lgkmcnt(3)
	v_mul_f64 v[7:8], v[41:42], v[7:8]
	s_waitcnt lgkmcnt(2)
	v_fma_f64 v[35:36], -v[11:12], v[59:60], v[55:56]
	v_or_b32_e32 v55, s21, v0
	v_or_b32_e32 v56, s13, v0
	s_delay_alu instid0(VALU_DEP_4) | instskip(NEXT) | instid1(VALU_DEP_4)
	v_fma_f64 v[31:32], -v[7:8], v[43:44], v[31:32]
	v_fma_f64 v[33:34], -v[53:54], v[33:34], v[35:36]
	v_mov_b32_e32 v35, s46
	s_or_b32 s46, s8, 31
	v_or_b32_e32 v43, s15, v0
	s_mul_i32 s47, s46, 0x208
	v_or_b32_e32 v44, s19, v0
	ds_load_b64 v[35:36], v35 offset:248
	v_mov_b32_e32 v41, s47
	v_lshlrev_b32_e32 v43, 3, v43
	v_lshlrev_b32_e32 v44, 3, v44
	ds_load_b64 v[41:42], v41
	s_waitcnt lgkmcnt(2)
	v_mul_f64 v[31:32], v[49:50], v[31:32]
	s_waitcnt lgkmcnt(1)
	v_fma_f64 v[33:34], -v[7:8], v[35:36], v[33:34]
	v_or_b32_e32 v35, s9, v0
	v_or_b32_e32 v36, s12, v0
	;; [unrolled: 1-line block ×4, first 2 shown]
	s_add_i32 s9, s8, 32
	v_lshlrev_b32_e32 v35, 3, v35
	v_lshlrev_b32_e32 v36, 3, v36
	s_add_i32 s8, s8, 63
	ds_store_b64 v35, v[75:76] offset:32768
	ds_store_b64 v36, v[77:78] offset:32768
	;; [unrolled: 1-line block ×4, first 2 shown]
	v_lshlrev_b32_e32 v35, 3, v49
	v_lshlrev_b32_e32 v36, 3, v50
	;; [unrolled: 1-line block ×4, first 2 shown]
	v_or_b32_e32 v45, s22, v0
	v_or_b32_e32 v46, s23, v0
	ds_store_b64 v35, v[47:48] offset:32768
	ds_store_b64 v36, v[37:38] offset:32768
	;; [unrolled: 1-line block ×4, first 2 shown]
	v_or_b32_e32 v35, s24, v0
	v_or_b32_e32 v36, s25, v0
	;; [unrolled: 1-line block ×3, first 2 shown]
	v_lshlrev_b32_e32 v29, 3, v45
	v_or_b32_e32 v38, s27, v0
	v_or_b32_e32 v39, s29, v0
	;; [unrolled: 1-line block ×3, first 2 shown]
	v_lshlrev_b32_e32 v30, 3, v46
	v_lshlrev_b32_e32 v35, 3, v35
	v_lshlrev_b32_e32 v36, 3, v36
	v_lshlrev_b32_e32 v37, 3, v37
	v_lshlrev_b32_e32 v38, 3, v38
	v_lshlrev_b32_e32 v39, 3, v39
	ds_store_b64 v29, v[25:26] offset:32768
	ds_store_b64 v30, v[21:22] offset:32768
	;; [unrolled: 1-line block ×7, first 2 shown]
	v_lshlrev_b32_e32 v1, 3, v40
	v_or_b32_e32 v2, s31, v0
	v_or_b32_e32 v5, s33, v0
	;; [unrolled: 1-line block ×4, first 2 shown]
	v_fma_f64 v[33:34], -v[31:32], v[51:52], v[33:34]
	ds_store_b64 v1, v[3:4] offset:32768
	v_lshlrev_b32_e32 v3, 3, v2
	v_lshlrev_b32_e32 v4, 3, v5
	;; [unrolled: 1-line block ×4, first 2 shown]
	v_or_b32_e32 v9, s36, v0
	v_or_b32_e32 v10, s37, v0
	;; [unrolled: 1-line block ×4, first 2 shown]
	ds_store_b64 v3, v[155:156] offset:32768
	ds_store_b64 v4, v[143:144] offset:32768
	;; [unrolled: 1-line block ×4, first 2 shown]
	v_lshlrev_b32_e32 v3, 3, v9
	v_or_b32_e32 v9, s40, v0
	v_lshlrev_b32_e32 v4, 3, v10
	v_or_b32_e32 v10, s41, v0
	;; [unrolled: 2-line block ×4, first 2 shown]
	ds_store_b64 v3, v[23:24] offset:32768
	ds_store_b64 v4, v[105:106] offset:32768
	;; [unrolled: 1-line block ×4, first 2 shown]
	v_lshlrev_b32_e32 v3, 3, v9
	v_or_b32_e32 v9, s45, v0
	v_lshlrev_b32_e32 v4, 3, v10
	v_lshlrev_b32_e32 v10, 3, v0
	;; [unrolled: 1-line block ×4, first 2 shown]
	ds_store_b64 v3, v[15:16] offset:32768
	ds_store_b64 v4, v[65:66] offset:32768
	ds_store_b64 v5, v[11:12] offset:32768
	ds_store_b64 v6, v[53:54] offset:32768
	v_lshlrev_b32_e32 v3, 3, v9
	v_lshl_or_b32 v4, s44, 9, v10
	v_lshl_or_b32 v5, s46, 9, v10
	s_cmp_lt_i32 s8, s28
	s_waitcnt lgkmcnt(28)
	v_mul_f64 v[1:2], v[41:42], v[33:34]
	ds_store_b64 v3, v[7:8] offset:32768
	ds_store_b64 v4, v[31:32] offset:32768
	;; [unrolled: 1-line block ×3, first 2 shown]
	s_cbranch_scc0 .LBB109_54
; %bb.53:                               ;   in Loop: Header=BB109_49 Depth=1
	s_mov_b32 s8, s9
	s_branch .LBB109_49
.LBB109_54:
	s_cmp_lt_i32 s9, s28
	s_cbranch_scc0 .LBB109_79
; %bb.55:
	s_add_i32 s4, s9, 3
	s_delay_alu instid0(SALU_CYCLE_1)
	s_cmp_ge_i32 s4, s28
	s_cbranch_scc1 .LBB109_67
; %bb.56:
	v_lshl_or_b32 v9, v0, 3, 0x8000
	v_lshlrev_b32_e32 v10, 3, v0
	s_add_i32 s4, s9, -1
	s_lshl_b32 s8, s9, 3
	s_and_b32 s12, s9, -4
	s_and_b32 s13, s9, 3
	s_mov_b32 s14, 0
.LBB109_57:                             ; =>This Loop Header: Depth=1
                                        ;     Child Loop BB109_60 Depth 2
                                        ;     Child Loop BB109_64 Depth 2
	v_lshl_or_b32 v11, s9, 9, v10
	s_cmp_eq_u32 s9, 0
	ds_load_2addr_stride64_b64 v[5:8], v11 offset0:64 offset1:65
	ds_load_2addr_stride64_b64 v[1:4], v11 offset0:66 offset1:67
	s_cbranch_scc1 .LBB109_65
; %bb.58:                               ;   in Loop: Header=BB109_57 Depth=1
	s_lshl_b32 s15, s14, 2
	s_delay_alu instid0(SALU_CYCLE_1) | instskip(NEXT) | instid1(SALU_CYCLE_1)
	s_add_i32 s15, s4, s15
	s_cmp_lt_u32 s15, 3
	s_cbranch_scc1 .LBB109_62
; %bb.59:                               ;   in Loop: Header=BB109_57 Depth=1
	v_mov_b32_e32 v12, v9
	s_mov_b32 s15, 0
	s_mov_b32 s19, s8
.LBB109_60:                             ;   Parent Loop BB109_57 Depth=1
                                        ; =>  This Inner Loop Header: Depth=2
	s_delay_alu instid0(SALU_CYCLE_1)
	v_mov_b32_e32 v29, s19
	s_add_i32 s15, s15, 4
	s_addk_i32 s19, 0x800
	s_cmp_lg_u32 s12, s15
	ds_load_2addr_stride64_b64 v[13:16], v12 offset1:1
	ds_load_2addr_b64 v[17:20], v29 offset1:1
	ds_load_2addr_b64 v[21:24], v29 offset0:2 offset1:3
	ds_load_2addr_stride64_b64 v[25:28], v12 offset0:2 offset1:3
	v_add_nc_u32_e32 v12, 0x800, v12
	s_waitcnt lgkmcnt(2)
	v_fma_f64 v[17:18], -v[13:14], v[17:18], v[5:6]
	v_fma_f64 v[19:20], -v[13:14], v[19:20], v[7:8]
	s_waitcnt lgkmcnt(1)
	v_fma_f64 v[21:22], -v[13:14], v[21:22], v[1:2]
	v_fma_f64 v[13:14], -v[13:14], v[23:24], v[3:4]
	ds_load_2addr_b64 v[1:4], v29 offset0:64 offset1:65
	ds_load_2addr_b64 v[5:8], v29 offset0:66 offset1:67
	s_waitcnt lgkmcnt(1)
	v_fma_f64 v[17:18], -v[15:16], v[1:2], v[17:18]
	v_fma_f64 v[19:20], -v[15:16], v[3:4], v[19:20]
	s_waitcnt lgkmcnt(0)
	v_fma_f64 v[21:22], -v[15:16], v[5:6], v[21:22]
	v_fma_f64 v[13:14], -v[15:16], v[7:8], v[13:14]
	ds_load_2addr_b64 v[1:4], v29 offset0:128 offset1:129
	ds_load_2addr_b64 v[5:8], v29 offset0:130 offset1:131
	;; [unrolled: 8-line block ×3, first 2 shown]
	s_waitcnt lgkmcnt(1)
	v_fma_f64 v[5:6], -v[27:28], v[1:2], v[17:18]
	v_fma_f64 v[7:8], -v[27:28], v[3:4], v[19:20]
	s_waitcnt lgkmcnt(0)
	v_fma_f64 v[1:2], -v[27:28], v[13:14], v[21:22]
	v_fma_f64 v[3:4], -v[27:28], v[15:16], v[23:24]
	s_cbranch_scc1 .LBB109_60
; %bb.61:                               ;   in Loop: Header=BB109_57 Depth=1
	s_mov_b32 s15, s12
	s_and_b32 s19, s9, 3
	s_delay_alu instid0(SALU_CYCLE_1)
	s_cmp_eq_u32 s19, 0
	s_cbranch_scc0 .LBB109_63
	s_branch .LBB109_65
.LBB109_62:                             ;   in Loop: Header=BB109_57 Depth=1
	s_mov_b32 s15, 0
	s_and_b32 s19, s9, 3
	s_delay_alu instid0(SALU_CYCLE_1)
	s_cmp_eq_u32 s19, 0
	s_cbranch_scc1 .LBB109_65
.LBB109_63:                             ;   in Loop: Header=BB109_57 Depth=1
	s_lshl_b32 s15, s15, 9
	s_mov_b32 s19, s13
	.p2align	6
.LBB109_64:                             ;   Parent Loop BB109_57 Depth=1
                                        ; =>  This Inner Loop Header: Depth=2
	s_add_i32 s20, s8, s15
	v_add_nc_u32_e32 v12, s15, v9
	v_mov_b32_e32 v16, s20
	s_add_i32 s19, s19, -1
	s_addk_i32 s15, 0x200
	s_cmp_lg_u32 s19, 0
	ds_load_b64 v[20:21], v12
	ds_load_2addr_b64 v[12:15], v16 offset1:1
	ds_load_2addr_b64 v[16:19], v16 offset0:2 offset1:3
	s_waitcnt lgkmcnt(1)
	v_fma_f64 v[5:6], -v[20:21], v[12:13], v[5:6]
	v_fma_f64 v[7:8], -v[20:21], v[14:15], v[7:8]
	s_waitcnt lgkmcnt(0)
	v_fma_f64 v[1:2], -v[20:21], v[16:17], v[1:2]
	v_fma_f64 v[3:4], -v[20:21], v[18:19], v[3:4]
	s_cbranch_scc1 .LBB109_64
.LBB109_65:                             ;   in Loop: Header=BB109_57 Depth=1
	s_mul_i32 s15, s9, 0x208
	s_delay_alu instid0(SALU_CYCLE_1)
	v_dual_mov_b32 v24, s15 :: v_dual_add_nc_u32 v11, 0x8000, v11
	s_lshl_b32 s15, s9, 6
	s_add_i32 s14, s14, 1
	s_add_i32 s15, s15, 64
	;; [unrolled: 1-line block ×3, first 2 shown]
	ds_load_2addr_b64 v[12:15], v24 offset1:1
	ds_load_2addr_b64 v[16:19], v24 offset0:2 offset1:3
	s_add_i32 s19, s9, s15
	s_add_i32 s12, s12, 4
	s_lshl_b32 s19, s19, 3
	s_waitcnt lgkmcnt(1)
	v_mul_f64 v[20:21], v[12:13], v[5:6]
	s_delay_alu instid0(VALU_DEP_1)
	v_fma_f64 v[22:23], -v[20:21], v[14:15], v[7:8]
	ds_load_2addr_b64 v[5:8], v24 offset0:65 offset1:66
	ds_load_2addr_b64 v[12:15], v24 offset0:130 offset1:131
	s_waitcnt lgkmcnt(2)
	v_fma_f64 v[1:2], -v[20:21], v[16:17], v[1:2]
	v_fma_f64 v[3:4], -v[20:21], v[18:19], v[3:4]
	s_waitcnt lgkmcnt(1)
	v_mul_f64 v[5:6], v[5:6], v[22:23]
	s_delay_alu instid0(VALU_DEP_1)
	v_fma_f64 v[1:2], -v[5:6], v[7:8], v[1:2]
	v_mov_b32_e32 v7, s19
	ds_load_b64 v[7:8], v7 offset:24
	ds_load_b64 v[16:17], v24 offset:1560
	s_waitcnt lgkmcnt(1)
	v_fma_f64 v[3:4], -v[5:6], v[7:8], v[3:4]
	v_or_b32_e32 v7, s15, v0
	s_lshl_b32 s15, s9, 9
	s_delay_alu instid0(SALU_CYCLE_1) | instskip(SKIP_1) | instid1(VALU_DEP_1)
	s_add_i32 s19, s15, 0x400
	s_addk_i32 s15, 0x600
	v_lshlrev_b32_e32 v7, 3, v7
	v_or_b32_e32 v8, s19, v10
	v_mul_f64 v[1:2], v[12:13], v[1:2]
	v_or_b32_e32 v12, s15, v10
	s_add_i32 s15, s9, 4
	s_add_i32 s9, s9, 7
	s_delay_alu instid0(SALU_CYCLE_1) | instskip(NEXT) | instid1(VALU_DEP_2)
	s_cmp_lt_i32 s9, s28
	v_fma_f64 v[3:4], -v[1:2], v[14:15], v[3:4]
	s_waitcnt lgkmcnt(0)
	s_delay_alu instid0(VALU_DEP_1)
	v_mul_f64 v[3:4], v[16:17], v[3:4]
	ds_store_b64 v11, v[20:21]
	ds_store_b64 v7, v[5:6] offset:32768
	ds_store_b64 v8, v[1:2] offset:32768
	;; [unrolled: 1-line block ×3, first 2 shown]
	s_cbranch_scc0 .LBB109_68
; %bb.66:                               ;   in Loop: Header=BB109_57 Depth=1
	s_mov_b32 s9, s15
	s_branch .LBB109_57
.LBB109_67:
	s_mov_b32 s15, s9
.LBB109_68:
	s_delay_alu instid0(SALU_CYCLE_1)
	s_cmp_ge_i32 s15, s28
	s_cbranch_scc1 .LBB109_79
; %bb.69:
	v_lshl_or_b32 v3, v0, 3, 0x8000
	v_lshlrev_b32_e32 v4, 3, v0
	s_add_i32 s4, s15, -1
	s_lshl_b32 s8, s15, 3
	s_mov_b32 s9, 0
	s_mov_b32 s12, s15
	s_branch .LBB109_71
.LBB109_70:                             ;   in Loop: Header=BB109_71 Depth=1
	s_mul_i32 s13, s15, 0x208
	s_delay_alu instid0(SALU_CYCLE_1)
	v_dual_mov_b32 v6, s13 :: v_dual_add_nc_u32 v5, 0x8000, v5
	s_add_i32 s15, s15, 1
	s_add_i32 s9, s9, 1
	;; [unrolled: 1-line block ×3, first 2 shown]
	s_cmp_ge_i32 s15, s28
	ds_load_b64 v[6:7], v6
	s_waitcnt lgkmcnt(0)
	v_mul_f64 v[1:2], v[6:7], v[1:2]
	v_add_nc_u16 v6, s12, 1
	s_delay_alu instid0(VALU_DEP_1)
	v_readfirstlane_b32 s12, v6
	ds_store_b64 v5, v[1:2]
	s_cbranch_scc1 .LBB109_79
.LBB109_71:                             ; =>This Loop Header: Depth=1
                                        ;     Child Loop BB109_74 Depth 2
                                        ;     Child Loop BB109_78 Depth 2
	v_lshl_or_b32 v5, s15, 9, v4
	s_cmp_eq_u32 s15, 0
	ds_load_b64 v[1:2], v5 offset:32768
	s_cbranch_scc1 .LBB109_70
; %bb.72:                               ;   in Loop: Header=BB109_71 Depth=1
	s_add_i32 s13, s4, s9
	s_delay_alu instid0(SALU_CYCLE_1)
	s_cmp_lt_u32 s13, 7
	s_cbranch_scc1 .LBB109_76
; %bb.73:                               ;   in Loop: Header=BB109_71 Depth=1
	v_mov_b32_e32 v6, v3
	s_and_b32 s13, s15, -8
	s_mov_b32 s14, 0
	s_mov_b32 s19, s8
	s_set_inst_prefetch_distance 0x1
	.p2align	6
.LBB109_74:                             ;   Parent Loop BB109_71 Depth=1
                                        ; =>  This Inner Loop Header: Depth=2
	v_mov_b32_e32 v23, s19
	s_add_i32 s14, s14, 8
	s_addk_i32 s19, 0x1000
	s_cmp_lg_u32 s13, s14
	ds_load_2addr_stride64_b64 v[7:10], v6 offset1:1
	ds_load_2addr_stride64_b64 v[11:14], v23 offset1:1
	ds_load_2addr_stride64_b64 v[15:18], v6 offset0:2 offset1:3
	ds_load_2addr_stride64_b64 v[19:22], v23 offset0:2 offset1:3
	s_waitcnt lgkmcnt(2)
	v_fma_f64 v[1:2], -v[7:8], v[11:12], v[1:2]
	s_delay_alu instid0(VALU_DEP_1) | instskip(SKIP_1) | instid1(VALU_DEP_1)
	v_fma_f64 v[1:2], -v[9:10], v[13:14], v[1:2]
	s_waitcnt lgkmcnt(0)
	v_fma_f64 v[1:2], -v[15:16], v[19:20], v[1:2]
	s_delay_alu instid0(VALU_DEP_1)
	v_fma_f64 v[1:2], -v[17:18], v[21:22], v[1:2]
	ds_load_2addr_stride64_b64 v[7:10], v6 offset0:4 offset1:5
	ds_load_2addr_stride64_b64 v[11:14], v23 offset0:4 offset1:5
	;; [unrolled: 1-line block ×4, first 2 shown]
	v_add_nc_u32_e32 v6, 0x1000, v6
	s_waitcnt lgkmcnt(2)
	v_fma_f64 v[1:2], -v[7:8], v[11:12], v[1:2]
	s_delay_alu instid0(VALU_DEP_1) | instskip(SKIP_1) | instid1(VALU_DEP_1)
	v_fma_f64 v[1:2], -v[9:10], v[13:14], v[1:2]
	s_waitcnt lgkmcnt(0)
	v_fma_f64 v[1:2], -v[15:16], v[19:20], v[1:2]
	s_delay_alu instid0(VALU_DEP_1)
	v_fma_f64 v[1:2], -v[17:18], v[21:22], v[1:2]
	s_cbranch_scc1 .LBB109_74
; %bb.75:                               ;   in Loop: Header=BB109_71 Depth=1
	s_set_inst_prefetch_distance 0x2
	s_and_b32 s14, s15, 7
	s_delay_alu instid0(SALU_CYCLE_1)
	s_cmp_eq_u32 s14, 0
	s_cbranch_scc0 .LBB109_77
	s_branch .LBB109_70
.LBB109_76:                             ;   in Loop: Header=BB109_71 Depth=1
	s_mov_b32 s13, 0
	s_and_b32 s14, s15, 7
	s_delay_alu instid0(SALU_CYCLE_1)
	s_cmp_eq_u32 s14, 0
	s_cbranch_scc1 .LBB109_70
.LBB109_77:                             ;   in Loop: Header=BB109_71 Depth=1
	s_and_b32 s14, s12, 7
	s_lshl_b32 s13, s13, 9
.LBB109_78:                             ;   Parent Loop BB109_71 Depth=1
                                        ; =>  This Inner Loop Header: Depth=2
	s_delay_alu instid0(SALU_CYCLE_1)
	s_add_i32 s19, s8, s13
	v_add_nc_u32_e32 v6, s13, v3
	v_mov_b32_e32 v8, s19
	s_add_i32 s14, s14, -1
	s_addk_i32 s13, 0x200
	s_cmp_lg_u32 s14, 0
	ds_load_b64 v[6:7], v6
	ds_load_b64 v[8:9], v8
	s_waitcnt lgkmcnt(0)
	v_fma_f64 v[1:2], -v[6:7], v[8:9], v[1:2]
	s_cbranch_scc1 .LBB109_78
	s_branch .LBB109_70
.LBB109_79:
	s_waitcnt lgkmcnt(0)
	s_barrier
	buffer_gl0_inv
	s_and_saveexec_b32 s4, s18
	s_cbranch_execz .LBB109_86
; %bb.80:
	s_cmp_lt_i32 s6, 8
	s_mov_b32 s4, 0
	s_cbranch_scc1 .LBB109_83
; %bb.81:
	v_mad_i64_i32 v[1:2], null, s16, v0, 0
	v_lshl_or_b32 v3, v0, 3, 0x8000
	s_lshl_b32 s4, s28, 3
	s_delay_alu instid0(VALU_DEP_2) | instskip(NEXT) | instid1(VALU_DEP_1)
	v_lshlrev_b64 v[1:2], 3, v[1:2]
	v_add_co_u32 v1, vcc_lo, s5, v1
	s_delay_alu instid0(VALU_DEP_2)
	v_add_co_ci_u32_e32 v2, vcc_lo, s7, v2, vcc_lo
	s_and_b32 s5, s4, 0x3c0
	s_mov_b32 s4, 0
	s_mov_b64 s[6:7], 0
	.p2align	6
.LBB109_82:                             ; =>This Inner Loop Header: Depth=1
	ds_load_2addr_stride64_b64 v[4:7], v3 offset1:1
	ds_load_2addr_stride64_b64 v[8:11], v3 offset0:2 offset1:3
	ds_load_2addr_stride64_b64 v[12:15], v3 offset0:4 offset1:5
	;; [unrolled: 1-line block ×3, first 2 shown]
	v_add_co_u32 v20, vcc_lo, v1, s6
	v_add_co_ci_u32_e32 v21, vcc_lo, s7, v2, vcc_lo
	s_add_i32 s4, s4, 8
	v_add_nc_u32_e32 v3, 0x1000, v3
	s_add_u32 s6, s6, 64
	s_addc_u32 s7, s7, 0
	s_cmp_lg_u32 s5, s6
	s_waitcnt lgkmcnt(3)
	global_store_b128 v[20:21], v[4:7], off
	s_waitcnt lgkmcnt(2)
	global_store_b128 v[20:21], v[8:11], off offset:16
	s_waitcnt lgkmcnt(1)
	global_store_b128 v[20:21], v[12:15], off offset:32
	;; [unrolled: 2-line block ×3, first 2 shown]
	s_cbranch_scc1 .LBB109_82
.LBB109_83:
	s_and_b32 s6, s28, 7
	s_mov_b32 s5, 0
	s_cmp_eq_u32 s6, 0
	s_cbranch_scc1 .LBB109_86
; %bb.84:
	v_lshlrev_b32_e32 v2, 3, v0
	s_lshl_b64 s[8:9], s[10:11], 3
	s_lshl_b64 s[10:11], s[4:5], 3
	s_delay_alu instid0(SALU_CYCLE_1) | instskip(NEXT) | instid1(VALU_DEP_1)
	s_add_u32 s2, s2, s10
	v_add_co_u32 v3, s5, s8, v2
	s_delay_alu instid0(VALU_DEP_1) | instskip(SKIP_3) | instid1(VALU_DEP_1)
	v_add_co_ci_u32_e64 v4, null, s9, 0, s5
	s_addc_u32 s3, s3, s11
	s_add_u32 s0, s2, s0
	s_addc_u32 s1, s3, s1
	v_mul_lo_u32 v4, v4, s16
	v_mad_u64_u32 v[0:1], null, v3, s16, s[0:1]
	v_mul_lo_u32 v3, v3, s17
	v_lshl_or_b32 v2, s4, 9, v2
	s_delay_alu instid0(VALU_DEP_1) | instskip(NEXT) | instid1(VALU_DEP_3)
	v_add_nc_u32_e32 v2, 0x8000, v2
	v_add3_u32 v1, v4, v1, v3
.LBB109_85:                             ; =>This Inner Loop Header: Depth=1
	ds_load_b64 v[3:4], v2
	v_add_nc_u32_e32 v2, 0x200, v2
	s_add_i32 s6, s6, -1
	s_delay_alu instid0(SALU_CYCLE_1)
	s_cmp_lg_u32 s6, 0
	s_waitcnt lgkmcnt(0)
	global_store_b64 v[0:1], v[3:4], off
	v_add_co_u32 v0, vcc_lo, v0, 8
	v_add_co_ci_u32_e32 v1, vcc_lo, 0, v1, vcc_lo
	s_cbranch_scc1 .LBB109_85
.LBB109_86:
	s_nop 0
	s_sendmsg sendmsg(MSG_DEALLOC_VGPRS)
	s_endpgm
	.section	.rodata,"a",@progbits
	.p2align	6, 0x0
	.amdhsa_kernel _ZL38rocblas_trsm_small_left_device_sharedBILi64ELi32ELb1EddPKPKdPKPdEv13rocblas_fill_18rocblas_operation_17rocblas_diagonal_iiT3_T4_lilT5_lili
		.amdhsa_group_segment_fixed_size 65536
		.amdhsa_private_segment_fixed_size 0
		.amdhsa_kernarg_size 360
		.amdhsa_user_sgpr_count 14
		.amdhsa_user_sgpr_dispatch_ptr 0
		.amdhsa_user_sgpr_queue_ptr 0
		.amdhsa_user_sgpr_kernarg_segment_ptr 1
		.amdhsa_user_sgpr_dispatch_id 0
		.amdhsa_user_sgpr_private_segment_size 0
		.amdhsa_wavefront_size32 1
		.amdhsa_uses_dynamic_stack 0
		.amdhsa_enable_private_segment 0
		.amdhsa_system_sgpr_workgroup_id_x 1
		.amdhsa_system_sgpr_workgroup_id_y 0
		.amdhsa_system_sgpr_workgroup_id_z 1
		.amdhsa_system_sgpr_workgroup_info 0
		.amdhsa_system_vgpr_workitem_id 0
		.amdhsa_next_free_vgpr 209
		.amdhsa_next_free_sgpr 57
		.amdhsa_reserve_vcc 1
		.amdhsa_float_round_mode_32 0
		.amdhsa_float_round_mode_16_64 0
		.amdhsa_float_denorm_mode_32 3
		.amdhsa_float_denorm_mode_16_64 3
		.amdhsa_dx10_clamp 1
		.amdhsa_ieee_mode 1
		.amdhsa_fp16_overflow 0
		.amdhsa_workgroup_processor_mode 1
		.amdhsa_memory_ordered 1
		.amdhsa_forward_progress 0
		.amdhsa_shared_vgpr_count 0
		.amdhsa_exception_fp_ieee_invalid_op 0
		.amdhsa_exception_fp_denorm_src 0
		.amdhsa_exception_fp_ieee_div_zero 0
		.amdhsa_exception_fp_ieee_overflow 0
		.amdhsa_exception_fp_ieee_underflow 0
		.amdhsa_exception_fp_ieee_inexact 0
		.amdhsa_exception_int_div_zero 0
	.end_amdhsa_kernel
	.section	.text._ZL38rocblas_trsm_small_left_device_sharedBILi64ELi32ELb1EddPKPKdPKPdEv13rocblas_fill_18rocblas_operation_17rocblas_diagonal_iiT3_T4_lilT5_lili,"axG",@progbits,_ZL38rocblas_trsm_small_left_device_sharedBILi64ELi32ELb1EddPKPKdPKPdEv13rocblas_fill_18rocblas_operation_17rocblas_diagonal_iiT3_T4_lilT5_lili,comdat
.Lfunc_end109:
	.size	_ZL38rocblas_trsm_small_left_device_sharedBILi64ELi32ELb1EddPKPKdPKPdEv13rocblas_fill_18rocblas_operation_17rocblas_diagonal_iiT3_T4_lilT5_lili, .Lfunc_end109-_ZL38rocblas_trsm_small_left_device_sharedBILi64ELi32ELb1EddPKPKdPKPdEv13rocblas_fill_18rocblas_operation_17rocblas_diagonal_iiT3_T4_lilT5_lili
                                        ; -- End function
	.section	.AMDGPU.csdata,"",@progbits
; Kernel info:
; codeLenInByte = 25128
; NumSgprs: 59
; NumVgprs: 209
; ScratchSize: 0
; MemoryBound: 0
; FloatMode: 240
; IeeeMode: 1
; LDSByteSize: 65536 bytes/workgroup (compile time only)
; SGPRBlocks: 7
; VGPRBlocks: 26
; NumSGPRsForWavesPerEU: 59
; NumVGPRsForWavesPerEU: 209
; Occupancy: 1
; WaveLimiterHint : 1
; COMPUTE_PGM_RSRC2:SCRATCH_EN: 0
; COMPUTE_PGM_RSRC2:USER_SGPR: 14
; COMPUTE_PGM_RSRC2:TRAP_HANDLER: 0
; COMPUTE_PGM_RSRC2:TGID_X_EN: 1
; COMPUTE_PGM_RSRC2:TGID_Y_EN: 0
; COMPUTE_PGM_RSRC2:TGID_Z_EN: 1
; COMPUTE_PGM_RSRC2:TIDIG_COMP_CNT: 0
	.section	.text._ZL30rocblas_trsm_small_left_deviceILi64ELi32ELb1EddPKPKdPKPdEv13rocblas_fill_18rocblas_operation_17rocblas_diagonal_iiT3_T4_lilT5_lili,"axG",@progbits,_ZL30rocblas_trsm_small_left_deviceILi64ELi32ELb1EddPKPKdPKPdEv13rocblas_fill_18rocblas_operation_17rocblas_diagonal_iiT3_T4_lilT5_lili,comdat
	.globl	_ZL30rocblas_trsm_small_left_deviceILi64ELi32ELb1EddPKPKdPKPdEv13rocblas_fill_18rocblas_operation_17rocblas_diagonal_iiT3_T4_lilT5_lili ; -- Begin function _ZL30rocblas_trsm_small_left_deviceILi64ELi32ELb1EddPKPKdPKPdEv13rocblas_fill_18rocblas_operation_17rocblas_diagonal_iiT3_T4_lilT5_lili
	.p2align	8
	.type	_ZL30rocblas_trsm_small_left_deviceILi64ELi32ELb1EddPKPKdPKPdEv13rocblas_fill_18rocblas_operation_17rocblas_diagonal_iiT3_T4_lilT5_lili,@function
_ZL30rocblas_trsm_small_left_deviceILi64ELi32ELb1EddPKPKdPKPdEv13rocblas_fill_18rocblas_operation_17rocblas_diagonal_iiT3_T4_lilT5_lili: ; @_ZL30rocblas_trsm_small_left_deviceILi64ELi32ELb1EddPKPKdPKPdEv13rocblas_fill_18rocblas_operation_17rocblas_diagonal_iiT3_T4_lilT5_lili
; %bb.0:
	s_load_b128 s[16:19], s[0:1], 0x40
	s_mov_b32 s12, s15
	s_mov_b32 s13, 0
	s_clause 0x1
	s_load_b128 s[8:11], s[0:1], 0x4
	s_load_b64 s[20:21], s[0:1], 0x28
	s_lshl_b64 s[22:23], s[12:13], 3
	s_mov_b32 s15, exec_lo
	s_waitcnt lgkmcnt(0)
	s_add_u32 s2, s16, s22
	s_addc_u32 s3, s17, s23
	s_load_b128 s[4:7], s[0:1], 0x18
	s_load_b64 s[2:3], s[2:3], 0x0
	s_min_i32 s28, s10, 64
	s_delay_alu instid0(SALU_CYCLE_1)
	s_add_i32 s12, s28, -1
	v_cmpx_gt_i32_e64 s28, v0
	s_cbranch_execz .LBB110_10
; %bb.1:
	s_load_b32 s16, s[0:1], 0x30
	v_lshlrev_b32_e32 v3, 3, v0
	s_waitcnt lgkmcnt(0)
	s_ashr_i32 s17, s16, 31
	s_add_u32 s6, s6, s22
	s_addc_u32 s7, s7, s23
	s_cmp_lt_u32 s12, 3
	s_load_b64 s[6:7], s[6:7], 0x0
	s_cbranch_scc1 .LBB110_4
; %bb.2:
	s_lshl_b64 s[22:23], s[20:21], 3
	v_mov_b32_e32 v4, v3
	s_waitcnt lgkmcnt(0)
	s_add_u32 s13, s6, s22
	s_addc_u32 s22, s7, s23
	v_add_co_u32 v1, s13, s13, v3
	s_delay_alu instid0(VALU_DEP_1)
	v_add_co_ci_u32_e64 v2, null, s22, 0, s13
	s_and_b32 s13, s28, -4
	s_mul_hi_i32 s29, s16, 24
	s_mul_i32 s30, s16, 24
	s_lshl_b64 s[22:23], s[16:17], 5
	s_lshl_b64 s[24:25], s[16:17], 4
	;; [unrolled: 1-line block ×3, first 2 shown]
	s_mov_b32 s31, 0
	.p2align	6
.LBB110_3:                              ; =>This Inner Loop Header: Depth=1
	v_add_co_u32 v5, vcc_lo, v1, s26
	v_add_co_ci_u32_e32 v6, vcc_lo, s27, v2, vcc_lo
	v_add_co_u32 v7, vcc_lo, v1, s24
	v_add_co_ci_u32_e32 v8, vcc_lo, s25, v2, vcc_lo
	;; [unrolled: 2-line block ×3, first 2 shown]
	s_clause 0x3
	global_load_b64 v[11:12], v[1:2], off
	global_load_b64 v[5:6], v[5:6], off
	;; [unrolled: 1-line block ×4, first 2 shown]
	v_add_co_u32 v1, vcc_lo, v1, s22
	v_add_co_ci_u32_e32 v2, vcc_lo, s23, v2, vcc_lo
	s_add_i32 s31, s31, 4
	s_waitcnt vmcnt(2)
	ds_store_2addr_stride64_b64 v4, v[11:12], v[5:6] offset1:1
	s_waitcnt vmcnt(0)
	ds_store_2addr_stride64_b64 v4, v[7:8], v[9:10] offset0:2 offset1:3
	v_add_nc_u32_e32 v4, 0x800, v4
	s_cmp_eq_u32 s13, s31
	s_cbranch_scc0 .LBB110_3
.LBB110_4:
	s_and_b32 s22, s28, 3
	s_delay_alu instid0(SALU_CYCLE_1)
	s_cmp_eq_u32 s22, 0
	s_cbranch_scc1 .LBB110_7
; %bb.5:
	s_mul_i32 s23, s17, s13
	s_mul_hi_u32 s25, s16, s13
	s_mul_i32 s24, s16, s13
	s_add_i32 s25, s25, s23
	s_lshl_b64 s[20:21], s[20:21], 3
	s_lshl_b64 s[24:25], s[24:25], 3
	v_lshl_or_b32 v4, s13, 9, v3
	s_add_u32 s13, s24, s20
	s_addc_u32 s20, s25, s21
	s_waitcnt lgkmcnt(0)
	s_add_u32 s6, s6, s13
	s_addc_u32 s7, s7, s20
	v_add_co_u32 v1, s6, s6, v3
	s_delay_alu instid0(VALU_DEP_1)
	v_add_co_ci_u32_e64 v2, null, s7, 0, s6
	s_lshl_b64 s[6:7], s[16:17], 3
.LBB110_6:                              ; =>This Inner Loop Header: Depth=1
	global_load_b64 v[5:6], v[1:2], off
	v_add_co_u32 v1, vcc_lo, v1, s6
	v_add_co_ci_u32_e32 v2, vcc_lo, s7, v2, vcc_lo
	s_add_i32 s22, s22, -1
	s_delay_alu instid0(SALU_CYCLE_1)
	s_cmp_lg_u32 s22, 0
	s_waitcnt vmcnt(0)
	ds_store_b64 v4, v[5:6]
	v_add_nc_u32_e32 v4, 0x200, v4
	s_cbranch_scc1 .LBB110_6
.LBB110_7:
	v_mul_u32_u24_e32 v3, 0x41, v0
	v_mov_b32_e32 v1, 0
	v_mov_b32_e32 v2, 0x3ff00000
	s_cmpk_lg_i32 s9, 0x84
	s_delay_alu instid0(VALU_DEP_3)
	v_lshlrev_b32_e32 v3, 3, v3
	s_cbranch_scc0 .LBB110_9
; %bb.8:
	ds_load_b64 v[1:2], v3
	s_waitcnt lgkmcnt(0)
	v_div_scale_f64 v[4:5], null, v[1:2], v[1:2], 1.0
	s_delay_alu instid0(VALU_DEP_1) | instskip(SKIP_2) | instid1(VALU_DEP_1)
	v_rcp_f64_e32 v[6:7], v[4:5]
	s_waitcnt_depctr 0xfff
	v_fma_f64 v[8:9], -v[4:5], v[6:7], 1.0
	v_fma_f64 v[6:7], v[6:7], v[8:9], v[6:7]
	s_delay_alu instid0(VALU_DEP_1) | instskip(NEXT) | instid1(VALU_DEP_1)
	v_fma_f64 v[8:9], -v[4:5], v[6:7], 1.0
	v_fma_f64 v[6:7], v[6:7], v[8:9], v[6:7]
	v_div_scale_f64 v[8:9], vcc_lo, 1.0, v[1:2], 1.0
	s_delay_alu instid0(VALU_DEP_1) | instskip(NEXT) | instid1(VALU_DEP_1)
	v_mul_f64 v[10:11], v[8:9], v[6:7]
	v_fma_f64 v[4:5], -v[4:5], v[10:11], v[8:9]
	s_delay_alu instid0(VALU_DEP_1) | instskip(NEXT) | instid1(VALU_DEP_1)
	v_div_fmas_f64 v[4:5], v[4:5], v[6:7], v[10:11]
	v_div_fixup_f64 v[1:2], v[4:5], v[1:2], 1.0
.LBB110_9:
	ds_store_b64 v3, v[1:2]
.LBB110_10:
	s_or_b32 exec_lo, exec_lo, s15
	s_waitcnt lgkmcnt(0)
	s_load_b32 s6, s[0:1], 0x68
	s_lshl_b32 s7, s14, 6
	s_waitcnt lgkmcnt(0)
	s_sub_i32 s9, s11, s7
	s_barrier
	buffer_gl0_inv
	s_add_i32 s6, s6, -1
	s_delay_alu instid0(SALU_CYCLE_1) | instskip(SKIP_1) | instid1(SALU_CYCLE_1)
	s_cmp_ge_u32 s14, s6
	s_cselect_b32 s6, s9, 64
	v_cmp_gt_i32_e32 vcc_lo, s6, v0
	s_mov_b32 s6, -1
	s_and_saveexec_b32 s9, vcc_lo
	s_cbranch_execz .LBB110_73
; %bb.11:
	s_load_b32 s0, s[0:1], 0x50
	v_add_nc_u32_e32 v2, s7, v0
	s_waitcnt lgkmcnt(0)
	s_delay_alu instid0(VALU_DEP_1) | instskip(SKIP_1) | instid1(SALU_CYCLE_1)
	v_mad_i64_i32 v[0:1], null, s0, v2, 0
	s_lshl_b64 s[0:1], s[18:19], 3
	s_add_u32 s7, s2, s0
	s_addc_u32 s9, s3, s1
	s_cmpk_eq_i32 s8, 0x6f
	s_delay_alu instid0(VALU_DEP_1) | instskip(NEXT) | instid1(VALU_DEP_1)
	v_lshlrev_b64 v[74:75], 3, v[0:1]
	v_add_co_u32 v72, vcc_lo, s7, v74
	s_delay_alu instid0(VALU_DEP_2)
	v_add_co_ci_u32_e32 v73, vcc_lo, s9, v75, vcc_lo
	s_cbranch_scc1 .LBB110_40
; %bb.12:
	s_cmp_gt_i32 s10, 31
	s_mov_b32 s8, s12
	s_cbranch_scc0 .LBB110_18
; %bb.13:
	s_ashr_i32 s13, s12, 31
	s_mul_i32 s8, s28, 0x208
	s_lshl_b64 s[6:7], s[12:13], 3
	s_add_i32 s9, s8, 0xffffbff8
	s_add_u32 s6, s2, s6
	s_addc_u32 s7, s3, s7
	s_add_u32 s6, s6, s0
	s_addc_u32 s7, s7, s1
	v_add_co_u32 v76, vcc_lo, s6, v74
	v_add_co_ci_u32_e32 v77, vcc_lo, s7, v75, vcc_lo
	s_mov_b32 s6, s12
.LBB110_14:                             ; =>This Loop Header: Depth=1
                                        ;     Child Loop BB110_15 Depth 2
	s_delay_alu instid0(SALU_CYCLE_1)
	s_ashr_i32 s7, s6, 31
	s_mov_b32 s8, s12
	s_lshl_b64 s[14:15], s[6:7], 3
	s_cmp_le_i32 s12, s6
	v_add_co_u32 v78, vcc_lo, v72, s14
	v_add_co_ci_u32_e32 v79, vcc_lo, s15, v73, vcc_lo
	s_mov_b32 s7, s9
	s_clause 0xf
	global_load_b128 v[0:3], v[78:79], off offset:-8
	global_load_b128 v[4:7], v[78:79], off offset:-24
	;; [unrolled: 1-line block ×16, first 2 shown]
	s_waitcnt vmcnt(15)
	v_mul_f64 v[2:3], v[2:3], s[4:5]
	v_mul_f64 v[32:33], v[0:1], s[4:5]
	s_waitcnt vmcnt(14)
	v_mul_f64 v[0:1], v[6:7], s[4:5]
	v_mul_f64 v[30:31], v[4:5], s[4:5]
	;; [unrolled: 3-line block ×16, first 2 shown]
	v_dual_mov_b32 v34, v76 :: v_dual_mov_b32 v35, v77
	s_cbranch_scc1 .LBB110_16
.LBB110_15:                             ;   Parent Loop BB110_14 Depth=1
                                        ; =>  This Inner Loop Header: Depth=2
	global_load_b64 v[58:59], v[34:35], off
	v_mov_b32_e32 v70, s7
	v_add_co_u32 v34, vcc_lo, v34, -8
	v_add_co_ci_u32_e32 v35, vcc_lo, -1, v35, vcc_lo
	ds_load_2addr_stride64_b64 v[40:43], v70 offset0:30 offset1:31
	ds_load_2addr_stride64_b64 v[44:47], v70 offset0:28 offset1:29
	;; [unrolled: 1-line block ×15, first 2 shown]
	ds_load_2addr_stride64_b64 v[138:141], v70 offset1:1
	s_add_i32 s8, s8, -1
	s_add_i32 s7, s7, -8
	s_cmp_gt_i32 s8, s6
	s_waitcnt vmcnt(0) lgkmcnt(15)
	v_fma_f64 v[2:3], -v[58:59], v[42:43], v[2:3]
	v_fma_f64 v[32:33], -v[58:59], v[40:41], v[32:33]
	s_waitcnt lgkmcnt(14)
	v_fma_f64 v[0:1], -v[58:59], v[46:47], v[0:1]
	v_fma_f64 v[30:31], -v[58:59], v[44:45], v[30:31]
	s_waitcnt lgkmcnt(13)
	;; [unrolled: 3-line block ×15, first 2 shown]
	v_fma_f64 v[82:83], -v[58:59], v[140:141], v[82:83]
	v_fma_f64 v[80:81], -v[58:59], v[138:139], v[80:81]
	s_cbranch_scc1 .LBB110_15
.LBB110_16:                             ;   in Loop: Header=BB110_14 Depth=1
	s_mul_i32 s7, s6, 0x208
	s_addk_i32 s9, 0xc000
	s_add_i32 s8, s7, 0xfffffdf8
	s_delay_alu instid0(SALU_CYCLE_1) | instskip(SKIP_1) | instid1(SALU_CYCLE_1)
	v_mov_b32_e32 v40, s8
	s_lshl_b32 s8, s6, 6
	s_add_i32 s8, s8, s6
	s_delay_alu instid0(SALU_CYCLE_1)
	s_lshl_b32 s8, s8, 3
	ds_load_2addr_b64 v[40:43], v40 offset1:1
	s_add_i32 s13, s8, 0xfffff5e8
	v_mov_b32_e32 v34, s7
	s_add_i32 s11, s8, 0xfffffc00
	s_add_i32 s17, s8, 0xffffe1d8
	;; [unrolled: 1-line block ×4, first 2 shown]
	ds_load_b64 v[34:35], v34
	s_add_i32 s35, s8, 0xffffcfe0
	s_add_i32 s38, s8, 0xffffc9f8
	;; [unrolled: 1-line block ×19, first 2 shown]
	s_waitcnt lgkmcnt(0)
	v_mul_f64 v[2:3], v[34:35], v[2:3]
	s_add_i32 s36, s8, 0xffffcfd0
	s_add_i32 s39, s8, 0xffffc9e8
	;; [unrolled: 1-line block ×3, first 2 shown]
	s_delay_alu instid0(SALU_CYCLE_1) | instskip(NEXT) | instid1(VALU_DEP_2)
	v_mov_b32_e32 v172, s40
	v_fma_f64 v[42:43], -v[2:3], v[42:43], v[32:33]
	v_mov_b32_e32 v32, s11
	s_add_i32 s11, s7, 0xfffffbf0
	ds_load_b64 v[44:45], v32
	v_mov_b32_e32 v32, s11
	s_add_i32 s11, s8, 0xfffff9f8
	ds_load_2addr_b64 v[32:35], v32 offset1:1
	s_waitcnt lgkmcnt(1)
	v_fma_f64 v[48:49], -v[2:3], v[44:45], v[0:1]
	v_mul_f64 v[0:1], v[40:41], v[42:43]
	v_mov_b32_e32 v40, s11
	s_add_i32 s11, s7, 0xfffff9e8
	s_delay_alu instid0(SALU_CYCLE_1)
	v_mov_b32_e32 v44, s11
	s_add_i32 s11, s8, 0xfffff800
	ds_load_2addr_b64 v[40:43], v40 offset1:1
	ds_load_2addr_b64 v[44:47], v44 offset1:1
	s_waitcnt lgkmcnt(1)
	v_fma_f64 v[30:31], -v[2:3], v[42:43], v[30:31]
	v_mov_b32_e32 v42, s11
	s_add_i32 s11, s8, 0xfffff7f0
	ds_load_b64 v[42:43], v42
	v_fma_f64 v[34:35], -v[0:1], v[34:35], v[48:49]
	v_mov_b32_e32 v48, s11
	s_add_i32 s11, s8, 0xfffff5f8
	ds_load_2addr_b64 v[48:51], v48 offset1:1
	s_waitcnt lgkmcnt(1)
	v_fma_f64 v[42:43], -v[2:3], v[42:43], v[6:7]
	v_fma_f64 v[40:41], -v[0:1], v[40:41], v[30:31]
	v_mov_b32_e32 v30, s11
	s_add_i32 s11, s8, 0xfffff3f8
	v_mul_f64 v[6:7], v[32:33], v[34:35]
	ds_load_2addr_b64 v[30:33], v30 offset1:1
	s_waitcnt lgkmcnt(1)
	v_fma_f64 v[50:51], -v[0:1], v[50:51], v[42:43]
	s_waitcnt lgkmcnt(0)
	v_fma_f64 v[28:29], -v[2:3], v[32:33], v[28:29]
	v_mov_b32_e32 v32, s11
	s_add_i32 s11, s8, 0xfffff3e8
	ds_load_2addr_b64 v[32:35], v32 offset1:1
	v_fma_f64 v[46:47], -v[6:7], v[46:47], v[40:41]
	v_mov_b32_e32 v40, s11
	s_add_i32 s11, s8, 0xfffff200
	ds_load_2addr_b64 v[40:43], v40 offset1:1
	s_waitcnt lgkmcnt(1)
	v_fma_f64 v[34:35], -v[2:3], v[34:35], v[4:5]
	v_fma_f64 v[62:63], -v[6:7], v[48:49], v[50:51]
	;; [unrolled: 1-line block ×3, first 2 shown]
	v_mov_b32_e32 v28, s11
	s_add_i32 s11, s7, 0xfffff7e0
	v_mov_b32_e32 v29, s13
	s_add_i32 s13, s8, 0xfffff1f0
	s_delay_alu instid0(SALU_CYCLE_1)
	v_mov_b32_e32 v52, s13
	s_add_i32 s13, s8, 0xfffff3d8
	v_mul_f64 v[4:5], v[44:45], v[46:47]
	v_mov_b32_e32 v44, s11
	ds_load_b64 v[64:65], v28
	ds_load_2addr_b64 v[28:31], v29 offset1:1
	ds_load_2addr_b64 v[44:47], v44 offset1:1
	s_add_i32 s11, s7, 0xfffff5d8
	s_delay_alu instid0(SALU_CYCLE_1)
	v_mov_b32_e32 v48, s11
	s_add_i32 s11, s8, 0xffffeff8
	v_fma_f64 v[34:35], -v[0:1], v[32:33], v[34:35]
	ds_load_2addr_b64 v[48:51], v48 offset1:1
	ds_load_2addr_b64 v[52:55], v52 offset1:1
	s_waitcnt lgkmcnt(4)
	v_fma_f64 v[26:27], -v[2:3], v[64:65], v[26:27]
	s_waitcnt lgkmcnt(3)
	v_fma_f64 v[58:59], -v[6:7], v[30:31], v[58:59]
	v_mov_b32_e32 v30, s11
	s_add_i32 s11, s8, 0xffffefe8
	ds_load_2addr_b64 v[30:33], v30 offset1:1
	s_waitcnt lgkmcnt(3)
	v_fma_f64 v[46:47], -v[4:5], v[46:47], v[62:63]
	v_mov_b32_e32 v62, s11
	s_add_i32 s11, s8, 0xffffee00
	ds_load_2addr_b64 v[62:65], v62 offset1:1
	v_fma_f64 v[34:35], -v[6:7], v[42:43], v[34:35]
	s_waitcnt lgkmcnt(1)
	v_fma_f64 v[32:33], -v[2:3], v[32:33], v[10:11]
	v_fma_f64 v[54:55], -v[0:1], v[54:55], v[26:27]
	;; [unrolled: 1-line block ×3, first 2 shown]
	v_mov_b32_e32 v26, s11
	s_add_i32 s11, s8, 0xffffedf0
	v_mul_f64 v[10:11], v[44:45], v[46:47]
	ds_load_b64 v[44:45], v26
	v_mov_b32_e32 v26, s11
	s_add_i32 s11, s8, 0xffffebf8
	ds_load_2addr_b64 v[26:29], v26 offset1:1
	v_fma_f64 v[34:35], -v[4:5], v[40:41], v[34:35]
	v_fma_f64 v[58:59], -v[0:1], v[30:31], v[32:33]
	v_mov_b32_e32 v30, s11
	s_add_i32 s11, s8, 0xfffff1e0
	s_delay_alu instid0(SALU_CYCLE_1)
	v_mov_b32_e32 v40, s11
	s_add_i32 s11, s8, 0xfffff1d0
	s_waitcnt lgkmcnt(1)
	v_fma_f64 v[24:25], -v[2:3], v[44:45], v[24:25]
	v_fma_f64 v[54:55], -v[6:7], v[52:53], v[54:55]
	v_mov_b32_e32 v44, s13
	s_add_i32 s13, s8, 0xffffebe8
	s_delay_alu instid0(SALU_CYCLE_1)
	v_mov_b32_e32 v66, s13
	s_add_i32 s13, s7, 0xfffff3d0
	v_fma_f64 v[70:71], -v[10:11], v[50:51], v[42:43]
	ds_load_2addr_b64 v[30:33], v30 offset1:1
	ds_load_2addr_b64 v[40:43], v40 offset1:1
	;; [unrolled: 1-line block ×3, first 2 shown]
	v_mov_b32_e32 v50, s11
	s_add_i32 s11, s8, 0xffffe9f8
	ds_load_2addr_b64 v[50:53], v50 offset1:1
	ds_load_2addr_b64 v[66:69], v66 offset1:1
	s_waitcnt lgkmcnt(4)
	v_fma_f64 v[102:103], -v[2:3], v[32:33], v[8:9]
	v_mov_b32_e32 v32, s11
	v_fma_f64 v[24:25], -v[0:1], v[28:29], v[24:25]
	v_fma_f64 v[28:29], -v[6:7], v[64:65], v[58:59]
	s_waitcnt lgkmcnt(3)
	v_fma_f64 v[42:43], -v[4:5], v[42:43], v[54:55]
	s_waitcnt lgkmcnt(2)
	v_fma_f64 v[54:55], -v[10:11], v[46:47], v[34:35]
	ds_load_2addr_b64 v[32:35], v32 offset1:1
	s_add_i32 s11, s8, 0xffffe9e8
	s_delay_alu instid0(SALU_CYCLE_1)
	v_mov_b32_e32 v46, s11
	s_add_i32 s11, s8, 0xffffe800
	v_mul_f64 v[8:9], v[48:49], v[70:71]
	ds_load_2addr_b64 v[46:49], v46 offset1:1
	s_waitcnt lgkmcnt(1)
	v_fma_f64 v[34:35], -v[2:3], v[34:35], v[22:23]
	v_mov_b32_e32 v22, s11
	s_add_i32 s11, s8, 0xffffede0
	s_delay_alu instid0(SALU_CYCLE_1)
	v_mov_b32_e32 v23, s11
	s_add_i32 s11, s8, 0xffffefc8
	v_fma_f64 v[30:31], -v[0:1], v[30:31], v[102:103]
	v_fma_f64 v[58:59], -v[6:7], v[26:27], v[24:25]
	;; [unrolled: 1-line block ×4, first 2 shown]
	v_mov_b32_e32 v26, s14
	v_mov_b32_e32 v40, s13
	s_add_i32 s13, s8, 0xffffedd0
	s_add_i32 s14, s8, 0xffffe7f0
	v_mov_b32_e32 v62, s13
	v_mov_b32_e32 v102, s14
	s_add_i32 s13, s7, 0xfffff1c8
	s_add_i32 s14, s8, 0xffffe5e8
	v_fma_f64 v[44:45], -v[8:9], v[44:45], v[54:55]
	ds_load_b64 v[54:55], v22
	ds_load_2addr_b64 v[22:25], v23 offset1:1
	ds_load_2addr_b64 v[26:29], v26 offset1:1
	ds_load_b64 v[108:109], v40
	v_mov_b32_e32 v40, s11
	s_add_i32 s11, s8, 0xffffe5f8
	ds_load_2addr_b64 v[40:43], v40 offset1:1
	ds_load_2addr_b64 v[62:65], v62 offset1:1
	;; [unrolled: 1-line block ×3, first 2 shown]
	v_fma_f64 v[32:33], -v[0:1], v[32:33], v[34:35]
	v_fma_f64 v[34:35], -v[6:7], v[68:69], v[30:31]
	s_waitcnt lgkmcnt(6)
	v_fma_f64 v[54:55], -v[2:3], v[54:55], v[14:15]
	s_waitcnt lgkmcnt(5)
	;; [unrolled: 2-line block ×3, first 2 shown]
	v_fma_f64 v[58:59], -v[10:11], v[28:29], v[70:71]
	v_fma_f64 v[52:53], -v[8:9], v[52:53], v[106:107]
	v_mov_b32_e32 v28, s11
	s_add_i32 s11, s8, 0xffffe400
	ds_load_2addr_b64 v[28:31], v28 offset1:1
	s_waitcnt lgkmcnt(4)
	v_mul_f64 v[14:15], v[108:109], v[44:45]
	v_mov_b32_e32 v44, s11
	s_add_i32 s11, s8, 0xffffebd8
	ds_load_b64 v[44:45], v44
	v_fma_f64 v[32:33], -v[6:7], v[48:49], v[32:33]
	v_mov_b32_e32 v48, s11
	s_add_i32 s11, s8, 0xffffebc8
	s_waitcnt lgkmcnt(1)
	v_fma_f64 v[20:21], -v[2:3], v[30:31], v[20:21]
	v_fma_f64 v[34:35], -v[4:5], v[66:67], v[34:35]
	;; [unrolled: 1-line block ×5, first 2 shown]
	s_waitcnt lgkmcnt(0)
	v_fma_f64 v[70:71], -v[2:3], v[44:45], v[12:13]
	v_fma_f64 v[26:27], -v[14:15], v[50:51], v[52:53]
	v_mov_b32_e32 v52, s13
	ds_load_2addr_b64 v[48:51], v48 offset1:1
	ds_load_b64 v[58:59], v52
	s_add_i32 s13, s8, 0xffffe3f0
	v_mov_b32_e32 v52, s11
	v_mov_b32_e32 v66, s13
	v_fma_f64 v[46:47], -v[4:5], v[46:47], v[32:33]
	s_add_i32 s13, s8, 0xffffe1f8
	s_add_i32 s11, s8, 0xffffe9d8
	v_fma_f64 v[114:115], -v[0:1], v[28:29], v[20:21]
	v_mov_b32_e32 v20, s13
	s_add_i32 s13, s8, 0xffffe7e0
	v_mov_b32_e32 v21, s14
	ds_load_2addr_b64 v[52:55], v52 offset1:1
	ds_load_2addr_b64 v[66:69], v66 offset1:1
	s_add_i32 s14, s8, 0xffffe5d8
	v_mov_b32_e32 v32, s15
	v_mov_b32_e32 v28, s14
	s_add_i32 s15, s8, 0xffffe5c8
	v_fma_f64 v[116:117], -v[6:7], v[102:103], v[30:31]
	v_fma_f64 v[64:65], -v[8:9], v[64:65], v[22:23]
	;; [unrolled: 1-line block ×3, first 2 shown]
	s_waitcnt lgkmcnt(3)
	v_fma_f64 v[50:51], -v[10:11], v[50:51], v[34:35]
	v_dual_mov_b32 v22, s13 :: v_dual_mov_b32 v23, s11
	ds_load_2addr_b64 v[42:45], v20 offset1:1
	ds_load_2addr_b64 v[102:105], v21 offset1:1
	;; [unrolled: 1-line block ×4, first 2 shown]
	s_add_i32 s11, s8, 0xffffe9c8
	s_add_i32 s13, s8, 0xffffe7d0
	v_mov_b32_e32 v20, s11
	s_add_i32 s11, s8, 0xffffe000
	v_mov_b32_e32 v24, s13
	s_add_i32 s13, s7, 0xffffefc0
	s_add_i32 s14, s8, 0xffffe7b0
	s_waitcnt lgkmcnt(4)
	v_fma_f64 v[68:69], -v[0:1], v[68:69], v[70:71]
	v_mul_f64 v[12:13], v[58:59], v[26:27]
	ds_load_2addr_b64 v[20:23], v20 offset1:1
	ds_load_2addr_b64 v[24:27], v24 offset1:1
	;; [unrolled: 1-line block ×4, first 2 shown]
	s_waitcnt lgkmcnt(7)
	v_fma_f64 v[58:59], -v[2:3], v[44:45], v[38:39]
	v_mov_b32_e32 v38, s11
	s_add_i32 s11, s8, 0xffffedc0
	v_mov_b32_e32 v44, s13
	s_add_i32 s13, s7, 0xffffe9a8
	s_waitcnt lgkmcnt(6)
	v_fma_f64 v[70:71], -v[6:7], v[104:105], v[114:115]
	v_mov_b32_e32 v138, s13
	s_add_i32 s13, s8, 0xffffe9b8
	s_waitcnt lgkmcnt(5)
	v_fma_f64 v[104:105], -v[4:5], v[108:109], v[116:117]
	s_waitcnt lgkmcnt(4)
	v_fma_f64 v[108:109], -v[10:11], v[112:113], v[46:47]
	v_fma_f64 v[48:49], -v[8:9], v[48:49], v[50:51]
	;; [unrolled: 1-line block ×3, first 2 shown]
	ds_load_b64 v[64:65], v38
	v_mov_b32_e32 v38, s11
	s_add_i32 s11, s8, 0xffffdff0
	v_fma_f64 v[66:67], -v[6:7], v[66:67], v[68:69]
	v_fma_f64 v[62:63], -v[12:13], v[40:41], v[118:119]
	ds_load_2addr_b64 v[38:41], v38 offset1:1
	ds_load_b64 v[112:113], v44
	v_mov_b32_e32 v44, s11
	s_add_i32 s11, s8, 0xffffddf8
	v_fma_f64 v[58:59], -v[0:1], v[42:43], v[58:59]
	s_waitcnt lgkmcnt(2)
	v_fma_f64 v[114:115], -v[2:3], v[64:65], v[18:19]
	ds_load_2addr_b64 v[44:47], v44 offset1:1
	v_fma_f64 v[68:69], -v[4:5], v[102:103], v[70:71]
	v_fma_f64 v[70:71], -v[10:11], v[106:107], v[104:105]
	;; [unrolled: 1-line block ×4, first 2 shown]
	s_waitcnt lgkmcnt(2)
	v_fma_f64 v[104:105], -v[12:13], v[40:41], v[50:51]
	v_mov_b32_e32 v40, s11
	s_add_i32 s11, s8, 0xffffe3e0
	s_delay_alu instid0(SALU_CYCLE_1)
	v_mov_b32_e32 v48, s11
	ds_load_2addr_b64 v[40:43], v40 offset1:1
	ds_load_2addr_b64 v[48:51], v48 offset1:1
	s_add_i32 s11, s8, 0xffffe3d0
	s_waitcnt lgkmcnt(3)
	v_mul_f64 v[18:19], v[112:113], v[62:63]
	v_mov_b32_e32 v62, s11
	s_add_i32 s11, s8, 0xffffdc00
	ds_load_2addr_b64 v[62:65], v62 offset1:1
	v_fma_f64 v[34:35], -v[6:7], v[34:35], v[58:59]
	v_mov_b32_e32 v58, s19
	s_add_i32 s19, s8, 0xffffdfd0
	v_fma_f64 v[30:31], -v[10:11], v[30:31], v[68:69]
	s_waitcnt lgkmcnt(2)
	v_fma_f64 v[36:37], -v[2:3], v[42:43], v[36:37]
	v_fma_f64 v[42:43], -v[0:1], v[46:47], v[114:115]
	s_waitcnt lgkmcnt(1)
	v_fma_f64 v[46:47], -v[4:5], v[50:51], v[66:67]
	v_fma_f64 v[26:27], -v[8:9], v[26:27], v[70:71]
	;; [unrolled: 1-line block ×4, first 2 shown]
	v_mov_b32_e32 v52, s11
	s_add_i32 s11, s7, 0xffffedb8
	s_delay_alu instid0(SALU_CYCLE_1)
	v_mov_b32_e32 v54, s11
	s_add_i32 s11, s8, 0xffffebb8
	ds_load_b64 v[52:53], v52
	v_mov_b32_e32 v55, s11
	ds_load_2addr_b64 v[66:69], v55 offset1:1
	ds_load_b64 v[54:55], v54
	s_add_i32 s11, s8, 0xffffe7c0
	v_fma_f64 v[38:39], -v[18:19], v[38:39], v[104:105]
	ds_load_2addr_b64 v[102:105], v58 offset1:1
	v_fma_f64 v[114:115], -v[4:5], v[32:33], v[34:35]
	v_dual_mov_b32 v33, s15 :: v_dual_mov_b32 v32, s14
	s_add_i32 s14, s7, 0xffffe390
	s_add_i32 s15, s7, 0xffffe188
	v_fma_f64 v[118:119], -v[8:9], v[28:29], v[30:31]
	v_mov_b32_e32 v29, s11
	v_fma_f64 v[110:111], -v[0:1], v[40:41], v[36:37]
	v_fma_f64 v[112:113], -v[6:7], v[44:45], v[42:43]
	;; [unrolled: 1-line block ×3, first 2 shown]
	v_mov_b32_e32 v30, s20
	v_dual_mov_b32 v28, s13 :: v_dual_mov_b32 v31, s17
	s_add_i32 s11, s8, 0xffffd800
	v_fma_f64 v[132:133], -v[14:15], v[24:25], v[26:27]
	v_fma_f64 v[134:135], -v[12:13], v[20:21], v[22:23]
	v_mov_b32_e32 v20, s23
	s_waitcnt lgkmcnt(2)
	v_fma_f64 v[136:137], -v[18:19], v[68:69], v[50:51]
	v_mov_b32_e32 v24, s21
	v_mov_b32_e32 v36, s16
	;; [unrolled: 1-line block ×3, first 2 shown]
	ds_load_2addr_b64 v[20:23], v20 offset1:1
	v_fma_f64 v[58:59], -v[2:3], v[52:53], v[16:17]
	ds_load_2addr_b64 v[24:27], v24 offset1:1
	ds_load_2addr_b64 v[68:71], v30 offset1:1
	;; [unrolled: 1-line block ×6, first 2 shown]
	v_mov_b32_e32 v44, s19
	v_mov_b32_e32 v48, s22
	;; [unrolled: 1-line block ×3, first 2 shown]
	s_add_i32 s13, s8, 0xffffd5f8
	s_add_i32 s17, s8, 0xffffe3b0
	;; [unrolled: 1-line block ×3, first 2 shown]
	s_waitcnt lgkmcnt(8)
	v_mul_f64 v[16:17], v[54:55], v[38:39]
	ds_load_2addr_b64 v[28:31], v138 offset1:1
	ds_load_2addr_b64 v[32:35], v32 offset1:1
	;; [unrolled: 1-line block ×7, first 2 shown]
	v_mov_b32_e32 v156, s14
	s_add_i32 s14, s8, 0xffffe5a8
	s_add_i32 s20, s8, 0xffffddc8
	;; [unrolled: 1-line block ×7, first 2 shown]
	s_waitcnt lgkmcnt(13)
	v_fma_f64 v[22:23], -v[2:3], v[22:23], v[56:57]
	v_mov_b32_e32 v56, s11
	s_waitcnt lgkmcnt(10)
	v_fma_f64 v[108:109], -v[10:11], v[108:109], v[114:115]
	s_waitcnt lgkmcnt(9)
	v_fma_f64 v[122:123], -v[14:15], v[122:123], v[118:119]
	v_fma_f64 v[26:27], -v[6:7], v[26:27], v[110:111]
	;; [unrolled: 1-line block ×4, first 2 shown]
	s_add_i32 s11, s7, 0xffffebb0
	ds_load_b64 v[110:111], v56
	v_mov_b32_e32 v56, s11
	s_add_i32 s11, s8, 0xffffd7f0
	s_waitcnt lgkmcnt(9)
	v_fma_f64 v[126:127], -v[12:13], v[126:127], v[132:133]
	s_waitcnt lgkmcnt(8)
	v_fma_f64 v[130:131], -v[18:19], v[130:131], v[134:135]
	s_add_i32 s16, s7, 0xffffdd78
	ds_load_b64 v[132:133], v56
	v_mov_b32_e32 v56, s11
	s_add_i32 s11, s7, 0xffffe7a0
	v_mov_b32_e32 v180, s16
	v_mov_b32_e32 v134, s11
	v_fma_f64 v[104:105], -v[0:1], v[104:105], v[58:59]
	s_add_i32 s11, s7, 0xffffdf80
	ds_load_2addr_b64 v[56:59], v56 offset1:1
	s_add_i32 s16, s8, 0xffffdf90
	s_waitcnt lgkmcnt(2)
	v_fma_f64 v[118:119], -v[2:3], v[110:111], v[60:61]
	v_fma_f64 v[66:67], -v[16:17], v[66:67], v[136:137]
	;; [unrolled: 1-line block ×7, first 2 shown]
	ds_load_2addr_b64 v[60:63], v134 offset1:1
	v_mov_b32_e32 v24, s11
	s_add_i32 s11, s8, 0xffffdbe0
	s_delay_alu instid0(SALU_CYCLE_1)
	v_dual_mov_b32 v25, s13 :: v_dual_mov_b32 v64, s11
	v_fma_f64 v[20:21], -v[16:17], v[128:129], v[130:131]
	s_add_i32 s11, s8, 0xffffe3c0
	ds_load_2addr_b64 v[68:71], v25 offset1:1
	ds_load_2addr_b64 v[24:27], v24 offset1:1
	s_add_i32 s13, s7, 0xffffe598
	v_mov_b32_e32 v128, s18
	s_add_i32 s18, s8, 0xffffdfc0
	v_fma_f64 v[114:115], -v[6:7], v[102:103], v[104:105]
	v_fma_f64 v[104:105], -v[12:13], v[120:121], v[122:123]
	;; [unrolled: 1-line block ×3, first 2 shown]
	v_mov_b32_e32 v120, s11
	v_mov_b32_e32 v124, s17
	s_add_i32 s17, s8, 0xffffe1a8
	s_sub_i32 s11, s6, 31
	ds_load_2addr_b64 v[120:123], v120 offset1:1
	s_waitcnt lgkmcnt(4)
	v_fma_f64 v[58:59], -v[0:1], v[58:59], v[118:119]
	v_mul_f64 v[22:23], v[132:133], v[66:67]
	ds_load_2addr_b64 v[64:67], v64 offset1:1
	v_mov_b32_e32 v132, s13
	s_add_i32 s13, s8, 0xffffd400
	ds_load_2addr_b64 v[124:127], v124 offset1:1
	ds_load_2addr_b64 v[128:131], v128 offset1:1
	s_waitcnt lgkmcnt(5)
	v_fma_f64 v[70:71], -v[2:3], v[70:71], v[100:101]
	v_dual_mov_b32 v100, s29 :: v_dual_mov_b32 v133, s31
	s_add_i32 s29, s8, 0xffffd7c0
	v_fma_f64 v[54:55], -v[6:7], v[54:55], v[116:117]
	v_mov_b32_e32 v116, s25
	v_fma_f64 v[42:43], -v[14:15], v[42:43], v[108:109]
	v_mov_b32_e32 v109, s18
	v_fma_f64 v[50:51], -v[10:11], v[50:51], v[112:113]
	v_fma_f64 v[46:47], -v[8:9], v[46:47], v[110:111]
	v_mov_b32_e32 v108, s17
	v_dual_mov_b32 v110, s19 :: v_dual_mov_b32 v111, s21
	s_waitcnt lgkmcnt(3)
	v_fma_f64 v[106:107], -v[12:13], v[122:123], v[106:107]
	v_mov_b32_e32 v112, s23
	s_add_i32 s25, s8, 0xffffcff0
	s_add_i32 s21, s8, 0xffffdbb0
	;; [unrolled: 1-line block ×6, first 2 shown]
	s_lshl_b32 s11, s11, 6
	s_add_i32 s19, s8, 0xffffdd88
	s_waitcnt lgkmcnt(2)
	v_fma_f64 v[66:67], -v[4:5], v[66:67], v[114:115]
	v_fma_f64 v[38:39], -v[18:19], v[38:39], v[104:105]
	;; [unrolled: 1-line block ×3, first 2 shown]
	v_mov_b32_e32 v104, s14
	ds_load_2addr_b64 v[100:103], v100 offset1:1
	s_add_i32 s14, s8, 0xffffe198
	s_add_i32 s11, s11, s6
	s_delay_alu instid0(SALU_CYCLE_1) | instskip(SKIP_4) | instid1(SALU_CYCLE_1)
	s_lshl_b32 s11, s11, 3
	v_fma_f64 v[138:139], -v[6:7], v[56:57], v[58:59]
	v_fma_f64 v[20:21], -v[22:23], v[30:31], v[20:21]
	v_mov_b32_e32 v30, s13
	s_add_i32 s13, s8, 0xffffe1b8
	v_mov_b32_e32 v105, s13
	v_fma_f64 v[136:137], -v[0:1], v[68:69], v[70:71]
	ds_load_b64 v[30:31], v30
	s_add_i32 s13, s8, 0xffffe3a0
	v_fma_f64 v[140:141], -v[4:5], v[52:53], v[54:55]
	v_fma_f64 v[148:149], -v[12:13], v[40:41], v[42:43]
	v_mov_b32_e32 v40, s22
	v_fma_f64 v[144:145], -v[8:9], v[48:49], v[50:51]
	v_fma_f64 v[146:147], -v[14:15], v[44:45], v[46:47]
	v_mov_b32_e32 v44, s20
	s_add_i32 s20, s8, 0xffffdbc0
	s_add_i32 s22, s8, 0xffffdba0
	v_fma_f64 v[150:151], -v[18:19], v[120:121], v[106:107]
	v_mov_b32_e32 v120, s27
	s_add_i32 s27, s8, 0xffffd988
	s_waitcnt lgkmcnt(0)
	v_fma_f64 v[98:99], -v[2:3], v[30:31], v[98:99]
	v_fma_f64 v[142:143], -v[10:11], v[64:65], v[66:67]
	;; [unrolled: 1-line block ×4, first 2 shown]
	v_mov_b32_e32 v32, s26
	v_mov_b32_e32 v36, s24
	s_add_i32 s24, s8, 0xffffd9b8
	s_add_i32 s26, s8, 0xffffd9a8
	v_mul_f64 v[20:21], v[28:29], v[20:21]
	v_mov_b32_e32 v28, s30
	s_add_i32 s30, s8, 0xffffcdf8
	ds_load_2addr_b64 v[28:31], v28 offset1:1
	ds_load_2addr_b64 v[32:35], v32 offset1:1
	ds_load_2addr_b64 v[36:39], v36 offset1:1
	ds_load_2addr_b64 v[40:43], v40 offset1:1
	ds_load_2addr_b64 v[44:47], v44 offset1:1
	ds_load_2addr_b64 v[48:51], v109 offset1:1
	ds_load_2addr_b64 v[52:55], v105 offset1:1
	ds_load_2addr_b64 v[56:59], v104 offset1:1
	ds_load_2addr_b64 v[64:67], v132 offset1:1
	ds_load_2addr_b64 v[68:71], v108 offset1:1
	ds_load_2addr_b64 v[104:107], v110 offset1:1
	ds_load_2addr_b64 v[108:111], v111 offset1:1
	ds_load_2addr_b64 v[112:115], v112 offset1:1
	ds_load_2addr_b64 v[116:119], v116 offset1:1
	ds_load_2addr_b64 v[120:123], v120 offset1:1
	ds_load_2addr_b64 v[132:135], v133 offset1:1
	v_fma_f64 v[126:127], -v[16:17], v[126:127], v[150:151]
	s_waitcnt lgkmcnt(14)
	v_fma_f64 v[34:35], -v[6:7], v[34:35], v[136:137]
	v_fma_f64 v[30:31], -v[2:3], v[30:31], v[96:97]
	;; [unrolled: 1-line block ×3, first 2 shown]
	s_waitcnt lgkmcnt(13)
	v_fma_f64 v[38:39], -v[4:5], v[38:39], v[138:139]
	s_waitcnt lgkmcnt(12)
	v_fma_f64 v[42:43], -v[10:11], v[42:43], v[140:141]
	v_fma_f64 v[130:131], -v[8:9], v[130:131], v[142:143]
	s_waitcnt lgkmcnt(11)
	v_fma_f64 v[46:47], -v[14:15], v[46:47], v[144:145]
	s_waitcnt lgkmcnt(10)
	;; [unrolled: 2-line block ×4, first 2 shown]
	v_fma_f64 v[58:59], -v[22:23], v[58:59], v[152:153]
	v_mov_b32_e32 v96, s33
	v_mov_b32_e32 v144, s15
	s_add_i32 s15, s8, 0xffffdfa0
	v_fma_f64 v[62:63], -v[20:21], v[62:63], v[154:155]
	s_add_i32 s33, s8, 0xffffd5b8
	ds_load_b64 v[136:137], v96
	v_mov_b32_e32 v96, s25
	s_add_i32 s25, s8, 0xffffd998
	ds_load_2addr_b64 v[96:99], v96 offset1:1
	v_fma_f64 v[124:125], -v[22:23], v[124:125], v[126:127]
	s_waitcnt lgkmcnt(1)
	v_fma_f64 v[94:95], -v[2:3], v[136:137], v[94:95]
	v_fma_f64 v[28:29], -v[0:1], v[28:29], v[30:31]
	;; [unrolled: 1-line block ×11, first 2 shown]
	v_mov_b32_e32 v32, s30
	s_add_i32 s30, s8, 0xffffd3e0
	v_mul_f64 v[30:31], v[60:61], v[62:63]
	v_mov_b32_e32 v36, s30
	v_mov_b32_e32 v40, s20
	;; [unrolled: 1-line block ×3, first 2 shown]
	ds_load_2addr_b64 v[32:35], v32 offset1:1
	s_add_i32 s20, s8, 0xffffd3d0
	ds_load_2addr_b64 v[36:39], v36 offset1:1
	ds_load_2addr_b64 v[40:43], v40 offset1:1
	;; [unrolled: 1-line block ×3, first 2 shown]
	v_mov_b32_e32 v60, s37
	v_mov_b32_e32 v52, s21
	;; [unrolled: 1-line block ×3, first 2 shown]
	ds_load_2addr_b64 v[48:51], v156 offset1:1
	ds_load_2addr_b64 v[52:55], v52 offset1:1
	;; [unrolled: 1-line block ×3, first 2 shown]
	s_add_i32 s37, s8, 0xffffcbf0
	s_add_i32 s20, s8, 0xffffcde8
	;; [unrolled: 1-line block ×5, first 2 shown]
	s_waitcnt lgkmcnt(6)
	v_fma_f64 v[34:35], -v[2:3], v[34:35], v[92:93]
	v_fma_f64 v[92:93], -v[0:1], v[98:99], v[94:95]
	v_fma_f64 v[28:29], -v[6:7], v[134:135], v[28:29]
	s_waitcnt lgkmcnt(5)
	v_fma_f64 v[38:39], -v[4:5], v[38:39], v[100:101]
	v_fma_f64 v[94:95], -v[10:11], v[122:123], v[102:103]
	v_fma_f64 v[98:99], -v[8:9], v[118:119], v[136:137]
	v_fma_f64 v[100:101], -v[14:15], v[114:115], v[138:139]
	s_waitcnt lgkmcnt(4)
	v_fma_f64 v[42:43], -v[12:13], v[42:43], v[128:129]
	;; [unrolled: 5-line block ×3, first 2 shown]
	ds_load_b64 v[110:111], v60
	v_mov_b32_e32 v60, s37
	v_fma_f64 v[66:67], -v[30:31], v[66:67], v[126:127]
	v_mov_b32_e32 v135, s38
	v_mov_b32_e32 v129, s34
	;; [unrolled: 1-line block ×3, first 2 shown]
	ds_load_2addr_b64 v[60:63], v60 offset1:1
	v_dual_mov_b32 v114, s14 :: v_dual_mov_b32 v115, s15
	v_dual_mov_b32 v118, s16 :: v_dual_mov_b32 v119, s17
	;; [unrolled: 1-line block ×5, first 2 shown]
	v_mov_b32_e32 v128, s33
	v_mov_b32_e32 v130, s13
	;; [unrolled: 1-line block ×3, first 2 shown]
	s_waitcnt lgkmcnt(1)
	v_fma_f64 v[146:147], -v[2:3], v[110:111], v[90:91]
	v_mov_b32_e32 v138, s21
	v_mov_b32_e32 v142, s39
	s_add_i32 s36, s8, 0xffffc5f8
	s_add_i32 s17, s8, 0xffffd3c0
	;; [unrolled: 1-line block ×3, first 2 shown]
	v_fma_f64 v[148:149], -v[0:1], v[32:33], v[34:35]
	v_fma_f64 v[150:151], -v[6:7], v[96:97], v[92:93]
	;; [unrolled: 1-line block ×12, first 2 shown]
	v_mov_b32_e32 v40, s20
	s_add_i32 s34, s8, 0xffffc7f0
	v_mul_f64 v[28:29], v[64:65], v[66:67]
	ds_load_2addr_b64 v[32:35], v135 offset1:1
	ds_load_2addr_b64 v[36:39], v129 offset1:1
	;; [unrolled: 1-line block ×20, first 2 shown]
	s_waitcnt lgkmcnt(19)
	v_fma_f64 v[34:35], -v[2:3], v[34:35], v[88:89]
	s_add_i32 s18, s8, 0xffffd3b0
	s_add_i32 s33, s8, 0xffffcbd0
	;; [unrolled: 1-line block ×15, first 2 shown]
	v_fma_f64 v[62:63], -v[0:1], v[62:63], v[146:147]
	v_mov_b32_e32 v146, s34
	s_add_i32 s34, s8, 0xffffc9c8
	s_add_i32 s38, s8, 0xffffc5d8
	s_waitcnt lgkmcnt(17)
	v_fma_f64 v[42:43], -v[6:7], v[42:43], v[148:149]
	s_waitcnt lgkmcnt(16)
	v_fma_f64 v[46:47], -v[4:5], v[46:47], v[150:151]
	v_fma_f64 v[38:39], -v[10:11], v[38:39], v[152:153]
	;; [unrolled: 1-line block ×3, first 2 shown]
	s_waitcnt lgkmcnt(13)
	v_fma_f64 v[88:89], -v[14:15], v[92:93], v[156:157]
	s_waitcnt lgkmcnt(12)
	v_fma_f64 v[92:93], -v[12:13], v[96:97], v[158:159]
	;; [unrolled: 2-line block ×3, first 2 shown]
	v_fma_f64 v[54:55], -v[16:17], v[54:55], v[162:163]
	s_waitcnt lgkmcnt(10)
	v_fma_f64 v[100:101], -v[22:23], v[104:105], v[164:165]
	s_waitcnt lgkmcnt(9)
	v_fma_f64 v[104:105], -v[20:21], v[108:109], v[166:167]
	v_fma_f64 v[66:67], -v[30:31], v[66:67], v[168:169]
	ds_load_b64 v[108:109], v172
	v_mov_b32_e32 v158, s36
	ds_load_2addr_b64 v[146:149], v146 offset1:1
	v_fma_f64 v[50:51], -v[28:29], v[50:51], v[170:171]
	s_add_i32 s36, s8, 0xffffc7d0
	v_fma_f64 v[32:33], -v[0:1], v[32:33], v[34:35]
	v_fma_f64 v[150:151], -v[4:5], v[40:41], v[42:43]
	;; [unrolled: 1-line block ×12, first 2 shown]
	ds_load_2addr_b64 v[36:39], v158 offset1:1
	s_waitcnt lgkmcnt(2)
	v_fma_f64 v[86:87], -v[2:3], v[108:109], v[86:87]
	v_fma_f64 v[108:109], -v[6:7], v[60:61], v[62:63]
	v_mul_f64 v[34:35], v[48:49], v[50:51]
	v_mov_b32_e32 v40, s31
	v_mov_b32_e32 v44, s17
	;; [unrolled: 1-line block ×3, first 2 shown]
	v_fma_f64 v[32:33], -v[6:7], v[144:145], v[32:33]
	s_add_i32 s17, s8, 0xffffc400
	ds_load_2addr_b64 v[40:43], v40 offset1:1
	ds_load_2addr_b64 v[44:47], v44 offset1:1
	;; [unrolled: 1-line block ×3, first 2 shown]
	v_mov_b32_e32 v52, s23
	v_mov_b32_e32 v66, s17
	v_mov_b32_e32 v56, s18
	v_mov_b32_e32 v60, s33
	ds_load_2addr_b64 v[52:55], v52 offset1:1
	ds_load_2addr_b64 v[56:59], v56 offset1:1
	;; [unrolled: 1-line block ×3, first 2 shown]
	v_mov_b32_e32 v104, s19
	s_waitcnt lgkmcnt(6)
	v_fma_f64 v[38:39], -v[2:3], v[38:39], v[84:85]
	s_add_i32 s31, s8, 0xffffc5e8
	v_mov_b32_e32 v107, s13
	s_add_i32 s13, s11, -8
	v_dual_mov_b32 v105, s25 :: v_dual_mov_b32 v106, s27
	v_mov_b32_e32 v144, s38
	s_add_i32 s19, s8, 0xffffd3a0
	v_fma_f64 v[100:101], -v[8:9], v[136:137], v[152:153]
	v_fma_f64 v[102:103], -v[14:15], v[132:133], v[154:155]
	s_waitcnt lgkmcnt(4)
	v_fma_f64 v[46:47], -v[12:13], v[46:47], v[156:157]
	v_fma_f64 v[88:89], -v[18:19], v[128:129], v[88:89]
	;; [unrolled: 1-line block ×4, first 2 shown]
	s_waitcnt lgkmcnt(3)
	v_fma_f64 v[50:51], -v[20:21], v[50:51], v[94:95]
	v_fma_f64 v[94:95], -v[30:31], v[116:117], v[96:97]
	;; [unrolled: 1-line block ×3, first 2 shown]
	ds_load_b64 v[98:99], v66
	v_mov_b32_e32 v112, s14
	v_fma_f64 v[84:85], -v[0:1], v[148:149], v[86:87]
	v_fma_f64 v[42:43], -v[4:5], v[42:43], v[108:109]
	;; [unrolled: 1-line block ×4, first 2 shown]
	v_dual_mov_b32 v64, s39 :: v_dual_mov_b32 v121, s35
	v_fma_f64 v[156:157], -v[4:5], v[142:143], v[32:33]
	s_sub_i32 s14, s11, 24
	v_mov_b32_e32 v129, s31
	ds_load_2addr_b64 v[64:67], v64 offset1:1
	v_mov_b32_e32 v108, s15
	v_dual_mov_b32 v116, s16 :: v_dual_mov_b32 v109, s20
	v_dual_mov_b32 v120, s21 :: v_dual_mov_b32 v113, s24
	;; [unrolled: 1-line block ×3, first 2 shown]
	v_mov_b32_e32 v128, s30
	s_waitcnt lgkmcnt(1)
	v_fma_f64 v[150:151], -v[2:3], v[98:99], v[82:83]
	v_fma_f64 v[152:153], -v[0:1], v[36:37], v[38:39]
	v_dual_mov_b32 v136, s34 :: v_dual_mov_b32 v125, s37
	v_mov_b32_e32 v140, s36
	v_mov_b32_e32 v132, s13
	s_add_i32 s13, s7, 0xffffdb70
	s_add_i32 s20, s8, 0xffffc3e0
	;; [unrolled: 1-line block ×3, first 2 shown]
	v_fma_f64 v[162:163], -v[14:15], v[134:135], v[100:101]
	v_fma_f64 v[164:165], -v[12:13], v[130:131], v[102:103]
	;; [unrolled: 1-line block ×9, first 2 shown]
	s_add_i32 s25, s8, 0xffffc3d0
	s_add_i32 s29, s8, 0xffffc5c8
	v_fma_f64 v[154:155], -v[6:7], v[146:147], v[84:85]
	v_fma_f64 v[158:159], -v[10:11], v[40:41], v[42:43]
	;; [unrolled: 1-line block ×3, first 2 shown]
	v_mul_f64 v[32:33], v[68:69], v[70:71]
	v_mov_b32_e32 v146, s14
	ds_load_2addr_b64 v[36:39], v104 offset1:1
	ds_load_2addr_b64 v[40:43], v180 offset1:1
	;; [unrolled: 1-line block ×22, first 2 shown]
	s_waitcnt lgkmcnt(19)
	v_fma_f64 v[46:47], -v[10:11], v[46:47], v[156:157]
	s_add_i32 s14, s7, 0xffffd968
	s_add_i32 s26, s8, 0xffffc7c0
	;; [unrolled: 1-line block ×11, first 2 shown]
	v_fma_f64 v[66:67], -v[0:1], v[66:67], v[150:151]
	s_waitcnt lgkmcnt(18)
	v_fma_f64 v[50:51], -v[6:7], v[50:51], v[152:153]
	s_waitcnt lgkmcnt(4)
	v_fma_f64 v[80:81], -v[2:3], v[132:133], v[80:81]
	v_fma_f64 v[96:97], -v[12:13], v[96:97], v[162:163]
	;; [unrolled: 1-line block ×9, first 2 shown]
	v_mov_b32_e32 v168, s14
	s_add_i32 s14, s8, 0xffffd978
	v_fma_f64 v[70:71], -v[4:5], v[70:71], v[154:155]
	v_fma_f64 v[62:63], -v[8:9], v[62:63], v[158:159]
	;; [unrolled: 1-line block ×4, first 2 shown]
	v_mov_b32_e32 v158, s13
	s_add_i32 s13, s8, 0xffffdb80
	v_fma_f64 v[154:155], -v[8:9], v[44:45], v[46:47]
	v_mov_b32_e32 v159, s20
	s_add_i32 s20, s8, 0xffffcbc0
	s_delay_alu instid0(SALU_CYCLE_1)
	v_mov_b32_e32 v44, s20
	s_add_i32 s20, s8, 0xffffd188
	ds_load_2addr_b64 v[44:47], v44 offset1:1
	v_fma_f64 v[132:133], -v[6:7], v[64:65], v[66:67]
	v_fma_f64 v[150:151], -v[4:5], v[48:49], v[50:51]
	v_mov_b32_e32 v48, s19
	s_add_i32 s19, s8, 0xffffcf90
	ds_load_2addr_b64 v[48:51], v48 offset1:1
	v_fma_f64 v[82:83], -v[28:29], v[82:83], v[84:85]
	v_fma_f64 v[84:85], -v[34:35], v[52:53], v[54:55]
	v_mov_b32_e32 v52, s13
	s_add_i32 s13, s8, 0xffffcbb0
	s_delay_alu instid0(SALU_CYCLE_1)
	v_mov_b32_e32 v64, s13
	v_fma_f64 v[152:153], -v[10:11], v[68:69], v[70:71]
	v_fma_f64 v[156:157], -v[14:15], v[60:61], v[62:63]
	;; [unrolled: 1-line block ×9, first 2 shown]
	v_mul_f64 v[26:27], v[24:25], v[26:27]
	v_fma_f64 v[24:25], -v[0:1], v[130:131], v[80:81]
	ds_load_2addr_b64 v[36:39], v159 offset1:1
	ds_load_2addr_b64 v[52:55], v52 offset1:1
	s_waitcnt lgkmcnt(7)
	v_fma_f64 v[106:107], -v[14:15], v[136:137], v[154:155]
	v_mov_b32_e32 v60, s21
	v_mov_b32_e32 v68, s25
	ds_load_2addr_b64 v[56:59], v158 offset1:1
	ds_load_2addr_b64 v[60:63], v60 offset1:1
	;; [unrolled: 1-line block ×4, first 2 shown]
	s_waitcnt lgkmcnt(9)
	v_fma_f64 v[80:81], -v[10:11], v[144:145], v[150:151]
	s_add_i32 s21, s8, 0xffffc9b8
	s_add_i32 s13, s8, 0xffffcd98
	;; [unrolled: 1-line block ×3, first 2 shown]
	v_dual_mov_b32 v108, s18 :: v_dual_mov_b32 v109, s20
	s_add_i32 s18, s8, 0xffffcd88
	s_add_i32 s20, s8, 0xffffc998
	s_waitcnt lgkmcnt(5)
	v_fma_f64 v[38:39], -v[4:5], v[38:39], v[132:133]
	v_fma_f64 v[82:83], -v[34:35], v[88:89], v[82:83]
	s_waitcnt lgkmcnt(4)
	v_fma_f64 v[54:55], -v[32:33], v[54:55], v[84:85]
	v_mov_b32_e32 v88, s14
	s_sub_i32 s14, s11, 56
	v_dual_mov_b32 v89, s22 :: v_dual_mov_b32 v132, s30
	v_fma_f64 v[104:105], -v[8:9], v[140:141], v[152:153]
	v_fma_f64 v[46:47], -v[12:13], v[46:47], v[156:157]
	;; [unrolled: 1-line block ×8, first 2 shown]
	v_mov_b32_e32 v113, s21
	v_fma_f64 v[42:43], -v[26:27], v[42:43], v[102:103]
	v_fma_f64 v[84:85], -v[6:7], v[148:149], v[24:25]
	v_dual_mov_b32 v121, s29 :: v_dual_mov_b32 v120, s13
	v_fma_f64 v[148:149], -v[12:13], v[134:135], v[106:107]
	v_mov_b32_e32 v117, s26
	s_sub_i32 s13, s11, 40
	v_dual_mov_b32 v100, s15 :: v_dual_mov_b32 v101, s16
	v_mov_b32_e32 v102, s17
	v_fma_f64 v[142:143], -v[8:9], v[142:143], v[80:81]
	v_dual_mov_b32 v103, s23 :: v_dual_mov_b32 v116, s19
	v_mov_b32_e32 v112, s24
	v_mov_b32_e32 v124, s25
	;; [unrolled: 1-line block ×4, first 2 shown]
	s_add_i32 s16, s8, 0xffffc3b0
	s_add_i32 s14, s8, 0xffffd370
	;; [unrolled: 1-line block ×5, first 2 shown]
	v_fma_f64 v[140:141], -v[10:11], v[36:37], v[38:39]
	v_fma_f64 v[164:165], -v[32:33], v[86:87], v[82:83]
	;; [unrolled: 1-line block ×3, first 2 shown]
	s_add_i32 s17, s8, 0xffffcf70
	s_add_i32 s19, s8, 0xffffcd78
	;; [unrolled: 1-line block ×4, first 2 shown]
	v_fma_f64 v[144:145], -v[14:15], v[138:139], v[104:105]
	v_fma_f64 v[150:151], -v[18:19], v[44:45], v[46:47]
	;; [unrolled: 1-line block ×8, first 2 shown]
	v_mov_b32_e32 v114, s13
	v_mul_f64 v[24:25], v[40:41], v[42:43]
	v_fma_f64 v[146:147], -v[4:5], v[146:147], v[84:85]
	ds_load_2addr_b64 v[36:39], v113 offset1:1
	ds_load_2addr_b64 v[40:43], v121 offset1:1
	;; [unrolled: 1-line block ×20, first 2 shown]
	s_add_i32 s13, s8, 0xffffc3c0
	s_waitcnt lgkmcnt(19)
	v_fma_f64 v[38:39], -v[18:19], v[38:39], v[148:149]
	s_add_i32 s25, s8, 0xffffc598
	s_waitcnt lgkmcnt(18)
	v_fma_f64 v[42:43], -v[14:15], v[42:43], v[142:143]
	v_fma_f64 v[70:71], -v[8:9], v[70:71], v[140:141]
	s_waitcnt lgkmcnt(16)
	v_fma_f64 v[50:51], -v[26:27], v[50:51], v[164:165]
	v_fma_f64 v[46:47], -v[12:13], v[46:47], v[144:145]
	;; [unrolled: 1-line block ×3, first 2 shown]
	s_waitcnt lgkmcnt(14)
	v_fma_f64 v[82:83], -v[22:23], v[82:83], v[152:153]
	s_waitcnt lgkmcnt(13)
	v_fma_f64 v[86:87], -v[20:21], v[86:87], v[154:155]
	;; [unrolled: 2-line block ×3, first 2 shown]
	v_fma_f64 v[62:63], -v[28:29], v[62:63], v[158:159]
	s_waitcnt lgkmcnt(11)
	v_fma_f64 v[94:95], -v[34:35], v[94:95], v[160:161]
	s_waitcnt lgkmcnt(10)
	v_fma_f64 v[98:99], -v[32:33], v[98:99], v[162:163]
	v_fma_f64 v[58:59], -v[24:25], v[58:59], v[166:167]
	s_waitcnt lgkmcnt(6)
	v_fma_f64 v[114:115], -v[10:11], v[114:115], v[146:147]
	v_fma_f64 v[36:37], -v[16:17], v[36:37], v[38:39]
	;; [unrolled: 1-line block ×4, first 2 shown]
	v_mov_b32_e32 v40, s13
	s_add_i32 s13, s8, 0xffffcba0
	v_fma_f64 v[140:141], -v[18:19], v[44:45], v[46:47]
	v_fma_f64 v[142:143], -v[22:23], v[64:65], v[66:67]
	;; [unrolled: 1-line block ×9, first 2 shown]
	v_mul_f64 v[38:39], v[56:57], v[58:59]
	v_fma_f64 v[94:95], -v[8:9], v[112:113], v[114:115]
	v_mov_b32_e32 v44, s13
	s_add_i32 s13, s8, 0xffffd380
	ds_load_2addr_b64 v[40:43], v40 offset1:1
	v_mov_b32_e32 v48, s13
	s_waitcnt lgkmcnt(4)
	v_fma_f64 v[36:37], -v[22:23], v[126:127], v[36:37]
	ds_load_2addr_b64 v[44:47], v44 offset1:1
	s_add_i32 s13, s7, 0xffffd760
	v_mov_b32_e32 v64, s16
	ds_load_2addr_b64 v[48:51], v48 offset1:1
	v_mov_b32_e32 v112, s13
	s_add_i32 s13, s7, 0xffffd558
	s_add_i32 s16, s8, 0xffffcf80
	v_mov_b32_e32 v56, s14
	s_add_i32 s14, s8, 0xffffd178
	v_mov_b32_e32 v60, s15
	ds_load_2addr_b64 v[56:59], v56 offset1:1
	ds_load_2addr_b64 v[60:63], v60 offset1:1
	;; [unrolled: 1-line block ×3, first 2 shown]
	s_add_i32 s15, s8, 0xffffd168
	s_waitcnt lgkmcnt(7)
	v_fma_f64 v[96:97], -v[18:19], v[134:135], v[70:71]
	s_waitcnt lgkmcnt(5)
	v_fma_f64 v[42:43], -v[12:13], v[42:43], v[68:69]
	ds_load_2addr_b64 v[68:71], v112 offset1:1
	v_mov_b32_e32 v112, s21
	s_add_i32 s21, s8, 0xffffc770
	v_fma_f64 v[98:99], -v[16:17], v[130:131], v[140:141]
	s_waitcnt lgkmcnt(5)
	v_fma_f64 v[46:47], -v[20:21], v[46:47], v[142:143]
	v_fma_f64 v[80:81], -v[30:31], v[122:123], v[80:81]
	;; [unrolled: 1-line block ×4, first 2 shown]
	s_waitcnt lgkmcnt(4)
	v_fma_f64 v[50:51], -v[32:33], v[50:51], v[86:87]
	v_fma_f64 v[86:87], -v[26:27], v[106:107], v[88:89]
	v_fma_f64 v[88:89], -v[24:25], v[102:103], v[90:91]
	v_mov_b32_e32 v102, s13
	v_fma_f64 v[54:55], -v[38:39], v[54:55], v[92:93]
	v_fma_f64 v[90:91], -v[14:15], v[138:139], v[94:95]
	s_add_i32 s13, s8, 0xffffd568
	s_delay_alu instid0(SALU_CYCLE_1)
	v_dual_mov_b32 v95, s18 :: v_dual_mov_b32 v92, s13
	v_mov_b32_e32 v94, s16
	v_fma_f64 v[134:135], -v[20:21], v[124:125], v[36:37]
	v_mov_b32_e32 v93, s14
	s_add_i32 s13, s11, 0xffffffb8
	v_dual_mov_b32 v103, s15 :: v_dual_mov_b32 v106, s17
	v_mov_b32_e32 v110, s19
	s_add_i32 s14, s8, 0xffffc390
	s_add_i32 s16, s8, 0xffffcd68
	;; [unrolled: 1-line block ×6, first 2 shown]
	v_fma_f64 v[132:133], -v[16:17], v[132:133], v[96:97]
	v_fma_f64 v[130:131], -v[18:19], v[40:41], v[42:43]
	v_mov_b32_e32 v40, s24
	v_mov_b32_e32 v96, s13
	s_add_i32 s13, s11, 0xffffffa8
	v_fma_f64 v[128:129], -v[22:23], v[128:129], v[98:99]
	v_fma_f64 v[138:139], -v[30:31], v[44:45], v[46:47]
	v_fma_f64 v[140:141], -v[28:29], v[120:121], v[80:81]
	v_fma_f64 v[142:143], -v[34:35], v[116:117], v[82:83]
	v_fma_f64 v[144:145], -v[32:33], v[108:109], v[84:85]
	v_fma_f64 v[146:147], -v[26:27], v[48:49], v[50:51]
	v_fma_f64 v[148:149], -v[24:25], v[104:105], v[86:87]
	v_fma_f64 v[150:151], -v[38:39], v[100:101], v[88:89]
	v_mov_b32_e32 v44, s22
	v_mul_f64 v[36:37], v[52:53], v[54:55]
	v_fma_f64 v[136:137], -v[12:13], v[136:137], v[90:91]
	v_mov_b32_e32 v48, s20
	ds_load_2addr_b64 v[40:43], v40 offset1:1
	ds_load_2addr_b64 v[44:47], v44 offset1:1
	;; [unrolled: 1-line block ×7, first 2 shown]
	v_mov_b32_e32 v116, s23
	v_mov_b32_e32 v120, s25
	;; [unrolled: 1-line block ×3, first 2 shown]
	ds_load_2addr_b64 v[92:95], v96 offset1:1
	ds_load_2addr_b64 v[96:99], v102 offset1:1
	ds_load_2addr_b64 v[100:103], v103 offset1:1
	ds_load_2addr_b64 v[104:107], v106 offset1:1
	ds_load_2addr_b64 v[108:111], v110 offset1:1
	ds_load_2addr_b64 v[112:115], v112 offset1:1
	ds_load_2addr_b64 v[116:119], v116 offset1:1
	ds_load_2addr_b64 v[120:123], v120 offset1:1
	ds_load_2addr_b64 v[124:127], v124 offset1:1
	s_add_i32 s13, s8, 0xffffc3a0
	s_add_i32 s22, s8, 0xffffc588
	;; [unrolled: 1-line block ×4, first 2 shown]
	s_waitcnt lgkmcnt(15)
	v_fma_f64 v[42:43], -v[22:23], v[42:43], v[132:133]
	v_fma_f64 v[66:67], -v[16:17], v[66:67], v[130:131]
	s_waitcnt lgkmcnt(13)
	v_fma_f64 v[50:51], -v[30:31], v[50:51], v[134:135]
	v_fma_f64 v[46:47], -v[20:21], v[46:47], v[128:129]
	;; [unrolled: 1-line block ×3, first 2 shown]
	s_waitcnt lgkmcnt(12)
	v_fma_f64 v[54:55], -v[34:35], v[54:55], v[140:141]
	s_waitcnt lgkmcnt(11)
	v_fma_f64 v[82:83], -v[32:33], v[82:83], v[142:143]
	;; [unrolled: 2-line block ×3, first 2 shown]
	v_fma_f64 v[58:59], -v[24:25], v[58:59], v[146:147]
	s_waitcnt lgkmcnt(9)
	v_fma_f64 v[90:91], -v[38:39], v[90:91], v[148:149]
	v_fma_f64 v[70:71], -v[36:37], v[70:71], v[150:151]
	s_waitcnt lgkmcnt(8)
	v_fma_f64 v[94:95], -v[18:19], v[94:95], v[136:137]
	v_fma_f64 v[40:41], -v[20:21], v[40:41], v[42:43]
	;; [unrolled: 1-line block ×4, first 2 shown]
	v_mov_b32_e32 v64, s14
	s_add_i32 s14, s8, 0xffffcf60
	v_fma_f64 v[130:131], -v[30:31], v[44:45], v[46:47]
	v_fma_f64 v[134:135], -v[34:35], v[60:61], v[62:63]
	;; [unrolled: 1-line block ×7, first 2 shown]
	v_mov_b32_e32 v44, s13
	s_add_i32 s13, s8, 0xffffcb80
	v_mul_f64 v[42:43], v[68:69], v[70:71]
	v_fma_f64 v[68:69], -v[16:17], v[92:93], v[94:95]
	v_mov_b32_e32 v48, s13
	s_add_i32 s13, s8, 0xffffd360
	ds_load_2addr_b64 v[44:47], v44 offset1:1
	v_mov_b32_e32 v52, s13
	s_add_i32 s13, s7, 0xffffd350
	ds_load_2addr_b64 v[48:51], v48 offset1:1
	v_mov_b32_e32 v56, s13
	s_add_i32 s13, s8, 0xffffcb70
	ds_load_2addr_b64 v[52:55], v52 offset1:1
	v_mov_b32_e32 v60, s13
	s_add_i32 s13, s7, 0xffffd148
	ds_load_2addr_b64 v[56:59], v56 offset1:1
	ds_load_2addr_b64 v[60:63], v60 offset1:1
	ds_load_2addr_b64 v[64:67], v64 offset1:1
	v_mov_b32_e32 v92, s13
	s_add_i32 s13, s8, 0xffffd158
	s_waitcnt lgkmcnt(7)
	v_fma_f64 v[40:41], -v[30:31], v[122:123], v[40:41]
	s_waitcnt lgkmcnt(5)
	v_fma_f64 v[46:47], -v[20:21], v[46:47], v[128:129]
	v_fma_f64 v[88:89], -v[34:35], v[114:115], v[132:133]
	;; [unrolled: 1-line block ×3, first 2 shown]
	s_waitcnt lgkmcnt(4)
	v_fma_f64 v[50:51], -v[32:33], v[50:51], v[134:135]
	v_fma_f64 v[90:91], -v[26:27], v[110:111], v[136:137]
	;; [unrolled: 1-line block ×4, first 2 shown]
	s_waitcnt lgkmcnt(3)
	v_fma_f64 v[54:55], -v[36:37], v[54:55], v[84:85]
	v_fma_f64 v[84:85], -v[42:43], v[98:99], v[86:87]
	;; [unrolled: 1-line block ×3, first 2 shown]
	v_mov_b32_e32 v86, s13
	s_add_i32 s13, s11, 0xffffff98
	v_fma_f64 v[120:121], -v[28:29], v[120:121], v[40:41]
	v_fma_f64 v[122:123], -v[30:31], v[44:45], v[46:47]
	;; [unrolled: 1-line block ×3, first 2 shown]
	v_mov_b32_e32 v44, s22
	v_mov_b32_e32 v88, s13
	s_add_i32 s13, s11, 0xffffff88
	v_fma_f64 v[126:127], -v[34:35], v[116:117], v[70:71]
	v_fma_f64 v[130:131], -v[26:27], v[48:49], v[50:51]
	;; [unrolled: 1-line block ×6, first 2 shown]
	v_mov_b32_e32 v80, s14
	v_mov_b32_e32 v48, s20
	v_mov_b32_e32 v52, s18
	v_mul_f64 v[40:41], v[96:97], v[84:85]
	v_fma_f64 v[124:125], -v[20:21], v[124:125], v[68:69]
	v_mov_b32_e32 v68, s16
	ds_load_2addr_b64 v[44:47], v44 offset1:1
	ds_load_2addr_b64 v[48:51], v48 offset1:1
	;; [unrolled: 1-line block ×7, first 2 shown]
	v_mov_b32_e32 v116, s13
	s_add_i32 s13, s8, 0xffffc380
	v_mov_b32_e32 v96, s15
	v_mov_b32_e32 v100, s17
	;; [unrolled: 1-line block ×5, first 2 shown]
	ds_load_2addr_b64 v[92:95], v92 offset1:1
	ds_load_2addr_b64 v[96:99], v96 offset1:1
	;; [unrolled: 1-line block ×7, first 2 shown]
	s_add_i32 s14, s8, 0xffffc370
	s_add_i32 s15, s8, 0xffffc958
	;; [unrolled: 1-line block ×4, first 2 shown]
	s_waitcnt lgkmcnt(13)
	v_fma_f64 v[46:47], -v[34:35], v[46:47], v[120:121]
	v_fma_f64 v[66:67], -v[28:29], v[66:67], v[122:123]
	s_waitcnt lgkmcnt(11)
	v_fma_f64 v[54:55], -v[26:27], v[54:55], v[128:129]
	v_fma_f64 v[50:51], -v[32:33], v[50:51], v[126:127]
	;; [unrolled: 1-line block ×3, first 2 shown]
	s_waitcnt lgkmcnt(10)
	v_fma_f64 v[70:71], -v[38:39], v[70:71], v[132:133]
	s_waitcnt lgkmcnt(9)
	v_fma_f64 v[82:83], -v[36:37], v[82:83], v[134:135]
	;; [unrolled: 2-line block ×3, first 2 shown]
	v_fma_f64 v[58:59], -v[40:41], v[58:59], v[138:139]
	s_waitcnt lgkmcnt(7)
	v_fma_f64 v[90:91], -v[30:31], v[90:91], v[124:125]
	v_fma_f64 v[44:45], -v[32:33], v[44:45], v[46:47]
	;; [unrolled: 1-line block ×9, first 2 shown]
	v_mov_b32_e32 v48, s13
	s_add_i32 s13, s8, 0xffffcb60
	v_mov_b32_e32 v60, s14
	v_mov_b32_e32 v52, s13
	v_mul_f64 v[46:47], v[56:57], v[58:59]
	v_fma_f64 v[82:83], -v[28:29], v[88:89], v[90:91]
	ds_load_2addr_b64 v[48:51], v48 offset1:1
	ds_load_2addr_b64 v[52:55], v52 offset1:1
	s_add_i32 s13, s8, 0xffffcb50
	s_add_i32 s14, s8, 0xffffcd48
	v_mov_b32_e32 v56, s13
	s_add_i32 s13, s7, 0xffffcf40
	ds_load_2addr_b64 v[56:59], v56 offset1:1
	ds_load_2addr_b64 v[60:63], v60 offset1:1
	s_waitcnt lgkmcnt(5)
	v_fma_f64 v[44:45], -v[26:27], v[114:115], v[44:45]
	s_waitcnt lgkmcnt(3)
	v_fma_f64 v[50:51], -v[32:33], v[50:51], v[64:65]
	v_fma_f64 v[86:87], -v[38:39], v[106:107], v[120:121]
	v_mov_b32_e32 v64, s13
	s_add_i32 s13, s7, 0xffffcd38
	v_fma_f64 v[84:85], -v[24:25], v[110:111], v[66:67]
	s_waitcnt lgkmcnt(2)
	v_fma_f64 v[54:55], -v[36:37], v[54:55], v[122:123]
	v_fma_f64 v[68:69], -v[42:43], v[102:103], v[68:69]
	;; [unrolled: 1-line block ×3, first 2 shown]
	ds_load_2addr_b64 v[64:67], v64 offset1:1
	v_mov_b32_e32 v88, s13
	s_add_i32 s13, s8, 0xffffc948
	v_fma_f64 v[80:81], -v[46:47], v[94:95], v[80:81]
	v_fma_f64 v[82:83], -v[34:35], v[118:119], v[82:83]
	;; [unrolled: 1-line block ×5, first 2 shown]
	v_mov_b32_e32 v48, s17
	v_fma_f64 v[108:109], -v[38:39], v[108:109], v[84:85]
	v_fma_f64 v[118:119], -v[42:43], v[52:53], v[54:55]
	;; [unrolled: 1-line block ×4, first 2 shown]
	v_mov_b32_e32 v68, s15
	s_add_i32 s15, s11, 0xffffff78
	v_mov_b32_e32 v52, s16
	v_mov_b32_e32 v84, s15
	ds_load_2addr_b64 v[48:51], v48 offset1:1
	ds_load_2addr_b64 v[52:55], v52 offset1:1
	;; [unrolled: 1-line block ×3, first 2 shown]
	v_mul_f64 v[44:45], v[92:93], v[80:81]
	v_fma_f64 v[116:117], -v[32:33], v[116:117], v[82:83]
	v_mov_b32_e32 v80, s14
	ds_load_2addr_b64 v[84:87], v84 offset1:1
	v_mov_b32_e32 v92, s13
	s_add_i32 s13, s11, 0xffffff68
	s_add_i32 s14, s8, 0xffffc750
	ds_load_2addr_b64 v[80:83], v80 offset1:1
	v_mov_b32_e32 v104, s13
	s_add_i32 s13, s8, 0xffffc360
	s_add_i32 s15, s8, 0xffffc558
	v_mov_b32_e32 v96, s14
	v_mov_b32_e32 v100, s15
	ds_load_2addr_b64 v[88:91], v88 offset1:1
	ds_load_2addr_b64 v[92:95], v92 offset1:1
	;; [unrolled: 1-line block ×5, first 2 shown]
	s_add_i32 s14, s8, 0xffffc350
	s_add_i32 s15, s8, 0xffffc548
	s_waitcnt lgkmcnt(9)
	v_fma_f64 v[50:51], -v[38:39], v[50:51], v[112:113]
	v_fma_f64 v[62:63], -v[24:25], v[62:63], v[110:111]
	s_waitcnt lgkmcnt(7)
	v_fma_f64 v[70:71], -v[42:43], v[70:71], v[114:115]
	v_fma_f64 v[54:55], -v[36:37], v[54:55], v[108:109]
	;; [unrolled: 1-line block ×3, first 2 shown]
	s_waitcnt lgkmcnt(5)
	v_fma_f64 v[82:83], -v[46:47], v[82:83], v[120:121]
	v_fma_f64 v[66:67], -v[44:45], v[66:67], v[122:123]
	;; [unrolled: 1-line block ×9, first 2 shown]
	v_mov_b32_e32 v52, s13
	s_add_i32 s13, s8, 0xffffcb40
	s_delay_alu instid0(SALU_CYCLE_1)
	v_mov_b32_e32 v56, s13
	ds_load_2addr_b64 v[52:55], v52 offset1:1
	ds_load_2addr_b64 v[56:59], v56 offset1:1
	v_mul_f64 v[50:51], v[64:65], v[66:67]
	v_fma_f64 v[82:83], -v[24:25], v[84:85], v[86:87]
	s_add_i32 s13, s7, 0xffffcb30
	v_mov_b32_e32 v64, s14
	v_mov_b32_e32 v60, s13
	s_add_i32 s13, s8, 0xffffc938
	s_add_i32 s14, s8, 0xffffc740
	ds_load_2addr_b64 v[60:63], v60 offset1:1
	ds_load_2addr_b64 v[64:67], v64 offset1:1
	s_waitcnt lgkmcnt(5)
	v_fma_f64 v[48:49], -v[42:43], v[102:103], v[48:49]
	s_waitcnt lgkmcnt(3)
	v_fma_f64 v[54:55], -v[36:37], v[54:55], v[108:109]
	v_fma_f64 v[68:69], -v[46:47], v[94:95], v[68:69]
	;; [unrolled: 1-line block ×3, first 2 shown]
	s_waitcnt lgkmcnt(2)
	v_fma_f64 v[58:59], -v[44:45], v[58:59], v[70:71]
	v_fma_f64 v[70:71], -v[50:51], v[90:91], v[80:81]
	;; [unrolled: 1-line block ×6, first 2 shown]
	v_mov_b32_e32 v52, s15
	v_mov_b32_e32 v68, s13
	s_add_i32 s13, s11, 0xffffff58
	v_fma_f64 v[106:107], -v[46:47], v[96:97], v[84:85]
	v_fma_f64 v[110:111], -v[50:51], v[56:57], v[58:59]
	v_mov_b32_e32 v56, s14
	s_add_i32 s14, s8, 0xffffc538
	s_delay_alu instid0(SALU_CYCLE_1)
	v_mov_b32_e32 v92, s14
	s_add_i32 s14, s7, 0xffffc720
	v_mul_f64 v[48:49], v[88:89], v[70:71]
	v_fma_f64 v[104:105], -v[36:37], v[104:105], v[80:81]
	v_mov_b32_e32 v80, s13
	ds_load_2addr_b64 v[52:55], v52 offset1:1
	ds_load_2addr_b64 v[56:59], v56 offset1:1
	;; [unrolled: 1-line block ×4, first 2 shown]
	s_add_i32 s13, s7, 0xffffc928
	s_delay_alu instid0(SALU_CYCLE_1) | instskip(SKIP_1) | instid1(SALU_CYCLE_1)
	v_mov_b32_e32 v84, s13
	s_add_i32 s13, s8, 0xffffc730
	v_mov_b32_e32 v88, s13
	s_add_i32 s13, s11, 0xffffff48
	s_delay_alu instid0(SALU_CYCLE_1)
	v_mov_b32_e32 v96, s13
	s_add_i32 s13, s8, 0xffffc340
	ds_load_2addr_b64 v[84:87], v84 offset1:1
	ds_load_2addr_b64 v[88:91], v88 offset1:1
	;; [unrolled: 1-line block ×4, first 2 shown]
	s_waitcnt lgkmcnt(7)
	v_fma_f64 v[54:55], -v[46:47], v[54:55], v[100:101]
	v_fma_f64 v[66:67], -v[40:41], v[66:67], v[102:103]
	s_waitcnt lgkmcnt(5)
	v_fma_f64 v[70:71], -v[50:51], v[70:71], v[108:109]
	v_fma_f64 v[58:59], -v[44:45], v[58:59], v[106:107]
	;; [unrolled: 1-line block ×3, first 2 shown]
	s_waitcnt lgkmcnt(4)
	v_fma_f64 v[82:83], -v[42:43], v[82:83], v[104:105]
	v_fma_f64 v[52:53], -v[44:45], v[52:53], v[54:55]
	;; [unrolled: 1-line block ×5, first 2 shown]
	v_mov_b32_e32 v56, s13
	s_add_i32 s13, s8, 0xffffc330
	ds_load_2addr_b64 v[56:59], v56 offset1:1
	v_mul_f64 v[54:55], v[60:61], v[62:63]
	v_fma_f64 v[70:71], -v[40:41], v[80:81], v[82:83]
	v_mov_b32_e32 v60, s13
	s_add_i32 s13, s8, 0xffffc528
	s_addk_i32 s8, 0xc320
	ds_load_2addr_b64 v[60:63], v60 offset1:1
	s_waitcnt lgkmcnt(3)
	v_fma_f64 v[52:53], -v[50:51], v[94:95], v[52:53]
	s_waitcnt lgkmcnt(1)
	v_fma_f64 v[58:59], -v[44:45], v[58:59], v[64:65]
	v_fma_f64 v[64:65], -v[48:49], v[90:91], v[66:67]
	v_fma_f64 v[66:67], -v[54:55], v[86:87], v[68:69]
	v_fma_f64 v[68:69], -v[46:47], v[98:99], v[70:71]
	v_fma_f64 v[92:93], -v[48:49], v[92:93], v[52:53]
	v_fma_f64 v[90:91], -v[50:51], v[56:57], v[58:59]
	v_mov_b32_e32 v56, s13
	s_add_i32 s13, s11, 0xffffff38
	v_fma_f64 v[88:89], -v[54:55], v[88:89], v[64:65]
	v_mov_b32_e32 v64, s14
	s_add_i32 s14, s11, 0xffffff28
	v_mul_f64 v[52:53], v[84:85], v[66:67]
	v_fma_f64 v[94:95], -v[44:45], v[96:97], v[68:69]
	v_mov_b32_e32 v68, s13
	ds_load_2addr_b64 v[56:59], v56 offset1:1
	ds_load_2addr_b64 v[64:67], v64 offset1:1
	;; [unrolled: 1-line block ×3, first 2 shown]
	s_add_i32 s13, s7, 0xffffc518
	v_mov_b32_e32 v84, s14
	v_mov_b32_e32 v80, s13
	ds_load_2addr_b64 v[80:83], v80 offset1:1
	ds_load_2addr_b64 v[84:87], v84 offset1:1
	s_waitcnt lgkmcnt(5)
	v_fma_f64 v[62:63], -v[48:49], v[62:63], v[90:91]
	s_waitcnt lgkmcnt(4)
	v_fma_f64 v[58:59], -v[54:55], v[58:59], v[92:93]
	;; [unrolled: 2-line block ×4, first 2 shown]
	s_delay_alu instid0(VALU_DEP_4) | instskip(NEXT) | instid1(VALU_DEP_4)
	v_fma_f64 v[88:89], -v[54:55], v[60:61], v[62:63]
	v_fma_f64 v[56:57], -v[52:53], v[56:57], v[58:59]
	v_mov_b32_e32 v60, s8
	s_add_i32 s8, s7, 0xffffc310
	s_addk_i32 s7, 0xc108
	ds_load_2addr_b64 v[60:63], v60 offset1:1
	v_mul_f64 v[58:59], v[64:65], v[66:67]
	v_fma_f64 v[68:69], -v[48:49], v[68:69], v[70:71]
	v_mov_b32_e32 v64, s8
	s_add_i32 s8, s11, 0xffffff18
	ds_load_2addr_b64 v[64:67], v64 offset1:1
	s_waitcnt lgkmcnt(1)
	v_fma_f64 v[62:63], -v[52:53], v[62:63], v[88:89]
	v_fma_f64 v[56:57], -v[58:59], v[82:83], v[56:57]
	;; [unrolled: 1-line block ×3, first 2 shown]
	s_delay_alu instid0(VALU_DEP_3)
	v_fma_f64 v[82:83], -v[58:59], v[60:61], v[62:63]
	v_mov_b32_e32 v60, s8
	s_sub_i32 s8, s6, 32
	s_cmp_gt_i32 s6, 62
	ds_load_2addr_b64 v[60:63], v60 offset1:1
	v_mul_f64 v[56:57], v[80:81], v[56:57]
	v_fma_f64 v[80:81], -v[52:53], v[84:85], v[68:69]
	v_mov_b32_e32 v68, s7
	ds_load_2addr_b64 v[68:71], v68 offset1:1
	s_clause 0xd
	global_store_b128 v[78:79], v[0:3], off offset:-8
	global_store_b128 v[78:79], v[4:7], off offset:-24
	;; [unrolled: 1-line block ×14, first 2 shown]
	s_waitcnt lgkmcnt(2)
	v_fma_f64 v[66:67], -v[56:57], v[66:67], v[82:83]
	s_waitcnt lgkmcnt(1)
	v_fma_f64 v[80:81], -v[58:59], v[62:63], v[80:81]
	s_delay_alu instid0(VALU_DEP_2) | instskip(NEXT) | instid1(VALU_DEP_2)
	v_mul_f64 v[62:63], v[64:65], v[66:67]
	v_fma_f64 v[60:61], -v[56:57], v[60:61], v[80:81]
	s_waitcnt lgkmcnt(0)
	s_delay_alu instid0(VALU_DEP_1) | instskip(NEXT) | instid1(VALU_DEP_1)
	v_fma_f64 v[60:61], -v[62:63], v[70:71], v[60:61]
	v_mul_f64 v[60:61], v[68:69], v[60:61]
	s_clause 0x1
	global_store_b128 v[78:79], v[56:59], off offset:-232
	global_store_b128 v[78:79], v[60:63], off offset:-248
	s_cbranch_scc0 .LBB110_18
; %bb.17:                               ;   in Loop: Header=BB110_14 Depth=1
	s_mov_b32 s6, s8
	s_branch .LBB110_14
.LBB110_18:
	s_cmp_gt_i32 s8, -1
	s_cbranch_scc0 .LBB110_39
; %bb.19:
	s_cmp_lt_u32 s8, 3
	s_cbranch_scc1 .LBB110_25
; %bb.20:
	s_lshl_b32 s6, s8, 9
	s_lshl_b32 s7, s28, 3
	s_ashr_i32 s13, s12, 31
	s_add_i32 s6, s6, s7
	s_lshl_b64 s[14:15], s[12:13], 3
	s_addk_i32 s6, 0xf9f8
	s_add_u32 s7, s2, s14
	s_addc_u32 s9, s3, s15
	s_add_u32 s7, s7, s0
	s_addc_u32 s9, s9, s1
	v_add_co_u32 v0, vcc_lo, s7, v74
	v_add_co_ci_u32_e32 v1, vcc_lo, s9, v75, vcc_lo
	s_mov_b32 s9, 0
.LBB110_21:                             ; =>This Loop Header: Depth=1
                                        ;     Child Loop BB110_22 Depth 2
	s_delay_alu instid0(SALU_CYCLE_1)
	s_lshl_b64 s[14:15], s[8:9], 3
	s_cmp_le_i32 s12, s8
	v_add_co_u32 v6, vcc_lo, v72, s14
	v_add_co_ci_u32_e32 v7, vcc_lo, s15, v73, vcc_lo
	s_mov_b32 s7, s6
	s_mov_b32 s11, s12
	s_clause 0x1
	global_load_b128 v[2:5], v[6:7], off offset:-8
	global_load_b128 v[10:13], v[6:7], off offset:-24
	s_waitcnt vmcnt(1)
	v_mul_f64 v[8:9], v[4:5], s[4:5]
	v_mul_f64 v[6:7], v[2:3], s[4:5]
	s_waitcnt vmcnt(0)
	v_mul_f64 v[4:5], v[12:13], s[4:5]
	v_mul_f64 v[2:3], v[10:11], s[4:5]
	v_dual_mov_b32 v11, v1 :: v_dual_mov_b32 v10, v0
	s_cbranch_scc1 .LBB110_23
	.p2align	6
.LBB110_22:                             ;   Parent Loop BB110_21 Depth=1
                                        ; =>  This Inner Loop Header: Depth=2
	global_load_b64 v[20:21], v[10:11], off
	v_mov_b32_e32 v16, s7
	v_add_co_u32 v10, vcc_lo, v10, -8
	v_add_co_ci_u32_e32 v11, vcc_lo, -1, v11, vcc_lo
	ds_load_2addr_stride64_b64 v[12:15], v16 offset0:2 offset1:3
	ds_load_2addr_stride64_b64 v[16:19], v16 offset1:1
	s_add_i32 s11, s11, -1
	s_add_i32 s7, s7, -8
	s_cmp_gt_i32 s11, s8
	s_waitcnt vmcnt(0) lgkmcnt(1)
	v_fma_f64 v[8:9], -v[20:21], v[14:15], v[8:9]
	v_fma_f64 v[6:7], -v[20:21], v[12:13], v[6:7]
	s_waitcnt lgkmcnt(0)
	v_fma_f64 v[4:5], -v[20:21], v[18:19], v[4:5]
	v_fma_f64 v[2:3], -v[20:21], v[16:17], v[2:3]
	s_cbranch_scc1 .LBB110_22
.LBB110_23:                             ;   in Loop: Header=BB110_21 Depth=1
	s_mul_i32 s7, s8, 0x208
	s_ashr_i32 s15, s8, 31
	v_mov_b32_e32 v10, s7
	s_add_i32 s11, s7, 0xfffffdf8
	s_mov_b32 s14, s8
	s_addk_i32 s6, 0xf800
	s_lshl_b64 s[14:15], s[14:15], 3
	ds_load_b64 v[14:15], v10
	v_mov_b32_e32 v10, s11
	s_lshl_b32 s11, s8, 6
	s_delay_alu instid0(SALU_CYCLE_1) | instskip(SKIP_2) | instid1(SALU_CYCLE_1)
	s_add_i32 s11, s11, s8
	ds_load_2addr_b64 v[10:13], v10 offset1:1
	s_lshl_b32 s11, s11, 3
	s_add_i32 s13, s11, 0xfffffc00
	s_addk_i32 s11, 0xf9f8
	s_waitcnt lgkmcnt(1)
	v_mul_f64 v[8:9], v[14:15], v[8:9]
	s_waitcnt lgkmcnt(0)
	s_delay_alu instid0(VALU_DEP_1)
	v_fma_f64 v[6:7], -v[8:9], v[12:13], v[6:7]
	v_mov_b32_e32 v12, s13
	s_add_i32 s13, s7, 0xfffffbf0
	s_addk_i32 s7, 0xf9e8
	ds_load_b64 v[16:17], v12
	v_mov_b32_e32 v12, s13
	ds_load_2addr_b64 v[12:15], v12 offset1:1
	s_waitcnt lgkmcnt(1)
	v_fma_f64 v[4:5], -v[8:9], v[16:17], v[4:5]
	v_mul_f64 v[6:7], v[10:11], v[6:7]
	v_mov_b32_e32 v10, s11
	ds_load_2addr_b64 v[16:19], v10 offset1:1
	v_mov_b32_e32 v10, s7
	ds_load_2addr_b64 v[20:23], v10 offset1:1
	v_add_co_u32 v10, vcc_lo, v72, s14
	v_add_co_ci_u32_e32 v11, vcc_lo, s15, v73, vcc_lo
	s_add_i32 s14, s8, -4
	s_cmp_gt_i32 s8, 6
	s_waitcnt lgkmcnt(1)
	v_fma_f64 v[2:3], -v[8:9], v[18:19], v[2:3]
	v_fma_f64 v[4:5], -v[6:7], v[14:15], v[4:5]
	s_delay_alu instid0(VALU_DEP_2) | instskip(NEXT) | instid1(VALU_DEP_2)
	v_fma_f64 v[2:3], -v[6:7], v[16:17], v[2:3]
	v_mul_f64 v[4:5], v[12:13], v[4:5]
	s_waitcnt lgkmcnt(0)
	s_delay_alu instid0(VALU_DEP_1) | instskip(NEXT) | instid1(VALU_DEP_1)
	v_fma_f64 v[2:3], -v[4:5], v[22:23], v[2:3]
	v_mul_f64 v[2:3], v[20:21], v[2:3]
	s_clause 0x1
	global_store_b128 v[10:11], v[6:9], off offset:-8
	global_store_b128 v[10:11], v[2:5], off offset:-24
	s_cbranch_scc0 .LBB110_26
; %bb.24:                               ;   in Loop: Header=BB110_21 Depth=1
	s_mov_b32 s8, s14
	s_branch .LBB110_21
.LBB110_25:
	s_mov_b32 s14, s8
.LBB110_26:
	s_delay_alu instid0(SALU_CYCLE_1)
	s_cmp_lt_i32 s14, 0
	s_cbranch_scc1 .LBB110_39
; %bb.27:
	s_bitcmp1_b32 s14, 0
	s_cselect_b32 s6, -1, 0
	s_delay_alu instid0(SALU_CYCLE_1)
	s_and_b32 vcc_lo, exec_lo, s6
	s_mov_b32 s6, s14
	s_cbranch_vccnz .LBB110_32
; %bb.28:
	s_mov_b32 s15, 0
	s_delay_alu instid0(SALU_CYCLE_1)
	s_lshl_b64 s[6:7], s[14:15], 3
	s_cmp_le_i32 s12, s14
	v_add_co_u32 v0, vcc_lo, v72, s6
	v_add_co_ci_u32_e32 v1, vcc_lo, s7, v73, vcc_lo
	global_load_b64 v[2:3], v[0:1], off
	s_waitcnt vmcnt(0)
	v_mul_f64 v[2:3], v[2:3], s[4:5]
	s_cbranch_scc1 .LBB110_31
; %bb.29:
	s_lshl_b32 s6, s14, 9
	s_lshl_b32 s7, s28, 3
	s_ashr_i32 s13, s12, 31
	s_add_i32 s6, s6, s7
	s_lshl_b64 s[8:9], s[12:13], 3
	s_add_i32 s6, s6, -8
	s_add_u32 s7, s2, s8
	s_addc_u32 s8, s3, s9
	s_add_u32 s7, s7, s0
	s_addc_u32 s8, s8, s1
	v_add_co_u32 v4, vcc_lo, s7, v74
	v_add_co_ci_u32_e32 v5, vcc_lo, s8, v75, vcc_lo
	s_mov_b32 s7, s12
.LBB110_30:                             ; =>This Inner Loop Header: Depth=1
	global_load_b64 v[6:7], v[4:5], off
	v_mov_b32_e32 v8, s6
	v_add_co_u32 v4, vcc_lo, v4, -8
	v_add_co_ci_u32_e32 v5, vcc_lo, -1, v5, vcc_lo
	ds_load_b64 v[8:9], v8
	s_add_i32 s7, s7, -1
	s_add_i32 s6, s6, -8
	s_cmp_gt_i32 s7, s14
	s_waitcnt vmcnt(0) lgkmcnt(0)
	v_fma_f64 v[2:3], -v[6:7], v[8:9], v[2:3]
	s_cbranch_scc1 .LBB110_30
.LBB110_31:
	s_mul_i32 s6, s14, 0x208
	s_delay_alu instid0(SALU_CYCLE_1)
	v_mov_b32_e32 v4, s6
	s_add_i32 s6, s14, -1
	ds_load_b64 v[4:5], v4
	s_waitcnt lgkmcnt(0)
	v_mul_f64 v[2:3], v[4:5], v[2:3]
	global_store_b64 v[0:1], v[2:3], off
.LBB110_32:
	s_cmp_eq_u32 s14, 0
	s_mov_b32 s7, 0
	s_cbranch_scc1 .LBB110_39
; %bb.33:
	s_lshl_b32 s8, s6, 9
	s_lshl_b32 s9, s28, 3
	s_ashr_i32 s13, s12, 31
	s_add_i32 s9, s8, s9
	s_lshl_b64 s[14:15], s[12:13], 3
	s_add_i32 s8, s9, -8
	s_add_u32 s11, s2, s14
	s_addc_u32 s13, s3, s15
	s_add_u32 s11, s11, s0
	s_addc_u32 s13, s13, s1
	v_add_co_u32 v0, vcc_lo, s11, v74
	v_add_co_ci_u32_e32 v1, vcc_lo, s13, v75, vcc_lo
	s_addk_i32 s9, 0xfdf8
	s_branch .LBB110_35
.LBB110_34:                             ;   in Loop: Header=BB110_35 Depth=1
	s_addk_i32 s11, 0xfdf8
	s_addk_i32 s8, 0xfc00
	v_mov_b32_e32 v6, s11
	s_add_i32 s11, s6, -2
	s_addk_i32 s9, 0xfc00
	s_cmp_lt_i32 s6, 2
	s_mov_b32 s6, s11
	ds_load_b64 v[6:7], v6
	s_waitcnt lgkmcnt(0)
	v_mul_f64 v[4:5], v[6:7], v[4:5]
	global_store_b64 v[2:3], v[4:5], off offset:-8
	s_cbranch_scc1 .LBB110_39
.LBB110_35:                             ; =>This Loop Header: Depth=1
                                        ;     Child Loop BB110_36 Depth 2
                                        ;     Child Loop BB110_38 Depth 2
	s_lshl_b64 s[14:15], s[6:7], 3
	s_delay_alu instid0(VALU_DEP_1)
	v_dual_mov_b32 v5, v1 :: v_dual_mov_b32 v4, v0
	v_add_co_u32 v2, vcc_lo, v72, s14
	v_add_co_ci_u32_e32 v3, vcc_lo, s15, v73, vcc_lo
	s_cmp_le_i32 s12, s6
	s_mov_b32 s11, s8
	s_mov_b32 s13, s12
	global_load_b64 v[2:3], v[2:3], off
	s_waitcnt vmcnt(0)
	v_mul_f64 v[2:3], v[2:3], s[4:5]
	s_cbranch_scc1 .LBB110_37
.LBB110_36:                             ;   Parent Loop BB110_35 Depth=1
                                        ; =>  This Inner Loop Header: Depth=2
	global_load_b64 v[6:7], v[4:5], off
	v_mov_b32_e32 v8, s11
	v_add_co_u32 v4, vcc_lo, v4, -8
	v_add_co_ci_u32_e32 v5, vcc_lo, -1, v5, vcc_lo
	ds_load_b64 v[8:9], v8
	s_add_i32 s13, s13, -1
	s_add_i32 s11, s11, -8
	s_cmp_gt_i32 s13, s6
	s_waitcnt vmcnt(0) lgkmcnt(0)
	v_fma_f64 v[2:3], -v[6:7], v[8:9], v[2:3]
	s_cbranch_scc1 .LBB110_36
.LBB110_37:                             ;   in Loop: Header=BB110_35 Depth=1
	s_add_i32 s14, s6, -1
	s_mov_b32 s15, s7
	s_mul_i32 s11, s6, 0x208
	s_lshl_b64 s[14:15], s[14:15], 3
	v_mov_b32_e32 v6, s11
	v_add_co_u32 v4, vcc_lo, v72, s14
	v_add_co_ci_u32_e32 v5, vcc_lo, s15, v73, vcc_lo
	ds_load_b64 v[6:7], v6
	s_ashr_i32 s15, s6, 31
	s_mov_b32 s14, s6
	global_load_b64 v[4:5], v[4:5], off
	s_lshl_b64 s[14:15], s[14:15], 3
	s_cmp_lt_i32 s12, s6
	s_mov_b32 s13, s9
	s_waitcnt lgkmcnt(0)
	v_mul_f64 v[8:9], v[6:7], v[2:3]
	v_add_co_u32 v2, vcc_lo, v72, s14
	v_add_co_ci_u32_e32 v3, vcc_lo, s15, v73, vcc_lo
	v_dual_mov_b32 v7, v1 :: v_dual_mov_b32 v6, v0
	s_mov_b32 s14, s28
	global_store_b64 v[2:3], v[8:9], off
	s_waitcnt vmcnt(0)
	v_mul_f64 v[4:5], v[4:5], s[4:5]
	s_cbranch_scc1 .LBB110_34
.LBB110_38:                             ;   Parent Loop BB110_35 Depth=1
                                        ; =>  This Inner Loop Header: Depth=2
	global_load_b64 v[8:9], v[6:7], off
	v_mov_b32_e32 v10, s13
	v_add_co_u32 v6, vcc_lo, v6, -8
	v_add_co_ci_u32_e32 v7, vcc_lo, -1, v7, vcc_lo
	ds_load_b64 v[10:11], v10
	s_add_i32 s14, s14, -1
	s_add_i32 s13, s13, -8
	s_cmp_gt_i32 s14, s6
	s_waitcnt vmcnt(0) lgkmcnt(0)
	v_fma_f64 v[4:5], -v[8:9], v[10:11], v[4:5]
	s_cbranch_scc1 .LBB110_38
	s_branch .LBB110_34
.LBB110_39:
	s_mov_b32 s6, 0
.LBB110_40:
	s_delay_alu instid0(SALU_CYCLE_1)
	s_and_b32 vcc_lo, exec_lo, s6
	s_cbranch_vccz .LBB110_73
; %bb.41:
	s_cmp_lt_i32 s10, 32
	s_mov_b32 s8, 0
	s_cbranch_scc1 .LBB110_48
; %bb.42:
	s_mov_b32 s7, 0
	s_mov_b32 s6, 0
	;; [unrolled: 1-line block ×3, first 2 shown]
.LBB110_43:                             ; =>This Loop Header: Depth=1
                                        ;     Child Loop BB110_45 Depth 2
	s_lshl_b64 s[10:11], s[6:7], 3
	s_cmp_eq_u32 s6, 0
	v_add_co_u32 v52, vcc_lo, v72, s10
	v_add_co_ci_u32_e32 v53, vcc_lo, s11, v73, vcc_lo
	s_clause 0xf
	global_load_b128 v[0:3], v[52:53], off
	global_load_b128 v[6:9], v[52:53], off offset:16
	global_load_b128 v[10:13], v[52:53], off offset:32
	;; [unrolled: 1-line block ×15, first 2 shown]
	s_waitcnt vmcnt(15)
	v_mul_f64 v[0:1], v[0:1], s[4:5]
	v_mul_f64 v[4:5], v[2:3], s[4:5]
	s_waitcnt vmcnt(14)
	v_mul_f64 v[2:3], v[6:7], s[4:5]
	v_mul_f64 v[8:9], v[8:9], s[4:5]
	;; [unrolled: 3-line block ×16, first 2 shown]
	s_cbranch_scc1 .LBB110_46
; %bb.44:                               ;   in Loop: Header=BB110_43 Depth=1
	v_dual_mov_b32 v6, v72 :: v_dual_mov_b32 v7, v73
	s_mov_b32 s8, 0
	s_mov_b32 s10, s9
.LBB110_45:                             ;   Parent Loop BB110_43 Depth=1
                                        ; =>  This Inner Loop Header: Depth=2
	global_load_b64 v[26:27], v[6:7], off
	v_mov_b32_e32 v134, s10
	v_add_co_u32 v6, vcc_lo, v6, 8
	v_add_co_ci_u32_e32 v7, vcc_lo, 0, v7, vcc_lo
	ds_load_b128 v[10:13], v134
	ds_load_b128 v[14:17], v134 offset:16
	ds_load_b128 v[18:21], v134 offset:32
	;; [unrolled: 1-line block ×15, first 2 shown]
	s_add_i32 s8, s8, 1
	s_addk_i32 s10, 0x200
	s_cmp_lt_u32 s8, s6
	s_waitcnt vmcnt(0) lgkmcnt(15)
	v_fma_f64 v[0:1], -v[26:27], v[10:11], v[0:1]
	v_fma_f64 v[4:5], -v[26:27], v[12:13], v[4:5]
	s_waitcnt lgkmcnt(14)
	v_fma_f64 v[2:3], -v[26:27], v[14:15], v[2:3]
	v_fma_f64 v[8:9], -v[26:27], v[16:17], v[8:9]
	s_waitcnt lgkmcnt(13)
	;; [unrolled: 3-line block ×15, first 2 shown]
	v_fma_f64 v[50:51], -v[26:27], v[134:135], v[50:51]
	v_fma_f64 v[54:55], -v[26:27], v[136:137], v[54:55]
	s_cbranch_scc1 .LBB110_45
.LBB110_46:                             ;   in Loop: Header=BB110_43 Depth=1
	s_lshl_b32 s8, s6, 6
	s_mul_i32 s10, s6, 0x208
	s_add_i32 s8, s6, s8
	s_add_i32 s11, s10, 0xa28
	s_lshl_b32 s8, s8, 3
	s_delay_alu instid0(SALU_CYCLE_1)
	v_dual_mov_b32 v99, s10 :: v_dual_mov_b32 v98, s8
	s_add_i32 s12, s8, 0xa68
	s_addk_i32 s9, 0x100
	ds_load_b128 v[10:13], v99
	ds_load_b128 v[14:17], v99 offset:16
	s_waitcnt lgkmcnt(1)
	v_mul_f64 v[0:1], v[10:11], v[0:1]
	s_delay_alu instid0(VALU_DEP_1)
	v_fma_f64 v[18:19], -v[0:1], v[12:13], v[4:5]
	ds_load_2addr_b64 v[10:13], v99 offset0:65 offset1:66
	ds_load_b128 v[4:7], v99 offset:64
	s_waitcnt lgkmcnt(2)
	v_fma_f64 v[14:15], -v[0:1], v[14:15], v[2:3]
	v_fma_f64 v[96:97], -v[0:1], v[16:17], v[8:9]
	s_waitcnt lgkmcnt(0)
	v_fma_f64 v[92:93], -v[0:1], v[4:5], v[92:93]
	v_fma_f64 v[119:120], -v[0:1], v[6:7], v[90:91]
	v_mul_f64 v[2:3], v[10:11], v[18:19]
	s_delay_alu instid0(VALU_DEP_1)
	v_fma_f64 v[94:95], -v[2:3], v[12:13], v[14:15]
	ds_load_b128 v[16:19], v99 offset:32
	ds_load_2addr_b64 v[24:27], v98 offset0:67 offset1:68
	ds_load_b128 v[20:23], v99 offset:1040
	ds_load_b128 v[12:15], v99 offset:48
	ds_load_2addr_b64 v[8:11], v99 offset0:195 offset1:196
	ds_load_b128 v[36:39], v98 offset:240
	s_waitcnt lgkmcnt(5)
	v_fma_f64 v[42:43], -v[0:1], v[16:17], v[42:43]
	s_waitcnt lgkmcnt(4)
	v_fma_f64 v[24:25], -v[2:3], v[24:25], v[96:97]
	v_fma_f64 v[100:101], -v[0:1], v[18:19], v[40:41]
	s_waitcnt lgkmcnt(2)
	v_fma_f64 v[12:13], -v[0:1], v[12:13], v[30:31]
	s_waitcnt lgkmcnt(0)
	v_fma_f64 v[36:37], -v[0:1], v[36:37], v[50:51]
	v_mul_f64 v[16:17], v[20:21], v[94:95]
	v_fma_f64 v[26:27], -v[2:3], v[26:27], v[42:43]
	s_delay_alu instid0(VALU_DEP_2)
	v_fma_f64 v[102:103], -v[16:17], v[22:23], v[24:25]
	ds_load_2addr_b64 v[18:21], v98 offset0:69 offset1:70
	ds_load_b128 v[22:25], v98 offset:1056
	ds_load_2addr_b64 v[94:97], v98 offset0:71 offset1:72
	ds_load_2addr_b64 v[40:43], v98 offset0:93 offset1:94
	s_waitcnt lgkmcnt(3)
	v_fma_f64 v[30:31], -v[2:3], v[18:19], v[100:101]
	s_waitcnt lgkmcnt(2)
	v_fma_f64 v[22:23], -v[16:17], v[22:23], v[26:27]
	v_fma_f64 v[100:101], -v[0:1], v[14:15], v[28:29]
	s_waitcnt lgkmcnt(1)
	v_fma_f64 v[121:122], -v[2:3], v[96:97], v[92:93]
	v_mul_f64 v[18:19], v[8:9], v[102:103]
	v_fma_f64 v[102:103], -v[2:3], v[20:21], v[12:13]
	v_fma_f64 v[104:105], -v[16:17], v[24:25], v[30:31]
	;; [unrolled: 1-line block ×3, first 2 shown]
	s_delay_alu instid0(VALU_DEP_4)
	v_fma_f64 v[106:107], -v[18:19], v[10:11], v[22:23]
	ds_load_b128 v[8:11], v98 offset:1072
	ds_load_2addr_b64 v[12:15], v98 offset0:197 offset1:198
	ds_load_b128 v[20:23], v99 offset:2080
	ds_load_b64 v[127:128], v99 offset:4160
	ds_load_b128 v[24:27], v98 offset:1088
	ds_load_b128 v[28:31], v98 offset:1264
	s_waitcnt lgkmcnt(5)
	v_fma_f64 v[8:9], -v[16:17], v[8:9], v[102:103]
	s_waitcnt lgkmcnt(4)
	v_fma_f64 v[12:13], -v[18:19], v[12:13], v[104:105]
	v_fma_f64 v[123:124], -v[16:17], v[10:11], v[94:95]
	v_mov_b32_e32 v94, s11
	s_add_i32 s11, s8, 0xa38
	s_waitcnt lgkmcnt(1)
	v_fma_f64 v[24:25], -v[16:17], v[24:25], v[121:122]
	v_mov_b32_e32 v115, s11
	s_or_b32 s11, s6, 10
	v_mul_f64 v[4:5], v[20:21], v[106:107]
	v_fma_f64 v[14:15], -v[18:19], v[14:15], v[8:9]
	s_delay_alu instid0(VALU_DEP_2)
	v_fma_f64 v[125:126], -v[4:5], v[22:23], v[12:13]
	ds_load_b128 v[6:9], v98 offset:80
	ds_load_2addr_b64 v[10:13], v98 offset0:73 offset1:74
	ds_load_2addr_b64 v[20:23], v98 offset0:199 offset1:200
	ds_load_b128 v[90:93], v98 offset:2096
	ds_load_2addr_b64 v[94:97], v94 offset1:1
	ds_load_b128 v[99:102], v98 offset:2112
	ds_load_2addr_b64 v[103:106], v98 offset0:201 offset1:202
	ds_load_2addr_b64 v[107:110], v98 offset0:75 offset1:76
	ds_load_b128 v[111:114], v98 offset:96
	ds_load_2addr_b64 v[115:118], v115 offset1:1
	s_waitcnt lgkmcnt(9)
	v_fma_f64 v[88:89], -v[0:1], v[6:7], v[88:89]
	s_waitcnt lgkmcnt(8)
	v_fma_f64 v[10:11], -v[2:3], v[10:11], v[119:120]
	;; [unrolled: 2-line block ×4, first 2 shown]
	v_fma_f64 v[86:87], -v[0:1], v[8:9], v[86:87]
	v_fma_f64 v[24:25], -v[18:19], v[22:23], v[24:25]
	s_waitcnt lgkmcnt(1)
	v_fma_f64 v[34:35], -v[0:1], v[113:114], v[34:35]
	v_mul_f64 v[6:7], v[94:95], v[125:126]
	v_fma_f64 v[94:95], -v[0:1], v[111:112], v[84:85]
	v_fma_f64 v[88:89], -v[2:3], v[12:13], v[88:89]
	;; [unrolled: 1-line block ×4, first 2 shown]
	v_add_nc_u32_e64 v12, 0x800, s10
	s_add_i32 s10, s8, 0xc38
	v_fma_f64 v[99:100], -v[4:5], v[99:100], v[24:25]
	v_fma_f64 v[92:93], -v[6:7], v[96:97], v[14:15]
	ds_load_b128 v[8:11], v98 offset:1104
	ds_load_2addr_b64 v[12:15], v12 offset0:134 offset1:199
	ds_load_b128 v[20:23], v98 offset:1120
	v_fma_f64 v[96:97], -v[2:3], v[107:108], v[86:87]
	v_fma_f64 v[119:120], -v[2:3], v[109:110], v[94:95]
	;; [unrolled: 1-line block ×3, first 2 shown]
	s_waitcnt lgkmcnt(2)
	v_fma_f64 v[88:89], -v[16:17], v[8:9], v[88:89]
	v_fma_f64 v[90:91], -v[6:7], v[115:116], v[90:91]
	;; [unrolled: 1-line block ×3, first 2 shown]
	s_waitcnt lgkmcnt(1)
	v_mul_f64 v[8:9], v[12:13], v[92:93]
	v_mov_b32_e32 v12, s10
	v_fma_f64 v[96:97], -v[16:17], v[10:11], v[96:97]
	s_add_i32 s10, s8, 0xa48
	s_waitcnt lgkmcnt(0)
	v_fma_f64 v[20:21], -v[16:17], v[20:21], v[119:120]
	ds_load_2addr_b64 v[24:27], v12 offset1:1
	v_mov_b32_e32 v12, s10
	s_add_i32 s10, s8, 0xc48
	ds_load_2addr_b64 v[84:87], v12 offset1:1
	v_fma_f64 v[123:124], -v[4:5], v[101:102], v[103:104]
	v_fma_f64 v[121:122], -v[18:19], v[105:106], v[88:89]
	s_waitcnt lgkmcnt(1)
	v_fma_f64 v[24:25], -v[8:9], v[24:25], v[90:91]
	ds_load_b128 v[10:13], v98 offset:112
	ds_load_2addr_b64 v[88:91], v98 offset0:77 offset1:78
	ds_load_2addr_b64 v[92:95], v98 offset0:203 offset1:204
	ds_load_b128 v[99:102], v98 offset:2128
	ds_load_b128 v[103:106], v98 offset:2144
	ds_load_2addr_b64 v[107:110], v98 offset0:205 offset1:206
	ds_load_2addr_b64 v[111:114], v98 offset0:79 offset1:80
	ds_load_b128 v[115:118], v98 offset:128
	s_waitcnt lgkmcnt(7)
	v_fma_f64 v[129:130], -v[0:1], v[10:11], v[32:33]
	s_waitcnt lgkmcnt(6)
	v_fma_f64 v[88:89], -v[2:3], v[88:89], v[34:35]
	;; [unrolled: 2-line block ×3, first 2 shown]
	v_fma_f64 v[131:132], -v[0:1], v[12:13], v[82:83]
	v_fma_f64 v[84:85], -v[6:7], v[84:85], v[123:124]
	s_waitcnt lgkmcnt(4)
	v_fma_f64 v[96:97], -v[4:5], v[99:100], v[121:122]
	v_fma_f64 v[99:100], -v[8:9], v[26:27], v[125:126]
	;; [unrolled: 1-line block ×3, first 2 shown]
	s_waitcnt lgkmcnt(0)
	v_fma_f64 v[80:81], -v[0:1], v[115:116], v[80:81]
	v_fma_f64 v[139:140], -v[0:1], v[117:118], v[78:79]
	v_mul_f64 v[10:11], v[14:15], v[24:25]
	v_mov_b32_e32 v14, s10
	s_add_i32 s10, s8, 0x1048
	ds_load_2addr_b64 v[24:27], v14 offset1:1
	ds_load_b128 v[119:122], v98 offset:3648
	v_mov_b32_e32 v14, s10
	s_add_i32 s10, s8, 0xa58
	ds_load_b128 v[32:35], v98 offset:2288
	ds_load_2addr_b64 v[123:126], v14 offset1:1
	v_mov_b32_e32 v20, s10
	s_add_i32 s10, s8, 0xc58
	v_fma_f64 v[90:91], -v[2:3], v[90:91], v[129:130]
	v_fma_f64 v[129:130], -v[16:17], v[22:23], v[88:89]
	;; [unrolled: 1-line block ×3, first 2 shown]
	ds_load_b128 v[12:15], v98 offset:1136
	ds_load_2addr_b64 v[20:23], v20 offset1:1
	v_fma_f64 v[101:102], -v[2:3], v[111:112], v[131:132]
	v_fma_f64 v[96:97], -v[6:7], v[86:87], v[96:97]
	v_mov_b32_e32 v86, s10
	v_fma_f64 v[94:95], -v[4:5], v[103:104], v[94:95]
	s_or_b32 s10, s6, 9
	v_fma_f64 v[141:142], -v[2:3], v[113:114], v[80:81]
	s_mul_i32 s13, s10, 0x208
	s_waitcnt lgkmcnt(5)
	v_fma_f64 v[24:25], -v[8:9], v[24:25], v[84:85]
	ds_load_b128 v[82:85], v98 offset:1152
	ds_load_2addr_b64 v[86:89], v86 offset1:1
	s_lshl_b32 s10, s10, 6
	s_delay_alu instid0(SALU_CYCLE_1) | instskip(NEXT) | instid1(SALU_CYCLE_1)
	s_add_i32 s10, s6, s10
	s_lshl_b32 s10, s10, 3
	s_waitcnt lgkmcnt(6)
	v_fma_f64 v[99:100], -v[10:11], v[119:120], v[99:100]
	s_waitcnt lgkmcnt(3)
	v_fma_f64 v[111:112], -v[16:17], v[12:13], v[90:91]
	v_fma_f64 v[107:108], -v[18:19], v[107:108], v[129:130]
	s_waitcnt lgkmcnt(2)
	v_fma_f64 v[20:21], -v[6:7], v[20:21], v[92:93]
	v_fma_f64 v[14:15], -v[16:17], v[14:15], v[101:102]
	;; [unrolled: 1-line block ×4, first 2 shown]
	s_waitcnt lgkmcnt(1)
	v_fma_f64 v[82:83], -v[16:17], v[82:83], v[141:142]
	v_fma_f64 v[103:104], -v[10:11], v[121:122], v[24:25]
	ds_load_b128 v[24:27], v98 offset:3664
	ds_load_b128 v[90:93], v98 offset:3680
	v_mul_f64 v[12:13], v[127:128], v[99:100]
	v_fma_f64 v[143:144], -v[18:19], v[109:110], v[111:112]
	v_fma_f64 v[145:146], -v[4:5], v[105:106], v[107:108]
	v_mov_b32_e32 v107, s13
	s_waitcnt lgkmcnt(2)
	v_fma_f64 v[86:87], -v[8:9], v[86:87], v[20:21]
	ds_load_b128 v[20:23], v98 offset:144
	ds_load_2addr_b64 v[78:81], v98 offset0:81 offset1:82
	s_waitcnt lgkmcnt(3)
	v_fma_f64 v[24:25], -v[10:11], v[24:25], v[96:97]
	s_waitcnt lgkmcnt(1)
	v_fma_f64 v[20:21], -v[0:1], v[20:21], v[76:77]
	v_fma_f64 v[123:124], -v[12:13], v[123:124], v[103:104]
	v_mov_b32_e32 v103, s12
	ds_load_2addr_b64 v[94:97], v98 offset0:207 offset1:208
	ds_load_b128 v[99:102], v98 offset:2160
	ds_load_2addr_b64 v[103:106], v103 offset1:1
	ds_load_2addr_b64 v[107:110], v107 offset1:1
	s_waitcnt lgkmcnt(4)
	v_fma_f64 v[77:78], -v[2:3], v[78:79], v[139:140]
	v_fma_f64 v[70:71], -v[0:1], v[22:23], v[70:71]
	s_mul_i32 s12, s11, 0x208
	v_fma_f64 v[139:140], -v[8:9], v[88:89], v[147:148]
	v_mov_b32_e32 v111, s12
	s_add_i32 s12, s8, 0xc68
	s_lshl_b32 s11, s11, 6
	v_mov_b32_e32 v135, s12
	ds_load_b128 v[111:114], v111
	ds_load_b128 v[115:118], v98 offset:2176
	ds_load_2addr_b64 v[119:122], v98 offset0:209 offset1:210
	ds_load_2addr_b64 v[127:130], v98 offset0:83 offset1:84
	ds_load_b128 v[131:134], v98 offset:160
	ds_load_2addr_b64 v[135:138], v135 offset1:1
	s_add_i32 s11, s6, s11
	v_fma_f64 v[141:142], -v[10:11], v[26:27], v[86:87]
	s_lshl_b32 s11, s11, 3
	v_fma_f64 v[125:126], -v[12:13], v[125:126], v[24:25]
	v_mov_b32_e32 v76, s10
	s_add_i32 s10, s8, 0xa78
	s_waitcnt lgkmcnt(9)
	v_fma_f64 v[94:95], -v[18:19], v[94:95], v[14:15]
	s_waitcnt lgkmcnt(8)
	v_fma_f64 v[99:100], -v[4:5], v[99:100], v[143:144]
	;; [unrolled: 2-line block ×3, first 2 shown]
	s_add_i32 s12, s8, 0x1058
	v_fma_f64 v[143:144], -v[18:19], v[96:97], v[82:83]
	v_mov_b32_e32 v24, s12
	s_waitcnt lgkmcnt(1)
	v_fma_f64 v[151:152], -v[0:1], v[133:134], v[66:67]
	v_mov_b32_e32 v67, s11
	s_or_b32 s11, s6, 13
	ds_load_2addr_b64 v[86:89], v76 offset0:11 offset1:12
	v_mul_f64 v[14:15], v[107:108], v[123:124]
	v_fma_f64 v[107:108], -v[2:3], v[80:81], v[20:21]
	v_fma_f64 v[123:124], -v[16:17], v[84:85], v[77:78]
	v_mov_b32_e32 v77, s10
	s_add_i32 s10, s8, 0xc78
	v_fma_f64 v[90:91], -v[10:11], v[90:91], v[139:140]
	v_mov_b32_e32 v85, s10
	s_add_i32 s10, s8, 0x1068
	v_fma_f64 v[101:102], -v[4:5], v[101:102], v[94:95]
	v_fma_f64 v[99:100], -v[6:7], v[105:106], v[99:100]
	s_waitcnt lgkmcnt(1)
	v_fma_f64 v[103:104], -v[8:9], v[135:136], v[103:104]
	v_fma_f64 v[115:116], -v[4:5], v[115:116], v[143:144]
	;; [unrolled: 1-line block ×4, first 2 shown]
	v_mov_b32_e32 v68, s10
	s_or_b32 s10, s6, 11
	v_fma_f64 v[69:70], -v[2:3], v[127:128], v[70:71]
	s_lshl_b32 s12, s10, 6
	s_mulk_i32 s10, 0x208
	v_fma_f64 v[119:120], -v[18:19], v[119:120], v[123:124]
	v_mov_b32_e32 v66, s10
	s_add_i32 s10, s8, 0xa88
	s_add_i32 s12, s6, s12
	v_mov_b32_e32 v71, s10
	ds_load_2addr_b64 v[24:27], v24 offset1:1
	ds_load_b128 v[20:23], v98 offset:1168
	ds_load_2addr_b64 v[77:80], v77 offset1:1
	ds_load_b128 v[81:84], v98 offset:1184
	ds_load_2addr_b64 v[94:97], v85 offset1:1
	s_lshl_b32 s12, s12, 3
	s_add_i32 s10, s8, 0xc88
	v_fma_f64 v[123:124], -v[8:9], v[137:138], v[99:100]
	v_fma_f64 v[125:126], -v[10:11], v[92:93], v[103:104]
	s_waitcnt lgkmcnt(4)
	v_fma_f64 v[24:25], -v[12:13], v[24:25], v[141:142]
	s_waitcnt lgkmcnt(3)
	;; [unrolled: 2-line block ×3, first 2 shown]
	v_fma_f64 v[77:78], -v[6:7], v[77:78], v[101:102]
	v_fma_f64 v[127:128], -v[12:13], v[26:27], v[90:91]
	;; [unrolled: 1-line block ×3, first 2 shown]
	v_mul_f64 v[20:21], v[111:112], v[105:106]
	v_fma_f64 v[153:154], -v[2:3], v[129:130], v[109:110]
	v_fma_f64 v[69:70], -v[16:17], v[22:23], v[69:70]
	v_fma_f64 v[157:158], -v[4:5], v[117:118], v[119:120]
	v_fma_f64 v[85:86], -v[14:15], v[86:87], v[24:25]
	ds_load_b128 v[24:27], v98 offset:3696
	ds_load_2addr_b64 v[90:93], v68 offset1:1
	v_mov_b32_e32 v68, s12
	v_fma_f64 v[155:156], -v[18:19], v[121:122], v[107:108]
	s_waitcnt lgkmcnt(2)
	v_fma_f64 v[94:95], -v[8:9], v[94:95], v[77:78]
	v_fma_f64 v[163:164], -v[14:15], v[88:89], v[127:128]
	ds_load_b128 v[99:102], v98 offset:3712
	ds_load_2addr_b64 v[103:106], v68 offset0:13 offset1:14
	v_fma_f64 v[81:82], -v[16:17], v[81:82], v[153:154]
	s_or_b32 s12, s6, 12
	s_waitcnt lgkmcnt(3)
	v_fma_f64 v[161:162], -v[10:11], v[24:25], v[123:124]
	s_waitcnt lgkmcnt(2)
	v_fma_f64 v[90:91], -v[12:13], v[90:91], v[125:126]
	ds_load_b128 v[22:25], v98 offset:176
	ds_load_2addr_b64 v[77:80], v98 offset0:85 offset1:86
	v_fma_f64 v[165:166], -v[20:21], v[113:114], v[85:86]
	ds_load_2addr_b64 v[85:88], v98 offset0:211 offset1:212
	ds_load_b128 v[107:110], v98 offset:2192
	ds_load_2addr_b64 v[111:114], v71 offset1:1
	ds_load_2addr_b64 v[115:118], v76 offset0:13 offset1:14
	ds_load_2addr_b64 v[119:122], v66 offset1:1
	ds_load_b128 v[123:126], v67 offset:96
	v_mov_b32_e32 v66, s10
	s_waitcnt lgkmcnt(7)
	v_fma_f64 v[46:47], -v[0:1], v[22:23], v[46:47]
	s_waitcnt lgkmcnt(6)
	v_fma_f64 v[77:78], -v[2:3], v[77:78], v[151:152]
	v_fma_f64 v[26:27], -v[10:11], v[26:27], v[94:95]
	s_add_i32 s10, s8, 0x1078
	ds_load_b128 v[127:130], v98 offset:2208
	ds_load_2addr_b64 v[131:134], v98 offset0:213 offset1:214
	ds_load_2addr_b64 v[135:138], v98 offset0:87 offset1:88
	ds_load_b128 v[139:142], v98 offset:192
	ds_load_2addr_b64 v[143:146], v76 offset0:15 offset1:16
	ds_load_2addr_b64 v[147:150], v66 offset1:1
	v_mov_b32_e32 v66, s10
	s_lshl_b32 s10, s11, 6
	s_mulk_i32 s11, 0x208
	s_add_i32 s10, s6, s10
	s_delay_alu instid0(SALU_CYCLE_1)
	s_lshl_b32 s10, s10, 3
	s_waitcnt lgkmcnt(11)
	v_fma_f64 v[69:70], -v[18:19], v[85:86], v[69:70]
	s_waitcnt lgkmcnt(10)
	v_fma_f64 v[85:86], -v[4:5], v[107:108], v[155:156]
	s_waitcnt lgkmcnt(9)
	v_fma_f64 v[107:108], -v[6:7], v[111:112], v[157:158]
	v_fma_f64 v[111:112], -v[8:9], v[96:97], v[159:160]
	v_fma_f64 v[151:152], -v[12:13], v[92:93], v[161:162]
	s_waitcnt lgkmcnt(8)
	v_fma_f64 v[115:116], -v[14:15], v[115:116], v[90:91]
	s_waitcnt lgkmcnt(6)
	v_fma_f64 v[123:124], -v[20:21], v[123:124], v[163:164]
	ds_load_2addr_b64 v[89:92], v66 offset1:1
	v_fma_f64 v[157:158], -v[18:19], v[87:88], v[81:82]
	v_mov_b32_e32 v66, s10
	s_add_i32 s10, s8, 0xa98
	s_waitcnt lgkmcnt(3)
	v_fma_f64 v[139:140], -v[0:1], v[139:140], v[64:65]
	v_mov_b32_e32 v65, s11
	v_fma_f64 v[179:180], -v[0:1], v[141:142], v[62:63]
	ds_load_2addr_b64 v[93:96], v66 offset0:15 offset1:16
	v_mul_f64 v[22:23], v[119:120], v[165:166]
	v_fma_f64 v[119:120], -v[0:1], v[24:25], v[44:45]
	v_mov_b32_e32 v44, s10
	v_fma_f64 v[153:154], -v[2:3], v[79:80], v[46:47]
	v_fma_f64 v[155:156], -v[16:17], v[83:84], v[77:78]
	s_waitcnt lgkmcnt(1)
	v_fma_f64 v[89:90], -v[12:13], v[89:90], v[26:27]
	ds_load_b128 v[24:27], v98 offset:1200
	s_mul_i32 s10, s12, 0x208
	ds_load_2addr_b64 v[77:80], v44 offset1:1
	v_mov_b32_e32 v44, s10
	ds_load_b128 v[81:84], v67 offset:112
	s_add_i32 s10, s8, 0xc98
	s_lshl_b32 s12, s12, 6
	s_delay_alu instid0(SALU_CYCLE_1)
	s_add_i32 s12, s6, s12
	v_fma_f64 v[69:70], -v[4:5], v[109:110], v[69:70]
	v_fma_f64 v[159:160], -v[6:7], v[113:114], v[85:86]
	ds_load_b128 v[85:88], v44
	v_fma_f64 v[147:148], -v[8:9], v[147:148], v[107:108]
	v_fma_f64 v[99:100], -v[10:11], v[99:100], v[111:112]
	;; [unrolled: 1-line block ×4, first 2 shown]
	v_mov_b32_e32 v44, s10
	v_fma_f64 v[127:128], -v[4:5], v[127:128], v[157:158]
	s_add_i32 s10, s8, 0x1088
	ds_load_b128 v[107:110], v98 offset:1216
	ds_load_b128 v[111:114], v67 offset:128
	ds_load_2addr_b64 v[115:118], v44 offset1:1
	ds_load_b128 v[44:47], v67 offset:240
	v_mov_b32_e32 v64, s10
	s_or_b32 s10, s6, 15
	s_lshl_b32 s11, s12, 3
	s_lshl_b32 s13, s10, 6
	s_add_i32 s12, s8, 0xaa8
	s_add_i32 s13, s6, s13
	v_fma_f64 v[181:182], -v[2:3], v[137:138], v[139:140]
	s_lshl_b32 s13, s13, 3
	v_dual_mov_b32 v63, s12 :: v_dual_mov_b32 v62, s11
	s_add_i32 s11, s8, 0x1098
	v_fma_f64 v[121:122], -v[22:23], v[121:122], v[123:124]
	v_fma_f64 v[135:136], -v[2:3], v[135:136], v[119:120]
	s_or_b32 s12, s6, 17
	s_waitcnt lgkmcnt(7)
	v_fma_f64 v[153:154], -v[16:17], v[24:25], v[153:154]
	v_fma_f64 v[131:132], -v[18:19], v[131:132], v[155:156]
	;; [unrolled: 1-line block ×3, first 2 shown]
	s_mulk_i32 s10, 0x208
	s_waitcnt lgkmcnt(6)
	v_fma_f64 v[69:70], -v[6:7], v[77:78], v[69:70]
	v_fma_f64 v[77:78], -v[8:9], v[149:150], v[159:160]
	v_fma_f64 v[147:148], -v[10:11], v[101:102], v[147:148]
	v_fma_f64 v[149:150], -v[12:13], v[91:92], v[99:100]
	s_waitcnt lgkmcnt(5)
	v_fma_f64 v[81:82], -v[20:21], v[81:82], v[151:152]
	v_fma_f64 v[103:104], -v[22:23], v[103:104], v[125:126]
	ds_load_b128 v[89:92], v98 offset:3728
	ds_load_2addr_b64 v[99:102], v64 offset1:1
	v_mov_b32_e32 v64, s13
	v_fma_f64 v[187:188], -v[6:7], v[79:80], v[127:128]
	s_add_i32 s13, s8, 0xca8
	s_waitcnt lgkmcnt(6)
	v_mul_f64 v[24:25], v[85:86], v[121:122]
	v_fma_f64 v[26:27], -v[16:17], v[26:27], v[135:136]
	ds_load_b128 v[119:122], v98 offset:3744
	ds_load_2addr_b64 v[123:126], v64 offset0:17 offset1:18
	v_fma_f64 v[183:184], -v[18:19], v[133:134], v[153:154]
	v_fma_f64 v[185:186], -v[4:5], v[129:130], v[131:132]
	;; [unrolled: 1-line block ×3, first 2 shown]
	s_waitcnt lgkmcnt(5)
	v_fma_f64 v[69:70], -v[8:9], v[115:116], v[69:70]
	s_waitcnt lgkmcnt(3)
	v_fma_f64 v[89:90], -v[10:11], v[89:90], v[77:78]
	;; [unrolled: 2-line block ×3, first 2 shown]
	v_fma_f64 v[115:116], -v[14:15], v[145:146], v[149:150]
	v_fma_f64 v[191:192], -v[22:23], v[105:106], v[81:82]
	ds_load_b128 v[77:80], v98 offset:208
	ds_load_2addr_b64 v[81:84], v98 offset0:89 offset1:90
	v_fma_f64 v[117:118], -v[8:9], v[117:118], v[187:188]
	v_fma_f64 v[193:194], -v[24:25], v[87:88], v[103:104]
	ds_load_2addr_b64 v[85:88], v98 offset0:215 offset1:216
	ds_load_b128 v[103:106], v98 offset:2224
	ds_load_2addr_b64 v[127:130], v63 offset1:1
	v_mov_b32_e32 v63, s13
	s_waitcnt lgkmcnt(4)
	v_fma_f64 v[60:61], -v[0:1], v[77:78], v[60:61]
	ds_load_2addr_b64 v[131:134], v65 offset1:1
	ds_load_b128 v[135:138], v98 offset:2240
	ds_load_2addr_b64 v[139:142], v76 offset0:17 offset1:18
	ds_load_2addr_b64 v[143:146], v98 offset0:217 offset1:218
	;; [unrolled: 1-line block ×3, first 2 shown]
	ds_load_b128 v[151:154], v62 offset:112
	ds_load_2addr_b64 v[155:158], v98 offset0:91 offset1:92
	ds_load_b128 v[159:162], v98 offset:224
	ds_load_b128 v[163:166], v62 offset:128
	ds_load_2addr_b64 v[167:170], v68 offset0:17 offset1:18
	ds_load_2addr_b64 v[171:174], v76 offset0:19 offset1:20
	ds_load_2addr_b64 v[175:178], v63 offset1:1
	ds_load_b64 v[195:196], v68 offset:248
	s_waitcnt lgkmcnt(16)
	v_fma_f64 v[77:78], -v[2:3], v[81:82], v[179:180]
	v_fma_f64 v[81:82], -v[16:17], v[107:108], v[181:182]
	v_mov_b32_e32 v63, s11
	s_lshl_b32 s11, s12, 6
	s_mulk_i32 s12, 0x208
	s_add_i32 s11, s6, s11
	s_delay_alu instid0(SALU_CYCLE_1) | instskip(NEXT) | instid1(SALU_CYCLE_1)
	s_lshl_b32 s11, s11, 3
	v_mov_b32_e32 v201, s11
	s_add_i32 s11, s8, 0xab8
	v_fma_f64 v[69:70], -v[10:11], v[91:92], v[69:70]
	s_waitcnt lgkmcnt(15)
	v_fma_f64 v[85:86], -v[18:19], v[85:86], v[26:27]
	s_waitcnt lgkmcnt(14)
	;; [unrolled: 2-line block ×3, first 2 shown]
	v_fma_f64 v[107:108], -v[6:7], v[127:128], v[185:186]
	v_fma_f64 v[127:128], -v[12:13], v[101:102], v[89:90]
	s_waitcnt lgkmcnt(10)
	v_fma_f64 v[139:140], -v[14:15], v[139:140], v[99:100]
	v_fma_f64 v[111:112], -v[20:21], v[111:112], v[115:116]
	s_waitcnt lgkmcnt(8)
	v_fma_f64 v[115:116], -v[22:23], v[147:148], v[189:190]
	s_waitcnt lgkmcnt(7)
	v_fma_f64 v[147:148], -v[24:25], v[151:152], v[191:192]
	ds_load_2addr_b64 v[89:92], v63 offset1:1
	v_fma_f64 v[119:120], -v[10:11], v[119:120], v[117:118]
	ds_load_2addr_b64 v[99:102], v201 offset0:19 offset1:20
	v_mul_f64 v[26:27], v[131:132], v[193:194]
	v_fma_f64 v[131:132], -v[0:1], v[79:80], v[58:59]
	v_fma_f64 v[151:152], -v[2:3], v[83:84], v[60:61]
	ds_load_b128 v[58:61], v98 offset:1232
	v_fma_f64 v[179:180], -v[16:17], v[109:110], v[77:78]
	v_fma_f64 v[181:182], -v[18:19], v[87:88], v[81:82]
	ds_load_b128 v[81:84], v67 offset:144
	v_mov_b32_e32 v63, s11
	s_or_b32 s11, s6, 14
	s_delay_alu instid0(SALU_CYCLE_1)
	s_mul_i32 s13, s11, 0x208
	s_lshl_b32 s11, s11, 6
	ds_load_2addr_b64 v[77:80], v63 offset1:1
	v_mov_b32_e32 v63, s13
	s_add_i32 s13, s8, 0xcb8
	s_waitcnt lgkmcnt(4)
	v_fma_f64 v[69:70], -v[12:13], v[89:90], v[69:70]
	s_add_i32 s11, s6, s11
	v_mov_b32_e32 v65, s13
	s_lshl_b32 s11, s11, 3
	v_fma_f64 v[129:130], -v[6:7], v[129:130], v[103:104]
	v_fma_f64 v[175:176], -v[8:9], v[175:176], v[107:108]
	;; [unrolled: 1-line block ×7, first 2 shown]
	v_mov_b32_e32 v71, s11
	ds_load_b128 v[85:88], v63
	ds_load_b128 v[103:106], v98 offset:1248
	ds_load_b128 v[107:110], v67 offset:160
	ds_load_2addr_b64 v[111:114], v65 offset1:1
	ds_load_b128 v[115:118], v62 offset:240
	s_add_i32 s13, s8, 0x10a8
	s_or_b32 s11, s6, 21
	v_mov_b32_e32 v63, s13
	s_or_b32 s13, s6, 19
	s_delay_alu instid0(SALU_CYCLE_1)
	s_lshl_b32 s14, s13, 6
	s_mulk_i32 s13, 0x208
	s_add_i32 s14, s6, s14
	v_fma_f64 v[133:134], -v[26:27], v[133:134], v[147:148]
	v_fma_f64 v[147:148], -v[0:1], v[159:160], v[48:49]
	;; [unrolled: 1-line block ×3, first 2 shown]
	s_waitcnt lgkmcnt(7)
	v_fma_f64 v[58:59], -v[16:17], v[58:59], v[151:152]
	v_fma_f64 v[155:156], -v[12:13], v[91:92], v[119:120]
	v_fma_f64 v[143:144], -v[18:19], v[143:144], v[179:180]
	v_fma_f64 v[135:136], -v[4:5], v[135:136], v[181:182]
	s_lshl_b32 s14, s14, 3
	v_fma_f64 v[179:180], -v[0:1], v[161:162], v[56:57]
	v_fma_f64 v[69:70], -v[14:15], v[171:172], v[69:70]
	;; [unrolled: 1-line block ×4, first 2 shown]
	s_waitcnt lgkmcnt(6)
	v_fma_f64 v[81:82], -v[20:21], v[81:82], v[89:90]
	ds_load_b128 v[89:92], v98 offset:3760
	ds_load_2addr_b64 v[119:122], v63 offset1:1
	v_fma_f64 v[139:140], -v[24:25], v[163:164], v[139:140]
	v_fma_f64 v[93:94], -v[26:27], v[93:94], v[141:142]
	s_waitcnt lgkmcnt(7)
	v_fma_f64 v[77:78], -v[6:7], v[77:78], v[183:184]
	v_fma_f64 v[159:160], -v[22:23], v[167:168], v[127:128]
	v_mov_b32_e32 v63, s10
	s_add_i32 s10, s8, 0xac8
	s_delay_alu instid0(SALU_CYCLE_1)
	v_mov_b32_e32 v65, s10
	s_add_i32 s10, s8, 0xcc8
	v_mov_b32_e32 v202, s14
	s_or_b32 s14, s6, 16
	s_waitcnt lgkmcnt(6)
	v_mul_f64 v[48:49], v[85:86], v[133:134]
	ds_load_b128 v[127:130], v98 offset:3776
	ds_load_2addr_b64 v[131:134], v202 offset0:21 offset1:22
	v_fma_f64 v[60:61], -v[16:17], v[60:61], v[149:150]
	v_fma_f64 v[183:184], -v[18:19], v[145:146], v[58:59]
	;; [unrolled: 1-line block ×8, first 2 shown]
	s_waitcnt lgkmcnt(3)
	v_fma_f64 v[89:90], -v[10:11], v[89:90], v[151:152]
	s_waitcnt lgkmcnt(2)
	v_fma_f64 v[119:120], -v[12:13], v[119:120], v[153:154]
	v_fma_f64 v[191:192], -v[22:23], v[169:170], v[81:82]
	;; [unrolled: 1-line block ×4, first 2 shown]
	ds_load_2addr_b64 v[56:59], v98 offset0:219 offset1:220
	ds_load_b128 v[77:80], v98 offset:2256
	ds_load_2addr_b64 v[81:84], v65 offset1:1
	v_mov_b32_e32 v65, s10
	v_fma_f64 v[193:194], -v[24:25], v[165:166], v[159:160]
	s_add_i32 s10, s8, 0x10b8
	v_fma_f64 v[199:200], -v[48:49], v[87:88], v[93:94]
	ds_load_b128 v[85:88], v98 offset:2272
	ds_load_2addr_b64 v[93:96], v98 offset0:221 offset1:222
	ds_load_2addr_b64 v[135:138], v76 offset0:21 offset1:22
	;; [unrolled: 1-line block ×4, first 2 shown]
	ds_load_b128 v[147:150], v62 offset:144
	ds_load_2addr_b64 v[151:154], v63 offset1:1
	ds_load_b128 v[155:158], v71 offset:128
	ds_load_2addr_b64 v[159:162], v66 offset0:19 offset1:20
	ds_load_b128 v[163:166], v62 offset:160
	ds_load_2addr_b64 v[167:170], v68 offset0:21 offset1:22
	ds_load_2addr_b64 v[171:174], v76 offset0:23 offset1:24
	ds_load_2addr_b64 v[175:178], v65 offset1:1
	v_mov_b32_e32 v63, s10
	s_lshl_b32 s10, s11, 6
	v_fma_f64 v[103:104], -v[16:17], v[103:104], v[181:182]
	s_add_i32 s10, s6, s10
	s_mulk_i32 s11, 0x208
	s_waitcnt lgkmcnt(15)
	v_fma_f64 v[56:57], -v[18:19], v[56:57], v[60:61]
	s_waitcnt lgkmcnt(14)
	v_fma_f64 v[60:61], -v[4:5], v[77:78], v[183:184]
	s_lshl_b32 s10, s10, 3
	s_waitcnt lgkmcnt(13)
	v_fma_f64 v[77:78], -v[6:7], v[81:82], v[185:186]
	v_fma_f64 v[81:82], -v[8:9], v[113:114], v[187:188]
	;; [unrolled: 1-line block ×3, first 2 shown]
	s_waitcnt lgkmcnt(8)
	v_fma_f64 v[69:70], -v[22:23], v[143:144], v[69:70]
	v_fma_f64 v[121:122], -v[12:13], v[121:122], v[89:90]
	;; [unrolled: 1-line block ×3, first 2 shown]
	s_waitcnt lgkmcnt(7)
	v_fma_f64 v[135:136], -v[24:25], v[147:148], v[191:192]
	v_fma_f64 v[147:148], -v[0:1], v[38:39], v[54:55]
	s_waitcnt lgkmcnt(5)
	v_fma_f64 v[143:144], -v[48:49], v[155:156], v[197:198]
	v_fma_f64 v[155:156], -v[16:17], v[105:106], v[40:41]
	;; [unrolled: 1-line block ×4, first 2 shown]
	v_mul_f64 v[50:51], v[151:152], v[199:200]
	v_fma_f64 v[151:152], -v[2:3], v[42:43], v[36:37]
	ds_load_2addr_b64 v[36:39], v98 offset0:95 offset1:223
	v_mov_b32_e32 v199, s10
	s_add_i32 s10, s8, 0xad8
	v_fma_f64 v[181:182], -v[18:19], v[58:59], v[103:104]
	v_mov_b32_e32 v40, s10
	v_fma_f64 v[183:184], -v[4:5], v[79:80], v[56:57]
	ds_load_2addr_b64 v[111:114], v199 offset0:23 offset1:24
	ds_load_b128 v[54:57], v67 offset:176
	ds_load_2addr_b64 v[89:92], v63 offset1:1
	ds_load_2addr_b64 v[40:43], v40 offset1:1
	v_fma_f64 v[185:186], -v[6:7], v[83:84], v[60:61]
	s_waitcnt lgkmcnt(5)
	v_fma_f64 v[175:176], -v[8:9], v[175:176], v[77:78]
	v_fma_f64 v[127:128], -v[10:11], v[127:128], v[81:82]
	s_mul_i32 s10, s14, 0x208
	v_fma_f64 v[69:70], -v[24:25], v[149:150], v[69:70]
	v_mov_b32_e32 v63, s10
	s_add_i32 s10, s8, 0xcd8
	v_fma_f64 v[145:146], -v[22:23], v[145:146], v[107:108]
	v_fma_f64 v[137:138], -v[14:15], v[137:138], v[121:122]
	v_mov_b32_e32 v65, s10
	v_fma_f64 v[135:136], -v[26:27], v[141:142], v[135:136]
	s_waitcnt lgkmcnt(4)
	v_fma_f64 v[36:37], -v[2:3], v[36:37], v[147:148]
	s_lshl_b32 s14, s14, 6
	v_fma_f64 v[93:94], -v[18:19], v[93:94], v[155:156]
	s_add_i32 s14, s6, s14
	s_add_i32 s10, s8, 0x10c8
	v_fma_f64 v[139:140], -v[48:49], v[157:158], v[139:140]
	s_waitcnt lgkmcnt(1)
	v_fma_f64 v[89:90], -v[12:13], v[89:90], v[179:180]
	v_fma_f64 v[179:180], -v[20:21], v[109:110], v[119:120]
	;; [unrolled: 1-line block ×5, first 2 shown]
	s_waitcnt lgkmcnt(0)
	v_fma_f64 v[40:41], -v[6:7], v[40:41], v[183:184]
	v_fma_f64 v[147:148], -v[8:9], v[177:178], v[185:186]
	;; [unrolled: 1-line block ×17, first 2 shown]
	v_mov_b32_e32 v54, s12
	ds_load_b128 v[58:61], v71 offset:144
	ds_load_b128 v[77:80], v63
	ds_load_b128 v[81:84], v71 offset:160
	ds_load_b128 v[103:106], v67 offset:192
	ds_load_2addr_b64 v[107:110], v65 offset1:1
	ds_load_b128 v[119:122], v71 offset:240
	s_lshl_b32 s12, s14, 3
	s_add_i32 s14, s8, 0xce8
	v_mov_b32_e32 v65, s12
	s_add_i32 s12, s8, 0x10d8
	v_mov_b32_e32 v63, s10
	s_or_b32 s10, s6, 23
	v_fma_f64 v[197:198], -v[18:19], v[38:39], v[30:31]
	s_lshl_b32 s15, s10, 6
	v_fma_f64 v[181:182], -v[20:21], v[56:57], v[153:154]
	s_add_i32 s15, s6, s15
	v_fma_f64 v[185:186], -v[24:25], v[165:166], v[155:156]
	s_lshl_b32 s15, s15, 3
	s_mulk_i32 s10, 0x208
	v_mov_b32_e32 v200, s15
	s_waitcnt lgkmcnt(5)
	v_fma_f64 v[58:59], -v[48:49], v[58:59], v[135:136]
	s_waitcnt lgkmcnt(4)
	v_mul_f64 v[28:29], v[77:78], v[141:142]
	v_fma_f64 v[32:33], -v[4:5], v[32:33], v[36:37]
	v_mov_b32_e32 v36, s12
	ds_load_b128 v[89:92], v98 offset:3792
	ds_load_2addr_b64 v[127:130], v63 offset1:1
	s_waitcnt lgkmcnt(3)
	v_fma_f64 v[107:108], -v[8:9], v[107:108], v[40:41]
	s_add_i32 s15, s8, 0xae8
	ds_load_b128 v[135:138], v98 offset:3808
	ds_load_2addr_b64 v[139:142], v200 offset0:25 offset1:26
	v_mov_b32_e32 v40, s15
	v_fma_f64 v[69:70], -v[48:49], v[60:61], v[69:70]
	v_mov_b32_e32 v63, s14
	v_fma_f64 v[109:110], -v[8:9], v[109:110], v[177:178]
	s_or_b32 s12, s6, 25
	ds_load_2addr_b64 v[40:43], v40 offset1:1
	s_lshl_b32 s14, s12, 6
	v_fma_f64 v[103:104], -v[20:21], v[103:104], v[179:180]
	s_add_i32 s14, s6, s14
	s_delay_alu instid0(SALU_CYCLE_1)
	s_lshl_b32 s14, s14, 3
	v_fma_f64 v[81:82], -v[48:49], v[81:82], v[187:188]
	v_mov_b32_e32 v187, s14
	s_or_b32 s14, s6, 18
	s_waitcnt lgkmcnt(4)
	v_fma_f64 v[89:90], -v[10:11], v[89:90], v[147:148]
	s_waitcnt lgkmcnt(3)
	v_fma_f64 v[127:128], -v[12:13], v[127:128], v[149:150]
	s_mul_i32 s15, s14, 0x208
	s_lshl_b32 s14, s14, 6
	s_delay_alu instid0(SALU_CYCLE_1) | instskip(NEXT) | instid1(SALU_CYCLE_1)
	s_add_i32 s14, s6, s14
	s_lshl_b32 s14, s14, 3
	s_waitcnt lgkmcnt(0)
	v_fma_f64 v[40:41], -v[6:7], v[40:41], v[175:176]
	v_fma_f64 v[189:190], -v[50:51], v[125:126], v[58:59]
	;; [unrolled: 1-line block ×3, first 2 shown]
	ds_load_2addr_b64 v[54:57], v54 offset1:1
	ds_load_2addr_b64 v[58:61], v76 offset0:25 offset1:26
	ds_load_2addr_b64 v[77:80], v66 offset0:21 offset1:22
	;; [unrolled: 1-line block ×3, first 2 shown]
	ds_load_b128 v[93:96], v62 offset:176
	ds_load_b128 v[123:126], v65 offset:144
	;; [unrolled: 1-line block ×3, first 2 shown]
	ds_load_2addr_b64 v[147:150], v64 offset0:19 offset1:20
	ds_load_2addr_b64 v[151:154], v64 offset0:21 offset1:22
	;; [unrolled: 1-line block ×3, first 2 shown]
	ds_load_b128 v[159:162], v62 offset:192
	ds_load_2addr_b64 v[163:166], v68 offset0:25 offset1:26
	ds_load_2addr_b64 v[167:170], v76 offset0:27 offset1:28
	ds_load_2addr_b64 v[171:174], v63 offset1:1
	ds_load_b64 v[193:194], v64 offset:248
	ds_load_2addr_b64 v[36:39], v36 offset1:1
	v_mov_b32_e32 v63, s13
	v_fma_f64 v[107:108], -v[10:11], v[91:92], v[107:108]
	s_or_b32 s13, s6, 20
	s_waitcnt lgkmcnt(13)
	v_fma_f64 v[77:78], -v[26:27], v[77:78], v[185:186]
	s_waitcnt lgkmcnt(12)
	v_fma_f64 v[85:86], -v[22:23], v[85:86], v[181:182]
	;; [unrolled: 2-line block ×3, first 2 shown]
	v_fma_f64 v[109:110], -v[10:11], v[135:136], v[109:110]
	s_waitcnt lgkmcnt(8)
	v_fma_f64 v[69:70], -v[50:51], v[147:148], v[69:70]
	v_fma_f64 v[147:148], -v[6:7], v[42:43], v[32:33]
	v_add_nc_u32_e64 v32, 0xf8, s8
	v_fma_f64 v[103:104], -v[22:23], v[87:88], v[103:104]
	s_addk_i32 s8, 0x10e8
	v_fma_f64 v[135:136], -v[50:51], v[149:150], v[81:82]
	v_fma_f64 v[129:130], -v[12:13], v[129:130], v[89:90]
	;; [unrolled: 1-line block ×4, first 2 shown]
	ds_load_2addr_stride64_b64 v[32:35], v32 offset0:5 offset1:6
	ds_load_2addr_b64 v[89:92], v187 offset0:27 offset1:28
	s_waitcnt lgkmcnt(4)
	v_fma_f64 v[171:172], -v[8:9], v[171:172], v[40:41]
	ds_load_b128 v[40:43], v67 offset:208
	v_fma_f64 v[123:124], -v[28:29], v[123:124], v[189:190]
	v_mul_f64 v[30:31], v[54:55], v[191:192]
	v_mov_b32_e32 v189, s14
	s_mul_i32 s14, s13, 0x208
	s_lshl_b32 s13, s13, 6
	s_waitcnt lgkmcnt(3)
	v_fma_f64 v[36:37], -v[12:13], v[36:37], v[107:108]
	s_add_i32 s13, s6, s13
	v_fma_f64 v[95:96], -v[24:25], v[95:96], v[85:86]
	v_fma_f64 v[93:94], -v[26:27], v[79:80], v[93:94]
	;; [unrolled: 1-line block ×8, first 2 shown]
	v_mov_b32_e32 v58, s15
	v_fma_f64 v[129:130], -v[48:49], v[83:84], v[77:78]
	s_waitcnt lgkmcnt(2)
	v_fma_f64 v[125:126], -v[6:7], v[32:33], v[127:128]
	v_fma_f64 v[127:128], -v[8:9], v[173:174], v[147:148]
	;; [unrolled: 1-line block ×4, first 2 shown]
	ds_load_b128 v[54:57], v71 offset:176
	ds_load_b128 v[58:61], v58
	ds_load_b128 v[77:80], v71 offset:192
	ds_load_b128 v[81:84], v67 offset:224
	ds_load_b128 v[85:88], v65 offset:240
	v_fma_f64 v[147:148], -v[14:15], v[167:168], v[36:37]
	v_fma_f64 v[109:110], -v[14:15], v[169:170], v[109:110]
	;; [unrolled: 1-line block ×3, first 2 shown]
	s_waitcnt lgkmcnt(4)
	v_fma_f64 v[54:55], -v[48:49], v[54:55], v[93:94]
	v_fma_f64 v[173:174], -v[26:27], v[157:158], v[103:104]
	;; [unrolled: 1-line block ×8, first 2 shown]
	s_waitcnt lgkmcnt(3)
	v_mul_f64 v[32:33], v[58:59], v[123:124]
	v_mov_b32_e32 v58, s8
	ds_load_b128 v[36:39], v98 offset:3824
	ds_load_2addr_b64 v[93:96], v58 offset1:1
	s_or_b32 s8, s6, 27
	v_fma_f64 v[169:170], -v[20:21], v[42:43], v[147:148]
	s_lshl_b32 s15, s8, 6
	s_mulk_i32 s8, 0x208
	s_add_i32 s15, s6, s15
	s_delay_alu instid0(SALU_CYCLE_1)
	s_lshl_b32 s15, s15, 3
	s_waitcnt lgkmcnt(3)
	v_fma_f64 v[81:82], -v[20:21], v[81:82], v[109:110]
	v_mov_b32_e32 v188, s15
	ds_load_b64 v[163:164], v98 offset:4344
	ds_load_2addr_b64 v[97:100], v188 offset0:29 offset1:30
	v_fma_f64 v[177:178], -v[50:51], v[153:154], v[54:55]
	v_fma_f64 v[165:166], -v[22:23], v[165:166], v[40:41]
	;; [unrolled: 1-line block ×3, first 2 shown]
	s_waitcnt lgkmcnt(3)
	v_fma_f64 v[167:168], -v[10:11], v[36:37], v[127:128]
	s_waitcnt lgkmcnt(2)
	v_fma_f64 v[93:94], -v[12:13], v[93:94], v[137:138]
	ds_load_2addr_b64 v[34:37], v76 offset0:29 offset1:30
	v_fma_f64 v[179:180], -v[28:29], v[145:146], v[129:130]
	v_fma_f64 v[171:172], -v[24:25], v[161:162], v[105:106]
	;; [unrolled: 1-line block ×4, first 2 shown]
	ds_load_2addr_b64 v[40:43], v68 offset0:27 offset1:28
	ds_load_b128 v[54:57], v62 offset:208
	ds_load_2addr_b64 v[58:61], v66 offset0:25 offset1:26
	s_waitcnt lgkmcnt(2)
	v_fma_f64 v[40:41], -v[22:23], v[40:41], v[169:170]
	s_waitcnt lgkmcnt(1)
	v_fma_f64 v[54:55], -v[24:25], v[54:55], v[165:166]
	v_fma_f64 v[95:96], -v[12:13], v[95:96], v[167:168]
	;; [unrolled: 1-line block ×3, first 2 shown]
	s_waitcnt lgkmcnt(0)
	v_fma_f64 v[58:59], -v[26:27], v[58:59], v[171:172]
	s_delay_alu instid0(VALU_DEP_4)
	v_fma_f64 v[165:166], -v[26:27], v[60:61], v[54:55]
	v_mov_b32_e32 v54, s14
	ds_load_2addr_b64 v[101:104], v64 offset0:23 offset1:24
	ds_load_b128 v[105:108], v65 offset:176
	ds_load_2addr_b64 v[123:126], v201 offset0:21 offset1:22
	ds_load_b128 v[127:130], v189 offset:160
	ds_load_2addr_b64 v[135:138], v63 offset1:1
	ds_load_2addr_b64 v[143:146], v201 offset0:23 offset1:24
	ds_load_b128 v[147:150], v65 offset:192
	ds_load_2addr_b64 v[151:154], v64 offset0:25 offset1:26
	ds_load_2addr_b64 v[155:158], v66 offset0:27 offset1:28
	ds_load_b128 v[159:162], v62 offset:224
	ds_load_2addr_b64 v[67:70], v68 offset0:29 offset1:30
	ds_load_b64 v[62:63], v76 offset:248
	v_fma_f64 v[76:77], -v[48:49], v[77:78], v[173:174]
	v_fma_f64 v[93:94], -v[20:21], v[83:84], v[93:94]
	;; [unrolled: 1-line block ×4, first 2 shown]
	s_waitcnt lgkmcnt(11)
	v_fma_f64 v[101:102], -v[50:51], v[101:102], v[175:176]
	s_waitcnt lgkmcnt(10)
	v_fma_f64 v[105:106], -v[28:29], v[105:106], v[177:178]
	;; [unrolled: 2-line block ×4, first 2 shown]
	v_fma_f64 v[127:128], -v[22:23], v[42:43], v[81:82]
	s_waitcnt lgkmcnt(7)
	v_mul_f64 v[34:35], v[135:136], v[183:184]
	v_fma_f64 v[135:136], -v[24:25], v[56:57], v[40:41]
	v_fma_f64 v[103:104], -v[50:51], v[103:104], v[76:77]
	s_waitcnt lgkmcnt(1)
	v_fma_f64 v[67:68], -v[22:23], v[67:68], v[93:94]
	v_fma_f64 v[44:45], -v[20:21], v[44:45], v[95:96]
	;; [unrolled: 1-line block ×8, first 2 shown]
	ds_load_b128 v[36:39], v71 offset:208
	ds_load_b128 v[40:43], v189 offset:176
	ds_load_b128 v[54:57], v54
	ds_load_b128 v[58:61], v189 offset:192
	ds_load_b128 v[76:79], v71 offset:224
	;; [unrolled: 1-line block ×3, first 2 shown]
	v_fma_f64 v[95:96], -v[26:27], v[155:156], v[135:136]
	v_fma_f64 v[127:128], -v[50:51], v[151:152], v[167:168]
	s_waitcnt lgkmcnt(5)
	v_fma_f64 v[125:126], -v[48:49], v[36:37], v[165:166]
	v_fma_f64 v[103:104], -v[28:29], v[147:148], v[103:104]
	;; [unrolled: 1-line block ×3, first 2 shown]
	s_waitcnt lgkmcnt(4)
	v_fma_f64 v[40:41], -v[32:33], v[40:41], v[105:106]
	v_fma_f64 v[105:106], -v[34:35], v[131:132], v[107:108]
	;; [unrolled: 1-line block ×4, first 2 shown]
	s_waitcnt lgkmcnt(3)
	v_mul_f64 v[36:37], v[54:55], v[109:110]
	v_fma_f64 v[54:55], -v[14:15], v[62:63], v[123:124]
	v_fma_f64 v[109:110], -v[22:23], v[69:70], v[44:45]
	v_mov_b32_e32 v62, s11
	v_fma_f64 v[151:152], -v[48:49], v[38:39], v[95:96]
	v_fma_f64 v[149:150], -v[28:29], v[149:150], v[127:128]
	s_lshl_b32 s11, s13, 3
	s_delay_alu instid0(SALU_CYCLE_1) | instskip(SKIP_1) | instid1(SALU_CYCLE_1)
	v_mov_b32_e32 v84, s11
	s_or_b32 s11, s6, 22
	s_mul_i32 s13, s11, 0x208
	s_lshl_b32 s11, s11, 6
	s_delay_alu instid0(SALU_CYCLE_1) | instskip(NEXT) | instid1(SALU_CYCLE_1)
	s_add_i32 s11, s6, s11
	s_lshl_b32 s11, s11, 3
	v_fma_f64 v[153:154], -v[50:51], v[153:154], v[125:126]
	v_fma_f64 v[145:146], -v[30:31], v[145:146], v[103:104]
	;; [unrolled: 1-line block ×4, first 2 shown]
	ds_load_2addr_b64 v[38:41], v66 offset0:29 offset1:30
	s_waitcnt lgkmcnt(2)
	v_fma_f64 v[76:77], -v[48:49], v[76:77], v[147:148]
	v_fma_f64 v[159:160], -v[36:37], v[56:57], v[105:106]
	;; [unrolled: 1-line block ×3, first 2 shown]
	ds_load_2addr_b64 v[42:45], v64 offset0:27 offset1:28
	ds_load_b128 v[54:57], v65 offset:208
	ds_load_2addr_b64 v[67:70], v201 offset0:25 offset1:26
	ds_load_2addr_b64 v[93:96], v202 offset0:23 offset1:24
	ds_load_b128 v[101:104], v84 offset:176
	ds_load_2addr_b64 v[105:108], v62 offset1:1
	ds_load_b128 v[123:126], v84 offset:192
	ds_load_2addr_b64 v[127:130], v202 offset0:25 offset1:26
	ds_load_2addr_b64 v[131:134], v201 offset0:27 offset1:28
	ds_load_b128 v[135:138], v65 offset:224
	ds_load_2addr_b64 v[62:65], v64 offset0:29 offset1:30
	ds_load_b64 v[161:162], v66 offset:248
	ds_load_b64 v[163:164], v202 offset:248
	v_fma_f64 v[109:110], -v[24:25], v[115:116], v[109:110]
	s_waitcnt lgkmcnt(12)
	v_fma_f64 v[42:43], -v[50:51], v[42:43], v[151:152]
	s_waitcnt lgkmcnt(10)
	v_fma_f64 v[66:67], -v[30:31], v[67:68], v[149:150]
	v_fma_f64 v[115:116], -v[26:27], v[38:39], v[143:144]
	v_fma_f64 v[54:55], -v[28:29], v[54:55], v[153:154]
	v_fma_f64 v[58:59], -v[32:33], v[58:59], v[145:146]
	s_waitcnt lgkmcnt(9)
	v_fma_f64 v[93:94], -v[34:35], v[93:94], v[155:156]
	s_waitcnt lgkmcnt(8)
	v_fma_f64 v[101:102], -v[36:37], v[101:102], v[157:158]
	v_fma_f64 v[76:77], -v[50:51], v[44:45], v[76:77]
	s_waitcnt lgkmcnt(7)
	v_mul_f64 v[38:39], v[105:106], v[159:160]
	v_fma_f64 v[46:47], -v[22:23], v[195:196], v[46:47]
	v_mov_b32_e32 v44, s13
	v_fma_f64 v[105:106], -v[26:27], v[40:41], v[109:110]
	v_fma_f64 v[109:110], -v[28:29], v[56:57], v[42:43]
	;; [unrolled: 1-line block ×7, first 2 shown]
	s_waitcnt lgkmcnt(3)
	v_fma_f64 v[76:77], -v[28:29], v[135:136], v[76:77]
	v_fma_f64 v[95:96], -v[38:39], v[107:108], v[101:102]
	;; [unrolled: 1-line block ×5, first 2 shown]
	s_waitcnt lgkmcnt(2)
	v_fma_f64 v[62:63], -v[50:51], v[62:63], v[78:79]
	v_fma_f64 v[78:79], -v[30:31], v[131:132], v[109:110]
	;; [unrolled: 1-line block ×5, first 2 shown]
	v_mov_b32_e32 v133, s11
	ds_load_b128 v[40:43], v189 offset:208
	ds_load_b128 v[44:47], v44
	ds_load_b128 v[54:57], v189 offset:224
	ds_load_b128 v[58:61], v84 offset:240
	v_fma_f64 v[117:118], -v[50:51], v[64:65], v[103:104]
	v_fma_f64 v[125:126], -v[36:37], v[125:126], v[66:67]
	;; [unrolled: 1-line block ×3, first 2 shown]
	s_waitcnt lgkmcnt(3)
	v_fma_f64 v[68:69], -v[32:33], v[40:41], v[68:69]
	s_waitcnt lgkmcnt(2)
	v_mul_f64 v[40:41], v[44:45], v[95:96]
	v_fma_f64 v[44:45], -v[26:27], v[161:162], v[101:102]
	v_mov_b32_e32 v101, s10
	v_fma_f64 v[127:128], -v[32:33], v[42:43], v[78:79]
	s_or_b32 s10, s6, 24
	v_fma_f64 v[70:71], -v[38:39], v[113:114], v[70:71]
	s_mul_i32 s11, s10, 0x208
	s_lshl_b32 s10, s10, 6
	s_delay_alu instid0(SALU_CYCLE_1) | instskip(NEXT) | instid1(SALU_CYCLE_1)
	s_add_i32 s10, s6, s10
	s_lshl_b32 s10, s10, 3
	s_waitcnt lgkmcnt(1)
	v_fma_f64 v[54:55], -v[32:33], v[54:55], v[123:124]
	v_fma_f64 v[129:130], -v[34:35], v[129:130], v[68:69]
	;; [unrolled: 1-line block ×4, first 2 shown]
	ds_load_2addr_b64 v[42:45], v201 offset0:29 offset1:30
	ds_load_2addr_b64 v[62:65], v202 offset0:27 offset1:28
	ds_load_b128 v[66:69], v84 offset:208
	ds_load_2addr_b64 v[76:79], v199 offset0:25 offset1:26
	ds_load_b128 v[93:96], v133 offset:192
	ds_load_2addr_b64 v[101:104], v101 offset1:1
	ds_load_2addr_b64 v[105:108], v199 offset0:27 offset1:28
	ds_load_b128 v[109:112], v84 offset:224
	ds_load_2addr_b64 v[113:116], v202 offset0:29 offset1:30
	ds_load_b64 v[131:132], v201 offset:248
	v_fma_f64 v[84:85], -v[28:29], v[85:86], v[117:118]
	s_waitcnt lgkmcnt(8)
	v_fma_f64 v[62:63], -v[34:35], v[62:63], v[127:128]
	s_waitcnt lgkmcnt(6)
	;; [unrolled: 2-line block ×3, first 2 shown]
	v_fma_f64 v[70:71], -v[40:41], v[93:94], v[70:71]
	v_fma_f64 v[117:118], -v[30:31], v[42:43], v[119:120]
	;; [unrolled: 1-line block ×3, first 2 shown]
	s_waitcnt lgkmcnt(4)
	v_mul_f64 v[42:43], v[101:102], v[46:47]
	v_fma_f64 v[46:47], -v[50:51], v[193:194], v[121:122]
	v_fma_f64 v[101:102], -v[34:35], v[64:65], v[54:55]
	v_mov_b32_e32 v54, s11
	v_fma_f64 v[84:85], -v[30:31], v[44:45], v[84:85]
	s_mul_i32 s11, s12, 0x208
	v_fma_f64 v[76:77], -v[40:41], v[95:96], v[76:77]
	v_fma_f64 v[93:94], -v[32:33], v[56:57], v[117:118]
	;; [unrolled: 1-line block ×6, first 2 shown]
	ds_load_b128 v[44:47], v133 offset:208
	ds_load_b128 v[54:57], v54
	ds_load_b128 v[62:65], v133 offset:224
	ds_load_b128 v[66:69], v133 offset:240
	v_mov_b32_e32 v88, s10
	v_fma_f64 v[80:81], -v[32:33], v[80:81], v[84:85]
	s_or_b32 s10, s6, 26
	v_fma_f64 v[76:77], -v[42:43], v[139:140], v[76:77]
	s_waitcnt lgkmcnt(5)
	v_fma_f64 v[84:85], -v[34:35], v[113:114], v[93:94]
	v_fma_f64 v[93:94], -v[36:37], v[109:110], v[101:102]
	;; [unrolled: 1-line block ×3, first 2 shown]
	s_waitcnt lgkmcnt(3)
	v_fma_f64 v[78:79], -v[40:41], v[44:45], v[78:79]
	s_waitcnt lgkmcnt(2)
	v_mul_f64 v[44:45], v[54:55], v[70:71]
	v_fma_f64 v[54:55], -v[30:31], v[131:132], v[86:87]
	v_fma_f64 v[70:71], -v[34:35], v[115:116], v[80:81]
	;; [unrolled: 1-line block ×5, first 2 shown]
	v_mov_b32_e32 v84, s11
	s_mul_i32 s11, s10, 0x208
	s_lshl_b32 s10, s10, 6
	s_delay_alu instid0(SALU_CYCLE_1) | instskip(NEXT) | instid1(SALU_CYCLE_1)
	s_add_i32 s10, s6, s10
	s_lshl_b32 s10, s10, 3
	v_fma_f64 v[109:110], -v[42:43], v[141:142], v[78:79]
	v_fma_f64 v[111:112], -v[44:45], v[56:57], v[76:77]
	;; [unrolled: 1-line block ×3, first 2 shown]
	ds_load_2addr_b64 v[54:57], v199 offset0:29 offset1:30
	ds_load_2addr_b64 v[76:79], v200 offset0:27 offset1:28
	ds_load_b128 v[80:83], v88 offset:208
	ds_load_2addr_b64 v[84:87], v84 offset1:1
	ds_load_b128 v[93:96], v88 offset:224
	ds_load_2addr_b64 v[101:104], v200 offset0:29 offset1:30
	ds_load_b64 v[115:116], v199 offset:248
	ds_load_b64 v[117:118], v200 offset:248
	v_fma_f64 v[58:59], -v[36:37], v[58:59], v[70:71]
	s_waitcnt lgkmcnt(7)
	v_fma_f64 v[54:55], -v[38:39], v[54:55], v[105:106]
	v_fma_f64 v[62:63], -v[40:41], v[62:63], v[107:108]
	s_waitcnt lgkmcnt(6)
	v_fma_f64 v[70:71], -v[42:43], v[76:77], v[46:47]
	s_waitcnt lgkmcnt(5)
	;; [unrolled: 2-line block ×3, first 2 shown]
	v_mul_f64 v[46:47], v[84:85], v[111:112]
	v_fma_f64 v[80:81], -v[34:35], v[163:164], v[113:114]
	v_fma_f64 v[84:85], -v[38:39], v[56:57], v[58:59]
	;; [unrolled: 1-line block ×5, first 2 shown]
	v_mov_b32_e32 v54, s11
	v_fma_f64 v[76:77], -v[46:47], v[86:87], v[76:77]
	v_fma_f64 v[78:79], -v[36:37], v[60:61], v[80:81]
	ds_load_b128 v[54:57], v54
	ds_load_b128 v[58:61], v88 offset:240
	v_mov_b32_e32 v88, s10
	v_fma_f64 v[66:67], -v[40:41], v[66:67], v[84:85]
	s_waitcnt lgkmcnt(4)
	v_fma_f64 v[64:65], -v[42:43], v[101:102], v[64:65]
	v_fma_f64 v[62:63], -v[44:45], v[93:94], v[62:63]
	;; [unrolled: 1-line block ×3, first 2 shown]
	s_waitcnt lgkmcnt(1)
	v_mul_f64 v[54:55], v[54:55], v[76:77]
	v_fma_f64 v[76:77], -v[38:39], v[115:116], v[78:79]
	v_fma_f64 v[80:81], -v[42:43], v[103:104], v[66:67]
	;; [unrolled: 1-line block ×6, first 2 shown]
	v_mov_b32_e32 v76, s8
	ds_load_2addr_b64 v[62:65], v187 offset0:29 offset1:30
	ds_load_b128 v[66:69], v88 offset:224
	ds_load_2addr_b64 v[76:79], v76 offset1:1
	ds_load_b64 v[86:87], v187 offset:248
	s_waitcnt lgkmcnt(4)
	v_fma_f64 v[58:59], -v[44:45], v[58:59], v[80:81]
	s_or_b32 s8, s6, 28
	s_delay_alu instid0(SALU_CYCLE_1) | instskip(SKIP_1) | instid1(SALU_CYCLE_1)
	s_mul_i32 s10, s8, 0x208
	s_lshl_b32 s8, s8, 6
	s_add_i32 s8, s6, s8
	s_delay_alu instid0(SALU_CYCLE_1)
	s_lshl_b32 s8, s8, 3
	s_waitcnt lgkmcnt(3)
	v_fma_f64 v[62:63], -v[46:47], v[62:63], v[82:83]
	s_waitcnt lgkmcnt(2)
	v_fma_f64 v[66:67], -v[54:55], v[66:67], v[84:85]
	s_waitcnt lgkmcnt(1)
	v_mul_f64 v[56:57], v[76:77], v[56:57]
	v_fma_f64 v[70:71], -v[42:43], v[117:118], v[70:71]
	v_fma_f64 v[76:77], -v[46:47], v[64:65], v[58:59]
	;; [unrolled: 1-line block ×3, first 2 shown]
	v_mov_b32_e32 v62, s10
	s_or_b32 s10, s6, 29
	s_delay_alu instid0(SALU_CYCLE_1)
	s_mul_i32 s11, s10, 0x208
	v_fma_f64 v[66:67], -v[56:57], v[78:79], v[66:67]
	v_fma_f64 v[70:71], -v[44:45], v[60:61], v[70:71]
	ds_load_b128 v[58:61], v88 offset:240
	ds_load_b128 v[62:65], v62
	s_waitcnt lgkmcnt(1)
	v_fma_f64 v[76:77], -v[54:55], v[58:59], v[76:77]
	v_fma_f64 v[68:69], -v[56:57], v[97:98], v[68:69]
	s_waitcnt lgkmcnt(0)
	v_mul_f64 v[58:59], v[62:63], v[66:67]
	v_fma_f64 v[62:63], -v[46:47], v[86:87], v[70:71]
	s_delay_alu instid0(VALU_DEP_4) | instskip(NEXT) | instid1(VALU_DEP_3)
	v_fma_f64 v[76:77], -v[56:57], v[99:100], v[76:77]
	v_fma_f64 v[78:79], -v[58:59], v[64:65], v[68:69]
	s_delay_alu instid0(VALU_DEP_3)
	v_fma_f64 v[80:81], -v[54:55], v[60:61], v[62:63]
	v_mov_b32_e32 v60, s8
	v_mov_b32_e32 v64, s11
	ds_load_b128 v[60:63], v60 offset:240
	ds_load_2addr_b64 v[64:67], v64 offset1:1
	ds_load_b64 v[82:83], v188 offset:248
	s_or_b32 s8, s6, 30
	s_delay_alu instid0(SALU_CYCLE_1) | instskip(NEXT) | instid1(SALU_CYCLE_1)
	s_mulk_i32 s8, 0x208
	v_mov_b32_e32 v68, s8
	s_lshl_b32 s8, s10, 6
	s_delay_alu instid0(SALU_CYCLE_1) | instskip(NEXT) | instid1(SALU_CYCLE_1)
	s_add_i32 s8, s6, s8
	s_lshl_b32 s8, s8, 3
	ds_load_b128 v[68:71], v68
	s_waitcnt lgkmcnt(3)
	v_fma_f64 v[76:77], -v[58:59], v[60:61], v[76:77]
	s_waitcnt lgkmcnt(2)
	v_mul_f64 v[60:61], v[64:65], v[78:79]
	s_waitcnt lgkmcnt(1)
	v_fma_f64 v[64:65], -v[56:57], v[82:83], v[80:81]
	s_delay_alu instid0(VALU_DEP_2) | instskip(NEXT) | instid1(VALU_DEP_2)
	v_fma_f64 v[66:67], -v[60:61], v[66:67], v[76:77]
	v_fma_f64 v[64:65], -v[58:59], v[62:63], v[64:65]
	v_mov_b32_e32 v62, s8
	s_or_b32 s8, s6, 31
	s_delay_alu instid0(SALU_CYCLE_1) | instskip(SKIP_4) | instid1(SALU_CYCLE_1)
	s_mulk_i32 s8, 0x208
	ds_load_b64 v[76:77], v62 offset:248
	v_mov_b32_e32 v62, s8
	s_add_i32 s8, s6, 32
	s_add_i32 s6, s6, 63
	s_cmp_lt_i32 s6, s28
	ds_load_b64 v[78:79], v62
	s_clause 0xd
	global_store_b128 v[52:53], v[0:3], off
	global_store_b128 v[52:53], v[16:19], off offset:16
	global_store_b128 v[52:53], v[4:7], off offset:32
	;; [unrolled: 1-line block ×13, first 2 shown]
	s_waitcnt lgkmcnt(2)
	v_mul_f64 v[62:63], v[68:69], v[66:67]
	s_waitcnt lgkmcnt(1)
	v_fma_f64 v[64:65], -v[60:61], v[76:77], v[64:65]
	s_delay_alu instid0(VALU_DEP_1) | instskip(SKIP_1) | instid1(VALU_DEP_1)
	v_fma_f64 v[64:65], -v[62:63], v[70:71], v[64:65]
	s_waitcnt lgkmcnt(0)
	v_mul_f64 v[64:65], v[78:79], v[64:65]
	s_clause 0x1
	global_store_b128 v[52:53], v[58:61], off offset:224
	global_store_b128 v[52:53], v[62:65], off offset:240
	s_cbranch_scc0 .LBB110_48
; %bb.47:                               ;   in Loop: Header=BB110_43 Depth=1
	s_mov_b32 s6, s8
	s_branch .LBB110_43
.LBB110_48:
	s_cmp_lt_i32 s8, s28
	s_cbranch_scc0 .LBB110_73
; %bb.49:
	s_add_i32 s6, s8, 3
	s_delay_alu instid0(SALU_CYCLE_1)
	s_cmp_ge_i32 s6, s28
	s_cbranch_scc1 .LBB110_61
; %bb.50:
	s_add_i32 s10, s8, -1
	s_lshl_b32 s11, s8, 3
	s_and_b32 s12, s8, -4
	s_add_u32 s6, s2, s0
	s_addc_u32 s7, s3, s1
	v_add_co_u32 v14, vcc_lo, s6, v74
	v_add_co_ci_u32_e32 v15, vcc_lo, s7, v75, vcc_lo
	s_and_b32 s13, s8, 3
	s_delay_alu instid0(VALU_DEP_2) | instskip(NEXT) | instid1(VALU_DEP_2)
	v_add_co_u32 v0, vcc_lo, v14, 16
	v_add_co_ci_u32_e32 v1, vcc_lo, 0, v15, vcc_lo
	s_mov_b32 s7, 0
	s_mov_b32 s14, 0
.LBB110_51:                             ; =>This Loop Header: Depth=1
                                        ;     Child Loop BB110_54 Depth 2
                                        ;     Child Loop BB110_58 Depth 2
	s_ashr_i32 s9, s8, 31
	s_delay_alu instid0(SALU_CYCLE_1)
	s_lshl_b64 s[16:17], s[8:9], 3
	s_cmp_eq_u32 s8, 0
	v_add_co_u32 v2, vcc_lo, v72, s16
	v_add_co_ci_u32_e32 v3, vcc_lo, s17, v73, vcc_lo
	s_clause 0x1
	global_load_b128 v[4:7], v[2:3], off
	global_load_b128 v[16:19], v[2:3], off offset:16
	s_waitcnt vmcnt(1)
	v_mul_f64 v[10:11], v[4:5], s[4:5]
	v_mul_f64 v[8:9], v[6:7], s[4:5]
	s_waitcnt vmcnt(0)
	v_mul_f64 v[6:7], v[16:17], s[4:5]
	v_mul_f64 v[4:5], v[18:19], s[4:5]
	s_cbranch_scc1 .LBB110_59
; %bb.52:                               ;   in Loop: Header=BB110_51 Depth=1
	s_lshl_b32 s6, s14, 2
	s_delay_alu instid0(SALU_CYCLE_1) | instskip(NEXT) | instid1(SALU_CYCLE_1)
	s_add_i32 s6, s10, s6
	s_cmp_lt_u32 s6, 3
	s_cbranch_scc1 .LBB110_56
; %bb.53:                               ;   in Loop: Header=BB110_51 Depth=1
	v_dual_mov_b32 v13, v1 :: v_dual_mov_b32 v12, v0
	s_mov_b32 s6, 0
	s_mov_b32 s9, s11
.LBB110_54:                             ;   Parent Loop BB110_51 Depth=1
                                        ; =>  This Inner Loop Header: Depth=2
	s_clause 0x1
	global_load_b128 v[16:19], v[12:13], off offset:-16
	global_load_b128 v[20:23], v[12:13], off
	v_mov_b32_e32 v32, s9
	v_add_co_u32 v12, vcc_lo, v12, 32
	v_add_co_ci_u32_e32 v13, vcc_lo, 0, v13, vcc_lo
	ds_load_2addr_b64 v[24:27], v32 offset1:1
	ds_load_2addr_b64 v[28:31], v32 offset0:2 offset1:3
	s_add_i32 s6, s6, 4
	s_addk_i32 s9, 0x800
	s_cmp_lg_u32 s12, s6
	s_waitcnt vmcnt(1) lgkmcnt(1)
	v_fma_f64 v[24:25], -v[16:17], v[24:25], v[10:11]
	v_fma_f64 v[26:27], -v[16:17], v[26:27], v[8:9]
	s_waitcnt lgkmcnt(0)
	v_fma_f64 v[28:29], -v[16:17], v[28:29], v[6:7]
	v_fma_f64 v[16:17], -v[16:17], v[30:31], v[4:5]
	ds_load_2addr_b64 v[4:7], v32 offset0:64 offset1:65
	ds_load_2addr_b64 v[8:11], v32 offset0:66 offset1:67
	s_waitcnt lgkmcnt(1)
	v_fma_f64 v[24:25], -v[18:19], v[4:5], v[24:25]
	v_fma_f64 v[26:27], -v[18:19], v[6:7], v[26:27]
	s_waitcnt lgkmcnt(0)
	v_fma_f64 v[28:29], -v[18:19], v[8:9], v[28:29]
	v_fma_f64 v[16:17], -v[18:19], v[10:11], v[16:17]
	ds_load_2addr_b64 v[4:7], v32 offset0:128 offset1:129
	ds_load_2addr_b64 v[8:11], v32 offset0:130 offset1:131
	s_waitcnt vmcnt(0) lgkmcnt(1)
	v_fma_f64 v[24:25], -v[20:21], v[4:5], v[24:25]
	v_fma_f64 v[26:27], -v[20:21], v[6:7], v[26:27]
	s_waitcnt lgkmcnt(0)
	v_fma_f64 v[28:29], -v[20:21], v[8:9], v[28:29]
	v_fma_f64 v[20:21], -v[20:21], v[10:11], v[16:17]
	ds_load_2addr_b64 v[4:7], v32 offset0:192 offset1:193
	ds_load_2addr_b64 v[16:19], v32 offset0:194 offset1:195
	s_waitcnt lgkmcnt(1)
	v_fma_f64 v[10:11], -v[22:23], v[4:5], v[24:25]
	v_fma_f64 v[8:9], -v[22:23], v[6:7], v[26:27]
	s_waitcnt lgkmcnt(0)
	v_fma_f64 v[6:7], -v[22:23], v[16:17], v[28:29]
	v_fma_f64 v[4:5], -v[22:23], v[18:19], v[20:21]
	s_cbranch_scc1 .LBB110_54
; %bb.55:                               ;   in Loop: Header=BB110_51 Depth=1
	s_mov_b32 s6, s12
	s_and_b32 s9, s8, 3
	s_delay_alu instid0(SALU_CYCLE_1)
	s_cmp_eq_u32 s9, 0
	s_cbranch_scc0 .LBB110_57
	s_branch .LBB110_59
.LBB110_56:                             ;   in Loop: Header=BB110_51 Depth=1
	s_mov_b32 s6, 0
	s_and_b32 s9, s8, 3
	s_delay_alu instid0(SALU_CYCLE_1)
	s_cmp_eq_u32 s9, 0
	s_cbranch_scc1 .LBB110_59
.LBB110_57:                             ;   in Loop: Header=BB110_51 Depth=1
	s_lshl_b64 s[16:17], s[6:7], 3
	s_lshl_b32 s6, s6, 9
	v_add_co_u32 v12, vcc_lo, v14, s16
	v_add_co_ci_u32_e32 v13, vcc_lo, s17, v15, vcc_lo
	s_mov_b32 s9, s13
	.p2align	6
.LBB110_58:                             ;   Parent Loop BB110_51 Depth=1
                                        ; =>  This Inner Loop Header: Depth=2
	global_load_b64 v[24:25], v[12:13], off
	s_add_i32 s15, s11, s6
	v_add_co_u32 v12, vcc_lo, v12, 8
	v_mov_b32_e32 v20, s15
	v_add_co_ci_u32_e32 v13, vcc_lo, 0, v13, vcc_lo
	ds_load_2addr_b64 v[16:19], v20 offset1:1
	ds_load_2addr_b64 v[20:23], v20 offset0:2 offset1:3
	s_add_i32 s9, s9, -1
	s_addk_i32 s6, 0x200
	s_cmp_lg_u32 s9, 0
	s_waitcnt vmcnt(0) lgkmcnt(1)
	v_fma_f64 v[10:11], -v[24:25], v[16:17], v[10:11]
	v_fma_f64 v[8:9], -v[24:25], v[18:19], v[8:9]
	s_waitcnt lgkmcnt(0)
	v_fma_f64 v[6:7], -v[24:25], v[20:21], v[6:7]
	v_fma_f64 v[4:5], -v[24:25], v[22:23], v[4:5]
	s_cbranch_scc1 .LBB110_58
.LBB110_59:                             ;   in Loop: Header=BB110_51 Depth=1
	s_mul_i32 s6, s8, 0x208
	s_add_i32 s14, s14, 1
	v_mov_b32_e32 v28, s6
	s_lshl_b32 s6, s8, 6
	s_add_i32 s11, s11, 32
	s_add_i32 s6, s6, s8
	;; [unrolled: 1-line block ×3, first 2 shown]
	ds_load_2addr_b64 v[16:19], v28 offset1:1
	ds_load_2addr_b64 v[20:23], v28 offset0:2 offset1:3
	s_lshl_b32 s6, s6, 3
	s_waitcnt lgkmcnt(1)
	v_mul_f64 v[10:11], v[16:17], v[10:11]
	s_delay_alu instid0(VALU_DEP_1)
	v_fma_f64 v[8:9], -v[10:11], v[18:19], v[8:9]
	ds_load_2addr_b64 v[16:19], v28 offset0:65 offset1:66
	ds_load_2addr_b64 v[24:27], v28 offset0:130 offset1:131
	s_waitcnt lgkmcnt(2)
	v_fma_f64 v[6:7], -v[10:11], v[20:21], v[6:7]
	s_waitcnt lgkmcnt(1)
	v_mul_f64 v[12:13], v[16:17], v[8:9]
	v_fma_f64 v[8:9], -v[10:11], v[22:23], v[4:5]
	v_mov_b32_e32 v4, s6
	s_add_i32 s6, s8, 4
	s_add_i32 s8, s8, 7
	s_delay_alu instid0(SALU_CYCLE_1) | instskip(NEXT) | instid1(VALU_DEP_3)
	s_cmp_lt_i32 s8, s28
	v_fma_f64 v[6:7], -v[12:13], v[18:19], v[6:7]
	ds_load_b64 v[16:17], v4 offset:536
	ds_load_b64 v[18:19], v28 offset:1560
	s_waitcnt lgkmcnt(2)
	v_mul_f64 v[4:5], v[24:25], v[6:7]
	s_waitcnt lgkmcnt(1)
	v_fma_f64 v[6:7], -v[12:13], v[16:17], v[8:9]
	s_delay_alu instid0(VALU_DEP_1) | instskip(SKIP_1) | instid1(VALU_DEP_1)
	v_fma_f64 v[6:7], -v[4:5], v[26:27], v[6:7]
	s_waitcnt lgkmcnt(0)
	v_mul_f64 v[6:7], v[18:19], v[6:7]
	s_clause 0x1
	global_store_b128 v[2:3], v[10:13], off
	global_store_b128 v[2:3], v[4:7], off offset:16
	s_cbranch_scc0 .LBB110_62
; %bb.60:                               ;   in Loop: Header=BB110_51 Depth=1
	s_mov_b32 s8, s6
	s_branch .LBB110_51
.LBB110_61:
	s_mov_b32 s6, s8
.LBB110_62:
	s_delay_alu instid0(SALU_CYCLE_1)
	s_cmp_ge_i32 s6, s28
	s_cbranch_scc1 .LBB110_73
; %bb.63:
	s_add_i32 s8, s6, -1
	s_lshl_b32 s9, s6, 3
	s_add_u32 s0, s2, s0
	s_addc_u32 s1, s3, s1
	v_add_co_u32 v8, vcc_lo, s0, v74
	v_add_co_ci_u32_e32 v9, vcc_lo, s1, v75, vcc_lo
	s_mov_b32 s1, 0
	s_delay_alu instid0(VALU_DEP_2) | instskip(NEXT) | instid1(VALU_DEP_2)
	v_add_co_u32 v0, vcc_lo, v8, 56
	v_add_co_ci_u32_e32 v1, vcc_lo, 0, v9, vcc_lo
	s_mov_b32 s3, s6
	s_mov_b32 s2, 0
	s_branch .LBB110_65
.LBB110_64:                             ;   in Loop: Header=BB110_65 Depth=1
	s_mul_i32 s0, s6, 0x208
	s_add_i32 s6, s6, 1
	v_mov_b32_e32 v6, s0
	s_add_i32 s2, s2, 1
	s_add_i32 s9, s9, 8
	s_cmp_ge_i32 s6, s28
	ds_load_b64 v[6:7], v6
	s_waitcnt lgkmcnt(0)
	v_mul_f64 v[4:5], v[6:7], v[4:5]
	v_add_nc_u16 v6, s3, 1
	s_delay_alu instid0(VALU_DEP_1)
	v_readfirstlane_b32 s3, v6
	global_store_b64 v[2:3], v[4:5], off
	s_cbranch_scc1 .LBB110_73
.LBB110_65:                             ; =>This Loop Header: Depth=1
                                        ;     Child Loop BB110_68 Depth 2
                                        ;     Child Loop BB110_72 Depth 2
	s_ashr_i32 s7, s6, 31
	s_delay_alu instid0(SALU_CYCLE_1)
	s_lshl_b64 s[10:11], s[6:7], 3
	s_cmp_eq_u32 s6, 0
	v_add_co_u32 v2, vcc_lo, v72, s10
	v_add_co_ci_u32_e32 v3, vcc_lo, s11, v73, vcc_lo
	global_load_b64 v[4:5], v[2:3], off
	s_waitcnt vmcnt(0)
	v_mul_f64 v[4:5], v[4:5], s[4:5]
	s_cbranch_scc1 .LBB110_64
; %bb.66:                               ;   in Loop: Header=BB110_65 Depth=1
	s_add_i32 s0, s8, s2
	s_delay_alu instid0(SALU_CYCLE_1)
	s_cmp_lt_u32 s0, 7
	s_cbranch_scc1 .LBB110_70
; %bb.67:                               ;   in Loop: Header=BB110_65 Depth=1
	v_dual_mov_b32 v7, v1 :: v_dual_mov_b32 v6, v0
	s_and_b32 s0, s6, -8
	s_mov_b32 s7, 0
	s_mov_b32 s10, s9
	s_set_inst_prefetch_distance 0x1
	.p2align	6
.LBB110_68:                             ;   Parent Loop BB110_65 Depth=1
                                        ; =>  This Inner Loop Header: Depth=2
	s_clause 0x3
	global_load_b128 v[10:13], v[6:7], off offset:-56
	global_load_b128 v[14:17], v[6:7], off offset:-40
	;; [unrolled: 1-line block ×4, first 2 shown]
	v_mov_b32_e32 v34, s10
	v_add_co_u32 v6, vcc_lo, v6, 64
	v_add_co_ci_u32_e32 v7, vcc_lo, 0, v7, vcc_lo
	ds_load_2addr_stride64_b64 v[26:29], v34 offset1:1
	ds_load_2addr_stride64_b64 v[30:33], v34 offset0:2 offset1:3
	s_add_i32 s7, s7, 8
	s_addk_i32 s10, 0x1000
	s_cmp_lg_u32 s0, s7
	s_waitcnt vmcnt(3) lgkmcnt(1)
	v_fma_f64 v[4:5], -v[10:11], v[26:27], v[4:5]
	s_delay_alu instid0(VALU_DEP_1) | instskip(SKIP_1) | instid1(VALU_DEP_1)
	v_fma_f64 v[4:5], -v[12:13], v[28:29], v[4:5]
	s_waitcnt vmcnt(2) lgkmcnt(0)
	v_fma_f64 v[4:5], -v[14:15], v[30:31], v[4:5]
	s_delay_alu instid0(VALU_DEP_1) | instskip(SKIP_4) | instid1(VALU_DEP_1)
	v_fma_f64 v[4:5], -v[16:17], v[32:33], v[4:5]
	ds_load_2addr_stride64_b64 v[10:13], v34 offset0:4 offset1:5
	ds_load_2addr_stride64_b64 v[14:17], v34 offset0:6 offset1:7
	s_waitcnt vmcnt(1) lgkmcnt(1)
	v_fma_f64 v[4:5], -v[18:19], v[10:11], v[4:5]
	v_fma_f64 v[4:5], -v[20:21], v[12:13], v[4:5]
	s_waitcnt vmcnt(0) lgkmcnt(0)
	s_delay_alu instid0(VALU_DEP_1) | instskip(NEXT) | instid1(VALU_DEP_1)
	v_fma_f64 v[4:5], -v[22:23], v[14:15], v[4:5]
	v_fma_f64 v[4:5], -v[24:25], v[16:17], v[4:5]
	s_cbranch_scc1 .LBB110_68
; %bb.69:                               ;   in Loop: Header=BB110_65 Depth=1
	s_set_inst_prefetch_distance 0x2
	s_and_b32 s7, s6, 7
	s_delay_alu instid0(SALU_CYCLE_1)
	s_cmp_eq_u32 s7, 0
	s_cbranch_scc0 .LBB110_71
	s_branch .LBB110_64
.LBB110_70:                             ;   in Loop: Header=BB110_65 Depth=1
	s_mov_b32 s0, 0
	s_and_b32 s7, s6, 7
	s_delay_alu instid0(SALU_CYCLE_1)
	s_cmp_eq_u32 s7, 0
	s_cbranch_scc1 .LBB110_64
.LBB110_71:                             ;   in Loop: Header=BB110_65 Depth=1
	s_lshl_b64 s[10:11], s[0:1], 3
	s_and_b32 s7, s3, 7
	v_add_co_u32 v6, vcc_lo, v8, s10
	v_add_co_ci_u32_e32 v7, vcc_lo, s11, v9, vcc_lo
	s_lshl_b32 s0, s0, 9
.LBB110_72:                             ;   Parent Loop BB110_65 Depth=1
                                        ; =>  This Inner Loop Header: Depth=2
	global_load_b64 v[10:11], v[6:7], off
	s_add_i32 s10, s9, s0
	v_add_co_u32 v6, vcc_lo, v6, 8
	v_mov_b32_e32 v12, s10
	v_add_co_ci_u32_e32 v7, vcc_lo, 0, v7, vcc_lo
	s_add_i32 s7, s7, -1
	s_addk_i32 s0, 0x200
	ds_load_b64 v[12:13], v12
	s_cmp_lg_u32 s7, 0
	s_waitcnt vmcnt(0) lgkmcnt(0)
	v_fma_f64 v[4:5], -v[10:11], v[12:13], v[4:5]
	s_cbranch_scc1 .LBB110_72
	s_branch .LBB110_64
.LBB110_73:
	s_nop 0
	s_sendmsg sendmsg(MSG_DEALLOC_VGPRS)
	s_endpgm
	.section	.rodata,"a",@progbits
	.p2align	6, 0x0
	.amdhsa_kernel _ZL30rocblas_trsm_small_left_deviceILi64ELi32ELb1EddPKPKdPKPdEv13rocblas_fill_18rocblas_operation_17rocblas_diagonal_iiT3_T4_lilT5_lili
		.amdhsa_group_segment_fixed_size 32768
		.amdhsa_private_segment_fixed_size 0
		.amdhsa_kernarg_size 360
		.amdhsa_user_sgpr_count 14
		.amdhsa_user_sgpr_dispatch_ptr 0
		.amdhsa_user_sgpr_queue_ptr 0
		.amdhsa_user_sgpr_kernarg_segment_ptr 1
		.amdhsa_user_sgpr_dispatch_id 0
		.amdhsa_user_sgpr_private_segment_size 0
		.amdhsa_wavefront_size32 1
		.amdhsa_uses_dynamic_stack 0
		.amdhsa_enable_private_segment 0
		.amdhsa_system_sgpr_workgroup_id_x 1
		.amdhsa_system_sgpr_workgroup_id_y 0
		.amdhsa_system_sgpr_workgroup_id_z 1
		.amdhsa_system_sgpr_workgroup_info 0
		.amdhsa_system_vgpr_workitem_id 0
		.amdhsa_next_free_vgpr 203
		.amdhsa_next_free_sgpr 41
		.amdhsa_reserve_vcc 1
		.amdhsa_float_round_mode_32 0
		.amdhsa_float_round_mode_16_64 0
		.amdhsa_float_denorm_mode_32 3
		.amdhsa_float_denorm_mode_16_64 3
		.amdhsa_dx10_clamp 1
		.amdhsa_ieee_mode 1
		.amdhsa_fp16_overflow 0
		.amdhsa_workgroup_processor_mode 1
		.amdhsa_memory_ordered 1
		.amdhsa_forward_progress 0
		.amdhsa_shared_vgpr_count 0
		.amdhsa_exception_fp_ieee_invalid_op 0
		.amdhsa_exception_fp_denorm_src 0
		.amdhsa_exception_fp_ieee_div_zero 0
		.amdhsa_exception_fp_ieee_overflow 0
		.amdhsa_exception_fp_ieee_underflow 0
		.amdhsa_exception_fp_ieee_inexact 0
		.amdhsa_exception_int_div_zero 0
	.end_amdhsa_kernel
	.section	.text._ZL30rocblas_trsm_small_left_deviceILi64ELi32ELb1EddPKPKdPKPdEv13rocblas_fill_18rocblas_operation_17rocblas_diagonal_iiT3_T4_lilT5_lili,"axG",@progbits,_ZL30rocblas_trsm_small_left_deviceILi64ELi32ELb1EddPKPKdPKPdEv13rocblas_fill_18rocblas_operation_17rocblas_diagonal_iiT3_T4_lilT5_lili,comdat
.Lfunc_end110:
	.size	_ZL30rocblas_trsm_small_left_deviceILi64ELi32ELb1EddPKPKdPKPdEv13rocblas_fill_18rocblas_operation_17rocblas_diagonal_iiT3_T4_lilT5_lili, .Lfunc_end110-_ZL30rocblas_trsm_small_left_deviceILi64ELi32ELb1EddPKPKdPKPdEv13rocblas_fill_18rocblas_operation_17rocblas_diagonal_iiT3_T4_lilT5_lili
                                        ; -- End function
	.section	.AMDGPU.csdata,"",@progbits
; Kernel info:
; codeLenInByte = 24580
; NumSgprs: 43
; NumVgprs: 203
; ScratchSize: 0
; MemoryBound: 1
; FloatMode: 240
; IeeeMode: 1
; LDSByteSize: 32768 bytes/workgroup (compile time only)
; SGPRBlocks: 5
; VGPRBlocks: 25
; NumSGPRsForWavesPerEU: 43
; NumVGPRsForWavesPerEU: 203
; Occupancy: 2
; WaveLimiterHint : 1
; COMPUTE_PGM_RSRC2:SCRATCH_EN: 0
; COMPUTE_PGM_RSRC2:USER_SGPR: 14
; COMPUTE_PGM_RSRC2:TRAP_HANDLER: 0
; COMPUTE_PGM_RSRC2:TGID_X_EN: 1
; COMPUTE_PGM_RSRC2:TGID_Y_EN: 0
; COMPUTE_PGM_RSRC2:TGID_Z_EN: 1
; COMPUTE_PGM_RSRC2:TIDIG_COMP_CNT: 0
	.section	.text._ZL31rocblas_trsm_small_right_deviceIddPKPKdPKPdLi64EEv13rocblas_fill_18rocblas_operation_17rocblas_diagonal_iiT0_T1_lilT2_lili,"axG",@progbits,_ZL31rocblas_trsm_small_right_deviceIddPKPKdPKPdLi64EEv13rocblas_fill_18rocblas_operation_17rocblas_diagonal_iiT0_T1_lilT2_lili,comdat
	.globl	_ZL31rocblas_trsm_small_right_deviceIddPKPKdPKPdLi64EEv13rocblas_fill_18rocblas_operation_17rocblas_diagonal_iiT0_T1_lilT2_lili ; -- Begin function _ZL31rocblas_trsm_small_right_deviceIddPKPKdPKPdLi64EEv13rocblas_fill_18rocblas_operation_17rocblas_diagonal_iiT0_T1_lilT2_lili
	.p2align	8
	.type	_ZL31rocblas_trsm_small_right_deviceIddPKPKdPKPdLi64EEv13rocblas_fill_18rocblas_operation_17rocblas_diagonal_iiT0_T1_lilT2_lili,@function
_ZL31rocblas_trsm_small_right_deviceIddPKPKdPKPdLi64EEv13rocblas_fill_18rocblas_operation_17rocblas_diagonal_iiT0_T1_lilT2_lili: ; @_ZL31rocblas_trsm_small_right_deviceIddPKPKdPKPdLi64EEv13rocblas_fill_18rocblas_operation_17rocblas_diagonal_iiT0_T1_lilT2_lili
; %bb.0:
	s_load_b128 s[16:19], s[0:1], 0x40
	s_mov_b32 s12, s15
	s_mov_b32 s13, 0
	s_clause 0x1
	s_load_b32 s28, s[0:1], 0x10
	s_load_b128 s[4:7], s[0:1], 0x0
	s_lshl_b64 s[22:23], s[12:13], 3
	s_mov_b32 s12, exec_lo
	s_waitcnt lgkmcnt(0)
	s_add_u32 s2, s16, s22
	s_addc_u32 s3, s17, s23
	s_clause 0x1
	s_load_b128 s[8:11], s[0:1], 0x18
	s_load_b64 s[16:17], s[0:1], 0x28
	s_load_b64 s[2:3], s[2:3], 0x0
	s_min_i32 s29, s28, 64
	s_delay_alu instid0(SALU_CYCLE_1)
	s_add_i32 s30, s29, -1
	v_cmpx_gt_i32_e64 s29, v0
	s_cbranch_execz .LBB111_9
; %bb.1:
	s_load_b32 s20, s[0:1], 0x30
	s_waitcnt lgkmcnt(0)
	s_ashr_i32 s21, s20, 31
	s_add_u32 s10, s10, s22
	s_addc_u32 s11, s11, s23
	s_cmp_lt_u32 s30, 3
	s_load_b64 s[10:11], s[10:11], 0x0
	s_cbranch_scc1 .LBB111_4
; %bb.2:
	v_lshlrev_b32_e32 v3, 3, v0
	s_lshl_b64 s[22:23], s[16:17], 3
	s_mul_i32 s31, s20, 24
	s_waitcnt lgkmcnt(0)
	s_add_u32 s13, s10, s22
	s_addc_u32 s15, s11, s23
	v_add_co_u32 v1, s13, s13, v3
	s_delay_alu instid0(VALU_DEP_1)
	v_add_co_ci_u32_e64 v2, null, s15, 0, s13
	s_and_b32 s13, s29, -4
	s_mul_hi_i32 s15, s20, 24
	s_lshl_b64 s[22:23], s[20:21], 5
	s_lshl_b64 s[24:25], s[20:21], 4
	;; [unrolled: 1-line block ×3, first 2 shown]
	s_mov_b32 s33, 0
	.p2align	6
.LBB111_3:                              ; =>This Inner Loop Header: Depth=1
	v_add_co_u32 v4, vcc_lo, v1, s26
	v_add_co_ci_u32_e32 v5, vcc_lo, s27, v2, vcc_lo
	v_add_co_u32 v6, vcc_lo, v1, s24
	v_add_co_ci_u32_e32 v7, vcc_lo, s25, v2, vcc_lo
	;; [unrolled: 2-line block ×3, first 2 shown]
	s_clause 0x3
	global_load_b64 v[10:11], v[1:2], off
	global_load_b64 v[4:5], v[4:5], off
	;; [unrolled: 1-line block ×4, first 2 shown]
	v_add_co_u32 v1, vcc_lo, v1, s22
	v_add_co_ci_u32_e32 v2, vcc_lo, s23, v2, vcc_lo
	s_add_i32 s33, s33, 4
	s_waitcnt vmcnt(2)
	ds_store_2addr_stride64_b64 v3, v[10:11], v[4:5] offset1:1
	s_waitcnt vmcnt(0)
	ds_store_2addr_stride64_b64 v3, v[6:7], v[8:9] offset0:2 offset1:3
	v_add_nc_u32_e32 v3, 0x800, v3
	s_cmp_eq_u32 s13, s33
	s_cbranch_scc0 .LBB111_3
.LBB111_4:
	s_and_b32 s15, s29, 3
	s_delay_alu instid0(SALU_CYCLE_1)
	s_cmp_eq_u32 s15, 0
	s_cbranch_scc1 .LBB111_7
; %bb.5:
	s_mul_i32 s22, s21, s13
	s_mul_hi_u32 s23, s20, s13
	v_lshlrev_b32_e32 v1, 3, v0
	s_add_i32 s23, s23, s22
	s_mul_i32 s22, s20, s13
	s_lshl_b64 s[16:17], s[16:17], 3
	s_lshl_b64 s[22:23], s[22:23], 3
	v_lshl_or_b32 v3, s13, 9, v1
	s_add_u32 s13, s22, s16
	s_addc_u32 s16, s23, s17
	s_waitcnt lgkmcnt(0)
	s_add_u32 s10, s10, s13
	s_addc_u32 s11, s11, s16
	v_add_co_u32 v1, s10, s10, v1
	s_delay_alu instid0(VALU_DEP_1)
	v_add_co_ci_u32_e64 v2, null, s11, 0, s10
	s_lshl_b64 s[10:11], s[20:21], 3
.LBB111_6:                              ; =>This Inner Loop Header: Depth=1
	global_load_b64 v[4:5], v[1:2], off
	v_add_co_u32 v1, vcc_lo, v1, s10
	v_add_co_ci_u32_e32 v2, vcc_lo, s11, v2, vcc_lo
	s_add_i32 s15, s15, -1
	s_delay_alu instid0(SALU_CYCLE_1)
	s_cmp_lg_u32 s15, 0
	s_waitcnt vmcnt(0)
	ds_store_b64 v3, v[4:5]
	v_add_nc_u32_e32 v3, 0x200, v3
	s_cbranch_scc1 .LBB111_6
.LBB111_7:
	s_cmpk_eq_i32 s6, 0x84
	s_cbranch_scc0 .LBB111_9
; %bb.8:
	v_mul_u32_u24_e32 v2, 0x41, v0
	v_mov_b32_e32 v1, 0
	s_delay_alu instid0(VALU_DEP_2)
	v_dual_mov_b32 v2, 0x3ff00000 :: v_dual_lshlrev_b32 v3, 3, v2
	ds_store_b64 v3, v[1:2]
.LBB111_9:
	s_or_b32 exec_lo, exec_lo, s12
	s_load_b32 s6, s[0:1], 0x68
	s_waitcnt lgkmcnt(0)
	s_lshl_b64 s[10:11], s[18:19], 3
	s_load_b32 s0, s[0:1], 0x50
	s_add_u32 s1, s2, s10
	s_addc_u32 s12, s3, s11
	s_lshl_b32 s13, s14, 6
	s_mov_b32 s22, 0
	s_sub_i32 s7, s7, s13
	s_add_i32 s6, s6, -1
	s_delay_alu instid0(SALU_CYCLE_1) | instskip(SKIP_4) | instid1(SALU_CYCLE_1)
	s_cmp_ge_u32 s14, s6
	s_cselect_b32 s13, s7, 64
	s_ashr_i32 s15, s14, 31
	v_cmp_gt_i32_e32 vcc_lo, s13, v0
	s_lshl_b64 s[6:7], s[14:15], 9
	s_add_u32 s18, s1, s6
	s_addc_u32 s19, s12, s7
	s_cmp_gt_i32 s28, 0
	s_cselect_b32 s1, -1, 0
	s_delay_alu instid0(SALU_CYCLE_1) | instskip(NEXT) | instid1(SALU_CYCLE_1)
	s_and_b32 s20, vcc_lo, s1
	s_and_saveexec_b32 s21, s20
	s_cbranch_execz .LBB111_16
; %bb.10:
	s_waitcnt lgkmcnt(0)
	s_ashr_i32 s1, s0, 31
	s_cmp_lt_u32 s28, 4
	s_cbranch_scc1 .LBB111_13
; %bb.11:
	v_lshlrev_b32_e32 v1, 3, v0
	v_lshl_or_b32 v3, v0, 3, 0x8000
	s_and_b32 s22, s28, 0x7ffffffc
	s_mul_hi_i32 s23, s0, 24
	s_mul_i32 s24, s0, 24
	v_add_co_u32 v1, s12, s18, v1
	s_delay_alu instid0(VALU_DEP_1)
	v_add_co_ci_u32_e64 v2, null, s19, 0, s12
	s_lshl_b64 s[12:13], s[0:1], 5
	s_lshl_b64 s[14:15], s[0:1], 4
	s_lshl_b64 s[16:17], s[0:1], 3
	s_mov_b32 s25, 0
	s_set_inst_prefetch_distance 0x1
	.p2align	6
.LBB111_12:                             ; =>This Inner Loop Header: Depth=1
	v_add_co_u32 v4, vcc_lo, v1, s16
	v_add_co_ci_u32_e32 v5, vcc_lo, s17, v2, vcc_lo
	v_add_co_u32 v6, vcc_lo, v1, s14
	v_add_co_ci_u32_e32 v7, vcc_lo, s15, v2, vcc_lo
	;; [unrolled: 2-line block ×3, first 2 shown]
	s_clause 0x3
	global_load_b64 v[10:11], v[1:2], off
	global_load_b64 v[4:5], v[4:5], off
	;; [unrolled: 1-line block ×4, first 2 shown]
	v_add_co_u32 v1, vcc_lo, v1, s12
	v_add_co_ci_u32_e32 v2, vcc_lo, s13, v2, vcc_lo
	s_add_i32 s25, s25, 4
	s_delay_alu instid0(SALU_CYCLE_1)
	s_cmp_lg_u32 s22, s25
	s_waitcnt vmcnt(3)
	v_mul_f64 v[10:11], v[10:11], s[8:9]
	s_waitcnt vmcnt(2)
	v_mul_f64 v[4:5], v[4:5], s[8:9]
	;; [unrolled: 2-line block ×4, first 2 shown]
	ds_store_2addr_stride64_b64 v3, v[10:11], v[4:5] offset1:1
	ds_store_2addr_stride64_b64 v3, v[6:7], v[8:9] offset0:2 offset1:3
	v_add_nc_u32_e32 v3, 0x800, v3
	s_cbranch_scc1 .LBB111_12
.LBB111_13:
	s_set_inst_prefetch_distance 0x2
	s_and_b32 s14, s28, 3
	s_delay_alu instid0(SALU_CYCLE_1)
	s_cmp_eq_u32 s14, 0
	s_cbranch_scc1 .LBB111_16
; %bb.14:
	s_mul_hi_i32 s13, s0, s22
	s_mul_i32 s12, s0, s22
	v_lshlrev_b32_e32 v1, 3, v0
	s_lshl_b64 s[12:13], s[12:13], 3
	s_delay_alu instid0(SALU_CYCLE_1)
	s_add_u32 s12, s12, s6
	s_addc_u32 s13, s13, s7
	s_add_u32 s12, s12, s10
	v_lshl_or_b32 v2, s22, 9, v1
	s_addc_u32 s13, s13, s11
	s_add_u32 s12, s2, s12
	s_addc_u32 s13, s3, s13
	v_add_co_u32 v1, s12, s12, v1
	v_add_nc_u32_e32 v3, 0x8000, v2
	v_add_co_ci_u32_e64 v2, null, s13, 0, s12
	s_lshl_b64 s[12:13], s[0:1], 3
.LBB111_15:                             ; =>This Inner Loop Header: Depth=1
	global_load_b64 v[4:5], v[1:2], off
	v_add_co_u32 v1, vcc_lo, v1, s12
	v_add_co_ci_u32_e32 v2, vcc_lo, s13, v2, vcc_lo
	s_add_i32 s14, s14, -1
	s_delay_alu instid0(SALU_CYCLE_1)
	s_cmp_lg_u32 s14, 0
	s_waitcnt vmcnt(0)
	v_mul_f64 v[4:5], v[4:5], s[8:9]
	ds_store_b64 v3, v[4:5]
	v_add_nc_u32_e32 v3, 0x200, v3
	s_cbranch_scc1 .LBB111_15
.LBB111_16:
	s_or_b32 exec_lo, exec_lo, s21
	s_cmpk_eq_i32 s5, 0x6f
	s_waitcnt lgkmcnt(0)
	s_cselect_b32 s1, -1, 0
	s_cmpk_eq_i32 s4, 0x79
	s_barrier
	s_cselect_b32 s8, -1, 0
	s_cmpk_lg_i32 s4, 0x79
	buffer_gl0_inv
	s_cselect_b32 s5, -1, 0
	s_and_b32 s8, s8, s1
	s_delay_alu instid0(SALU_CYCLE_1)
	s_and_not1_b32 vcc_lo, exec_lo, s8
	s_mov_b32 s8, -1
	s_cbranch_vccz .LBB111_80
; %bb.17:
	s_cmpk_lg_i32 s4, 0x7a
	s_cselect_b32 s4, -1, 0
	s_xor_b32 s1, s1, -1
	s_delay_alu instid0(SALU_CYCLE_1)
	s_or_b32 s4, s4, s1
	s_cmp_gt_i32 s28, 3
	s_cselect_b32 s1, -1, 0
	s_and_b32 vcc_lo, exec_lo, s4
	s_mov_b32 s4, -1
	s_cbranch_vccz .LBB111_59
; %bb.18:
	s_and_not1_b32 vcc_lo, exec_lo, s5
	s_cbranch_vccnz .LBB111_38
; %bb.19:
	s_and_not1_b32 vcc_lo, exec_lo, s1
	s_mov_b32 s8, 0
	s_cbranch_vccnz .LBB111_26
; %bb.20:
	v_lshl_or_b32 v9, v0, 3, 0x8000
	s_mov_b32 s4, 0
	s_mov_b32 s5, 0
.LBB111_21:                             ; =>This Loop Header: Depth=1
                                        ;     Child Loop BB111_23 Depth 2
	s_delay_alu instid0(SALU_CYCLE_1) | instskip(NEXT) | instid1(SALU_CYCLE_1)
	s_lshl_b32 s9, s5, 6
	s_or_b32 s8, s9, 64
	v_or_b32_e32 v1, s9, v0
	v_or_b32_e32 v2, s8, v0
	s_lshl_b32 s9, s5, 9
	s_cmp_eq_u32 s5, 0
	v_lshl_or_b32 v12, v0, 3, s9
	v_lshlrev_b32_e32 v10, 3, v1
	v_lshlrev_b32_e32 v11, 3, v2
	ds_load_b64 v[7:8], v10 offset:32768
	ds_load_b64 v[5:6], v11 offset:32768
	ds_load_2addr_stride64_b64 v[1:4], v12 offset0:66 offset1:67
	s_cbranch_scc1 .LBB111_24
; %bb.22:                               ;   in Loop: Header=BB111_21 Depth=1
	v_mov_b32_e32 v13, v9
	s_mov_b32 s9, 0
	s_mov_b32 s12, s4
.LBB111_23:                             ;   Parent Loop BB111_21 Depth=1
                                        ; =>  This Inner Loop Header: Depth=2
	s_delay_alu instid0(SALU_CYCLE_1)
	v_mov_b32_e32 v30, s12
	s_add_i32 s9, s9, 4
	s_addk_i32 s12, 0x800
	s_cmp_ge_u32 s9, s5
	ds_load_2addr_stride64_b64 v[14:17], v13 offset1:1
	ds_load_b128 v[18:21], v30
	ds_load_b128 v[22:25], v30 offset:16
	ds_load_2addr_stride64_b64 v[26:29], v13 offset0:2 offset1:3
	v_add_nc_u32_e32 v13, 0x800, v13
	s_waitcnt lgkmcnt(2)
	v_fma_f64 v[18:19], -v[14:15], v[18:19], v[7:8]
	v_fma_f64 v[20:21], -v[14:15], v[20:21], v[5:6]
	s_waitcnt lgkmcnt(1)
	v_fma_f64 v[22:23], -v[14:15], v[22:23], v[1:2]
	v_fma_f64 v[14:15], -v[14:15], v[24:25], v[3:4]
	ds_load_b128 v[1:4], v30 offset:512
	ds_load_b128 v[5:8], v30 offset:528
	s_waitcnt lgkmcnt(1)
	v_fma_f64 v[18:19], -v[16:17], v[1:2], v[18:19]
	v_fma_f64 v[20:21], -v[16:17], v[3:4], v[20:21]
	s_waitcnt lgkmcnt(0)
	v_fma_f64 v[22:23], -v[16:17], v[5:6], v[22:23]
	v_fma_f64 v[14:15], -v[16:17], v[7:8], v[14:15]
	ds_load_b128 v[1:4], v30 offset:1024
	ds_load_b128 v[5:8], v30 offset:1040
	;; [unrolled: 8-line block ×3, first 2 shown]
	s_waitcnt lgkmcnt(1)
	v_fma_f64 v[7:8], -v[28:29], v[1:2], v[18:19]
	v_fma_f64 v[5:6], -v[28:29], v[3:4], v[20:21]
	s_waitcnt lgkmcnt(0)
	v_fma_f64 v[1:2], -v[28:29], v[14:15], v[22:23]
	v_fma_f64 v[3:4], -v[28:29], v[16:17], v[24:25]
	s_cbranch_scc0 .LBB111_23
.LBB111_24:                             ;   in Loop: Header=BB111_21 Depth=1
	s_mul_i32 s9, s5, 0x208
	s_delay_alu instid0(SALU_CYCLE_1)
	v_dual_mov_b32 v34, s9 :: v_dual_add_nc_u32 v11, 0x8000, v11
	s_add_i32 s8, s8, s5
	v_add_nc_u32_e32 v10, 0x8000, v10
	s_lshl_b32 s8, s8, 3
	v_add_nc_u32_e32 v13, 0x8400, v12
	ds_load_b128 v[14:17], v34
	ds_load_b128 v[18:21], v34 offset:16
	s_add_i32 s4, s4, 32
	v_add_nc_u32_e32 v12, 0x8600, v12
	s_waitcnt lgkmcnt(1)
	v_div_scale_f64 v[22:23], null, v[14:15], v[14:15], v[7:8]
	v_div_scale_f64 v[28:29], vcc_lo, v[7:8], v[14:15], v[7:8]
	s_delay_alu instid0(VALU_DEP_2) | instskip(SKIP_2) | instid1(VALU_DEP_1)
	v_rcp_f64_e32 v[24:25], v[22:23]
	s_waitcnt_depctr 0xfff
	v_fma_f64 v[26:27], -v[22:23], v[24:25], 1.0
	v_fma_f64 v[24:25], v[24:25], v[26:27], v[24:25]
	s_delay_alu instid0(VALU_DEP_1) | instskip(NEXT) | instid1(VALU_DEP_1)
	v_fma_f64 v[26:27], -v[22:23], v[24:25], 1.0
	v_fma_f64 v[24:25], v[24:25], v[26:27], v[24:25]
	s_delay_alu instid0(VALU_DEP_1) | instskip(NEXT) | instid1(VALU_DEP_1)
	v_mul_f64 v[26:27], v[28:29], v[24:25]
	v_fma_f64 v[22:23], -v[22:23], v[26:27], v[28:29]
	s_delay_alu instid0(VALU_DEP_1) | instskip(NEXT) | instid1(VALU_DEP_1)
	v_div_fmas_f64 v[22:23], v[22:23], v[24:25], v[26:27]
	v_div_fixup_f64 v[22:23], v[22:23], v[14:15], v[7:8]
	s_delay_alu instid0(VALU_DEP_1)
	v_fma_f64 v[24:25], -v[22:23], v[16:17], v[5:6]
	ds_load_2addr_b64 v[5:8], v34 offset0:65 offset1:66
	ds_load_b128 v[14:17], v34 offset:1040
	s_waitcnt lgkmcnt(2)
	v_fma_f64 v[1:2], -v[22:23], v[18:19], v[1:2]
	v_fma_f64 v[3:4], -v[22:23], v[20:21], v[3:4]
	s_waitcnt lgkmcnt(1)
	v_div_scale_f64 v[26:27], null, v[5:6], v[5:6], v[24:25]
	v_div_scale_f64 v[32:33], vcc_lo, v[24:25], v[5:6], v[24:25]
	s_delay_alu instid0(VALU_DEP_2) | instskip(SKIP_2) | instid1(VALU_DEP_1)
	v_rcp_f64_e32 v[28:29], v[26:27]
	s_waitcnt_depctr 0xfff
	v_fma_f64 v[30:31], -v[26:27], v[28:29], 1.0
	v_fma_f64 v[28:29], v[28:29], v[30:31], v[28:29]
	s_delay_alu instid0(VALU_DEP_1) | instskip(NEXT) | instid1(VALU_DEP_1)
	v_fma_f64 v[30:31], -v[26:27], v[28:29], 1.0
	v_fma_f64 v[28:29], v[28:29], v[30:31], v[28:29]
	s_delay_alu instid0(VALU_DEP_1) | instskip(NEXT) | instid1(VALU_DEP_1)
	v_mul_f64 v[30:31], v[32:33], v[28:29]
	v_fma_f64 v[26:27], -v[26:27], v[30:31], v[32:33]
	s_delay_alu instid0(VALU_DEP_1) | instskip(NEXT) | instid1(VALU_DEP_1)
	v_div_fmas_f64 v[26:27], v[26:27], v[28:29], v[30:31]
	v_div_fixup_f64 v[5:6], v[26:27], v[5:6], v[24:25]
	s_delay_alu instid0(VALU_DEP_1) | instskip(SKIP_1) | instid1(VALU_DEP_1)
	v_fma_f64 v[1:2], -v[5:6], v[7:8], v[1:2]
	s_waitcnt lgkmcnt(0)
	v_div_scale_f64 v[7:8], null, v[14:15], v[14:15], v[1:2]
	v_div_scale_f64 v[26:27], vcc_lo, v[1:2], v[14:15], v[1:2]
	s_delay_alu instid0(VALU_DEP_2) | instskip(SKIP_2) | instid1(VALU_DEP_1)
	v_rcp_f64_e32 v[18:19], v[7:8]
	s_waitcnt_depctr 0xfff
	v_fma_f64 v[24:25], -v[7:8], v[18:19], 1.0
	v_fma_f64 v[18:19], v[18:19], v[24:25], v[18:19]
	s_delay_alu instid0(VALU_DEP_1) | instskip(NEXT) | instid1(VALU_DEP_1)
	v_fma_f64 v[24:25], -v[7:8], v[18:19], 1.0
	v_fma_f64 v[18:19], v[18:19], v[24:25], v[18:19]
	s_delay_alu instid0(VALU_DEP_1) | instskip(NEXT) | instid1(VALU_DEP_1)
	v_mul_f64 v[24:25], v[26:27], v[18:19]
	v_fma_f64 v[7:8], -v[7:8], v[24:25], v[26:27]
	s_delay_alu instid0(VALU_DEP_1)
	v_div_fmas_f64 v[7:8], v[7:8], v[18:19], v[24:25]
	v_mov_b32_e32 v18, s8
	s_add_i32 s8, s5, 4
	s_add_i32 s5, s5, 7
	ds_load_b64 v[18:19], v18 offset:24
	ds_load_b64 v[20:21], v34 offset:1560
	s_cmp_ge_i32 s5, s29
	s_waitcnt lgkmcnt(1)
	v_fma_f64 v[3:4], -v[5:6], v[18:19], v[3:4]
	v_div_fixup_f64 v[1:2], v[7:8], v[14:15], v[1:2]
	s_delay_alu instid0(VALU_DEP_1) | instskip(SKIP_1) | instid1(VALU_DEP_1)
	v_fma_f64 v[3:4], -v[1:2], v[16:17], v[3:4]
	s_waitcnt lgkmcnt(0)
	v_div_scale_f64 v[7:8], null, v[20:21], v[20:21], v[3:4]
	s_delay_alu instid0(VALU_DEP_1) | instskip(SKIP_2) | instid1(VALU_DEP_1)
	v_rcp_f64_e32 v[14:15], v[7:8]
	s_waitcnt_depctr 0xfff
	v_fma_f64 v[16:17], -v[7:8], v[14:15], 1.0
	v_fma_f64 v[14:15], v[14:15], v[16:17], v[14:15]
	s_delay_alu instid0(VALU_DEP_1) | instskip(NEXT) | instid1(VALU_DEP_1)
	v_fma_f64 v[16:17], -v[7:8], v[14:15], 1.0
	v_fma_f64 v[14:15], v[14:15], v[16:17], v[14:15]
	v_div_scale_f64 v[16:17], vcc_lo, v[3:4], v[20:21], v[3:4]
	s_delay_alu instid0(VALU_DEP_1) | instskip(NEXT) | instid1(VALU_DEP_1)
	v_mul_f64 v[18:19], v[16:17], v[14:15]
	v_fma_f64 v[7:8], -v[7:8], v[18:19], v[16:17]
	s_delay_alu instid0(VALU_DEP_1) | instskip(NEXT) | instid1(VALU_DEP_1)
	v_div_fmas_f64 v[7:8], v[7:8], v[14:15], v[18:19]
	v_div_fixup_f64 v[3:4], v[7:8], v[20:21], v[3:4]
	ds_store_b64 v10, v[22:23]
	ds_store_b64 v11, v[5:6]
	;; [unrolled: 1-line block ×4, first 2 shown]
	s_cbranch_scc1 .LBB111_26
; %bb.25:                               ;   in Loop: Header=BB111_21 Depth=1
	s_mov_b32 s5, s8
	s_branch .LBB111_21
.LBB111_26:
	s_cmp_ge_i32 s8, s29
	s_cbranch_scc1 .LBB111_37
; %bb.27:
	v_lshl_or_b32 v3, v0, 3, 0x8000
	v_lshlrev_b32_e32 v4, 3, v0
	s_add_i32 s4, s8, -1
	s_lshl_b32 s5, s8, 3
	s_mov_b32 s9, 0
	s_mov_b32 s12, s8
	s_branch .LBB111_29
.LBB111_28:                             ;   in Loop: Header=BB111_29 Depth=1
	s_mul_i32 s13, s8, 0x208
	s_delay_alu instid0(SALU_CYCLE_1)
	v_dual_mov_b32 v6, s13 :: v_dual_add_nc_u32 v5, 0x8000, v5
	s_add_i32 s8, s8, 1
	s_add_i32 s9, s9, 1
	;; [unrolled: 1-line block ×3, first 2 shown]
	s_cmp_ge_i32 s8, s29
	ds_load_b64 v[6:7], v6
	s_waitcnt lgkmcnt(0)
	v_div_scale_f64 v[8:9], null, v[6:7], v[6:7], v[1:2]
	s_delay_alu instid0(VALU_DEP_1) | instskip(SKIP_2) | instid1(VALU_DEP_1)
	v_rcp_f64_e32 v[10:11], v[8:9]
	s_waitcnt_depctr 0xfff
	v_fma_f64 v[12:13], -v[8:9], v[10:11], 1.0
	v_fma_f64 v[10:11], v[10:11], v[12:13], v[10:11]
	s_delay_alu instid0(VALU_DEP_1) | instskip(NEXT) | instid1(VALU_DEP_1)
	v_fma_f64 v[12:13], -v[8:9], v[10:11], 1.0
	v_fma_f64 v[10:11], v[10:11], v[12:13], v[10:11]
	v_div_scale_f64 v[12:13], vcc_lo, v[1:2], v[6:7], v[1:2]
	s_delay_alu instid0(VALU_DEP_1) | instskip(NEXT) | instid1(VALU_DEP_1)
	v_mul_f64 v[14:15], v[12:13], v[10:11]
	v_fma_f64 v[8:9], -v[8:9], v[14:15], v[12:13]
	s_delay_alu instid0(VALU_DEP_1) | instskip(NEXT) | instid1(VALU_DEP_1)
	v_div_fmas_f64 v[8:9], v[8:9], v[10:11], v[14:15]
	v_div_fixup_f64 v[1:2], v[8:9], v[6:7], v[1:2]
	v_add_nc_u16 v6, s12, 1
	s_delay_alu instid0(VALU_DEP_1)
	v_readfirstlane_b32 s12, v6
	ds_store_b64 v5, v[1:2]
	s_cbranch_scc1 .LBB111_37
.LBB111_29:                             ; =>This Loop Header: Depth=1
                                        ;     Child Loop BB111_32 Depth 2
                                        ;     Child Loop BB111_36 Depth 2
	v_lshl_or_b32 v5, s8, 9, v4
	s_cmp_eq_u32 s8, 0
	ds_load_b64 v[1:2], v5 offset:32768
	s_cbranch_scc1 .LBB111_28
; %bb.30:                               ;   in Loop: Header=BB111_29 Depth=1
	s_add_i32 s13, s4, s9
	s_delay_alu instid0(SALU_CYCLE_1)
	s_cmp_lt_u32 s13, 7
	s_cbranch_scc1 .LBB111_34
; %bb.31:                               ;   in Loop: Header=BB111_29 Depth=1
	v_mov_b32_e32 v6, v3
	s_and_b32 s13, s8, -8
	s_mov_b32 s14, 0
	s_mov_b32 s15, s5
	s_set_inst_prefetch_distance 0x1
	.p2align	6
.LBB111_32:                             ;   Parent Loop BB111_29 Depth=1
                                        ; =>  This Inner Loop Header: Depth=2
	v_mov_b32_e32 v23, s15
	s_add_i32 s14, s14, 8
	s_addk_i32 s15, 0x1000
	s_cmp_eq_u32 s13, s14
	ds_load_2addr_stride64_b64 v[7:10], v6 offset1:1
	ds_load_2addr_stride64_b64 v[11:14], v23 offset1:1
	ds_load_2addr_stride64_b64 v[15:18], v6 offset0:2 offset1:3
	ds_load_2addr_stride64_b64 v[19:22], v23 offset0:2 offset1:3
	s_waitcnt lgkmcnt(2)
	v_fma_f64 v[1:2], -v[7:8], v[11:12], v[1:2]
	s_delay_alu instid0(VALU_DEP_1) | instskip(SKIP_1) | instid1(VALU_DEP_1)
	v_fma_f64 v[1:2], -v[9:10], v[13:14], v[1:2]
	s_waitcnt lgkmcnt(0)
	v_fma_f64 v[1:2], -v[15:16], v[19:20], v[1:2]
	s_delay_alu instid0(VALU_DEP_1)
	v_fma_f64 v[1:2], -v[17:18], v[21:22], v[1:2]
	ds_load_2addr_stride64_b64 v[7:10], v6 offset0:4 offset1:5
	ds_load_2addr_stride64_b64 v[11:14], v23 offset0:4 offset1:5
	;; [unrolled: 1-line block ×4, first 2 shown]
	v_add_nc_u32_e32 v6, 0x1000, v6
	s_waitcnt lgkmcnt(2)
	v_fma_f64 v[1:2], -v[7:8], v[11:12], v[1:2]
	s_delay_alu instid0(VALU_DEP_1) | instskip(SKIP_1) | instid1(VALU_DEP_1)
	v_fma_f64 v[1:2], -v[9:10], v[13:14], v[1:2]
	s_waitcnt lgkmcnt(0)
	v_fma_f64 v[1:2], -v[15:16], v[19:20], v[1:2]
	s_delay_alu instid0(VALU_DEP_1)
	v_fma_f64 v[1:2], -v[17:18], v[21:22], v[1:2]
	s_cbranch_scc0 .LBB111_32
; %bb.33:                               ;   in Loop: Header=BB111_29 Depth=1
	s_set_inst_prefetch_distance 0x2
	s_and_b32 s14, s8, 7
	s_delay_alu instid0(SALU_CYCLE_1)
	s_cmp_eq_u32 s14, 0
	s_cbranch_scc0 .LBB111_35
	s_branch .LBB111_28
.LBB111_34:                             ;   in Loop: Header=BB111_29 Depth=1
	s_mov_b32 s13, 0
	s_and_b32 s14, s8, 7
	s_delay_alu instid0(SALU_CYCLE_1)
	s_cmp_eq_u32 s14, 0
	s_cbranch_scc1 .LBB111_28
.LBB111_35:                             ;   in Loop: Header=BB111_29 Depth=1
	s_and_b32 s14, s12, 7
	s_lshl_b32 s13, s13, 9
.LBB111_36:                             ;   Parent Loop BB111_29 Depth=1
                                        ; =>  This Inner Loop Header: Depth=2
	s_delay_alu instid0(SALU_CYCLE_1)
	s_add_i32 s15, s5, s13
	v_add_nc_u32_e32 v6, s13, v3
	v_mov_b32_e32 v8, s15
	s_add_i32 s14, s14, -1
	s_addk_i32 s13, 0x200
	s_cmp_lg_u32 s14, 0
	ds_load_b64 v[6:7], v6
	ds_load_b64 v[8:9], v8
	s_waitcnt lgkmcnt(0)
	v_fma_f64 v[1:2], -v[6:7], v[8:9], v[1:2]
	s_cbranch_scc1 .LBB111_36
	s_branch .LBB111_28
.LBB111_37:
	s_mov_b32 s4, 0
.LBB111_38:
	s_delay_alu instid0(SALU_CYCLE_1)
	s_and_b32 vcc_lo, exec_lo, s4
	s_cbranch_vccz .LBB111_58
; %bb.39:
	s_and_not1_b32 vcc_lo, exec_lo, s1
	s_mov_b32 s8, s30
	s_cbranch_vccnz .LBB111_45
; %bb.40:
	v_lshlrev_b32_e32 v9, 3, v0
	s_mul_i32 s4, s29, 0x208
	s_mov_b32 s5, s30
	s_addk_i32 s4, 0xf7e0
	s_delay_alu instid0(VALU_DEP_1) | instskip(NEXT) | instid1(VALU_DEP_1)
	v_lshl_or_b32 v1, s29, 9, v9
	v_add_nc_u32_e32 v10, 0x7800, v1
.LBB111_41:                             ; =>This Loop Header: Depth=1
                                        ;     Child Loop BB111_42 Depth 2
	s_add_i32 s14, s5, -1
	s_lshl_b32 s13, s5, 6
	s_lshl_b32 s12, s14, 6
	v_or_b32_e32 v1, s13, v0
	s_add_i32 s8, s13, 0xffffff80
	v_or_b32_e32 v2, s12, v0
	v_or_b32_e32 v3, s8, v0
	s_add_i32 s9, s5, -3
	v_lshlrev_b32_e32 v11, 3, v1
	v_lshl_or_b32 v14, s9, 9, v9
	v_dual_mov_b32 v15, v10 :: v_dual_lshlrev_b32 v12, 3, v2
	v_lshlrev_b32_e32 v13, 3, v3
	ds_load_b64 v[7:8], v11 offset:32768
	ds_load_b64 v[5:6], v12 offset:32768
	;; [unrolled: 1-line block ×4, first 2 shown]
	s_cmp_le_i32 s30, s5
	s_mov_b32 s15, s4
	s_mov_b32 s16, s30
	s_cbranch_scc1 .LBB111_43
.LBB111_42:                             ;   Parent Loop BB111_41 Depth=1
                                        ; =>  This Inner Loop Header: Depth=2
	v_mov_b32_e32 v32, s15
	s_add_i32 s16, s16, -4
	s_addk_i32 s15, 0xf800
	s_cmp_le_i32 s16, s5
	ds_load_2addr_stride64_b64 v[16:19], v15 offset0:2 offset1:3
	ds_load_2addr_b64 v[20:23], v32 offset0:194 offset1:195
	ds_load_2addr_b64 v[24:27], v32 offset0:192 offset1:193
	ds_load_2addr_stride64_b64 v[28:31], v15 offset1:1
	v_add_nc_u32_e32 v15, 0xfffff800, v15
	s_waitcnt lgkmcnt(2)
	v_fma_f64 v[22:23], -v[18:19], v[22:23], v[7:8]
	v_fma_f64 v[20:21], -v[18:19], v[20:21], v[5:6]
	s_waitcnt lgkmcnt(1)
	v_fma_f64 v[26:27], -v[18:19], v[26:27], v[3:4]
	v_fma_f64 v[18:19], -v[18:19], v[24:25], v[1:2]
	ds_load_2addr_b64 v[1:4], v32 offset0:130 offset1:131
	ds_load_2addr_b64 v[5:8], v32 offset0:128 offset1:129
	s_waitcnt lgkmcnt(1)
	v_fma_f64 v[22:23], -v[16:17], v[3:4], v[22:23]
	v_fma_f64 v[20:21], -v[16:17], v[1:2], v[20:21]
	s_waitcnt lgkmcnt(0)
	v_fma_f64 v[24:25], -v[16:17], v[7:8], v[26:27]
	v_fma_f64 v[16:17], -v[16:17], v[5:6], v[18:19]
	ds_load_2addr_b64 v[1:4], v32 offset0:66 offset1:67
	ds_load_2addr_b64 v[5:8], v32 offset0:64 offset1:65
	s_waitcnt lgkmcnt(1)
	v_fma_f64 v[22:23], -v[30:31], v[3:4], v[22:23]
	v_fma_f64 v[20:21], -v[30:31], v[1:2], v[20:21]
	s_waitcnt lgkmcnt(0)
	v_fma_f64 v[24:25], -v[30:31], v[7:8], v[24:25]
	v_fma_f64 v[26:27], -v[30:31], v[5:6], v[16:17]
	ds_load_2addr_b64 v[1:4], v32 offset0:2 offset1:3
	ds_load_2addr_b64 v[16:19], v32 offset1:1
	s_waitcnt lgkmcnt(1)
	v_fma_f64 v[7:8], -v[28:29], v[3:4], v[22:23]
	v_fma_f64 v[5:6], -v[28:29], v[1:2], v[20:21]
	s_waitcnt lgkmcnt(0)
	v_fma_f64 v[3:4], -v[28:29], v[18:19], v[24:25]
	v_fma_f64 v[1:2], -v[28:29], v[16:17], v[26:27]
	s_cbranch_scc0 .LBB111_42
.LBB111_43:                             ;   in Loop: Header=BB111_41 Depth=1
	s_add_i32 s14, s13, s14
	s_add_i32 s13, s13, s9
	s_lshl_b32 s14, s14, 3
	s_delay_alu instid0(SALU_CYCLE_1) | instskip(SKIP_3) | instid1(SALU_CYCLE_1)
	v_dual_mov_b32 v15, s14 :: v_dual_add_nc_u32 v12, 0x8000, v12
	s_mul_i32 s14, s5, 0x208
	s_lshl_b32 s13, s13, 3
	s_add_i32 s15, s14, 0xfffffdf8
	v_dual_mov_b32 v19, s15 :: v_dual_add_nc_u32 v14, 0x8000, v14
	ds_load_2addr_b64 v[15:18], v15 offset1:1
	s_add_i32 s12, s12, s9
	s_add_i32 s8, s8, s9
	s_lshl_b32 s12, s12, 3
	ds_load_b64 v[19:20], v19
	s_lshl_b32 s8, s8, 3
	v_add_nc_u32_e32 v11, 0x8000, v11
	v_add_nc_u32_e32 v13, 0x8000, v13
	s_sub_i32 s4, s4, 32
	s_waitcnt lgkmcnt(1)
	v_div_scale_f64 v[21:22], null, v[17:18], v[17:18], v[7:8]
	v_div_scale_f64 v[27:28], vcc_lo, v[7:8], v[17:18], v[7:8]
	s_delay_alu instid0(VALU_DEP_2) | instskip(SKIP_2) | instid1(VALU_DEP_1)
	v_rcp_f64_e32 v[23:24], v[21:22]
	s_waitcnt_depctr 0xfff
	v_fma_f64 v[25:26], -v[21:22], v[23:24], 1.0
	v_fma_f64 v[23:24], v[23:24], v[25:26], v[23:24]
	s_delay_alu instid0(VALU_DEP_1) | instskip(NEXT) | instid1(VALU_DEP_1)
	v_fma_f64 v[25:26], -v[21:22], v[23:24], 1.0
	v_fma_f64 v[23:24], v[23:24], v[25:26], v[23:24]
	s_delay_alu instid0(VALU_DEP_1) | instskip(NEXT) | instid1(VALU_DEP_1)
	v_mul_f64 v[25:26], v[27:28], v[23:24]
	v_fma_f64 v[21:22], -v[21:22], v[25:26], v[27:28]
	s_delay_alu instid0(VALU_DEP_1) | instskip(NEXT) | instid1(VALU_DEP_1)
	v_div_fmas_f64 v[21:22], v[21:22], v[23:24], v[25:26]
	v_div_fixup_f64 v[21:22], v[21:22], v[17:18], v[7:8]
	s_delay_alu instid0(VALU_DEP_1) | instskip(SKIP_1) | instid1(VALU_DEP_1)
	v_fma_f64 v[23:24], -v[21:22], v[15:16], v[5:6]
	s_waitcnt lgkmcnt(0)
	v_div_scale_f64 v[5:6], null, v[19:20], v[19:20], v[23:24]
	v_div_scale_f64 v[17:18], vcc_lo, v[23:24], v[19:20], v[23:24]
	s_delay_alu instid0(VALU_DEP_2) | instskip(SKIP_2) | instid1(VALU_DEP_1)
	v_rcp_f64_e32 v[7:8], v[5:6]
	s_waitcnt_depctr 0xfff
	v_fma_f64 v[15:16], -v[5:6], v[7:8], 1.0
	v_fma_f64 v[7:8], v[7:8], v[15:16], v[7:8]
	s_delay_alu instid0(VALU_DEP_1) | instskip(NEXT) | instid1(VALU_DEP_1)
	v_fma_f64 v[15:16], -v[5:6], v[7:8], 1.0
	v_fma_f64 v[7:8], v[7:8], v[15:16], v[7:8]
	s_delay_alu instid0(VALU_DEP_1) | instskip(NEXT) | instid1(VALU_DEP_1)
	v_mul_f64 v[15:16], v[17:18], v[7:8]
	v_fma_f64 v[5:6], -v[5:6], v[15:16], v[17:18]
	s_delay_alu instid0(VALU_DEP_1)
	v_div_fmas_f64 v[25:26], v[5:6], v[7:8], v[15:16]
	v_mov_b32_e32 v5, s13
	v_mov_b32_e32 v15, s12
	ds_load_2addr_b64 v[5:8], v5 offset1:1
	ds_load_2addr_b64 v[15:18], v15 offset1:1
	s_waitcnt lgkmcnt(1)
	v_fma_f64 v[3:4], -v[21:22], v[7:8], v[3:4]
	v_fma_f64 v[1:2], -v[21:22], v[5:6], v[1:2]
	v_div_fixup_f64 v[7:8], v[25:26], v[19:20], v[23:24]
	s_waitcnt lgkmcnt(0)
	s_delay_alu instid0(VALU_DEP_1) | instskip(SKIP_2) | instid1(VALU_DEP_4)
	v_fma_f64 v[3:4], -v[7:8], v[17:18], v[3:4]
	v_mov_b32_e32 v17, s8
	s_add_i32 s8, s14, 0xfffff9e8
	v_fma_f64 v[1:2], -v[7:8], v[15:16], v[1:2]
	v_mov_b32_e32 v23, s8
	s_add_i32 s8, s5, -4
	ds_load_2addr_b64 v[17:20], v17 offset1:1
	s_cmp_lt_i32 s5, 7
	ds_load_b64 v[23:24], v23
	s_waitcnt lgkmcnt(1)
	v_div_scale_f64 v[25:26], null, v[19:20], v[19:20], v[3:4]
	v_div_scale_f64 v[31:32], vcc_lo, v[3:4], v[19:20], v[3:4]
	s_delay_alu instid0(VALU_DEP_2) | instskip(SKIP_2) | instid1(VALU_DEP_1)
	v_rcp_f64_e32 v[27:28], v[25:26]
	s_waitcnt_depctr 0xfff
	v_fma_f64 v[29:30], -v[25:26], v[27:28], 1.0
	v_fma_f64 v[27:28], v[27:28], v[29:30], v[27:28]
	s_delay_alu instid0(VALU_DEP_1) | instskip(NEXT) | instid1(VALU_DEP_1)
	v_fma_f64 v[29:30], -v[25:26], v[27:28], 1.0
	v_fma_f64 v[27:28], v[27:28], v[29:30], v[27:28]
	s_delay_alu instid0(VALU_DEP_1) | instskip(NEXT) | instid1(VALU_DEP_1)
	v_mul_f64 v[29:30], v[31:32], v[27:28]
	v_fma_f64 v[25:26], -v[25:26], v[29:30], v[31:32]
	s_delay_alu instid0(VALU_DEP_1) | instskip(NEXT) | instid1(VALU_DEP_1)
	v_div_fmas_f64 v[5:6], v[25:26], v[27:28], v[29:30]
	v_div_fixup_f64 v[3:4], v[5:6], v[19:20], v[3:4]
	s_delay_alu instid0(VALU_DEP_1) | instskip(SKIP_1) | instid1(VALU_DEP_1)
	v_fma_f64 v[1:2], -v[3:4], v[17:18], v[1:2]
	s_waitcnt lgkmcnt(0)
	v_div_scale_f64 v[5:6], null, v[23:24], v[23:24], v[1:2]
	s_delay_alu instid0(VALU_DEP_1) | instskip(SKIP_2) | instid1(VALU_DEP_1)
	v_rcp_f64_e32 v[15:16], v[5:6]
	s_waitcnt_depctr 0xfff
	v_fma_f64 v[17:18], -v[5:6], v[15:16], 1.0
	v_fma_f64 v[15:16], v[15:16], v[17:18], v[15:16]
	s_delay_alu instid0(VALU_DEP_1) | instskip(NEXT) | instid1(VALU_DEP_1)
	v_fma_f64 v[17:18], -v[5:6], v[15:16], 1.0
	v_fma_f64 v[15:16], v[15:16], v[17:18], v[15:16]
	v_div_scale_f64 v[17:18], vcc_lo, v[1:2], v[23:24], v[1:2]
	s_delay_alu instid0(VALU_DEP_1) | instskip(NEXT) | instid1(VALU_DEP_1)
	v_mul_f64 v[19:20], v[17:18], v[15:16]
	v_fma_f64 v[5:6], -v[5:6], v[19:20], v[17:18]
	s_delay_alu instid0(VALU_DEP_1) | instskip(NEXT) | instid1(VALU_DEP_1)
	v_div_fmas_f64 v[5:6], v[5:6], v[15:16], v[19:20]
	v_div_fixup_f64 v[1:2], v[5:6], v[23:24], v[1:2]
	ds_store_b64 v11, v[21:22]
	ds_store_b64 v12, v[7:8]
	;; [unrolled: 1-line block ×4, first 2 shown]
	s_cbranch_scc1 .LBB111_45
; %bb.44:                               ;   in Loop: Header=BB111_41 Depth=1
	s_mov_b32 s5, s8
	s_branch .LBB111_41
.LBB111_45:
	s_cmp_lt_i32 s8, 0
	s_cbranch_scc1 .LBB111_58
; %bb.46:
	s_bitcmp1_b32 s8, 0
	s_cselect_b32 s4, -1, 0
	s_delay_alu instid0(SALU_CYCLE_1)
	s_and_b32 vcc_lo, exec_lo, s4
	s_mov_b32 s4, s8
	s_cbranch_vccnz .LBB111_51
; %bb.47:
	v_lshlrev_b32_e32 v1, 3, v0
	s_cmp_le_i32 s30, s8
	s_delay_alu instid0(VALU_DEP_1)
	v_lshl_or_b32 v3, s8, 9, v1
	ds_load_b64 v[1:2], v3 offset:32768
	s_cbranch_scc1 .LBB111_50
; %bb.48:
	s_lshl_b32 s4, s29, 9
	s_lshl_b32 s5, s8, 3
	v_lshl_or_b32 v4, v0, 3, s4
	s_add_i32 s4, s4, s5
	s_mov_b32 s5, s30
	s_addk_i32 s4, 0xfe00
	s_delay_alu instid0(VALU_DEP_1)
	v_add_nc_u32_e32 v4, 0x7e00, v4
.LBB111_49:                             ; =>This Inner Loop Header: Depth=1
	v_mov_b32_e32 v7, s4
	s_add_i32 s5, s5, -1
	s_addk_i32 s4, 0xfe00
	s_cmp_gt_i32 s5, s8
	ds_load_b64 v[5:6], v4
	ds_load_b64 v[7:8], v7
	v_add_nc_u32_e32 v4, 0xfffffe00, v4
	s_waitcnt lgkmcnt(0)
	v_fma_f64 v[1:2], -v[5:6], v[7:8], v[1:2]
	s_cbranch_scc1 .LBB111_49
.LBB111_50:
	s_mul_i32 s4, s8, 0x208
	s_delay_alu instid0(SALU_CYCLE_1) | instskip(SKIP_4) | instid1(VALU_DEP_1)
	v_dual_mov_b32 v4, s4 :: v_dual_add_nc_u32 v3, 0x8000, v3
	s_add_i32 s4, s8, -1
	ds_load_b64 v[4:5], v4
	s_waitcnt lgkmcnt(0)
	v_div_scale_f64 v[6:7], null, v[4:5], v[4:5], v[1:2]
	v_rcp_f64_e32 v[8:9], v[6:7]
	s_waitcnt_depctr 0xfff
	v_fma_f64 v[10:11], -v[6:7], v[8:9], 1.0
	s_delay_alu instid0(VALU_DEP_1) | instskip(NEXT) | instid1(VALU_DEP_1)
	v_fma_f64 v[8:9], v[8:9], v[10:11], v[8:9]
	v_fma_f64 v[10:11], -v[6:7], v[8:9], 1.0
	s_delay_alu instid0(VALU_DEP_1) | instskip(SKIP_1) | instid1(VALU_DEP_1)
	v_fma_f64 v[8:9], v[8:9], v[10:11], v[8:9]
	v_div_scale_f64 v[10:11], vcc_lo, v[1:2], v[4:5], v[1:2]
	v_mul_f64 v[12:13], v[10:11], v[8:9]
	s_delay_alu instid0(VALU_DEP_1) | instskip(NEXT) | instid1(VALU_DEP_1)
	v_fma_f64 v[6:7], -v[6:7], v[12:13], v[10:11]
	v_div_fmas_f64 v[6:7], v[6:7], v[8:9], v[12:13]
	s_delay_alu instid0(VALU_DEP_1)
	v_div_fixup_f64 v[1:2], v[6:7], v[4:5], v[1:2]
	ds_store_b64 v3, v[1:2]
.LBB111_51:
	s_cmp_eq_u32 s8, 0
	s_cbranch_scc1 .LBB111_58
; %bb.52:
	s_lshl_b32 s5, s29, 9
	s_lshl_b32 s8, s4, 3
	v_lshl_or_b32 v1, v0, 3, s5
	v_lshlrev_b32_e32 v6, 3, v0
	s_add_i32 s8, s5, s8
	s_delay_alu instid0(SALU_CYCLE_1) | instskip(NEXT) | instid1(VALU_DEP_2)
	s_add_i32 s5, s8, 0xfffffe00
	v_add_nc_u32_e32 v5, 0x7e00, v1
	s_addk_i32 s8, 0xfdf8
	s_branch .LBB111_54
.LBB111_53:                             ;   in Loop: Header=BB111_54 Depth=1
	s_addk_i32 s9, 0xfdf8
	s_delay_alu instid0(SALU_CYCLE_1)
	v_dual_mov_b32 v2, s9 :: v_dual_add_nc_u32 v1, 0x8000, v7
	s_add_i32 s9, s4, -2
	s_add_i32 s5, s5, -16
	s_add_i32 s8, s8, -16
	s_cmp_lt_i32 s4, 2
	ds_load_b64 v[7:8], v2
	s_mov_b32 s4, s9
	s_waitcnt lgkmcnt(0)
	v_div_scale_f64 v[9:10], null, v[7:8], v[7:8], v[3:4]
	s_delay_alu instid0(VALU_DEP_1) | instskip(SKIP_2) | instid1(VALU_DEP_1)
	v_rcp_f64_e32 v[11:12], v[9:10]
	s_waitcnt_depctr 0xfff
	v_fma_f64 v[13:14], -v[9:10], v[11:12], 1.0
	v_fma_f64 v[11:12], v[11:12], v[13:14], v[11:12]
	s_delay_alu instid0(VALU_DEP_1) | instskip(NEXT) | instid1(VALU_DEP_1)
	v_fma_f64 v[13:14], -v[9:10], v[11:12], 1.0
	v_fma_f64 v[11:12], v[11:12], v[13:14], v[11:12]
	v_div_scale_f64 v[13:14], vcc_lo, v[3:4], v[7:8], v[3:4]
	s_delay_alu instid0(VALU_DEP_1) | instskip(NEXT) | instid1(VALU_DEP_1)
	v_mul_f64 v[15:16], v[13:14], v[11:12]
	v_fma_f64 v[9:10], -v[9:10], v[15:16], v[13:14]
	s_delay_alu instid0(VALU_DEP_1) | instskip(NEXT) | instid1(VALU_DEP_1)
	v_div_fmas_f64 v[9:10], v[9:10], v[11:12], v[15:16]
	v_div_fixup_f64 v[2:3], v[9:10], v[7:8], v[3:4]
	ds_store_b64 v1, v[2:3]
	s_cbranch_scc1 .LBB111_58
.LBB111_54:                             ; =>This Loop Header: Depth=1
                                        ;     Child Loop BB111_55 Depth 2
                                        ;     Child Loop BB111_57 Depth 2
	v_lshl_or_b32 v3, s4, 9, v6
	s_delay_alu instid0(VALU_DEP_2)
	v_mov_b32_e32 v4, v5
	s_cmp_le_i32 s30, s4
	s_mov_b32 s9, s5
	s_mov_b32 s12, s30
	ds_load_b64 v[1:2], v3 offset:32768
	s_cbranch_scc1 .LBB111_56
.LBB111_55:                             ;   Parent Loop BB111_54 Depth=1
                                        ; =>  This Inner Loop Header: Depth=2
	v_mov_b32_e32 v9, s9
	s_add_i32 s12, s12, -1
	s_addk_i32 s9, 0xfe00
	s_cmp_le_i32 s12, s4
	ds_load_b64 v[7:8], v4
	ds_load_b64 v[9:10], v9
	v_add_nc_u32_e32 v4, 0xfffffe00, v4
	s_waitcnt lgkmcnt(0)
	v_fma_f64 v[1:2], -v[7:8], v[9:10], v[1:2]
	s_cbranch_scc0 .LBB111_55
.LBB111_56:                             ;   in Loop: Header=BB111_54 Depth=1
	s_mul_i32 s9, s4, 0x208
	s_delay_alu instid0(SALU_CYCLE_1)
	v_dual_mov_b32 v3, s9 :: v_dual_add_nc_u32 v8, 0x8000, v3
	s_lshl_b32 s12, s4, 9
	s_mov_b32 s13, s29
	s_addk_i32 s12, 0xfe00
	s_cmp_lt_i32 s30, s4
	ds_load_b64 v[9:10], v3
	v_lshl_or_b32 v7, v0, 3, s12
	s_mov_b32 s12, s8
	ds_load_b64 v[3:4], v7 offset:32768
	s_waitcnt lgkmcnt(1)
	v_div_scale_f64 v[11:12], null, v[9:10], v[9:10], v[1:2]
	s_delay_alu instid0(VALU_DEP_1) | instskip(SKIP_2) | instid1(VALU_DEP_1)
	v_rcp_f64_e32 v[13:14], v[11:12]
	s_waitcnt_depctr 0xfff
	v_fma_f64 v[15:16], -v[11:12], v[13:14], 1.0
	v_fma_f64 v[13:14], v[13:14], v[15:16], v[13:14]
	s_delay_alu instid0(VALU_DEP_1) | instskip(NEXT) | instid1(VALU_DEP_1)
	v_fma_f64 v[15:16], -v[11:12], v[13:14], 1.0
	v_fma_f64 v[13:14], v[13:14], v[15:16], v[13:14]
	v_div_scale_f64 v[15:16], vcc_lo, v[1:2], v[9:10], v[1:2]
	s_delay_alu instid0(VALU_DEP_1) | instskip(NEXT) | instid1(VALU_DEP_1)
	v_mul_f64 v[17:18], v[15:16], v[13:14]
	v_fma_f64 v[11:12], -v[11:12], v[17:18], v[15:16]
	s_delay_alu instid0(VALU_DEP_1) | instskip(NEXT) | instid1(VALU_DEP_1)
	v_div_fmas_f64 v[11:12], v[11:12], v[13:14], v[17:18]
	v_div_fixup_f64 v[9:10], v[11:12], v[9:10], v[1:2]
	v_mov_b32_e32 v1, v5
	ds_store_b64 v8, v[9:10]
	s_cbranch_scc1 .LBB111_53
.LBB111_57:                             ;   Parent Loop BB111_54 Depth=1
                                        ; =>  This Inner Loop Header: Depth=2
	v_mov_b32_e32 v2, s12
	s_add_i32 s13, s13, -1
	s_addk_i32 s12, 0xfe00
	s_cmp_gt_i32 s13, s4
	ds_load_b64 v[8:9], v1
	ds_load_b64 v[10:11], v2
	v_add_nc_u32_e32 v1, 0xfffffe00, v1
	s_waitcnt lgkmcnt(0)
	v_fma_f64 v[3:4], -v[8:9], v[10:11], v[3:4]
	s_cbranch_scc1 .LBB111_57
	s_branch .LBB111_53
.LBB111_58:
	s_mov_b32 s4, 0
.LBB111_59:
	s_delay_alu instid0(SALU_CYCLE_1)
	s_and_not1_b32 vcc_lo, exec_lo, s4
	s_cbranch_vccnz .LBB111_79
; %bb.60:
	s_and_not1_b32 vcc_lo, exec_lo, s1
	s_mov_b32 s5, s30
	s_cbranch_vccnz .LBB111_66
; %bb.61:
	v_lshlrev_b32_e32 v9, 3, v0
	s_mul_i32 s1, s29, 0x208
	s_mov_b32 s4, s30
	s_addk_i32 s1, 0xf7e0
	s_delay_alu instid0(VALU_DEP_1) | instskip(NEXT) | instid1(VALU_DEP_1)
	v_lshl_or_b32 v1, s29, 9, v9
	v_add_nc_u32_e32 v10, 0x7800, v1
.LBB111_62:                             ; =>This Loop Header: Depth=1
                                        ;     Child Loop BB111_63 Depth 2
	s_lshl_b32 s5, s4, 6
	s_add_i32 s8, s4, -1
	v_or_b32_e32 v1, s5, v0
	s_add_i32 s9, s5, 0xffffff80
	s_addk_i32 s5, 0xff40
	v_or_b32_e32 v2, s9, v0
	v_or_b32_e32 v3, s5, v0
	v_lshlrev_b32_e32 v11, 3, v1
	v_lshl_or_b32 v12, s8, 9, v9
	v_mov_b32_e32 v15, v10
	v_lshlrev_b32_e32 v13, 3, v2
	v_lshlrev_b32_e32 v14, 3, v3
	ds_load_b64 v[7:8], v11 offset:32768
	ds_load_b64 v[5:6], v12 offset:32768
	;; [unrolled: 1-line block ×4, first 2 shown]
	s_cmp_le_i32 s30, s4
	s_mov_b32 s12, s1
	s_mov_b32 s13, s30
	s_cbranch_scc1 .LBB111_64
.LBB111_63:                             ;   Parent Loop BB111_62 Depth=1
                                        ; =>  This Inner Loop Header: Depth=2
	v_mov_b32_e32 v52, s12
	s_add_i32 s13, s13, -4
	s_sub_i32 s12, s12, 32
	s_cmp_le_i32 s13, s4
	ds_load_2addr_stride64_b64 v[16:19], v15 offset0:2 offset1:3
	ds_load_2addr_b64 v[20:23], v52 offset0:194 offset1:195
	ds_load_2addr_b64 v[24:27], v52 offset0:130 offset1:131
	;; [unrolled: 1-line block ×4, first 2 shown]
	ds_load_2addr_stride64_b64 v[36:39], v15 offset1:1
	ds_load_2addr_b64 v[40:43], v52 offset0:192 offset1:193
	ds_load_2addr_b64 v[44:47], v52 offset0:128 offset1:129
	;; [unrolled: 1-line block ×3, first 2 shown]
	ds_load_2addr_b64 v[52:55], v52 offset1:1
	v_add_nc_u32_e32 v15, 0xfffff800, v15
	s_waitcnt lgkmcnt(8)
	v_fma_f64 v[7:8], -v[18:19], v[22:23], v[7:8]
	s_waitcnt lgkmcnt(7)
	v_fma_f64 v[5:6], -v[18:19], v[26:27], v[5:6]
	;; [unrolled: 2-line block ×4, first 2 shown]
	s_delay_alu instid0(VALU_DEP_4) | instskip(NEXT) | instid1(VALU_DEP_4)
	v_fma_f64 v[7:8], -v[16:17], v[20:21], v[7:8]
	v_fma_f64 v[5:6], -v[16:17], v[24:25], v[5:6]
	s_delay_alu instid0(VALU_DEP_4) | instskip(NEXT) | instid1(VALU_DEP_4)
	v_fma_f64 v[3:4], -v[16:17], v[28:29], v[3:4]
	v_fma_f64 v[1:2], -v[16:17], v[32:33], v[1:2]
	s_waitcnt lgkmcnt(3)
	s_delay_alu instid0(VALU_DEP_4) | instskip(SKIP_1) | instid1(VALU_DEP_4)
	v_fma_f64 v[7:8], -v[38:39], v[42:43], v[7:8]
	s_waitcnt lgkmcnt(2)
	v_fma_f64 v[5:6], -v[38:39], v[46:47], v[5:6]
	s_waitcnt lgkmcnt(1)
	s_delay_alu instid0(VALU_DEP_4) | instskip(SKIP_1) | instid1(VALU_DEP_4)
	v_fma_f64 v[3:4], -v[38:39], v[50:51], v[3:4]
	s_waitcnt lgkmcnt(0)
	v_fma_f64 v[1:2], -v[38:39], v[54:55], v[1:2]
	s_delay_alu instid0(VALU_DEP_4) | instskip(NEXT) | instid1(VALU_DEP_4)
	v_fma_f64 v[7:8], -v[36:37], v[40:41], v[7:8]
	v_fma_f64 v[5:6], -v[36:37], v[44:45], v[5:6]
	s_delay_alu instid0(VALU_DEP_4) | instskip(NEXT) | instid1(VALU_DEP_4)
	v_fma_f64 v[3:4], -v[36:37], v[48:49], v[3:4]
	v_fma_f64 v[1:2], -v[36:37], v[52:53], v[1:2]
	s_cbranch_scc0 .LBB111_63
.LBB111_64:                             ;   in Loop: Header=BB111_62 Depth=1
	s_mul_i32 s12, s4, 0x208
	s_delay_alu instid0(SALU_CYCLE_1)
	v_dual_mov_b32 v15, s12 :: v_dual_add_nc_u32 v12, 0x8000, v12
	s_add_i32 s13, s12, 0xfffffdf8
	v_add_nc_u32_e32 v14, 0x8000, v14
	s_add_i32 s9, s9, s4
	s_add_i32 s5, s5, s8
	ds_load_b64 v[19:20], v15
	v_mov_b32_e32 v15, s13
	s_lshl_b32 s9, s9, 3
	s_lshl_b32 s5, s5, 3
	v_add_nc_u32_e32 v11, 0x8000, v11
	v_add_nc_u32_e32 v13, 0x8000, v13
	ds_load_2addr_b64 v[15:18], v15 offset1:1
	s_addk_i32 s1, 0xf800
	s_waitcnt lgkmcnt(1)
	v_div_scale_f64 v[21:22], null, v[19:20], v[19:20], v[7:8]
	v_div_scale_f64 v[27:28], vcc_lo, v[7:8], v[19:20], v[7:8]
	s_delay_alu instid0(VALU_DEP_2) | instskip(SKIP_2) | instid1(VALU_DEP_1)
	v_rcp_f64_e32 v[23:24], v[21:22]
	s_waitcnt_depctr 0xfff
	v_fma_f64 v[25:26], -v[21:22], v[23:24], 1.0
	v_fma_f64 v[23:24], v[23:24], v[25:26], v[23:24]
	s_delay_alu instid0(VALU_DEP_1) | instskip(NEXT) | instid1(VALU_DEP_1)
	v_fma_f64 v[25:26], -v[21:22], v[23:24], 1.0
	v_fma_f64 v[23:24], v[23:24], v[25:26], v[23:24]
	s_delay_alu instid0(VALU_DEP_1) | instskip(NEXT) | instid1(VALU_DEP_1)
	v_mul_f64 v[25:26], v[27:28], v[23:24]
	v_fma_f64 v[21:22], -v[21:22], v[25:26], v[27:28]
	s_delay_alu instid0(VALU_DEP_1) | instskip(NEXT) | instid1(VALU_DEP_1)
	v_div_fmas_f64 v[21:22], v[21:22], v[23:24], v[25:26]
	v_div_fixup_f64 v[23:24], v[21:22], v[19:20], v[7:8]
	s_waitcnt lgkmcnt(0)
	s_delay_alu instid0(VALU_DEP_1) | instskip(NEXT) | instid1(VALU_DEP_1)
	v_fma_f64 v[17:18], -v[23:24], v[17:18], v[5:6]
	v_div_scale_f64 v[5:6], null, v[15:16], v[15:16], v[17:18]
	v_div_scale_f64 v[21:22], vcc_lo, v[17:18], v[15:16], v[17:18]
	s_delay_alu instid0(VALU_DEP_2) | instskip(SKIP_2) | instid1(VALU_DEP_1)
	v_rcp_f64_e32 v[7:8], v[5:6]
	s_waitcnt_depctr 0xfff
	v_fma_f64 v[19:20], -v[5:6], v[7:8], 1.0
	v_fma_f64 v[7:8], v[7:8], v[19:20], v[7:8]
	s_delay_alu instid0(VALU_DEP_1) | instskip(NEXT) | instid1(VALU_DEP_1)
	v_fma_f64 v[19:20], -v[5:6], v[7:8], 1.0
	v_fma_f64 v[7:8], v[7:8], v[19:20], v[7:8]
	s_delay_alu instid0(VALU_DEP_1) | instskip(NEXT) | instid1(VALU_DEP_1)
	v_mul_f64 v[19:20], v[21:22], v[7:8]
	v_fma_f64 v[5:6], -v[5:6], v[19:20], v[21:22]
	s_delay_alu instid0(VALU_DEP_1)
	v_div_fmas_f64 v[19:20], v[5:6], v[7:8], v[19:20]
	v_mov_b32_e32 v5, s9
	s_add_i32 s9, s12, 0xfffffbf0
	ds_load_b64 v[21:22], v5
	v_mov_b32_e32 v5, s9
	ds_load_2addr_b64 v[5:8], v5 offset1:1
	s_waitcnt lgkmcnt(1)
	v_fma_f64 v[3:4], -v[23:24], v[21:22], v[3:4]
	v_div_fixup_f64 v[25:26], v[19:20], v[15:16], v[17:18]
	s_waitcnt lgkmcnt(0)
	s_delay_alu instid0(VALU_DEP_1) | instskip(NEXT) | instid1(VALU_DEP_1)
	v_fma_f64 v[3:4], -v[25:26], v[7:8], v[3:4]
	v_div_scale_f64 v[7:8], null, v[5:6], v[5:6], v[3:4]
	v_div_scale_f64 v[19:20], vcc_lo, v[3:4], v[5:6], v[3:4]
	s_delay_alu instid0(VALU_DEP_2) | instskip(SKIP_2) | instid1(VALU_DEP_1)
	v_rcp_f64_e32 v[15:16], v[7:8]
	s_waitcnt_depctr 0xfff
	v_fma_f64 v[17:18], -v[7:8], v[15:16], 1.0
	v_fma_f64 v[15:16], v[15:16], v[17:18], v[15:16]
	s_delay_alu instid0(VALU_DEP_1) | instskip(NEXT) | instid1(VALU_DEP_1)
	v_fma_f64 v[17:18], -v[7:8], v[15:16], 1.0
	v_fma_f64 v[27:28], v[15:16], v[17:18], v[15:16]
	v_mov_b32_e32 v15, s5
	s_add_i32 s5, s12, 0xfffff9e8
	ds_load_2addr_b64 v[15:18], v15 offset1:1
	v_mul_f64 v[29:30], v[19:20], v[27:28]
	s_delay_alu instid0(VALU_DEP_1)
	v_fma_f64 v[7:8], -v[7:8], v[29:30], v[19:20]
	v_mov_b32_e32 v19, s5
	s_add_i32 s5, s4, -4
	s_cmp_lt_i32 s4, 7
	ds_load_2addr_b64 v[19:22], v19 offset1:1
	s_waitcnt lgkmcnt(1)
	v_fma_f64 v[1:2], -v[23:24], v[17:18], v[1:2]
	v_div_fmas_f64 v[7:8], v[7:8], v[27:28], v[29:30]
	s_delay_alu instid0(VALU_DEP_2) | instskip(NEXT) | instid1(VALU_DEP_2)
	v_fma_f64 v[1:2], -v[25:26], v[15:16], v[1:2]
	v_div_fixup_f64 v[3:4], v[7:8], v[5:6], v[3:4]
	s_waitcnt lgkmcnt(0)
	s_delay_alu instid0(VALU_DEP_1) | instskip(NEXT) | instid1(VALU_DEP_1)
	v_fma_f64 v[1:2], -v[3:4], v[21:22], v[1:2]
	v_div_scale_f64 v[5:6], null, v[19:20], v[19:20], v[1:2]
	s_delay_alu instid0(VALU_DEP_1) | instskip(SKIP_2) | instid1(VALU_DEP_1)
	v_rcp_f64_e32 v[7:8], v[5:6]
	s_waitcnt_depctr 0xfff
	v_fma_f64 v[15:16], -v[5:6], v[7:8], 1.0
	v_fma_f64 v[7:8], v[7:8], v[15:16], v[7:8]
	s_delay_alu instid0(VALU_DEP_1) | instskip(NEXT) | instid1(VALU_DEP_1)
	v_fma_f64 v[15:16], -v[5:6], v[7:8], 1.0
	v_fma_f64 v[7:8], v[7:8], v[15:16], v[7:8]
	v_div_scale_f64 v[15:16], vcc_lo, v[1:2], v[19:20], v[1:2]
	s_delay_alu instid0(VALU_DEP_1) | instskip(NEXT) | instid1(VALU_DEP_1)
	v_mul_f64 v[17:18], v[15:16], v[7:8]
	v_fma_f64 v[5:6], -v[5:6], v[17:18], v[15:16]
	s_delay_alu instid0(VALU_DEP_1) | instskip(NEXT) | instid1(VALU_DEP_1)
	v_div_fmas_f64 v[5:6], v[5:6], v[7:8], v[17:18]
	v_div_fixup_f64 v[1:2], v[5:6], v[19:20], v[1:2]
	ds_store_b64 v11, v[23:24]
	ds_store_b64 v12, v[25:26]
	;; [unrolled: 1-line block ×4, first 2 shown]
	s_cbranch_scc1 .LBB111_66
; %bb.65:                               ;   in Loop: Header=BB111_62 Depth=1
	s_mov_b32 s4, s5
	s_branch .LBB111_62
.LBB111_66:
	s_cmp_lt_i32 s5, 0
	s_cbranch_scc1 .LBB111_79
; %bb.67:
	s_bitcmp1_b32 s5, 0
	s_cselect_b32 s1, -1, 0
	s_delay_alu instid0(SALU_CYCLE_1)
	s_and_b32 vcc_lo, exec_lo, s1
	s_mov_b32 s1, s5
	s_cbranch_vccnz .LBB111_72
; %bb.68:
	v_lshlrev_b32_e32 v4, 3, v0
	s_cmp_le_i32 s30, s5
	s_delay_alu instid0(VALU_DEP_1)
	v_lshl_or_b32 v3, s5, 9, v4
	ds_load_b64 v[1:2], v3 offset:32768
	s_cbranch_scc1 .LBB111_71
; %bb.69:
	v_lshl_or_b32 v4, s29, 9, v4
	s_lshl_b32 s1, s5, 9
	s_lshl_b32 s4, s29, 3
	s_delay_alu instid0(SALU_CYCLE_1) | instskip(NEXT) | instid1(VALU_DEP_1)
	s_add_i32 s1, s1, s4
	v_add_nc_u32_e32 v4, 0x7e00, v4
	s_add_i32 s1, s1, -8
	s_mov_b32 s4, s30
.LBB111_70:                             ; =>This Inner Loop Header: Depth=1
	v_mov_b32_e32 v7, s1
	s_add_i32 s4, s4, -1
	s_add_i32 s1, s1, -8
	s_cmp_gt_i32 s4, s5
	ds_load_b64 v[5:6], v4
	ds_load_b64 v[7:8], v7
	v_add_nc_u32_e32 v4, 0xfffffe00, v4
	s_waitcnt lgkmcnt(0)
	v_fma_f64 v[1:2], -v[5:6], v[7:8], v[1:2]
	s_cbranch_scc1 .LBB111_70
.LBB111_71:
	s_mul_i32 s1, s5, 0x208
	s_delay_alu instid0(SALU_CYCLE_1) | instskip(SKIP_4) | instid1(VALU_DEP_1)
	v_dual_mov_b32 v4, s1 :: v_dual_add_nc_u32 v3, 0x8000, v3
	s_add_i32 s1, s5, -1
	ds_load_b64 v[4:5], v4
	s_waitcnt lgkmcnt(0)
	v_div_scale_f64 v[6:7], null, v[4:5], v[4:5], v[1:2]
	v_rcp_f64_e32 v[8:9], v[6:7]
	s_waitcnt_depctr 0xfff
	v_fma_f64 v[10:11], -v[6:7], v[8:9], 1.0
	s_delay_alu instid0(VALU_DEP_1) | instskip(NEXT) | instid1(VALU_DEP_1)
	v_fma_f64 v[8:9], v[8:9], v[10:11], v[8:9]
	v_fma_f64 v[10:11], -v[6:7], v[8:9], 1.0
	s_delay_alu instid0(VALU_DEP_1) | instskip(SKIP_1) | instid1(VALU_DEP_1)
	v_fma_f64 v[8:9], v[8:9], v[10:11], v[8:9]
	v_div_scale_f64 v[10:11], vcc_lo, v[1:2], v[4:5], v[1:2]
	v_mul_f64 v[12:13], v[10:11], v[8:9]
	s_delay_alu instid0(VALU_DEP_1) | instskip(NEXT) | instid1(VALU_DEP_1)
	v_fma_f64 v[6:7], -v[6:7], v[12:13], v[10:11]
	v_div_fmas_f64 v[6:7], v[6:7], v[8:9], v[12:13]
	s_delay_alu instid0(VALU_DEP_1)
	v_div_fixup_f64 v[1:2], v[6:7], v[4:5], v[1:2]
	ds_store_b64 v3, v[1:2]
.LBB111_72:
	s_cmp_eq_u32 s5, 0
	s_cbranch_scc1 .LBB111_79
; %bb.73:
	v_lshlrev_b32_e32 v5, 3, v0
	s_lshl_b32 s4, s1, 9
	s_lshl_b32 s5, s29, 3
	s_delay_alu instid0(SALU_CYCLE_1) | instskip(NEXT) | instid1(VALU_DEP_1)
	s_add_i32 s5, s4, s5
	v_lshl_or_b32 v1, s29, 9, v5
	s_add_i32 s4, s5, -8
	s_addk_i32 s5, 0xfdf8
	s_delay_alu instid0(VALU_DEP_1)
	v_add_nc_u32_e32 v6, 0x7e00, v1
	s_branch .LBB111_75
.LBB111_74:                             ;   in Loop: Header=BB111_75 Depth=1
	s_addk_i32 s8, 0xfdf8
	s_delay_alu instid0(SALU_CYCLE_1)
	v_dual_mov_b32 v2, s8 :: v_dual_add_nc_u32 v1, 0x8000, v7
	s_add_i32 s8, s1, -2
	s_addk_i32 s4, 0xfc00
	s_addk_i32 s5, 0xfc00
	s_cmp_lt_i32 s1, 2
	ds_load_b64 v[7:8], v2
	s_mov_b32 s1, s8
	s_waitcnt lgkmcnt(0)
	v_div_scale_f64 v[9:10], null, v[7:8], v[7:8], v[3:4]
	s_delay_alu instid0(VALU_DEP_1) | instskip(SKIP_2) | instid1(VALU_DEP_1)
	v_rcp_f64_e32 v[11:12], v[9:10]
	s_waitcnt_depctr 0xfff
	v_fma_f64 v[13:14], -v[9:10], v[11:12], 1.0
	v_fma_f64 v[11:12], v[11:12], v[13:14], v[11:12]
	s_delay_alu instid0(VALU_DEP_1) | instskip(NEXT) | instid1(VALU_DEP_1)
	v_fma_f64 v[13:14], -v[9:10], v[11:12], 1.0
	v_fma_f64 v[11:12], v[11:12], v[13:14], v[11:12]
	v_div_scale_f64 v[13:14], vcc_lo, v[3:4], v[7:8], v[3:4]
	s_delay_alu instid0(VALU_DEP_1) | instskip(NEXT) | instid1(VALU_DEP_1)
	v_mul_f64 v[15:16], v[13:14], v[11:12]
	v_fma_f64 v[9:10], -v[9:10], v[15:16], v[13:14]
	s_delay_alu instid0(VALU_DEP_1) | instskip(NEXT) | instid1(VALU_DEP_1)
	v_div_fmas_f64 v[9:10], v[9:10], v[11:12], v[15:16]
	v_div_fixup_f64 v[2:3], v[9:10], v[7:8], v[3:4]
	ds_store_b64 v1, v[2:3]
	s_cbranch_scc1 .LBB111_79
.LBB111_75:                             ; =>This Loop Header: Depth=1
                                        ;     Child Loop BB111_76 Depth 2
                                        ;     Child Loop BB111_78 Depth 2
	v_lshl_or_b32 v3, s1, 9, v5
	s_delay_alu instid0(VALU_DEP_2)
	v_mov_b32_e32 v4, v6
	s_cmp_le_i32 s30, s1
	s_mov_b32 s8, s4
	s_mov_b32 s9, s30
	ds_load_b64 v[1:2], v3 offset:32768
	s_cbranch_scc1 .LBB111_77
.LBB111_76:                             ;   Parent Loop BB111_75 Depth=1
                                        ; =>  This Inner Loop Header: Depth=2
	v_mov_b32_e32 v9, s8
	s_add_i32 s9, s9, -1
	s_add_i32 s8, s8, -8
	s_cmp_le_i32 s9, s1
	ds_load_b64 v[7:8], v4
	ds_load_b64 v[9:10], v9
	v_add_nc_u32_e32 v4, 0xfffffe00, v4
	s_waitcnt lgkmcnt(0)
	v_fma_f64 v[1:2], -v[7:8], v[9:10], v[1:2]
	s_cbranch_scc0 .LBB111_76
.LBB111_77:                             ;   in Loop: Header=BB111_75 Depth=1
	s_mul_i32 s8, s1, 0x208
	s_delay_alu instid0(SALU_CYCLE_1)
	v_dual_mov_b32 v3, s8 :: v_dual_add_nc_u32 v8, 0x8000, v3
	s_lshl_b32 s9, s1, 9
	s_mov_b32 s12, s29
	s_addk_i32 s9, 0xfe00
	s_cmp_lt_i32 s30, s1
	ds_load_b64 v[9:10], v3
	v_lshl_or_b32 v7, v0, 3, s9
	s_mov_b32 s9, s5
	ds_load_b64 v[3:4], v7 offset:32768
	s_waitcnt lgkmcnt(1)
	v_div_scale_f64 v[11:12], null, v[9:10], v[9:10], v[1:2]
	s_delay_alu instid0(VALU_DEP_1) | instskip(SKIP_2) | instid1(VALU_DEP_1)
	v_rcp_f64_e32 v[13:14], v[11:12]
	s_waitcnt_depctr 0xfff
	v_fma_f64 v[15:16], -v[11:12], v[13:14], 1.0
	v_fma_f64 v[13:14], v[13:14], v[15:16], v[13:14]
	s_delay_alu instid0(VALU_DEP_1) | instskip(NEXT) | instid1(VALU_DEP_1)
	v_fma_f64 v[15:16], -v[11:12], v[13:14], 1.0
	v_fma_f64 v[13:14], v[13:14], v[15:16], v[13:14]
	v_div_scale_f64 v[15:16], vcc_lo, v[1:2], v[9:10], v[1:2]
	s_delay_alu instid0(VALU_DEP_1) | instskip(NEXT) | instid1(VALU_DEP_1)
	v_mul_f64 v[17:18], v[15:16], v[13:14]
	v_fma_f64 v[11:12], -v[11:12], v[17:18], v[15:16]
	s_delay_alu instid0(VALU_DEP_1) | instskip(NEXT) | instid1(VALU_DEP_1)
	v_div_fmas_f64 v[11:12], v[11:12], v[13:14], v[17:18]
	v_div_fixup_f64 v[9:10], v[11:12], v[9:10], v[1:2]
	v_mov_b32_e32 v1, v6
	ds_store_b64 v8, v[9:10]
	s_cbranch_scc1 .LBB111_74
.LBB111_78:                             ;   Parent Loop BB111_75 Depth=1
                                        ; =>  This Inner Loop Header: Depth=2
	v_mov_b32_e32 v2, s9
	s_add_i32 s12, s12, -1
	s_add_i32 s9, s9, -8
	s_cmp_gt_i32 s12, s1
	ds_load_b64 v[8:9], v1
	ds_load_b64 v[10:11], v2
	v_add_nc_u32_e32 v1, 0xfffffe00, v1
	s_waitcnt lgkmcnt(0)
	v_fma_f64 v[3:4], -v[8:9], v[10:11], v[3:4]
	s_cbranch_scc1 .LBB111_78
	s_branch .LBB111_74
.LBB111_79:
	s_mov_b32 s8, 0
.LBB111_80:
	s_delay_alu instid0(SALU_CYCLE_1)
	s_and_not1_b32 vcc_lo, exec_lo, s8
	s_cbranch_vccnz .LBB111_99
; %bb.81:
	s_cmp_lt_i32 s28, 4
	s_mov_b32 s5, 0
	s_cbranch_scc1 .LBB111_88
; %bb.82:
	v_lshl_or_b32 v9, v0, 3, 0x8000
	s_mov_b32 s1, 0
	s_mov_b32 s4, 0
.LBB111_83:                             ; =>This Loop Header: Depth=1
                                        ;     Child Loop BB111_85 Depth 2
	s_delay_alu instid0(SALU_CYCLE_1) | instskip(NEXT) | instid1(SALU_CYCLE_1)
	s_lshl_b32 s5, s4, 6
	s_or_b32 s9, s5, 64
	v_or_b32_e32 v1, s5, v0
	s_or_b32 s8, s5, 0x80
	v_or_b32_e32 v2, s9, v0
	;; [unrolled: 2-line block ×3, first 2 shown]
	v_or_b32_e32 v4, s5, v0
	v_lshlrev_b32_e32 v10, 3, v1
	v_lshlrev_b32_e32 v11, 3, v2
	s_cmp_eq_u32 s4, 0
	v_lshlrev_b32_e32 v12, 3, v3
	v_lshlrev_b32_e32 v13, 3, v4
	ds_load_b64 v[7:8], v10 offset:32768
	ds_load_b64 v[5:6], v11 offset:32768
	;; [unrolled: 1-line block ×4, first 2 shown]
	s_cbranch_scc1 .LBB111_86
; %bb.84:                               ;   in Loop: Header=BB111_83 Depth=1
	v_mov_b32_e32 v14, v9
	s_mov_b32 s12, 0
	s_mov_b32 s13, s1
.LBB111_85:                             ;   Parent Loop BB111_83 Depth=1
                                        ; =>  This Inner Loop Header: Depth=2
	s_delay_alu instid0(SALU_CYCLE_1)
	v_mov_b32_e32 v51, s13
	s_add_i32 s12, s12, 4
	s_add_i32 s13, s13, 32
	s_cmp_ge_u32 s12, s4
	ds_load_2addr_stride64_b64 v[15:18], v14 offset1:1
	ds_load_b128 v[19:22], v51
	ds_load_b128 v[23:26], v51 offset:512
	ds_load_b128 v[27:30], v51 offset:1024
	;; [unrolled: 1-line block ×3, first 2 shown]
	ds_load_2addr_stride64_b64 v[35:38], v14 offset0:2 offset1:3
	ds_load_b128 v[39:42], v51 offset:16
	ds_load_b128 v[43:46], v51 offset:528
	;; [unrolled: 1-line block ×4, first 2 shown]
	v_add_nc_u32_e32 v14, 0x800, v14
	s_waitcnt lgkmcnt(8)
	v_fma_f64 v[7:8], -v[15:16], v[19:20], v[7:8]
	s_waitcnt lgkmcnt(7)
	v_fma_f64 v[5:6], -v[15:16], v[23:24], v[5:6]
	;; [unrolled: 2-line block ×4, first 2 shown]
	s_delay_alu instid0(VALU_DEP_4) | instskip(NEXT) | instid1(VALU_DEP_4)
	v_fma_f64 v[7:8], -v[17:18], v[21:22], v[7:8]
	v_fma_f64 v[5:6], -v[17:18], v[25:26], v[5:6]
	s_delay_alu instid0(VALU_DEP_4) | instskip(NEXT) | instid1(VALU_DEP_4)
	v_fma_f64 v[3:4], -v[17:18], v[29:30], v[3:4]
	v_fma_f64 v[1:2], -v[17:18], v[33:34], v[1:2]
	s_waitcnt lgkmcnt(3)
	s_delay_alu instid0(VALU_DEP_4) | instskip(SKIP_1) | instid1(VALU_DEP_4)
	v_fma_f64 v[7:8], -v[35:36], v[39:40], v[7:8]
	s_waitcnt lgkmcnt(2)
	v_fma_f64 v[5:6], -v[35:36], v[43:44], v[5:6]
	s_waitcnt lgkmcnt(1)
	s_delay_alu instid0(VALU_DEP_4) | instskip(SKIP_1) | instid1(VALU_DEP_4)
	v_fma_f64 v[3:4], -v[35:36], v[47:48], v[3:4]
	s_waitcnt lgkmcnt(0)
	v_fma_f64 v[1:2], -v[35:36], v[51:52], v[1:2]
	s_delay_alu instid0(VALU_DEP_4) | instskip(NEXT) | instid1(VALU_DEP_4)
	v_fma_f64 v[7:8], -v[37:38], v[41:42], v[7:8]
	v_fma_f64 v[5:6], -v[37:38], v[45:46], v[5:6]
	s_delay_alu instid0(VALU_DEP_4) | instskip(NEXT) | instid1(VALU_DEP_4)
	v_fma_f64 v[3:4], -v[37:38], v[49:50], v[3:4]
	v_fma_f64 v[1:2], -v[37:38], v[53:54], v[1:2]
	s_cbranch_scc0 .LBB111_85
.LBB111_86:                             ;   in Loop: Header=BB111_83 Depth=1
	s_mul_i32 s12, s4, 0x208
	s_delay_alu instid0(SALU_CYCLE_1)
	v_dual_mov_b32 v14, s12 :: v_dual_add_nc_u32 v11, 0x8000, v11
	s_add_i32 s9, s9, s4
	s_add_i32 s8, s8, s4
	s_lshl_b32 s9, s9, 3
	v_add_nc_u32_e32 v13, 0x8000, v13
	ds_load_2addr_b64 v[14:17], v14 offset1:130
	s_lshl_b32 s8, s8, 3
	s_add_i32 s5, s5, s4
	v_add_nc_u32_e32 v10, 0x8000, v10
	s_lshl_b32 s5, s5, 3
	v_add_nc_u32_e32 v12, 0x8000, v12
	s_addk_i32 s1, 0x800
	s_waitcnt lgkmcnt(0)
	v_div_scale_f64 v[18:19], null, v[14:15], v[14:15], v[7:8]
	v_div_scale_f64 v[24:25], vcc_lo, v[7:8], v[14:15], v[7:8]
	s_delay_alu instid0(VALU_DEP_2) | instskip(SKIP_2) | instid1(VALU_DEP_1)
	v_rcp_f64_e32 v[20:21], v[18:19]
	s_waitcnt_depctr 0xfff
	v_fma_f64 v[22:23], -v[18:19], v[20:21], 1.0
	v_fma_f64 v[20:21], v[20:21], v[22:23], v[20:21]
	s_delay_alu instid0(VALU_DEP_1) | instskip(NEXT) | instid1(VALU_DEP_1)
	v_fma_f64 v[22:23], -v[18:19], v[20:21], 1.0
	v_fma_f64 v[20:21], v[20:21], v[22:23], v[20:21]
	s_delay_alu instid0(VALU_DEP_1) | instskip(NEXT) | instid1(VALU_DEP_1)
	v_mul_f64 v[22:23], v[24:25], v[20:21]
	v_fma_f64 v[18:19], -v[18:19], v[22:23], v[24:25]
	s_delay_alu instid0(VALU_DEP_1) | instskip(NEXT) | instid1(VALU_DEP_1)
	v_div_fmas_f64 v[18:19], v[18:19], v[20:21], v[22:23]
	v_div_fixup_f64 v[7:8], v[18:19], v[14:15], v[7:8]
	v_mov_b32_e32 v14, s9
	ds_load_b128 v[18:21], v14
	v_mov_b32_e32 v14, s8
	ds_load_b128 v[22:25], v14
	s_waitcnt lgkmcnt(1)
	v_fma_f64 v[5:6], -v[7:8], v[18:19], v[5:6]
	s_waitcnt lgkmcnt(0)
	v_fma_f64 v[3:4], -v[7:8], v[22:23], v[3:4]
	s_delay_alu instid0(VALU_DEP_2) | instskip(SKIP_1) | instid1(VALU_DEP_2)
	v_div_scale_f64 v[14:15], null, v[20:21], v[20:21], v[5:6]
	v_div_scale_f64 v[28:29], vcc_lo, v[5:6], v[20:21], v[5:6]
	v_rcp_f64_e32 v[18:19], v[14:15]
	s_waitcnt_depctr 0xfff
	v_fma_f64 v[26:27], -v[14:15], v[18:19], 1.0
	s_delay_alu instid0(VALU_DEP_1) | instskip(NEXT) | instid1(VALU_DEP_1)
	v_fma_f64 v[18:19], v[18:19], v[26:27], v[18:19]
	v_fma_f64 v[26:27], -v[14:15], v[18:19], 1.0
	s_delay_alu instid0(VALU_DEP_1) | instskip(NEXT) | instid1(VALU_DEP_1)
	v_fma_f64 v[18:19], v[18:19], v[26:27], v[18:19]
	v_mul_f64 v[26:27], v[28:29], v[18:19]
	s_delay_alu instid0(VALU_DEP_1) | instskip(NEXT) | instid1(VALU_DEP_1)
	v_fma_f64 v[14:15], -v[14:15], v[26:27], v[28:29]
	v_div_fmas_f64 v[14:15], v[14:15], v[18:19], v[26:27]
	s_delay_alu instid0(VALU_DEP_1) | instskip(NEXT) | instid1(VALU_DEP_1)
	v_div_fixup_f64 v[14:15], v[14:15], v[20:21], v[5:6]
	v_fma_f64 v[22:23], -v[14:15], v[24:25], v[3:4]
	s_delay_alu instid0(VALU_DEP_1) | instskip(SKIP_1) | instid1(VALU_DEP_2)
	v_div_scale_f64 v[3:4], null, v[16:17], v[16:17], v[22:23]
	v_div_scale_f64 v[20:21], vcc_lo, v[22:23], v[16:17], v[22:23]
	v_rcp_f64_e32 v[5:6], v[3:4]
	s_waitcnt_depctr 0xfff
	v_fma_f64 v[18:19], -v[3:4], v[5:6], 1.0
	s_delay_alu instid0(VALU_DEP_1) | instskip(NEXT) | instid1(VALU_DEP_1)
	v_fma_f64 v[5:6], v[5:6], v[18:19], v[5:6]
	v_fma_f64 v[18:19], -v[3:4], v[5:6], 1.0
	s_delay_alu instid0(VALU_DEP_1) | instskip(SKIP_3) | instid1(SALU_CYCLE_1)
	v_fma_f64 v[24:25], v[5:6], v[18:19], v[5:6]
	v_mov_b32_e32 v18, s5
	s_add_i32 s5, s4, 4
	s_add_i32 s4, s4, 7
	s_cmp_ge_i32 s4, s29
	s_delay_alu instid0(VALU_DEP_2) | instskip(NEXT) | instid1(VALU_DEP_1)
	v_mul_f64 v[26:27], v[20:21], v[24:25]
	v_fma_f64 v[28:29], -v[3:4], v[26:27], v[20:21]
	ds_load_b128 v[3:6], v18
	ds_load_b128 v[18:21], v18 offset:16
	s_waitcnt lgkmcnt(1)
	v_fma_f64 v[1:2], -v[7:8], v[3:4], v[1:2]
	v_div_fmas_f64 v[3:4], v[28:29], v[24:25], v[26:27]
	s_delay_alu instid0(VALU_DEP_2) | instskip(NEXT) | instid1(VALU_DEP_2)
	v_fma_f64 v[1:2], -v[14:15], v[5:6], v[1:2]
	v_div_fixup_f64 v[3:4], v[3:4], v[16:17], v[22:23]
	s_waitcnt lgkmcnt(0)
	s_delay_alu instid0(VALU_DEP_1) | instskip(NEXT) | instid1(VALU_DEP_1)
	v_fma_f64 v[1:2], -v[3:4], v[18:19], v[1:2]
	v_div_scale_f64 v[5:6], null, v[20:21], v[20:21], v[1:2]
	s_delay_alu instid0(VALU_DEP_1) | instskip(SKIP_2) | instid1(VALU_DEP_1)
	v_rcp_f64_e32 v[16:17], v[5:6]
	s_waitcnt_depctr 0xfff
	v_fma_f64 v[18:19], -v[5:6], v[16:17], 1.0
	v_fma_f64 v[16:17], v[16:17], v[18:19], v[16:17]
	s_delay_alu instid0(VALU_DEP_1) | instskip(NEXT) | instid1(VALU_DEP_1)
	v_fma_f64 v[18:19], -v[5:6], v[16:17], 1.0
	v_fma_f64 v[16:17], v[16:17], v[18:19], v[16:17]
	v_div_scale_f64 v[18:19], vcc_lo, v[1:2], v[20:21], v[1:2]
	s_delay_alu instid0(VALU_DEP_1) | instskip(NEXT) | instid1(VALU_DEP_1)
	v_mul_f64 v[22:23], v[18:19], v[16:17]
	v_fma_f64 v[5:6], -v[5:6], v[22:23], v[18:19]
	s_delay_alu instid0(VALU_DEP_1) | instskip(NEXT) | instid1(VALU_DEP_1)
	v_div_fmas_f64 v[5:6], v[5:6], v[16:17], v[22:23]
	v_div_fixup_f64 v[1:2], v[5:6], v[20:21], v[1:2]
	ds_store_b64 v10, v[7:8]
	ds_store_b64 v11, v[14:15]
	;; [unrolled: 1-line block ×4, first 2 shown]
	s_cbranch_scc1 .LBB111_88
; %bb.87:                               ;   in Loop: Header=BB111_83 Depth=1
	s_mov_b32 s4, s5
	s_branch .LBB111_83
.LBB111_88:
	s_cmp_ge_i32 s5, s29
	s_cbranch_scc1 .LBB111_99
; %bb.89:
	v_lshl_or_b32 v3, v0, 3, 0x8000
	v_lshlrev_b32_e32 v4, 3, v0
	s_add_i32 s1, s5, -1
	s_lshl_b32 s4, s5, 9
	s_mov_b32 s8, 0
	s_mov_b32 s9, s5
	s_branch .LBB111_91
.LBB111_90:                             ;   in Loop: Header=BB111_91 Depth=1
	s_mul_i32 s12, s5, 0x208
	s_delay_alu instid0(SALU_CYCLE_1)
	v_dual_mov_b32 v6, s12 :: v_dual_add_nc_u32 v5, 0x8000, v5
	s_add_i32 s5, s5, 1
	s_add_i32 s8, s8, 1
	s_addk_i32 s4, 0x200
	s_cmp_ge_i32 s5, s29
	ds_load_b64 v[6:7], v6
	s_waitcnt lgkmcnt(0)
	v_div_scale_f64 v[8:9], null, v[6:7], v[6:7], v[1:2]
	s_delay_alu instid0(VALU_DEP_1) | instskip(SKIP_2) | instid1(VALU_DEP_1)
	v_rcp_f64_e32 v[10:11], v[8:9]
	s_waitcnt_depctr 0xfff
	v_fma_f64 v[12:13], -v[8:9], v[10:11], 1.0
	v_fma_f64 v[10:11], v[10:11], v[12:13], v[10:11]
	s_delay_alu instid0(VALU_DEP_1) | instskip(NEXT) | instid1(VALU_DEP_1)
	v_fma_f64 v[12:13], -v[8:9], v[10:11], 1.0
	v_fma_f64 v[10:11], v[10:11], v[12:13], v[10:11]
	v_div_scale_f64 v[12:13], vcc_lo, v[1:2], v[6:7], v[1:2]
	s_delay_alu instid0(VALU_DEP_1) | instskip(NEXT) | instid1(VALU_DEP_1)
	v_mul_f64 v[14:15], v[12:13], v[10:11]
	v_fma_f64 v[8:9], -v[8:9], v[14:15], v[12:13]
	s_delay_alu instid0(VALU_DEP_1) | instskip(NEXT) | instid1(VALU_DEP_1)
	v_div_fmas_f64 v[8:9], v[8:9], v[10:11], v[14:15]
	v_div_fixup_f64 v[1:2], v[8:9], v[6:7], v[1:2]
	v_add_nc_u16 v6, s9, 1
	s_delay_alu instid0(VALU_DEP_1)
	v_readfirstlane_b32 s9, v6
	ds_store_b64 v5, v[1:2]
	s_cbranch_scc1 .LBB111_99
.LBB111_91:                             ; =>This Loop Header: Depth=1
                                        ;     Child Loop BB111_94 Depth 2
                                        ;     Child Loop BB111_98 Depth 2
	v_lshl_or_b32 v5, s5, 9, v4
	s_cmp_eq_u32 s5, 0
	ds_load_b64 v[1:2], v5 offset:32768
	s_cbranch_scc1 .LBB111_90
; %bb.92:                               ;   in Loop: Header=BB111_91 Depth=1
	s_add_i32 s12, s1, s8
	s_delay_alu instid0(SALU_CYCLE_1)
	s_cmp_lt_u32 s12, 7
	s_cbranch_scc1 .LBB111_96
; %bb.93:                               ;   in Loop: Header=BB111_91 Depth=1
	v_mov_b32_e32 v6, v3
	s_and_b32 s12, s5, -8
	s_mov_b32 s13, 0
	s_mov_b32 s14, s4
	s_set_inst_prefetch_distance 0x1
	.p2align	6
.LBB111_94:                             ;   Parent Loop BB111_91 Depth=1
                                        ; =>  This Inner Loop Header: Depth=2
	v_mov_b32_e32 v23, s14
	s_add_i32 s13, s13, 8
	s_add_i32 s14, s14, 64
	s_cmp_eq_u32 s12, s13
	ds_load_2addr_stride64_b64 v[7:10], v6 offset1:1
	ds_load_b128 v[11:14], v23
	ds_load_2addr_stride64_b64 v[15:18], v6 offset0:2 offset1:3
	ds_load_b128 v[19:22], v23 offset:16
	s_waitcnt lgkmcnt(2)
	v_fma_f64 v[1:2], -v[7:8], v[11:12], v[1:2]
	s_delay_alu instid0(VALU_DEP_1) | instskip(SKIP_1) | instid1(VALU_DEP_1)
	v_fma_f64 v[1:2], -v[9:10], v[13:14], v[1:2]
	s_waitcnt lgkmcnt(0)
	v_fma_f64 v[1:2], -v[15:16], v[19:20], v[1:2]
	s_delay_alu instid0(VALU_DEP_1)
	v_fma_f64 v[1:2], -v[17:18], v[21:22], v[1:2]
	ds_load_2addr_stride64_b64 v[7:10], v6 offset0:4 offset1:5
	ds_load_b128 v[11:14], v23 offset:32
	ds_load_2addr_stride64_b64 v[15:18], v6 offset0:6 offset1:7
	ds_load_b128 v[19:22], v23 offset:48
	v_add_nc_u32_e32 v6, 0x1000, v6
	s_waitcnt lgkmcnt(2)
	v_fma_f64 v[1:2], -v[7:8], v[11:12], v[1:2]
	s_delay_alu instid0(VALU_DEP_1) | instskip(SKIP_1) | instid1(VALU_DEP_1)
	v_fma_f64 v[1:2], -v[9:10], v[13:14], v[1:2]
	s_waitcnt lgkmcnt(0)
	v_fma_f64 v[1:2], -v[15:16], v[19:20], v[1:2]
	s_delay_alu instid0(VALU_DEP_1)
	v_fma_f64 v[1:2], -v[17:18], v[21:22], v[1:2]
	s_cbranch_scc0 .LBB111_94
; %bb.95:                               ;   in Loop: Header=BB111_91 Depth=1
	s_set_inst_prefetch_distance 0x2
	s_and_b32 s13, s5, 7
	s_delay_alu instid0(SALU_CYCLE_1)
	s_cmp_eq_u32 s13, 0
	s_cbranch_scc0 .LBB111_97
	s_branch .LBB111_90
.LBB111_96:                             ;   in Loop: Header=BB111_91 Depth=1
	s_mov_b32 s12, 0
	s_and_b32 s13, s5, 7
	s_delay_alu instid0(SALU_CYCLE_1)
	s_cmp_eq_u32 s13, 0
	s_cbranch_scc1 .LBB111_90
.LBB111_97:                             ;   in Loop: Header=BB111_91 Depth=1
	v_lshl_add_u32 v6, s12, 9, v3
	s_and_b32 s13, s9, 7
	s_lshl_b32 s12, s12, 3
.LBB111_98:                             ;   Parent Loop BB111_91 Depth=1
                                        ; =>  This Inner Loop Header: Depth=2
	s_delay_alu instid0(SALU_CYCLE_1)
	s_add_i32 s14, s4, s12
	s_add_i32 s13, s13, -1
	v_mov_b32_e32 v9, s14
	s_add_i32 s12, s12, 8
	s_cmp_lg_u32 s13, 0
	ds_load_b64 v[7:8], v6
	ds_load_b64 v[9:10], v9
	v_add_nc_u32_e32 v6, 0x200, v6
	s_waitcnt lgkmcnt(0)
	v_fma_f64 v[1:2], -v[7:8], v[9:10], v[1:2]
	s_cbranch_scc1 .LBB111_98
	s_branch .LBB111_90
.LBB111_99:
	s_and_saveexec_b32 s1, s20
	s_cbranch_execz .LBB111_106
; %bb.100:
	v_lshlrev_b32_e32 v3, 3, v0
	s_ashr_i32 s1, s0, 31
	s_cmp_lt_u32 s28, 4
	s_mov_b32 s14, 0
	s_cbranch_scc1 .LBB111_103
; %bb.101:
	v_add_co_u32 v1, s4, s18, v3
	s_delay_alu instid0(VALU_DEP_1)
	v_add_co_ci_u32_e64 v2, null, s19, 0, s4
	v_lshl_or_b32 v0, v0, 3, 0x8000
	s_and_b32 s14, s28, 0x7ffffffc
	s_mul_hi_i32 s15, s0, 24
	s_mul_i32 s16, s0, 24
	s_lshl_b64 s[4:5], s[0:1], 5
	s_lshl_b64 s[8:9], s[0:1], 4
	;; [unrolled: 1-line block ×3, first 2 shown]
	s_mov_b32 s17, 0
	.p2align	6
.LBB111_102:                            ; =>This Inner Loop Header: Depth=1
	ds_load_2addr_stride64_b64 v[4:7], v0 offset1:1
	ds_load_2addr_stride64_b64 v[8:11], v0 offset0:2 offset1:3
	v_add_co_u32 v12, vcc_lo, v1, s12
	v_add_co_ci_u32_e32 v13, vcc_lo, s13, v2, vcc_lo
	v_add_co_u32 v14, vcc_lo, v1, s8
	v_add_co_ci_u32_e32 v15, vcc_lo, s9, v2, vcc_lo
	;; [unrolled: 2-line block ×3, first 2 shown]
	v_add_nc_u32_e32 v0, 0x800, v0
	s_add_i32 s17, s17, 4
	s_delay_alu instid0(SALU_CYCLE_1)
	s_cmp_lg_u32 s14, s17
	s_waitcnt lgkmcnt(1)
	global_store_b64 v[1:2], v[4:5], off
	v_add_co_u32 v1, vcc_lo, v1, s4
	v_add_co_ci_u32_e32 v2, vcc_lo, s5, v2, vcc_lo
	global_store_b64 v[12:13], v[6:7], off
	s_waitcnt lgkmcnt(0)
	s_clause 0x1
	global_store_b64 v[14:15], v[8:9], off
	global_store_b64 v[16:17], v[10:11], off
	s_cbranch_scc1 .LBB111_102
.LBB111_103:
	s_and_b32 s4, s28, 3
	s_delay_alu instid0(SALU_CYCLE_1)
	s_cmp_eq_u32 s4, 0
	s_cbranch_scc1 .LBB111_106
; %bb.104:
	s_mul_hi_i32 s9, s0, s14
	s_mul_i32 s8, s0, s14
	v_lshl_or_b32 v2, s14, 9, v3
	s_lshl_b64 s[8:9], s[8:9], 3
	s_delay_alu instid0(SALU_CYCLE_1)
	s_add_u32 s5, s8, s6
	s_addc_u32 s6, s9, s7
	s_add_u32 s5, s5, s10
	s_addc_u32 s6, s6, s11
	;; [unrolled: 2-line block ×3, first 2 shown]
	v_add_co_u32 v0, s2, s2, v3
	s_delay_alu instid0(VALU_DEP_1)
	v_add_co_ci_u32_e64 v1, null, s3, 0, s2
	v_add_nc_u32_e32 v2, 0x8000, v2
	s_lshl_b64 s[0:1], s[0:1], 3
.LBB111_105:                            ; =>This Inner Loop Header: Depth=1
	ds_load_b64 v[3:4], v2
	v_add_nc_u32_e32 v2, 0x200, v2
	s_add_i32 s4, s4, -1
	s_delay_alu instid0(SALU_CYCLE_1)
	s_cmp_lg_u32 s4, 0
	s_waitcnt lgkmcnt(0)
	global_store_b64 v[0:1], v[3:4], off
	v_add_co_u32 v0, vcc_lo, v0, s0
	v_add_co_ci_u32_e32 v1, vcc_lo, s1, v1, vcc_lo
	s_cbranch_scc1 .LBB111_105
.LBB111_106:
	s_nop 0
	s_sendmsg sendmsg(MSG_DEALLOC_VGPRS)
	s_endpgm
	.section	.rodata,"a",@progbits
	.p2align	6, 0x0
	.amdhsa_kernel _ZL31rocblas_trsm_small_right_deviceIddPKPKdPKPdLi64EEv13rocblas_fill_18rocblas_operation_17rocblas_diagonal_iiT0_T1_lilT2_lili
		.amdhsa_group_segment_fixed_size 65536
		.amdhsa_private_segment_fixed_size 0
		.amdhsa_kernarg_size 360
		.amdhsa_user_sgpr_count 14
		.amdhsa_user_sgpr_dispatch_ptr 0
		.amdhsa_user_sgpr_queue_ptr 0
		.amdhsa_user_sgpr_kernarg_segment_ptr 1
		.amdhsa_user_sgpr_dispatch_id 0
		.amdhsa_user_sgpr_private_segment_size 0
		.amdhsa_wavefront_size32 1
		.amdhsa_uses_dynamic_stack 0
		.amdhsa_enable_private_segment 0
		.amdhsa_system_sgpr_workgroup_id_x 1
		.amdhsa_system_sgpr_workgroup_id_y 0
		.amdhsa_system_sgpr_workgroup_id_z 1
		.amdhsa_system_sgpr_workgroup_info 0
		.amdhsa_system_vgpr_workitem_id 0
		.amdhsa_next_free_vgpr 56
		.amdhsa_next_free_sgpr 34
		.amdhsa_reserve_vcc 1
		.amdhsa_float_round_mode_32 0
		.amdhsa_float_round_mode_16_64 0
		.amdhsa_float_denorm_mode_32 3
		.amdhsa_float_denorm_mode_16_64 3
		.amdhsa_dx10_clamp 1
		.amdhsa_ieee_mode 1
		.amdhsa_fp16_overflow 0
		.amdhsa_workgroup_processor_mode 1
		.amdhsa_memory_ordered 1
		.amdhsa_forward_progress 0
		.amdhsa_shared_vgpr_count 0
		.amdhsa_exception_fp_ieee_invalid_op 0
		.amdhsa_exception_fp_denorm_src 0
		.amdhsa_exception_fp_ieee_div_zero 0
		.amdhsa_exception_fp_ieee_overflow 0
		.amdhsa_exception_fp_ieee_underflow 0
		.amdhsa_exception_fp_ieee_inexact 0
		.amdhsa_exception_int_div_zero 0
	.end_amdhsa_kernel
	.section	.text._ZL31rocblas_trsm_small_right_deviceIddPKPKdPKPdLi64EEv13rocblas_fill_18rocblas_operation_17rocblas_diagonal_iiT0_T1_lilT2_lili,"axG",@progbits,_ZL31rocblas_trsm_small_right_deviceIddPKPKdPKPdLi64EEv13rocblas_fill_18rocblas_operation_17rocblas_diagonal_iiT0_T1_lilT2_lili,comdat
.Lfunc_end111:
	.size	_ZL31rocblas_trsm_small_right_deviceIddPKPKdPKPdLi64EEv13rocblas_fill_18rocblas_operation_17rocblas_diagonal_iiT0_T1_lilT2_lili, .Lfunc_end111-_ZL31rocblas_trsm_small_right_deviceIddPKPKdPKPdLi64EEv13rocblas_fill_18rocblas_operation_17rocblas_diagonal_iiT0_T1_lilT2_lili
                                        ; -- End function
	.section	.AMDGPU.csdata,"",@progbits
; Kernel info:
; codeLenInByte = 9076
; NumSgprs: 36
; NumVgprs: 56
; ScratchSize: 0
; MemoryBound: 0
; FloatMode: 240
; IeeeMode: 1
; LDSByteSize: 65536 bytes/workgroup (compile time only)
; SGPRBlocks: 4
; VGPRBlocks: 6
; NumSGPRsForWavesPerEU: 36
; NumVGPRsForWavesPerEU: 56
; Occupancy: 1
; WaveLimiterHint : 0
; COMPUTE_PGM_RSRC2:SCRATCH_EN: 0
; COMPUTE_PGM_RSRC2:USER_SGPR: 14
; COMPUTE_PGM_RSRC2:TRAP_HANDLER: 0
; COMPUTE_PGM_RSRC2:TGID_X_EN: 1
; COMPUTE_PGM_RSRC2:TGID_Y_EN: 0
; COMPUTE_PGM_RSRC2:TGID_Z_EN: 1
; COMPUTE_PGM_RSRC2:TIDIG_COMP_CNT: 0
	.section	.text._ZL39rocblas_trsm_block_forward_substitutionIddPKPKdPKPdLb0ELb0ELb0EEv18rocblas_operation_llT0_T1_lllT2_lllib,"axG",@progbits,_ZL39rocblas_trsm_block_forward_substitutionIddPKPKdPKPdLb0ELb0ELb0EEv18rocblas_operation_llT0_T1_lllT2_lllib,comdat
	.globl	_ZL39rocblas_trsm_block_forward_substitutionIddPKPKdPKPdLb0ELb0ELb0EEv18rocblas_operation_llT0_T1_lllT2_lllib ; -- Begin function _ZL39rocblas_trsm_block_forward_substitutionIddPKPKdPKPdLb0ELb0ELb0EEv18rocblas_operation_llT0_T1_lllT2_lllib
	.p2align	8
	.type	_ZL39rocblas_trsm_block_forward_substitutionIddPKPKdPKPdLb0ELb0ELb0EEv18rocblas_operation_llT0_T1_lllT2_lllib,@function
_ZL39rocblas_trsm_block_forward_substitutionIddPKPKdPKPdLb0ELb0ELb0EEv18rocblas_operation_llT0_T1_lllT2_lllib: ; @_ZL39rocblas_trsm_block_forward_substitutionIddPKPKdPKPdLb0ELb0ELb0EEv18rocblas_operation_llT0_T1_lllT2_lllib
; %bb.0:
	s_mov_b32 s12, s15
	s_clause 0x2
	s_load_b32 s15, s[0:1], 0x64
	s_load_b256 s[4:11], s[0:1], 0x8
	s_load_b32 s3, s[0:1], 0x74
	s_mov_b32 s13, 0
	v_and_b32_e32 v1, 0x3ff, v0
	v_bfe_u32 v0, v0, 10, 10
	s_waitcnt lgkmcnt(0)
	s_bitcmp1_b32 s15, 0
	s_cselect_b32 s2, -1, 0
	s_lshl_b64 s[12:13], s[12:13], 3
	s_delay_alu instid0(SALU_CYCLE_1)
	s_add_u32 s10, s10, s12
	s_addc_u32 s11, s11, s13
	s_load_b128 s[16:19], s[0:1], 0x28
	s_load_b64 s[10:11], s[10:11], 0x0
	s_load_b128 s[20:23], s[0:1], 0x40
	s_waitcnt lgkmcnt(0)
	s_lshl_b64 s[16:17], s[16:17], 3
	s_delay_alu instid0(SALU_CYCLE_1)
	s_add_u32 s10, s10, s16
	s_addc_u32 s11, s11, s17
	s_add_u32 s12, s20, s12
	s_addc_u32 s13, s21, s13
	s_load_b64 s[16:17], s[0:1], 0x50
	s_load_b64 s[12:13], s[12:13], 0x0
	s_add_u32 s20, s0, 0x68
	s_addc_u32 s21, s1, 0
	s_lshr_b32 s3, s3, 16
	s_bitcmp0_b32 s15, 0
	s_cbranch_scc1 .LBB112_13
; %bb.1:
	v_cmp_lt_i64_e64 s0, s[4:5], 1
	s_lshl_b32 s1, s3, 3
	s_delay_alu instid0(SALU_CYCLE_1) | instskip(NEXT) | instid1(VALU_DEP_1)
	s_add_i32 s24, s1, 0
	s_and_b32 vcc_lo, exec_lo, s0
	s_cbranch_vccnz .LBB112_12
; %bb.2:
	v_mad_u64_u32 v[3:4], null, v1, s18, 0
	v_mov_b32_e32 v9, v0
	s_delay_alu instid0(VALU_DEP_2) | instskip(NEXT) | instid1(VALU_DEP_1)
	v_mov_b32_e32 v2, v4
	v_mad_u64_u32 v[4:5], null, v1, s19, v[2:3]
	v_dual_mov_b32 v2, 0 :: v_dual_lshlrev_b32 v5, 3, v1
	s_delay_alu instid0(VALU_DEP_1) | instskip(NEXT) | instid1(VALU_DEP_3)
	v_add_co_u32 v7, s0, s10, v5
	v_lshlrev_b64 v[3:4], 3, v[3:4]
	v_add_co_ci_u32_e64 v8, null, s11, 0, s0
	s_delay_alu instid0(VALU_DEP_4) | instskip(SKIP_1) | instid1(VALU_DEP_4)
	v_cmp_le_u64_e32 vcc_lo, s[4:5], v[1:2]
	v_add_nc_u32_e32 v6, s24, v5
	v_add_co_u32 v2, s0, v7, v3
	s_delay_alu instid0(VALU_DEP_1)
	v_add_co_ci_u32_e64 v3, s0, v8, v4, s0
	s_xor_b32 s10, vcc_lo, -1
	s_mov_b32 s0, s3
	s_branch .LBB112_4
.LBB112_3:                              ;   in Loop: Header=BB112_4 Depth=1
	s_or_b32 exec_lo, exec_lo, s11
	s_ashr_i32 s1, s0, 31
	v_add_nc_u32_e32 v9, s3, v9
	v_cmp_ge_i64_e64 s1, s[0:1], s[4:5]
	s_add_i32 s0, s0, s3
	s_delay_alu instid0(VALU_DEP_1)
	s_and_b32 vcc_lo, exec_lo, s1
	s_cbranch_vccnz .LBB112_12
.LBB112_4:                              ; =>This Inner Loop Header: Depth=1
	v_cmp_gt_i32_e32 vcc_lo, v1, v9
	s_mov_b32 s1, 0
                                        ; implicit-def: $vgpr4_vgpr5
	s_and_b32 s11, s10, vcc_lo
	s_delay_alu instid0(SALU_CYCLE_1) | instskip(NEXT) | instid1(SALU_CYCLE_1)
	s_and_saveexec_b32 s15, s11
	s_xor_b32 s11, exec_lo, s15
	s_cbranch_execnz .LBB112_7
; %bb.5:                                ;   in Loop: Header=BB112_4 Depth=1
	s_or_saveexec_b32 s11, s11
	v_mov_b32_e32 v10, v9
	s_xor_b32 exec_lo, exec_lo, s11
	s_cbranch_execnz .LBB112_8
.LBB112_6:                              ;   in Loop: Header=BB112_4 Depth=1
	s_or_b32 exec_lo, exec_lo, s11
	s_and_saveexec_b32 s11, s1
	s_cbranch_execz .LBB112_3
	s_branch .LBB112_11
.LBB112_7:                              ;   in Loop: Header=BB112_4 Depth=1
	v_ashrrev_i32_e32 v10, 31, v9
	v_mul_lo_u32 v11, v9, s19
	s_waitcnt vmcnt(0)
	v_mad_u64_u32 v[4:5], null, v9, s18, 0
	s_mov_b32 s1, exec_lo
	v_mul_lo_u32 v10, v10, s18
	s_delay_alu instid0(VALU_DEP_1) | instskip(NEXT) | instid1(VALU_DEP_1)
	v_add3_u32 v5, v5, v11, v10
	v_lshlrev_b64 v[4:5], 3, v[4:5]
	s_delay_alu instid0(VALU_DEP_1) | instskip(NEXT) | instid1(VALU_DEP_2)
	v_add_co_u32 v4, vcc_lo, v7, v4
	v_add_co_ci_u32_e32 v5, vcc_lo, v8, v5, vcc_lo
	global_load_b64 v[4:5], v[4:5], off
	s_or_saveexec_b32 s11, s11
	v_mov_b32_e32 v10, v9
	s_xor_b32 exec_lo, exec_lo, s11
	s_cbranch_execz .LBB112_6
.LBB112_8:                              ;   in Loop: Header=BB112_4 Depth=1
	v_cmp_eq_u32_e32 vcc_lo, v1, v9
	s_mov_b32 s25, s1
                                        ; implicit-def: $vgpr4_vgpr5
	s_and_b32 s26, s10, vcc_lo
	s_delay_alu instid0(SALU_CYCLE_1)
	s_and_saveexec_b32 s15, s26
	s_cbranch_execz .LBB112_10
; %bb.9:                                ;   in Loop: Header=BB112_4 Depth=1
	global_load_b64 v[4:5], v[2:3], off
	s_or_b32 s25, s1, exec_lo
	s_waitcnt vmcnt(0)
	v_div_scale_f64 v[10:11], null, v[4:5], v[4:5], 1.0
	s_delay_alu instid0(VALU_DEP_1) | instskip(SKIP_2) | instid1(VALU_DEP_1)
	v_rcp_f64_e32 v[12:13], v[10:11]
	s_waitcnt_depctr 0xfff
	v_fma_f64 v[14:15], -v[10:11], v[12:13], 1.0
	v_fma_f64 v[12:13], v[12:13], v[14:15], v[12:13]
	s_delay_alu instid0(VALU_DEP_1) | instskip(NEXT) | instid1(VALU_DEP_1)
	v_fma_f64 v[14:15], -v[10:11], v[12:13], 1.0
	v_fma_f64 v[12:13], v[12:13], v[14:15], v[12:13]
	v_div_scale_f64 v[14:15], vcc_lo, 1.0, v[4:5], 1.0
	s_delay_alu instid0(VALU_DEP_1) | instskip(NEXT) | instid1(VALU_DEP_1)
	v_mul_f64 v[16:17], v[14:15], v[12:13]
	v_fma_f64 v[10:11], -v[10:11], v[16:17], v[14:15]
	s_delay_alu instid0(VALU_DEP_1) | instskip(NEXT) | instid1(VALU_DEP_1)
	v_div_fmas_f64 v[10:11], v[10:11], v[12:13], v[16:17]
	v_div_fixup_f64 v[4:5], v[10:11], v[4:5], 1.0
.LBB112_10:                             ;   in Loop: Header=BB112_4 Depth=1
	s_or_b32 exec_lo, exec_lo, s15
	v_mov_b32_e32 v10, v1
	s_and_not1_b32 s1, s1, exec_lo
	s_and_b32 s15, s25, exec_lo
	s_delay_alu instid0(SALU_CYCLE_1)
	s_or_b32 s1, s1, s15
	s_or_b32 exec_lo, exec_lo, s11
	s_and_saveexec_b32 s11, s1
	s_cbranch_execz .LBB112_3
.LBB112_11:                             ;   in Loop: Header=BB112_4 Depth=1
	s_load_b32 s1, s[20:21], 0xc
	s_waitcnt lgkmcnt(0)
	s_and_b32 s1, s1, 0xffff
	s_delay_alu instid0(SALU_CYCLE_1) | instskip(NEXT) | instid1(VALU_DEP_1)
	v_mul_lo_u32 v10, v10, s1
	v_lshl_add_u32 v10, v10, 3, v6
	s_waitcnt vmcnt(0)
	ds_store_b64 v10, v[4:5]
	s_branch .LBB112_3
.LBB112_12:
	s_load_b32 s10, s[20:21], 0xc
	s_mov_b64 s[0:1], src_shared_base
	s_mov_b32 s19, 0
	s_mov_b32 s25, s1
	s_waitcnt lgkmcnt(0)
	s_and_b32 s18, s10, 0xffff
	s_mov_b64 s[10:11], s[24:25]
.LBB112_13:
	s_waitcnt vmcnt(0)
	v_mad_u64_u32 v[3:4], null, s14, s3, v[0:1]
	v_mov_b32_e32 v4, 0
	s_mov_b32 s0, exec_lo
	s_delay_alu instid0(VALU_DEP_1)
	v_cmpx_gt_i64_e64 s[6:7], v[3:4]
	s_cbranch_execz .LBB112_25
; %bb.14:
	v_mov_b32_e32 v2, v4
	s_delay_alu instid0(VALU_DEP_1)
	v_cmp_gt_i64_e32 vcc_lo, s[4:5], v[1:2]
	s_and_b32 exec_lo, exec_lo, vcc_lo
	s_cbranch_execz .LBB112_25
; %bb.15:
	s_waitcnt lgkmcnt(0)
	v_mad_u64_u32 v[4:5], null, v3, s16, 0
	s_lshl_b64 s[0:1], s[22:23], 3
	v_lshlrev_b32_e32 v9, 3, v1
	s_add_u32 s0, s12, s0
	s_addc_u32 s1, s13, s1
	v_cmp_lt_u64_e64 s3, s[4:5], 2
	s_delay_alu instid0(VALU_DEP_3) | instskip(NEXT) | instid1(VALU_DEP_1)
	v_mad_u64_u32 v[6:7], null, v3, s17, v[5:6]
	v_mov_b32_e32 v5, v6
	s_delay_alu instid0(VALU_DEP_1) | instskip(NEXT) | instid1(VALU_DEP_1)
	v_lshlrev_b64 v[3:4], 3, v[4:5]
	v_add_co_u32 v3, vcc_lo, s0, v3
	s_delay_alu instid0(VALU_DEP_2) | instskip(SKIP_1) | instid1(VALU_DEP_2)
	v_add_co_ci_u32_e32 v4, vcc_lo, s1, v4, vcc_lo
	s_add_u32 s0, s4, -1
	v_add_co_u32 v3, vcc_lo, v3, v9
	s_delay_alu instid0(VALU_DEP_2)
	v_add_co_ci_u32_e32 v4, vcc_lo, 0, v4, vcc_lo
	s_addc_u32 s1, s5, -1
	s_and_b32 vcc_lo, exec_lo, s3
	global_load_b64 v[5:6], v[3:4], off
	s_waitcnt vmcnt(0)
	v_mul_f64 v[5:6], v[5:6], s[8:9]
	s_cbranch_vccnz .LBB112_22
; %bb.16:
	v_mad_u64_u32 v[7:8], null, v1, s18, v[1:2]
	v_lshl_add_u32 v0, v0, 3, 0
	s_lshl_b64 s[4:5], s[18:19], 3
	s_mov_b64 s[6:7], 0
	s_delay_alu instid0(VALU_DEP_2) | instskip(SKIP_1) | instid1(VALU_DEP_2)
	v_mad_u64_u32 v[10:11], null, v1, s19, v[8:9]
	v_add_co_u32 v9, s3, s10, v9
	v_mov_b32_e32 v8, v10
	v_add_co_ci_u32_e64 v10, null, s11, 0, s3
	s_delay_alu instid0(VALU_DEP_2) | instskip(NEXT) | instid1(VALU_DEP_1)
	v_lshlrev_b64 v[7:8], 3, v[7:8]
	v_add_co_u32 v7, vcc_lo, s10, v7
	s_delay_alu instid0(VALU_DEP_2)
	v_add_co_ci_u32_e32 v8, vcc_lo, s11, v8, vcc_lo
	s_branch .LBB112_18
.LBB112_17:                             ;   in Loop: Header=BB112_18 Depth=1
	s_or_b32 exec_lo, exec_lo, s3
	v_add_co_u32 v9, vcc_lo, v9, s4
	s_add_u32 s6, s6, 1
	v_add_co_ci_u32_e32 v10, vcc_lo, s5, v10, vcc_lo
	s_addc_u32 s7, s7, 0
	s_delay_alu instid0(SALU_CYCLE_1)
	s_cmp_eq_u64 s[0:1], s[6:7]
	s_cbranch_scc1 .LBB112_22
.LBB112_18:                             ; =>This Inner Loop Header: Depth=1
	s_mov_b32 s3, exec_lo
	s_barrier
	buffer_gl0_inv
	v_cmpx_eq_u64_e64 s[6:7], v[1:2]
	s_cbranch_execz .LBB112_20
; %bb.19:                               ;   in Loop: Header=BB112_18 Depth=1
	flat_load_b64 v[11:12], v[7:8]
	s_waitcnt vmcnt(0) lgkmcnt(0)
	v_div_scale_f64 v[13:14], null, v[11:12], v[11:12], 1.0
	v_div_scale_f64 v[19:20], vcc_lo, 1.0, v[11:12], 1.0
	s_delay_alu instid0(VALU_DEP_2) | instskip(SKIP_2) | instid1(VALU_DEP_1)
	v_rcp_f64_e32 v[15:16], v[13:14]
	s_waitcnt_depctr 0xfff
	v_fma_f64 v[17:18], -v[13:14], v[15:16], 1.0
	v_fma_f64 v[15:16], v[15:16], v[17:18], v[15:16]
	s_delay_alu instid0(VALU_DEP_1) | instskip(NEXT) | instid1(VALU_DEP_1)
	v_fma_f64 v[17:18], -v[13:14], v[15:16], 1.0
	v_fma_f64 v[15:16], v[15:16], v[17:18], v[15:16]
	s_delay_alu instid0(VALU_DEP_1) | instskip(NEXT) | instid1(VALU_DEP_1)
	v_mul_f64 v[17:18], v[19:20], v[15:16]
	v_fma_f64 v[13:14], -v[13:14], v[17:18], v[19:20]
	s_delay_alu instid0(VALU_DEP_1) | instskip(NEXT) | instid1(VALU_DEP_1)
	v_div_fmas_f64 v[13:14], v[13:14], v[15:16], v[17:18]
	v_div_fixup_f64 v[13:14], v[13:14], v[11:12], 1.0
	s_delay_alu instid0(VALU_DEP_1) | instskip(NEXT) | instid1(VALU_DEP_2)
	v_cndmask_b32_e64 v12, v14, v12, s2
	v_cndmask_b32_e64 v11, v13, v11, s2
	s_delay_alu instid0(VALU_DEP_1)
	v_mul_f64 v[5:6], v[5:6], v[11:12]
	ds_store_b64 v0, v[5:6]
.LBB112_20:                             ;   in Loop: Header=BB112_18 Depth=1
	s_or_b32 exec_lo, exec_lo, s3
	s_delay_alu instid0(SALU_CYCLE_1)
	s_mov_b32 s3, exec_lo
	s_waitcnt lgkmcnt(0)
	s_barrier
	buffer_gl0_inv
	v_cmpx_lt_u64_e64 s[6:7], v[1:2]
	s_cbranch_execz .LBB112_17
; %bb.21:                               ;   in Loop: Header=BB112_18 Depth=1
	flat_load_b64 v[11:12], v[9:10]
	ds_load_b64 v[13:14], v0
	s_waitcnt vmcnt(0) lgkmcnt(0)
	v_fma_f64 v[5:6], -v[11:12], v[13:14], v[5:6]
	s_branch .LBB112_17
.LBB112_22:
	v_cmp_eq_u64_e32 vcc_lo, s[0:1], v[1:2]
	s_and_saveexec_b32 s0, vcc_lo
	s_cbranch_execz .LBB112_24
; %bb.23:
	v_mad_u64_u32 v[7:8], null, v1, s18, v[1:2]
	s_delay_alu instid0(VALU_DEP_1) | instskip(NEXT) | instid1(VALU_DEP_1)
	v_mov_b32_e32 v0, v8
	v_mad_u64_u32 v[8:9], null, v1, s19, v[0:1]
	s_delay_alu instid0(VALU_DEP_1) | instskip(NEXT) | instid1(VALU_DEP_1)
	v_lshlrev_b64 v[0:1], 3, v[7:8]
	v_add_co_u32 v0, vcc_lo, s10, v0
	s_delay_alu instid0(VALU_DEP_2) | instskip(SKIP_4) | instid1(VALU_DEP_2)
	v_add_co_ci_u32_e32 v1, vcc_lo, s11, v1, vcc_lo
	flat_load_b64 v[0:1], v[0:1]
	s_waitcnt vmcnt(0) lgkmcnt(0)
	v_div_scale_f64 v[7:8], null, v[0:1], v[0:1], 1.0
	v_div_scale_f64 v[13:14], vcc_lo, 1.0, v[0:1], 1.0
	v_rcp_f64_e32 v[9:10], v[7:8]
	s_waitcnt_depctr 0xfff
	v_fma_f64 v[11:12], -v[7:8], v[9:10], 1.0
	s_delay_alu instid0(VALU_DEP_1) | instskip(NEXT) | instid1(VALU_DEP_1)
	v_fma_f64 v[9:10], v[9:10], v[11:12], v[9:10]
	v_fma_f64 v[11:12], -v[7:8], v[9:10], 1.0
	s_delay_alu instid0(VALU_DEP_1) | instskip(NEXT) | instid1(VALU_DEP_1)
	v_fma_f64 v[9:10], v[9:10], v[11:12], v[9:10]
	v_mul_f64 v[11:12], v[13:14], v[9:10]
	s_delay_alu instid0(VALU_DEP_1) | instskip(NEXT) | instid1(VALU_DEP_1)
	v_fma_f64 v[7:8], -v[7:8], v[11:12], v[13:14]
	v_div_fmas_f64 v[7:8], v[7:8], v[9:10], v[11:12]
	s_delay_alu instid0(VALU_DEP_1) | instskip(NEXT) | instid1(VALU_DEP_1)
	v_div_fixup_f64 v[7:8], v[7:8], v[0:1], 1.0
	v_cndmask_b32_e64 v1, v8, v1, s2
	s_delay_alu instid0(VALU_DEP_2) | instskip(NEXT) | instid1(VALU_DEP_1)
	v_cndmask_b32_e64 v0, v7, v0, s2
	v_mul_f64 v[5:6], v[5:6], v[0:1]
.LBB112_24:
	s_or_b32 exec_lo, exec_lo, s0
	global_store_b64 v[3:4], v[5:6], off
.LBB112_25:
	s_nop 0
	s_sendmsg sendmsg(MSG_DEALLOC_VGPRS)
	s_endpgm
	.section	.rodata,"a",@progbits
	.p2align	6, 0x0
	.amdhsa_kernel _ZL39rocblas_trsm_block_forward_substitutionIddPKPKdPKPdLb0ELb0ELb0EEv18rocblas_operation_llT0_T1_lllT2_lllib
		.amdhsa_group_segment_fixed_size 0
		.amdhsa_private_segment_fixed_size 0
		.amdhsa_kernarg_size 360
		.amdhsa_user_sgpr_count 13
		.amdhsa_user_sgpr_dispatch_ptr 0
		.amdhsa_user_sgpr_queue_ptr 0
		.amdhsa_user_sgpr_kernarg_segment_ptr 1
		.amdhsa_user_sgpr_dispatch_id 0
		.amdhsa_user_sgpr_private_segment_size 0
		.amdhsa_wavefront_size32 1
		.amdhsa_uses_dynamic_stack 0
		.amdhsa_enable_private_segment 0
		.amdhsa_system_sgpr_workgroup_id_x 1
		.amdhsa_system_sgpr_workgroup_id_y 1
		.amdhsa_system_sgpr_workgroup_id_z 1
		.amdhsa_system_sgpr_workgroup_info 0
		.amdhsa_system_vgpr_workitem_id 1
		.amdhsa_next_free_vgpr 21
		.amdhsa_next_free_sgpr 27
		.amdhsa_reserve_vcc 1
		.amdhsa_float_round_mode_32 0
		.amdhsa_float_round_mode_16_64 0
		.amdhsa_float_denorm_mode_32 3
		.amdhsa_float_denorm_mode_16_64 3
		.amdhsa_dx10_clamp 1
		.amdhsa_ieee_mode 1
		.amdhsa_fp16_overflow 0
		.amdhsa_workgroup_processor_mode 1
		.amdhsa_memory_ordered 1
		.amdhsa_forward_progress 0
		.amdhsa_shared_vgpr_count 0
		.amdhsa_exception_fp_ieee_invalid_op 0
		.amdhsa_exception_fp_denorm_src 0
		.amdhsa_exception_fp_ieee_div_zero 0
		.amdhsa_exception_fp_ieee_overflow 0
		.amdhsa_exception_fp_ieee_underflow 0
		.amdhsa_exception_fp_ieee_inexact 0
		.amdhsa_exception_int_div_zero 0
	.end_amdhsa_kernel
	.section	.text._ZL39rocblas_trsm_block_forward_substitutionIddPKPKdPKPdLb0ELb0ELb0EEv18rocblas_operation_llT0_T1_lllT2_lllib,"axG",@progbits,_ZL39rocblas_trsm_block_forward_substitutionIddPKPKdPKPdLb0ELb0ELb0EEv18rocblas_operation_llT0_T1_lllT2_lllib,comdat
.Lfunc_end112:
	.size	_ZL39rocblas_trsm_block_forward_substitutionIddPKPKdPKPdLb0ELb0ELb0EEv18rocblas_operation_llT0_T1_lllT2_lllib, .Lfunc_end112-_ZL39rocblas_trsm_block_forward_substitutionIddPKPKdPKPdLb0ELb0ELb0EEv18rocblas_operation_llT0_T1_lllT2_lllib
                                        ; -- End function
	.section	.AMDGPU.csdata,"",@progbits
; Kernel info:
; codeLenInByte = 1572
; NumSgprs: 29
; NumVgprs: 21
; ScratchSize: 0
; MemoryBound: 1
; FloatMode: 240
; IeeeMode: 1
; LDSByteSize: 0 bytes/workgroup (compile time only)
; SGPRBlocks: 3
; VGPRBlocks: 2
; NumSGPRsForWavesPerEU: 29
; NumVGPRsForWavesPerEU: 21
; Occupancy: 16
; WaveLimiterHint : 1
; COMPUTE_PGM_RSRC2:SCRATCH_EN: 0
; COMPUTE_PGM_RSRC2:USER_SGPR: 13
; COMPUTE_PGM_RSRC2:TRAP_HANDLER: 0
; COMPUTE_PGM_RSRC2:TGID_X_EN: 1
; COMPUTE_PGM_RSRC2:TGID_Y_EN: 1
; COMPUTE_PGM_RSRC2:TGID_Z_EN: 1
; COMPUTE_PGM_RSRC2:TIDIG_COMP_CNT: 1
	.section	.text._ZL40rocblas_trsm_block_backward_substitutionIddPKPKdPKPdLb0ELb0ELb0EEv18rocblas_operation_llT0_T1_lllT2_lllib,"axG",@progbits,_ZL40rocblas_trsm_block_backward_substitutionIddPKPKdPKPdLb0ELb0ELb0EEv18rocblas_operation_llT0_T1_lllT2_lllib,comdat
	.globl	_ZL40rocblas_trsm_block_backward_substitutionIddPKPKdPKPdLb0ELb0ELb0EEv18rocblas_operation_llT0_T1_lllT2_lllib ; -- Begin function _ZL40rocblas_trsm_block_backward_substitutionIddPKPKdPKPdLb0ELb0ELb0EEv18rocblas_operation_llT0_T1_lllT2_lllib
	.p2align	8
	.type	_ZL40rocblas_trsm_block_backward_substitutionIddPKPKdPKPdLb0ELb0ELb0EEv18rocblas_operation_llT0_T1_lllT2_lllib,@function
_ZL40rocblas_trsm_block_backward_substitutionIddPKPKdPKPdLb0ELb0ELb0EEv18rocblas_operation_llT0_T1_lllT2_lllib: ; @_ZL40rocblas_trsm_block_backward_substitutionIddPKPKdPKPdLb0ELb0ELb0EEv18rocblas_operation_llT0_T1_lllT2_lllib
; %bb.0:
	s_mov_b32 s12, s15
	s_clause 0x2
	s_load_b32 s15, s[0:1], 0x64
	s_load_b256 s[4:11], s[0:1], 0x8
	s_load_b32 s3, s[0:1], 0x74
	s_mov_b32 s13, 0
	v_and_b32_e32 v1, 0x3ff, v0
	v_bfe_u32 v0, v0, 10, 10
	s_waitcnt lgkmcnt(0)
	s_bitcmp1_b32 s15, 0
	s_cselect_b32 s2, -1, 0
	s_lshl_b64 s[24:25], s[12:13], 3
	s_delay_alu instid0(SALU_CYCLE_1)
	s_add_u32 s10, s10, s24
	s_addc_u32 s11, s11, s25
	s_load_b128 s[20:23], s[0:1], 0x28
	s_load_b64 s[10:11], s[10:11], 0x0
	s_load_b128 s[16:19], s[0:1], 0x40
	s_waitcnt lgkmcnt(0)
	s_lshl_b64 s[12:13], s[20:21], 3
	s_delay_alu instid0(SALU_CYCLE_1)
	s_add_u32 s12, s10, s12
	s_addc_u32 s13, s11, s13
	s_add_u32 s10, s16, s24
	s_addc_u32 s11, s17, s25
	s_load_b64 s[20:21], s[0:1], 0x50
	s_load_b64 s[16:17], s[10:11], 0x0
	s_add_u32 s24, s0, 0x68
	s_addc_u32 s25, s1, 0
	s_lshr_b32 s3, s3, 16
	s_bitcmp0_b32 s15, 0
	s_mov_b64 s[0:1], 1
	s_cbranch_scc1 .LBB113_14
; %bb.1:
	v_cmp_lt_i64_e64 s0, s[4:5], 1
	s_lshl_b32 s1, s3, 3
	s_mov_b64 s[10:11], 1
	s_add_i32 s26, s1, 0
	s_delay_alu instid0(VALU_DEP_1)
	s_and_b32 vcc_lo, exec_lo, s0
	s_cbranch_vccnz .LBB113_15
; %bb.2:
	v_mad_u64_u32 v[3:4], null, v1, s22, 0
	s_delay_alu instid0(VALU_DEP_1) | instskip(NEXT) | instid1(VALU_DEP_1)
	v_mov_b32_e32 v2, v4
	v_mad_u64_u32 v[4:5], null, v1, s23, v[2:3]
	v_dual_mov_b32 v2, 0 :: v_dual_lshlrev_b32 v5, 3, v1
	s_delay_alu instid0(VALU_DEP_1) | instskip(NEXT) | instid1(VALU_DEP_3)
	v_add_nc_u32_e32 v8, s26, v5
	v_lshlrev_b64 v[3:4], 3, v[3:4]
	s_delay_alu instid0(VALU_DEP_3) | instskip(SKIP_1) | instid1(VALU_DEP_3)
	v_cmp_le_u64_e64 s15, s[4:5], v[1:2]
	v_cmp_gt_u64_e64 s1, s[4:5], v[1:2]
	v_add_co_u32 v9, vcc_lo, s12, v3
	s_delay_alu instid0(VALU_DEP_4) | instskip(SKIP_1) | instid1(VALU_DEP_3)
	v_add_co_ci_u32_e32 v10, vcc_lo, s13, v4, vcc_lo
	v_mov_b32_e32 v4, v0
	v_add_co_u32 v2, vcc_lo, v9, v5
	s_delay_alu instid0(VALU_DEP_3)
	v_add_co_ci_u32_e32 v3, vcc_lo, 0, v10, vcc_lo
	s_xor_b32 s22, s15, -1
	s_mov_b32 s12, s3
	s_branch .LBB113_4
.LBB113_3:                              ;   in Loop: Header=BB113_4 Depth=1
	s_or_b32 exec_lo, exec_lo, s13
	s_ashr_i32 s13, s12, 31
	v_add_nc_u32_e32 v4, s3, v4
	v_cmp_ge_i64_e64 s0, s[12:13], s[4:5]
	s_add_i32 s12, s12, s3
	s_delay_alu instid0(VALU_DEP_1)
	s_and_b32 vcc_lo, exec_lo, s0
	s_cbranch_vccnz .LBB113_15
.LBB113_4:                              ; =>This Inner Loop Header: Depth=1
	s_mov_b32 s23, s15
	s_mov_b32 s0, 0
                                        ; implicit-def: $vgpr6_vgpr7
                                        ; implicit-def: $vgpr5
	s_and_saveexec_b32 s13, s1
	s_cbranch_execnz .LBB113_7
; %bb.5:                                ;   in Loop: Header=BB113_4 Depth=1
	s_or_b32 exec_lo, exec_lo, s13
	s_and_saveexec_b32 s13, s23
	s_cbranch_execnz .LBB113_10
.LBB113_6:                              ;   in Loop: Header=BB113_4 Depth=1
	s_or_b32 exec_lo, exec_lo, s13
	s_and_saveexec_b32 s13, s0
	s_cbranch_execz .LBB113_3
	s_branch .LBB113_13
.LBB113_7:                              ;   in Loop: Header=BB113_4 Depth=1
	v_ashrrev_i32_e32 v5, 31, v4
	v_cmp_lt_i32_e64 s0, v1, v4
	s_mov_b32 s23, -1
                                        ; implicit-def: $vgpr6_vgpr7
	s_delay_alu instid0(VALU_DEP_2) | instskip(NEXT) | instid1(VALU_DEP_2)
	v_cmp_gt_i64_e32 vcc_lo, s[4:5], v[4:5]
	s_and_b32 s28, s0, vcc_lo
	s_mov_b32 s0, 0
	s_and_saveexec_b32 s27, s28
	s_cbranch_execz .LBB113_9
; %bb.8:                                ;   in Loop: Header=BB113_4 Depth=1
	s_waitcnt vmcnt(0)
	v_lshlrev_b64 v[5:6], 3, v[4:5]
	s_mov_b32 s0, exec_lo
	s_xor_b32 s23, exec_lo, -1
	s_delay_alu instid0(VALU_DEP_1) | instskip(NEXT) | instid1(VALU_DEP_2)
	v_add_co_u32 v5, vcc_lo, v9, v5
	v_add_co_ci_u32_e32 v6, vcc_lo, v10, v6, vcc_lo
	global_load_b64 v[6:7], v[5:6], off
.LBB113_9:                              ;   in Loop: Header=BB113_4 Depth=1
	s_or_b32 exec_lo, exec_lo, s27
	v_mov_b32_e32 v5, v4
	s_and_not1_b32 s27, s15, exec_lo
	s_and_b32 s23, s23, exec_lo
	s_and_b32 s0, s0, exec_lo
	s_or_b32 s23, s27, s23
	s_or_b32 exec_lo, exec_lo, s13
	s_and_saveexec_b32 s13, s23
	s_cbranch_execz .LBB113_6
.LBB113_10:                             ;   in Loop: Header=BB113_4 Depth=1
	v_cmp_eq_u32_e32 vcc_lo, v1, v4
	s_mov_b32 s27, s0
                                        ; implicit-def: $vgpr6_vgpr7
	s_and_b32 s28, s22, vcc_lo
	s_delay_alu instid0(SALU_CYCLE_1)
	s_and_saveexec_b32 s23, s28
	s_cbranch_execz .LBB113_12
; %bb.11:                               ;   in Loop: Header=BB113_4 Depth=1
	global_load_b64 v[5:6], v[2:3], off
	s_or_b32 s27, s0, exec_lo
	s_waitcnt vmcnt(0)
	v_div_scale_f64 v[11:12], null, v[5:6], v[5:6], 1.0
	s_delay_alu instid0(VALU_DEP_1) | instskip(SKIP_2) | instid1(VALU_DEP_1)
	v_rcp_f64_e32 v[13:14], v[11:12]
	s_waitcnt_depctr 0xfff
	v_fma_f64 v[15:16], -v[11:12], v[13:14], 1.0
	v_fma_f64 v[13:14], v[13:14], v[15:16], v[13:14]
	s_delay_alu instid0(VALU_DEP_1) | instskip(NEXT) | instid1(VALU_DEP_1)
	v_fma_f64 v[15:16], -v[11:12], v[13:14], 1.0
	v_fma_f64 v[13:14], v[13:14], v[15:16], v[13:14]
	v_div_scale_f64 v[15:16], vcc_lo, 1.0, v[5:6], 1.0
	s_delay_alu instid0(VALU_DEP_1) | instskip(NEXT) | instid1(VALU_DEP_1)
	v_mul_f64 v[17:18], v[15:16], v[13:14]
	v_fma_f64 v[11:12], -v[11:12], v[17:18], v[15:16]
	s_delay_alu instid0(VALU_DEP_1) | instskip(NEXT) | instid1(VALU_DEP_1)
	v_div_fmas_f64 v[11:12], v[11:12], v[13:14], v[17:18]
	v_div_fixup_f64 v[6:7], v[11:12], v[5:6], 1.0
.LBB113_12:                             ;   in Loop: Header=BB113_4 Depth=1
	s_or_b32 exec_lo, exec_lo, s23
	v_mov_b32_e32 v5, v1
	s_and_not1_b32 s0, s0, exec_lo
	s_and_b32 s23, s27, exec_lo
	s_delay_alu instid0(SALU_CYCLE_1)
	s_or_b32 s0, s0, s23
	s_or_b32 exec_lo, exec_lo, s13
	s_and_saveexec_b32 s13, s0
	s_cbranch_execz .LBB113_3
.LBB113_13:                             ;   in Loop: Header=BB113_4 Depth=1
	s_load_b32 s0, s[24:25], 0xc
	s_waitcnt lgkmcnt(0)
	s_and_b32 s0, s0, 0xffff
	s_delay_alu instid0(SALU_CYCLE_1) | instskip(NEXT) | instid1(VALU_DEP_1)
	v_mul_lo_u32 v5, v5, s0
	v_lshl_add_u32 v5, v5, 3, v8
	s_waitcnt vmcnt(0)
	ds_store_b64 v5, v[6:7]
	s_branch .LBB113_3
.LBB113_14:
	s_mov_b32 s10, s22
	s_mov_b32 s11, s23
	s_branch .LBB113_16
.LBB113_15:
	s_load_b32 s0, s[24:25], 0xc
	s_mov_b64 s[12:13], src_shared_base
	s_mov_b32 s1, 0
	s_mov_b32 s27, s13
	s_delay_alu instid0(SALU_CYCLE_1)
	s_mov_b64 s[12:13], s[26:27]
	s_waitcnt lgkmcnt(0)
	s_and_b32 s0, s0, 0xffff
.LBB113_16:
	v_mad_u64_u32 v[3:4], null, s14, s3, v[0:1]
	v_mov_b32_e32 v4, 0
	s_mov_b32 s3, exec_lo
	s_delay_alu instid0(VALU_DEP_1)
	v_cmpx_gt_i64_e64 s[6:7], v[3:4]
	s_cbranch_execz .LBB113_29
; %bb.17:
	v_mov_b32_e32 v2, v4
	s_delay_alu instid0(VALU_DEP_1)
	v_cmp_gt_i64_e32 vcc_lo, s[4:5], v[1:2]
	s_and_b32 exec_lo, exec_lo, vcc_lo
	s_cbranch_execz .LBB113_29
; %bb.18:
	s_waitcnt vmcnt(0) lgkmcnt(0)
	v_mad_u64_u32 v[5:6], null, v1, s20, 0
	s_lshl_b64 s[6:7], s[18:19], 3
	v_lshlrev_b64 v[3:4], 3, v[3:4]
	s_add_u32 s3, s16, s6
	s_addc_u32 s6, s17, s7
	s_delay_alu instid0(VALU_DEP_2) | instskip(NEXT) | instid1(VALU_DEP_1)
	v_mad_u64_u32 v[7:8], null, v1, s21, v[6:7]
	v_mov_b32_e32 v6, v7
	s_delay_alu instid0(VALU_DEP_1) | instskip(NEXT) | instid1(VALU_DEP_1)
	v_lshlrev_b64 v[5:6], 3, v[5:6]
	v_add_co_u32 v5, vcc_lo, s3, v5
	s_delay_alu instid0(VALU_DEP_2) | instskip(SKIP_1) | instid1(VALU_DEP_3)
	v_add_co_ci_u32_e32 v6, vcc_lo, s6, v6, vcc_lo
	v_cmp_lt_u64_e64 s3, s[4:5], 2
	v_add_co_u32 v3, vcc_lo, v5, v3
	s_delay_alu instid0(VALU_DEP_3) | instskip(NEXT) | instid1(VALU_DEP_3)
	v_add_co_ci_u32_e32 v4, vcc_lo, v6, v4, vcc_lo
	s_and_b32 vcc_lo, exec_lo, s3
	global_load_b64 v[5:6], v[3:4], off
	s_waitcnt vmcnt(0)
	v_mul_f64 v[5:6], v[5:6], s[8:9]
	s_cbranch_vccnz .LBB113_26
; %bb.19:
	s_add_u32 s3, s0, s10
	v_mad_u64_u32 v[7:8], null, s10, v1, 0
	v_mad_u64_u32 v[9:10], null, s3, v1, 0
	s_addc_u32 s3, s1, s11
	s_add_u32 s4, s4, -1
	s_addc_u32 s5, s5, -1
	s_mul_i32 s6, s0, s4
	s_mul_i32 s7, s0, s5
	v_lshl_add_u32 v0, v0, 3, 0
	s_delay_alu instid0(VALU_DEP_2) | instskip(NEXT) | instid1(VALU_DEP_1)
	v_mad_u64_u32 v[11:12], null, s11, v1, v[8:9]
	v_mad_u64_u32 v[12:13], null, s3, v1, v[10:11]
	v_mov_b32_e32 v8, v11
	s_mul_hi_u32 s3, s0, s4
	s_delay_alu instid0(SALU_CYCLE_1) | instskip(NEXT) | instid1(VALU_DEP_1)
	s_add_i32 s7, s3, s7
	v_lshlrev_b64 v[7:8], 3, v[7:8]
	s_delay_alu instid0(VALU_DEP_3) | instskip(SKIP_1) | instid1(SALU_CYCLE_1)
	v_mov_b32_e32 v10, v12
	s_lshl_b64 s[6:7], s[6:7], 3
	s_add_u32 s3, s12, s6
	s_addc_u32 s6, s13, s7
	s_delay_alu instid0(VALU_DEP_1) | instskip(SKIP_3) | instid1(VALU_DEP_3)
	v_lshlrev_b64 v[9:10], 3, v[9:10]
	v_add_co_u32 v7, vcc_lo, s3, v7
	v_add_co_ci_u32_e32 v8, vcc_lo, s6, v8, vcc_lo
	s_lshl_b32 s3, s0, 3
	v_add_co_u32 v9, vcc_lo, s12, v9
	s_delay_alu instid0(VALU_DEP_4)
	v_add_co_ci_u32_e32 v10, vcc_lo, s13, v10, vcc_lo
	s_sub_u32 s3, 0, s3
	s_subb_u32 s8, 0, 0
.LBB113_20:                             ; =>This Inner Loop Header: Depth=1
	s_mov_b32 s6, exec_lo
	s_barrier
	buffer_gl0_inv
	v_cmpx_eq_u64_e64 s[4:5], v[1:2]
	s_cbranch_execz .LBB113_22
; %bb.21:                               ;   in Loop: Header=BB113_20 Depth=1
	flat_load_b64 v[11:12], v[9:10]
	s_waitcnt vmcnt(0) lgkmcnt(0)
	v_div_scale_f64 v[13:14], null, v[11:12], v[11:12], 1.0
	v_div_scale_f64 v[19:20], vcc_lo, 1.0, v[11:12], 1.0
	s_delay_alu instid0(VALU_DEP_2) | instskip(SKIP_2) | instid1(VALU_DEP_1)
	v_rcp_f64_e32 v[15:16], v[13:14]
	s_waitcnt_depctr 0xfff
	v_fma_f64 v[17:18], -v[13:14], v[15:16], 1.0
	v_fma_f64 v[15:16], v[15:16], v[17:18], v[15:16]
	s_delay_alu instid0(VALU_DEP_1) | instskip(NEXT) | instid1(VALU_DEP_1)
	v_fma_f64 v[17:18], -v[13:14], v[15:16], 1.0
	v_fma_f64 v[15:16], v[15:16], v[17:18], v[15:16]
	s_delay_alu instid0(VALU_DEP_1) | instskip(NEXT) | instid1(VALU_DEP_1)
	v_mul_f64 v[17:18], v[19:20], v[15:16]
	v_fma_f64 v[13:14], -v[13:14], v[17:18], v[19:20]
	s_delay_alu instid0(VALU_DEP_1) | instskip(NEXT) | instid1(VALU_DEP_1)
	v_div_fmas_f64 v[13:14], v[13:14], v[15:16], v[17:18]
	v_div_fixup_f64 v[13:14], v[13:14], v[11:12], 1.0
	s_delay_alu instid0(VALU_DEP_1) | instskip(NEXT) | instid1(VALU_DEP_2)
	v_cndmask_b32_e64 v12, v14, v12, s2
	v_cndmask_b32_e64 v11, v13, v11, s2
	s_delay_alu instid0(VALU_DEP_1)
	v_mul_f64 v[5:6], v[5:6], v[11:12]
	ds_store_b64 v0, v[5:6]
.LBB113_22:                             ;   in Loop: Header=BB113_20 Depth=1
	s_or_b32 exec_lo, exec_lo, s6
	s_delay_alu instid0(SALU_CYCLE_1)
	s_mov_b32 s6, exec_lo
	s_waitcnt lgkmcnt(0)
	s_barrier
	buffer_gl0_inv
	v_cmpx_gt_i64_e64 s[4:5], v[1:2]
	s_cbranch_execz .LBB113_24
; %bb.23:                               ;   in Loop: Header=BB113_20 Depth=1
	flat_load_b64 v[11:12], v[7:8]
	ds_load_b64 v[13:14], v0
	s_waitcnt vmcnt(0) lgkmcnt(0)
	v_fma_f64 v[5:6], -v[11:12], v[13:14], v[5:6]
.LBB113_24:                             ;   in Loop: Header=BB113_20 Depth=1
	s_or_b32 exec_lo, exec_lo, s6
	s_add_u32 s6, s4, -1
	s_addc_u32 s7, s5, -1
	s_add_u32 s4, s4, 1
	s_addc_u32 s5, s5, 0
	v_add_co_u32 v7, vcc_lo, v7, s3
	v_cmp_lt_u64_e64 s4, s[4:5], 3
	v_add_co_ci_u32_e32 v8, vcc_lo, s8, v8, vcc_lo
	s_delay_alu instid0(VALU_DEP_2)
	s_and_b32 vcc_lo, exec_lo, s4
	s_cbranch_vccnz .LBB113_26
; %bb.25:                               ;   in Loop: Header=BB113_20 Depth=1
	s_mov_b64 s[4:5], s[6:7]
	s_branch .LBB113_20
.LBB113_26:
	s_mov_b32 s3, exec_lo
	v_cmpx_eq_u32_e32 0, v1
	s_cbranch_execz .LBB113_28
; %bb.27:
	s_add_u32 s0, s0, s10
	s_delay_alu instid0(SALU_CYCLE_1) | instskip(SKIP_1) | instid1(VALU_DEP_1)
	v_mad_u64_u32 v[7:8], null, s0, v1, 0
	s_addc_u32 s0, s1, s11
	v_mov_b32_e32 v0, v8
	s_delay_alu instid0(VALU_DEP_1) | instskip(NEXT) | instid1(VALU_DEP_1)
	v_mad_u64_u32 v[8:9], null, s0, v1, v[0:1]
	v_lshlrev_b64 v[0:1], 3, v[7:8]
	s_delay_alu instid0(VALU_DEP_1) | instskip(NEXT) | instid1(VALU_DEP_2)
	v_add_co_u32 v0, vcc_lo, s12, v0
	v_add_co_ci_u32_e32 v1, vcc_lo, s13, v1, vcc_lo
	flat_load_b64 v[0:1], v[0:1]
	s_waitcnt vmcnt(0) lgkmcnt(0)
	v_div_scale_f64 v[7:8], null, v[0:1], v[0:1], 1.0
	v_div_scale_f64 v[13:14], vcc_lo, 1.0, v[0:1], 1.0
	s_delay_alu instid0(VALU_DEP_2) | instskip(SKIP_2) | instid1(VALU_DEP_1)
	v_rcp_f64_e32 v[9:10], v[7:8]
	s_waitcnt_depctr 0xfff
	v_fma_f64 v[11:12], -v[7:8], v[9:10], 1.0
	v_fma_f64 v[9:10], v[9:10], v[11:12], v[9:10]
	s_delay_alu instid0(VALU_DEP_1) | instskip(NEXT) | instid1(VALU_DEP_1)
	v_fma_f64 v[11:12], -v[7:8], v[9:10], 1.0
	v_fma_f64 v[9:10], v[9:10], v[11:12], v[9:10]
	s_delay_alu instid0(VALU_DEP_1) | instskip(NEXT) | instid1(VALU_DEP_1)
	v_mul_f64 v[11:12], v[13:14], v[9:10]
	v_fma_f64 v[7:8], -v[7:8], v[11:12], v[13:14]
	s_delay_alu instid0(VALU_DEP_1) | instskip(NEXT) | instid1(VALU_DEP_1)
	v_div_fmas_f64 v[7:8], v[7:8], v[9:10], v[11:12]
	v_div_fixup_f64 v[7:8], v[7:8], v[0:1], 1.0
	s_delay_alu instid0(VALU_DEP_1) | instskip(NEXT) | instid1(VALU_DEP_2)
	v_cndmask_b32_e64 v1, v8, v1, s2
	v_cndmask_b32_e64 v0, v7, v0, s2
	s_delay_alu instid0(VALU_DEP_1)
	v_mul_f64 v[5:6], v[5:6], v[0:1]
.LBB113_28:
	s_or_b32 exec_lo, exec_lo, s3
	global_store_b64 v[3:4], v[5:6], off
.LBB113_29:
	s_nop 0
	s_sendmsg sendmsg(MSG_DEALLOC_VGPRS)
	s_endpgm
	.section	.rodata,"a",@progbits
	.p2align	6, 0x0
	.amdhsa_kernel _ZL40rocblas_trsm_block_backward_substitutionIddPKPKdPKPdLb0ELb0ELb0EEv18rocblas_operation_llT0_T1_lllT2_lllib
		.amdhsa_group_segment_fixed_size 0
		.amdhsa_private_segment_fixed_size 0
		.amdhsa_kernarg_size 360
		.amdhsa_user_sgpr_count 13
		.amdhsa_user_sgpr_dispatch_ptr 0
		.amdhsa_user_sgpr_queue_ptr 0
		.amdhsa_user_sgpr_kernarg_segment_ptr 1
		.amdhsa_user_sgpr_dispatch_id 0
		.amdhsa_user_sgpr_private_segment_size 0
		.amdhsa_wavefront_size32 1
		.amdhsa_uses_dynamic_stack 0
		.amdhsa_enable_private_segment 0
		.amdhsa_system_sgpr_workgroup_id_x 1
		.amdhsa_system_sgpr_workgroup_id_y 1
		.amdhsa_system_sgpr_workgroup_id_z 1
		.amdhsa_system_sgpr_workgroup_info 0
		.amdhsa_system_vgpr_workitem_id 1
		.amdhsa_next_free_vgpr 21
		.amdhsa_next_free_sgpr 29
		.amdhsa_reserve_vcc 1
		.amdhsa_float_round_mode_32 0
		.amdhsa_float_round_mode_16_64 0
		.amdhsa_float_denorm_mode_32 3
		.amdhsa_float_denorm_mode_16_64 3
		.amdhsa_dx10_clamp 1
		.amdhsa_ieee_mode 1
		.amdhsa_fp16_overflow 0
		.amdhsa_workgroup_processor_mode 1
		.amdhsa_memory_ordered 1
		.amdhsa_forward_progress 0
		.amdhsa_shared_vgpr_count 0
		.amdhsa_exception_fp_ieee_invalid_op 0
		.amdhsa_exception_fp_denorm_src 0
		.amdhsa_exception_fp_ieee_div_zero 0
		.amdhsa_exception_fp_ieee_overflow 0
		.amdhsa_exception_fp_ieee_underflow 0
		.amdhsa_exception_fp_ieee_inexact 0
		.amdhsa_exception_int_div_zero 0
	.end_amdhsa_kernel
	.section	.text._ZL40rocblas_trsm_block_backward_substitutionIddPKPKdPKPdLb0ELb0ELb0EEv18rocblas_operation_llT0_T1_lllT2_lllib,"axG",@progbits,_ZL40rocblas_trsm_block_backward_substitutionIddPKPKdPKPdLb0ELb0ELb0EEv18rocblas_operation_llT0_T1_lllT2_lllib,comdat
.Lfunc_end113:
	.size	_ZL40rocblas_trsm_block_backward_substitutionIddPKPKdPKPdLb0ELb0ELb0EEv18rocblas_operation_llT0_T1_lllT2_lllib, .Lfunc_end113-_ZL40rocblas_trsm_block_backward_substitutionIddPKPKdPKPdLb0ELb0ELb0EEv18rocblas_operation_llT0_T1_lllT2_lllib
                                        ; -- End function
	.section	.AMDGPU.csdata,"",@progbits
; Kernel info:
; codeLenInByte = 1712
; NumSgprs: 31
; NumVgprs: 21
; ScratchSize: 0
; MemoryBound: 1
; FloatMode: 240
; IeeeMode: 1
; LDSByteSize: 0 bytes/workgroup (compile time only)
; SGPRBlocks: 3
; VGPRBlocks: 2
; NumSGPRsForWavesPerEU: 31
; NumVGPRsForWavesPerEU: 21
; Occupancy: 16
; WaveLimiterHint : 1
; COMPUTE_PGM_RSRC2:SCRATCH_EN: 0
; COMPUTE_PGM_RSRC2:USER_SGPR: 13
; COMPUTE_PGM_RSRC2:TRAP_HANDLER: 0
; COMPUTE_PGM_RSRC2:TGID_X_EN: 1
; COMPUTE_PGM_RSRC2:TGID_Y_EN: 1
; COMPUTE_PGM_RSRC2:TGID_Z_EN: 1
; COMPUTE_PGM_RSRC2:TIDIG_COMP_CNT: 1
	.section	.text._ZL39rocblas_trsm_block_forward_substitutionIddPKPKdPKPdLb0ELb0ELb1EEv18rocblas_operation_llT0_T1_lllT2_lllib,"axG",@progbits,_ZL39rocblas_trsm_block_forward_substitutionIddPKPKdPKPdLb0ELb0ELb1EEv18rocblas_operation_llT0_T1_lllT2_lllib,comdat
	.globl	_ZL39rocblas_trsm_block_forward_substitutionIddPKPKdPKPdLb0ELb0ELb1EEv18rocblas_operation_llT0_T1_lllT2_lllib ; -- Begin function _ZL39rocblas_trsm_block_forward_substitutionIddPKPKdPKPdLb0ELb0ELb1EEv18rocblas_operation_llT0_T1_lllT2_lllib
	.p2align	8
	.type	_ZL39rocblas_trsm_block_forward_substitutionIddPKPKdPKPdLb0ELb0ELb1EEv18rocblas_operation_llT0_T1_lllT2_lllib,@function
_ZL39rocblas_trsm_block_forward_substitutionIddPKPKdPKPdLb0ELb0ELb1EEv18rocblas_operation_llT0_T1_lllT2_lllib: ; @_ZL39rocblas_trsm_block_forward_substitutionIddPKPKdPKPdLb0ELb0ELb1EEv18rocblas_operation_llT0_T1_lllT2_lllib
; %bb.0:
	s_load_b256 s[4:11], s[0:1], 0x8
	s_mov_b32 s2, s15
	s_mov_b32 s3, 0
	v_and_b32_e32 v1, 0x3ff, v0
	s_lshl_b64 s[2:3], s[2:3], 3
	v_bfe_u32 v0, v0, 10, 10
	s_waitcnt lgkmcnt(0)
	s_add_u32 s10, s10, s2
	s_addc_u32 s11, s11, s3
	s_load_b128 s[16:19], s[0:1], 0x28
	s_load_b64 s[10:11], s[10:11], 0x0
	s_clause 0x2
	s_load_b128 s[20:23], s[0:1], 0x40
	s_load_b32 s15, s[0:1], 0x64
	s_load_b32 s24, s[0:1], 0x74
	s_waitcnt lgkmcnt(0)
	s_lshl_b64 s[12:13], s[16:17], 3
	s_delay_alu instid0(SALU_CYCLE_1)
	s_add_u32 s12, s10, s12
	s_addc_u32 s13, s11, s13
	s_add_u32 s2, s20, s2
	s_addc_u32 s3, s21, s3
	s_load_b64 s[10:11], s[0:1], 0x50
	s_load_b64 s[2:3], s[2:3], 0x0
	s_add_u32 s16, s0, 0x68
	s_addc_u32 s17, s1, 0
	s_lshr_b32 s1, s24, 16
	s_bitcmp0_b32 s15, 0
	s_cbranch_scc1 .LBB114_7
; %bb.1:
	v_cmp_lt_i64_e64 s0, s[4:5], 1
	s_lshl_b32 s15, s1, 3
	s_delay_alu instid0(SALU_CYCLE_1) | instskip(NEXT) | instid1(VALU_DEP_1)
	s_add_i32 s20, s15, 0
	s_and_b32 vcc_lo, exec_lo, s0
	s_cbranch_vccnz .LBB114_6
; %bb.2:
	v_lshlrev_b32_e32 v4, 3, v1
	s_delay_alu instid0(VALU_DEP_1) | instskip(NEXT) | instid1(VALU_DEP_1)
	v_dual_mov_b32 v2, 0 :: v_dual_add_nc_u32 v3, s20, v4
	v_cmp_gt_u64_e64 s0, s[4:5], v[1:2]
	v_add_co_u32 v2, s12, s12, v4
	s_delay_alu instid0(VALU_DEP_1)
	v_add_co_ci_u32_e64 v4, null, s13, 0, s12
	s_mov_b32 s12, 0
	s_set_inst_prefetch_distance 0x1
	s_branch .LBB114_4
	.p2align	6
.LBB114_3:                              ;   in Loop: Header=BB114_4 Depth=1
	s_or_b32 exec_lo, exec_lo, s13
	s_add_i32 s12, s12, s1
	s_delay_alu instid0(SALU_CYCLE_1) | instskip(NEXT) | instid1(SALU_CYCLE_1)
	s_ashr_i32 s13, s12, 31
	v_cmp_ge_i64_e64 s13, s[12:13], s[4:5]
	s_delay_alu instid0(VALU_DEP_1)
	s_and_b32 vcc_lo, exec_lo, s13
	s_cbranch_vccnz .LBB114_6
.LBB114_4:                              ; =>This Inner Loop Header: Depth=1
	v_add_nc_u32_e32 v5, s12, v0
	s_delay_alu instid0(VALU_DEP_1) | instskip(SKIP_1) | instid1(SALU_CYCLE_1)
	v_cmp_gt_i32_e32 vcc_lo, v1, v5
	s_and_b32 s15, s0, vcc_lo
	s_and_saveexec_b32 s13, s15
	s_cbranch_execz .LBB114_3
; %bb.5:                                ;   in Loop: Header=BB114_4 Depth=1
	v_ashrrev_i32_e32 v8, 31, v5
	v_mul_lo_u32 v9, v5, s19
	v_mad_u64_u32 v[6:7], null, v5, s18, 0
	s_load_b32 s15, s[16:17], 0xc
	s_delay_alu instid0(VALU_DEP_3) | instskip(NEXT) | instid1(VALU_DEP_1)
	v_mul_lo_u32 v8, v8, s18
	v_add3_u32 v7, v7, v9, v8
	s_delay_alu instid0(VALU_DEP_1) | instskip(SKIP_2) | instid1(VALU_DEP_1)
	v_lshlrev_b64 v[6:7], 3, v[6:7]
	s_waitcnt lgkmcnt(0)
	s_and_b32 s15, s15, 0xffff
	v_add_co_u32 v6, vcc_lo, v2, v6
	s_delay_alu instid0(VALU_DEP_2)
	v_add_co_ci_u32_e32 v7, vcc_lo, v4, v7, vcc_lo
	v_mul_lo_u32 v5, v5, s15
	global_load_b64 v[6:7], v[6:7], off
	v_lshl_add_u32 v5, v5, 3, v3
	s_waitcnt vmcnt(0)
	ds_store_b64 v5, v[6:7]
	s_branch .LBB114_3
.LBB114_6:
	s_set_inst_prefetch_distance 0x2
	s_load_b32 s0, s[16:17], 0xc
	s_mov_b64 s[12:13], src_shared_base
	s_mov_b32 s19, 0
	s_mov_b32 s21, s13
	s_delay_alu instid0(SALU_CYCLE_1)
	s_mov_b64 s[12:13], s[20:21]
	s_waitcnt lgkmcnt(0)
	s_and_b32 s18, s0, 0xffff
.LBB114_7:
	v_mad_u64_u32 v[3:4], null, s14, s1, v[0:1]
	v_mov_b32_e32 v4, 0
	s_mov_b32 s0, exec_lo
	s_delay_alu instid0(VALU_DEP_1)
	v_cmpx_gt_i64_e64 s[6:7], v[3:4]
	s_cbranch_execz .LBB114_17
; %bb.8:
	v_mov_b32_e32 v2, v4
	s_delay_alu instid0(VALU_DEP_1)
	v_cmp_gt_i64_e32 vcc_lo, s[4:5], v[1:2]
	s_and_b32 exec_lo, exec_lo, vcc_lo
	s_cbranch_execz .LBB114_17
; %bb.9:
	s_waitcnt lgkmcnt(0)
	v_mad_u64_u32 v[4:5], null, v3, s10, 0
	s_lshl_b64 s[0:1], s[22:23], 3
	s_delay_alu instid0(SALU_CYCLE_1) | instskip(SKIP_1) | instid1(VALU_DEP_1)
	s_add_u32 s0, s2, s0
	s_addc_u32 s1, s3, s1
	v_mad_u64_u32 v[6:7], null, v3, s11, v[5:6]
	v_lshlrev_b32_e32 v7, 3, v1
	s_delay_alu instid0(VALU_DEP_2) | instskip(NEXT) | instid1(VALU_DEP_1)
	v_mov_b32_e32 v5, v6
	v_lshlrev_b64 v[3:4], 3, v[4:5]
	s_delay_alu instid0(VALU_DEP_1) | instskip(NEXT) | instid1(VALU_DEP_2)
	v_add_co_u32 v3, vcc_lo, s0, v3
	v_add_co_ci_u32_e32 v4, vcc_lo, s1, v4, vcc_lo
	v_cmp_lt_u64_e64 s0, s[4:5], 2
	s_delay_alu instid0(VALU_DEP_3) | instskip(NEXT) | instid1(VALU_DEP_3)
	v_add_co_u32 v3, vcc_lo, v3, v7
	v_add_co_ci_u32_e32 v4, vcc_lo, 0, v4, vcc_lo
	s_delay_alu instid0(VALU_DEP_3)
	s_and_b32 vcc_lo, exec_lo, s0
	global_load_b64 v[5:6], v[3:4], off
	s_waitcnt vmcnt(0)
	v_mul_f64 v[5:6], v[5:6], s[8:9]
	s_cbranch_vccnz .LBB114_16
; %bb.10:
	v_add_co_u32 v7, s1, s12, v7
	v_lshl_add_u32 v0, v0, 3, 0
	v_add_co_ci_u32_e64 v8, null, s13, 0, s1
	s_add_u32 s0, s4, -1
	s_addc_u32 s1, s5, -1
	s_lshl_b64 s[2:3], s[18:19], 3
	s_mov_b64 s[4:5], 0
	s_set_inst_prefetch_distance 0x1
	s_branch .LBB114_12
	.p2align	6
.LBB114_11:                             ;   in Loop: Header=BB114_12 Depth=1
	s_or_b32 exec_lo, exec_lo, s6
	v_add_co_u32 v7, vcc_lo, v7, s2
	s_add_u32 s4, s4, 1
	v_add_co_ci_u32_e32 v8, vcc_lo, s3, v8, vcc_lo
	s_addc_u32 s5, s5, 0
	s_delay_alu instid0(SALU_CYCLE_1)
	s_cmp_eq_u64 s[0:1], s[4:5]
	s_cbranch_scc1 .LBB114_16
.LBB114_12:                             ; =>This Inner Loop Header: Depth=1
	s_mov_b32 s6, exec_lo
	s_barrier
	buffer_gl0_inv
	v_cmpx_eq_u64_e64 s[4:5], v[1:2]
	s_cbranch_execz .LBB114_14
; %bb.13:                               ;   in Loop: Header=BB114_12 Depth=1
	ds_store_b64 v0, v[5:6]
.LBB114_14:                             ;   in Loop: Header=BB114_12 Depth=1
	s_or_b32 exec_lo, exec_lo, s6
	s_delay_alu instid0(SALU_CYCLE_1)
	s_mov_b32 s6, exec_lo
	s_waitcnt lgkmcnt(0)
	s_barrier
	buffer_gl0_inv
	v_cmpx_lt_u64_e64 s[4:5], v[1:2]
	s_cbranch_execz .LBB114_11
; %bb.15:                               ;   in Loop: Header=BB114_12 Depth=1
	flat_load_b64 v[9:10], v[7:8]
	ds_load_b64 v[11:12], v0
	s_waitcnt vmcnt(0) lgkmcnt(0)
	v_fma_f64 v[5:6], -v[9:10], v[11:12], v[5:6]
	s_branch .LBB114_11
.LBB114_16:
	s_set_inst_prefetch_distance 0x2
	global_store_b64 v[3:4], v[5:6], off
.LBB114_17:
	s_nop 0
	s_sendmsg sendmsg(MSG_DEALLOC_VGPRS)
	s_endpgm
	.section	.rodata,"a",@progbits
	.p2align	6, 0x0
	.amdhsa_kernel _ZL39rocblas_trsm_block_forward_substitutionIddPKPKdPKPdLb0ELb0ELb1EEv18rocblas_operation_llT0_T1_lllT2_lllib
		.amdhsa_group_segment_fixed_size 0
		.amdhsa_private_segment_fixed_size 0
		.amdhsa_kernarg_size 360
		.amdhsa_user_sgpr_count 13
		.amdhsa_user_sgpr_dispatch_ptr 0
		.amdhsa_user_sgpr_queue_ptr 0
		.amdhsa_user_sgpr_kernarg_segment_ptr 1
		.amdhsa_user_sgpr_dispatch_id 0
		.amdhsa_user_sgpr_private_segment_size 0
		.amdhsa_wavefront_size32 1
		.amdhsa_uses_dynamic_stack 0
		.amdhsa_enable_private_segment 0
		.amdhsa_system_sgpr_workgroup_id_x 1
		.amdhsa_system_sgpr_workgroup_id_y 1
		.amdhsa_system_sgpr_workgroup_id_z 1
		.amdhsa_system_sgpr_workgroup_info 0
		.amdhsa_system_vgpr_workitem_id 1
		.amdhsa_next_free_vgpr 13
		.amdhsa_next_free_sgpr 25
		.amdhsa_reserve_vcc 1
		.amdhsa_float_round_mode_32 0
		.amdhsa_float_round_mode_16_64 0
		.amdhsa_float_denorm_mode_32 3
		.amdhsa_float_denorm_mode_16_64 3
		.amdhsa_dx10_clamp 1
		.amdhsa_ieee_mode 1
		.amdhsa_fp16_overflow 0
		.amdhsa_workgroup_processor_mode 1
		.amdhsa_memory_ordered 1
		.amdhsa_forward_progress 0
		.amdhsa_shared_vgpr_count 0
		.amdhsa_exception_fp_ieee_invalid_op 0
		.amdhsa_exception_fp_denorm_src 0
		.amdhsa_exception_fp_ieee_div_zero 0
		.amdhsa_exception_fp_ieee_overflow 0
		.amdhsa_exception_fp_ieee_underflow 0
		.amdhsa_exception_fp_ieee_inexact 0
		.amdhsa_exception_int_div_zero 0
	.end_amdhsa_kernel
	.section	.text._ZL39rocblas_trsm_block_forward_substitutionIddPKPKdPKPdLb0ELb0ELb1EEv18rocblas_operation_llT0_T1_lllT2_lllib,"axG",@progbits,_ZL39rocblas_trsm_block_forward_substitutionIddPKPKdPKPdLb0ELb0ELb1EEv18rocblas_operation_llT0_T1_lllT2_lllib,comdat
.Lfunc_end114:
	.size	_ZL39rocblas_trsm_block_forward_substitutionIddPKPKdPKPdLb0ELb0ELb1EEv18rocblas_operation_llT0_T1_lllT2_lllib, .Lfunc_end114-_ZL39rocblas_trsm_block_forward_substitutionIddPKPKdPKPdLb0ELb0ELb1EEv18rocblas_operation_llT0_T1_lllT2_lllib
                                        ; -- End function
	.section	.AMDGPU.csdata,"",@progbits
; Kernel info:
; codeLenInByte = 872
; NumSgprs: 27
; NumVgprs: 13
; ScratchSize: 0
; MemoryBound: 0
; FloatMode: 240
; IeeeMode: 1
; LDSByteSize: 0 bytes/workgroup (compile time only)
; SGPRBlocks: 3
; VGPRBlocks: 1
; NumSGPRsForWavesPerEU: 27
; NumVGPRsForWavesPerEU: 13
; Occupancy: 16
; WaveLimiterHint : 1
; COMPUTE_PGM_RSRC2:SCRATCH_EN: 0
; COMPUTE_PGM_RSRC2:USER_SGPR: 13
; COMPUTE_PGM_RSRC2:TRAP_HANDLER: 0
; COMPUTE_PGM_RSRC2:TGID_X_EN: 1
; COMPUTE_PGM_RSRC2:TGID_Y_EN: 1
; COMPUTE_PGM_RSRC2:TGID_Z_EN: 1
; COMPUTE_PGM_RSRC2:TIDIG_COMP_CNT: 1
	.section	.text._ZL40rocblas_trsm_block_backward_substitutionIddPKPKdPKPdLb0ELb0ELb1EEv18rocblas_operation_llT0_T1_lllT2_lllib,"axG",@progbits,_ZL40rocblas_trsm_block_backward_substitutionIddPKPKdPKPdLb0ELb0ELb1EEv18rocblas_operation_llT0_T1_lllT2_lllib,comdat
	.globl	_ZL40rocblas_trsm_block_backward_substitutionIddPKPKdPKPdLb0ELb0ELb1EEv18rocblas_operation_llT0_T1_lllT2_lllib ; -- Begin function _ZL40rocblas_trsm_block_backward_substitutionIddPKPKdPKPdLb0ELb0ELb1EEv18rocblas_operation_llT0_T1_lllT2_lllib
	.p2align	8
	.type	_ZL40rocblas_trsm_block_backward_substitutionIddPKPKdPKPdLb0ELb0ELb1EEv18rocblas_operation_llT0_T1_lllT2_lllib,@function
_ZL40rocblas_trsm_block_backward_substitutionIddPKPKdPKPdLb0ELb0ELb1EEv18rocblas_operation_llT0_T1_lllT2_lllib: ; @_ZL40rocblas_trsm_block_backward_substitutionIddPKPKdPKPdLb0ELb0ELb1EEv18rocblas_operation_llT0_T1_lllT2_lllib
; %bb.0:
	s_load_b256 s[4:11], s[0:1], 0x8
	s_mov_b32 s2, s15
	s_mov_b32 s3, 0
	v_and_b32_e32 v1, 0x3ff, v0
	s_lshl_b64 s[2:3], s[2:3], 3
	v_bfe_u32 v0, v0, 10, 10
	s_waitcnt lgkmcnt(0)
	s_add_u32 s10, s10, s2
	s_addc_u32 s11, s11, s3
	s_load_b128 s[20:23], s[0:1], 0x28
	s_load_b64 s[10:11], s[10:11], 0x0
	s_clause 0x2
	s_load_b128 s[16:19], s[0:1], 0x40
	s_load_b32 s24, s[0:1], 0x64
	s_load_b32 s15, s[0:1], 0x74
	s_waitcnt lgkmcnt(0)
	s_lshl_b64 s[12:13], s[20:21], 3
	s_delay_alu instid0(SALU_CYCLE_1)
	s_add_u32 s10, s10, s12
	s_addc_u32 s11, s11, s13
	s_add_u32 s2, s16, s2
	s_addc_u32 s3, s17, s3
	s_load_b64 s[16:17], s[0:1], 0x50
	s_load_b64 s[12:13], s[2:3], 0x0
	s_add_u32 s20, s0, 0x68
	s_addc_u32 s21, s1, 0
	s_lshr_b32 s15, s15, 16
	s_bitcmp0_b32 s24, 0
	s_mov_b64 s[0:1], 1
	s_cbranch_scc1 .LBB115_6
; %bb.1:
	v_cmp_lt_i64_e64 s0, s[4:5], 1
	s_lshl_b32 s1, s15, 3
	s_mov_b64 s[2:3], 1
	s_add_i32 s24, s1, 0
	s_delay_alu instid0(VALU_DEP_1)
	s_and_b32 vcc_lo, exec_lo, s0
	s_cbranch_vccnz .LBB115_7
; %bb.2:
	v_mad_u64_u32 v[3:4], null, v1, s22, 0
	s_delay_alu instid0(VALU_DEP_1) | instskip(NEXT) | instid1(VALU_DEP_1)
	v_mov_b32_e32 v2, v4
	v_mad_u64_u32 v[4:5], null, v1, s23, v[2:3]
	v_mov_b32_e32 v2, 0
	s_delay_alu instid0(VALU_DEP_1) | instskip(NEXT) | instid1(VALU_DEP_3)
	v_cmp_gt_u64_e64 s0, s[4:5], v[1:2]
	v_lshlrev_b64 v[5:6], 3, v[3:4]
	v_lshl_add_u32 v4, v1, 3, s24
	s_delay_alu instid0(VALU_DEP_2) | instskip(NEXT) | instid1(VALU_DEP_3)
	v_add_co_u32 v5, vcc_lo, s10, v5
	v_add_co_ci_u32_e32 v6, vcc_lo, s11, v6, vcc_lo
	s_mov_b32 s10, 0
	s_set_inst_prefetch_distance 0x1
	s_branch .LBB115_4
	.p2align	6
.LBB115_3:                              ;   in Loop: Header=BB115_4 Depth=1
	s_or_b32 exec_lo, exec_lo, s1
	s_add_i32 s10, s10, s15
	s_delay_alu instid0(SALU_CYCLE_1) | instskip(NEXT) | instid1(SALU_CYCLE_1)
	s_ashr_i32 s11, s10, 31
	v_cmp_ge_i64_e64 s1, s[10:11], s[4:5]
	s_delay_alu instid0(VALU_DEP_1)
	s_and_b32 vcc_lo, exec_lo, s1
	s_cbranch_vccnz .LBB115_7
.LBB115_4:                              ; =>This Inner Loop Header: Depth=1
	v_add_nc_u32_e32 v2, s10, v0
	s_delay_alu instid0(VALU_DEP_1) | instskip(SKIP_1) | instid1(VALU_DEP_2)
	v_ashrrev_i32_e32 v3, 31, v2
	v_cmp_lt_i32_e64 s1, v1, v2
	v_cmp_gt_i64_e32 vcc_lo, s[4:5], v[2:3]
	s_delay_alu instid0(VALU_DEP_2) | instskip(NEXT) | instid1(SALU_CYCLE_1)
	s_and_b32 s1, s1, vcc_lo
	s_and_b32 s11, s0, s1
	s_delay_alu instid0(SALU_CYCLE_1)
	s_and_saveexec_b32 s1, s11
	s_cbranch_execz .LBB115_3
; %bb.5:                                ;   in Loop: Header=BB115_4 Depth=1
	v_lshlrev_b64 v[7:8], 3, v[2:3]
	s_load_b32 s11, s[20:21], 0xc
	s_delay_alu instid0(VALU_DEP_1) | instskip(NEXT) | instid1(VALU_DEP_2)
	v_add_co_u32 v7, vcc_lo, v5, v7
	v_add_co_ci_u32_e32 v8, vcc_lo, v6, v8, vcc_lo
	global_load_b64 v[7:8], v[7:8], off
	s_waitcnt lgkmcnt(0)
	s_and_b32 s11, s11, 0xffff
	s_delay_alu instid0(SALU_CYCLE_1) | instskip(NEXT) | instid1(VALU_DEP_1)
	v_mul_lo_u32 v2, v2, s11
	v_lshl_add_u32 v2, v2, 3, v4
	s_waitcnt vmcnt(0)
	ds_store_b64 v2, v[7:8]
	s_branch .LBB115_3
.LBB115_6:
	s_mov_b32 s2, s22
	s_mov_b32 s3, s23
	s_branch .LBB115_8
.LBB115_7:
	s_set_inst_prefetch_distance 0x2
	s_load_b32 s10, s[20:21], 0xc
	s_mov_b64 s[0:1], src_shared_base
	s_delay_alu instid0(SALU_CYCLE_1)
	s_mov_b32 s25, s1
	s_waitcnt lgkmcnt(0)
	s_and_b32 s0, s10, 0xffff
	s_mov_b64 s[10:11], s[24:25]
.LBB115_8:
	v_mad_u64_u32 v[3:4], null, s14, s15, v[0:1]
	v_mov_b32_e32 v4, 0
	s_mov_b32 s1, exec_lo
	s_delay_alu instid0(VALU_DEP_1)
	v_cmpx_gt_i64_e64 s[6:7], v[3:4]
	s_cbranch_execz .LBB115_19
; %bb.9:
	v_mov_b32_e32 v2, v4
	s_delay_alu instid0(VALU_DEP_1)
	v_cmp_gt_i64_e32 vcc_lo, s[4:5], v[1:2]
	s_and_b32 exec_lo, exec_lo, vcc_lo
	s_cbranch_execz .LBB115_19
; %bb.10:
	s_waitcnt lgkmcnt(0)
	v_mad_u64_u32 v[5:6], null, v1, s16, 0
	s_lshl_b64 s[6:7], s[18:19], 3
	v_lshlrev_b64 v[3:4], 3, v[3:4]
	s_add_u32 s1, s12, s6
	s_addc_u32 s6, s13, s7
	s_delay_alu instid0(VALU_DEP_2) | instskip(NEXT) | instid1(VALU_DEP_1)
	v_mad_u64_u32 v[7:8], null, v1, s17, v[6:7]
	v_mov_b32_e32 v6, v7
	s_delay_alu instid0(VALU_DEP_1) | instskip(NEXT) | instid1(VALU_DEP_1)
	v_lshlrev_b64 v[5:6], 3, v[5:6]
	v_add_co_u32 v5, vcc_lo, s1, v5
	s_delay_alu instid0(VALU_DEP_2) | instskip(SKIP_1) | instid1(VALU_DEP_3)
	v_add_co_ci_u32_e32 v6, vcc_lo, s6, v6, vcc_lo
	v_cmp_lt_u64_e64 s1, s[4:5], 2
	v_add_co_u32 v3, vcc_lo, v5, v3
	s_delay_alu instid0(VALU_DEP_3) | instskip(NEXT) | instid1(VALU_DEP_3)
	v_add_co_ci_u32_e32 v4, vcc_lo, v6, v4, vcc_lo
	s_and_b32 vcc_lo, exec_lo, s1
	global_load_b64 v[5:6], v[3:4], off
	s_waitcnt vmcnt(0)
	v_mul_f64 v[5:6], v[5:6], s[8:9]
	s_cbranch_vccnz .LBB115_18
; %bb.11:
	v_mad_u64_u32 v[7:8], null, s2, v1, 0
	s_add_u32 s2, s4, -1
	v_lshl_add_u32 v0, v0, 3, 0
	s_mul_hi_u32 s1, s0, s2
	s_mul_i32 s4, s0, s2
	s_delay_alu instid0(VALU_DEP_2) | instskip(SKIP_1) | instid1(SALU_CYCLE_1)
	v_mad_u64_u32 v[9:10], null, s3, v1, v[8:9]
	s_addc_u32 s3, s5, -1
	s_mul_i32 s5, s0, s3
	s_delay_alu instid0(SALU_CYCLE_1) | instskip(NEXT) | instid1(SALU_CYCLE_1)
	s_add_i32 s5, s1, s5
	s_lshl_b64 s[4:5], s[4:5], 3
	s_delay_alu instid0(VALU_DEP_1) | instskip(SKIP_3) | instid1(VALU_DEP_1)
	v_mov_b32_e32 v8, v9
	s_add_u32 s1, s10, s4
	s_addc_u32 s4, s11, s5
	s_lshl_b32 s0, s0, 3
	v_lshlrev_b64 v[7:8], 3, v[7:8]
	s_delay_alu instid0(VALU_DEP_1) | instskip(NEXT) | instid1(VALU_DEP_2)
	v_add_co_u32 v7, vcc_lo, s1, v7
	v_add_co_ci_u32_e32 v8, vcc_lo, s4, v8, vcc_lo
	s_sub_u32 s4, 0, s0
	s_subb_u32 s5, 0, 0
	s_set_inst_prefetch_distance 0x1
	.p2align	6
.LBB115_12:                             ; =>This Inner Loop Header: Depth=1
	s_mov_b32 s0, exec_lo
	s_barrier
	buffer_gl0_inv
	v_cmpx_eq_u64_e64 s[2:3], v[1:2]
	s_cbranch_execz .LBB115_14
; %bb.13:                               ;   in Loop: Header=BB115_12 Depth=1
	ds_store_b64 v0, v[5:6]
.LBB115_14:                             ;   in Loop: Header=BB115_12 Depth=1
	s_or_b32 exec_lo, exec_lo, s0
	s_delay_alu instid0(SALU_CYCLE_1)
	s_mov_b32 s0, exec_lo
	s_waitcnt lgkmcnt(0)
	s_barrier
	buffer_gl0_inv
	v_cmpx_gt_i64_e64 s[2:3], v[1:2]
	s_cbranch_execz .LBB115_16
; %bb.15:                               ;   in Loop: Header=BB115_12 Depth=1
	flat_load_b64 v[9:10], v[7:8]
	ds_load_b64 v[11:12], v0
	s_waitcnt vmcnt(0) lgkmcnt(0)
	v_fma_f64 v[5:6], -v[9:10], v[11:12], v[5:6]
.LBB115_16:                             ;   in Loop: Header=BB115_12 Depth=1
	s_or_b32 exec_lo, exec_lo, s0
	s_add_u32 s0, s2, -1
	s_addc_u32 s1, s3, -1
	s_add_u32 s2, s2, 1
	s_addc_u32 s3, s3, 0
	v_add_co_u32 v7, vcc_lo, v7, s4
	v_cmp_lt_u64_e64 s2, s[2:3], 3
	v_add_co_ci_u32_e32 v8, vcc_lo, s5, v8, vcc_lo
	s_delay_alu instid0(VALU_DEP_2)
	s_and_b32 vcc_lo, exec_lo, s2
	s_cbranch_vccnz .LBB115_18
; %bb.17:                               ;   in Loop: Header=BB115_12 Depth=1
	s_mov_b64 s[2:3], s[0:1]
	s_branch .LBB115_12
.LBB115_18:
	s_set_inst_prefetch_distance 0x2
	global_store_b64 v[3:4], v[5:6], off
.LBB115_19:
	s_nop 0
	s_sendmsg sendmsg(MSG_DEALLOC_VGPRS)
	s_endpgm
	.section	.rodata,"a",@progbits
	.p2align	6, 0x0
	.amdhsa_kernel _ZL40rocblas_trsm_block_backward_substitutionIddPKPKdPKPdLb0ELb0ELb1EEv18rocblas_operation_llT0_T1_lllT2_lllib
		.amdhsa_group_segment_fixed_size 0
		.amdhsa_private_segment_fixed_size 0
		.amdhsa_kernarg_size 360
		.amdhsa_user_sgpr_count 13
		.amdhsa_user_sgpr_dispatch_ptr 0
		.amdhsa_user_sgpr_queue_ptr 0
		.amdhsa_user_sgpr_kernarg_segment_ptr 1
		.amdhsa_user_sgpr_dispatch_id 0
		.amdhsa_user_sgpr_private_segment_size 0
		.amdhsa_wavefront_size32 1
		.amdhsa_uses_dynamic_stack 0
		.amdhsa_enable_private_segment 0
		.amdhsa_system_sgpr_workgroup_id_x 1
		.amdhsa_system_sgpr_workgroup_id_y 1
		.amdhsa_system_sgpr_workgroup_id_z 1
		.amdhsa_system_sgpr_workgroup_info 0
		.amdhsa_system_vgpr_workitem_id 1
		.amdhsa_next_free_vgpr 13
		.amdhsa_next_free_sgpr 26
		.amdhsa_reserve_vcc 1
		.amdhsa_float_round_mode_32 0
		.amdhsa_float_round_mode_16_64 0
		.amdhsa_float_denorm_mode_32 3
		.amdhsa_float_denorm_mode_16_64 3
		.amdhsa_dx10_clamp 1
		.amdhsa_ieee_mode 1
		.amdhsa_fp16_overflow 0
		.amdhsa_workgroup_processor_mode 1
		.amdhsa_memory_ordered 1
		.amdhsa_forward_progress 0
		.amdhsa_shared_vgpr_count 0
		.amdhsa_exception_fp_ieee_invalid_op 0
		.amdhsa_exception_fp_denorm_src 0
		.amdhsa_exception_fp_ieee_div_zero 0
		.amdhsa_exception_fp_ieee_overflow 0
		.amdhsa_exception_fp_ieee_underflow 0
		.amdhsa_exception_fp_ieee_inexact 0
		.amdhsa_exception_int_div_zero 0
	.end_amdhsa_kernel
	.section	.text._ZL40rocblas_trsm_block_backward_substitutionIddPKPKdPKPdLb0ELb0ELb1EEv18rocblas_operation_llT0_T1_lllT2_lllib,"axG",@progbits,_ZL40rocblas_trsm_block_backward_substitutionIddPKPKdPKPdLb0ELb0ELb1EEv18rocblas_operation_llT0_T1_lllT2_lllib,comdat
.Lfunc_end115:
	.size	_ZL40rocblas_trsm_block_backward_substitutionIddPKPKdPKPdLb0ELb0ELb1EEv18rocblas_operation_llT0_T1_lllT2_lllib, .Lfunc_end115-_ZL40rocblas_trsm_block_backward_substitutionIddPKPKdPKPdLb0ELb0ELb1EEv18rocblas_operation_llT0_T1_lllT2_lllib
                                        ; -- End function
	.section	.AMDGPU.csdata,"",@progbits
; Kernel info:
; codeLenInByte = 988
; NumSgprs: 28
; NumVgprs: 13
; ScratchSize: 0
; MemoryBound: 0
; FloatMode: 240
; IeeeMode: 1
; LDSByteSize: 0 bytes/workgroup (compile time only)
; SGPRBlocks: 3
; VGPRBlocks: 1
; NumSGPRsForWavesPerEU: 28
; NumVGPRsForWavesPerEU: 13
; Occupancy: 16
; WaveLimiterHint : 1
; COMPUTE_PGM_RSRC2:SCRATCH_EN: 0
; COMPUTE_PGM_RSRC2:USER_SGPR: 13
; COMPUTE_PGM_RSRC2:TRAP_HANDLER: 0
; COMPUTE_PGM_RSRC2:TGID_X_EN: 1
; COMPUTE_PGM_RSRC2:TGID_Y_EN: 1
; COMPUTE_PGM_RSRC2:TGID_Z_EN: 1
; COMPUTE_PGM_RSRC2:TIDIG_COMP_CNT: 1
	.section	.text._ZL39rocblas_trsm_block_forward_substitutionIddPKPKdPKPdLb0ELb1ELb0EEv18rocblas_operation_llT0_T1_lllT2_lllib,"axG",@progbits,_ZL39rocblas_trsm_block_forward_substitutionIddPKPKdPKPdLb0ELb1ELb0EEv18rocblas_operation_llT0_T1_lllT2_lllib,comdat
	.globl	_ZL39rocblas_trsm_block_forward_substitutionIddPKPKdPKPdLb0ELb1ELb0EEv18rocblas_operation_llT0_T1_lllT2_lllib ; -- Begin function _ZL39rocblas_trsm_block_forward_substitutionIddPKPKdPKPdLb0ELb1ELb0EEv18rocblas_operation_llT0_T1_lllT2_lllib
	.p2align	8
	.type	_ZL39rocblas_trsm_block_forward_substitutionIddPKPKdPKPdLb0ELb1ELb0EEv18rocblas_operation_llT0_T1_lllT2_lllib,@function
_ZL39rocblas_trsm_block_forward_substitutionIddPKPKdPKPdLb0ELb1ELb0EEv18rocblas_operation_llT0_T1_lllT2_lllib: ; @_ZL39rocblas_trsm_block_forward_substitutionIddPKPKdPKPdLb0ELb1ELb0EEv18rocblas_operation_llT0_T1_lllT2_lllib
; %bb.0:
	s_mov_b32 s12, s15
	s_clause 0x2
	s_load_b32 s15, s[0:1], 0x64
	s_load_b256 s[4:11], s[0:1], 0x8
	s_load_b32 s3, s[0:1], 0x74
	s_mov_b32 s13, 0
	v_and_b32_e32 v1, 0x3ff, v0
	v_bfe_u32 v0, v0, 10, 10
	s_waitcnt lgkmcnt(0)
	s_bitcmp1_b32 s15, 0
	s_cselect_b32 s2, -1, 0
	s_lshl_b64 s[12:13], s[12:13], 3
	s_delay_alu instid0(SALU_CYCLE_1)
	s_add_u32 s10, s10, s12
	s_addc_u32 s11, s11, s13
	s_load_b128 s[16:19], s[0:1], 0x28
	s_load_b64 s[10:11], s[10:11], 0x0
	s_load_b128 s[20:23], s[0:1], 0x40
	s_waitcnt lgkmcnt(0)
	s_lshl_b64 s[16:17], s[16:17], 3
	s_delay_alu instid0(SALU_CYCLE_1)
	s_add_u32 s10, s10, s16
	s_addc_u32 s11, s11, s17
	s_add_u32 s12, s20, s12
	s_addc_u32 s13, s21, s13
	s_load_b64 s[16:17], s[0:1], 0x50
	s_load_b64 s[12:13], s[12:13], 0x0
	s_add_u32 s20, s0, 0x68
	s_addc_u32 s21, s1, 0
	s_lshr_b32 s3, s3, 16
	s_bitcmp0_b32 s15, 0
	s_cbranch_scc1 .LBB116_13
; %bb.1:
	v_cmp_lt_i64_e64 s0, s[4:5], 1
	s_lshl_b32 s1, s3, 3
	s_delay_alu instid0(SALU_CYCLE_1) | instskip(NEXT) | instid1(VALU_DEP_1)
	s_add_i32 s24, s1, 0
	s_and_b32 vcc_lo, exec_lo, s0
	s_cbranch_vccnz .LBB116_12
; %bb.2:
	v_mad_u64_u32 v[3:4], null, v1, s18, 0
	v_mov_b32_e32 v9, v0
	s_delay_alu instid0(VALU_DEP_2) | instskip(NEXT) | instid1(VALU_DEP_1)
	v_mov_b32_e32 v2, v4
	v_mad_u64_u32 v[4:5], null, v1, s19, v[2:3]
	v_dual_mov_b32 v2, 0 :: v_dual_lshlrev_b32 v5, 3, v1
	s_delay_alu instid0(VALU_DEP_1) | instskip(NEXT) | instid1(VALU_DEP_3)
	v_add_co_u32 v7, s0, s10, v5
	v_lshlrev_b64 v[3:4], 3, v[3:4]
	v_add_co_ci_u32_e64 v8, null, s11, 0, s0
	s_delay_alu instid0(VALU_DEP_4) | instskip(SKIP_1) | instid1(VALU_DEP_4)
	v_cmp_le_u64_e32 vcc_lo, s[4:5], v[1:2]
	v_add_nc_u32_e32 v6, s24, v5
	v_add_co_u32 v2, s0, v7, v3
	s_delay_alu instid0(VALU_DEP_1)
	v_add_co_ci_u32_e64 v3, s0, v8, v4, s0
	s_xor_b32 s10, vcc_lo, -1
	s_mov_b32 s0, s3
	s_branch .LBB116_4
.LBB116_3:                              ;   in Loop: Header=BB116_4 Depth=1
	s_or_b32 exec_lo, exec_lo, s11
	s_ashr_i32 s1, s0, 31
	v_add_nc_u32_e32 v9, s3, v9
	v_cmp_ge_i64_e64 s1, s[0:1], s[4:5]
	s_add_i32 s0, s0, s3
	s_delay_alu instid0(VALU_DEP_1)
	s_and_b32 vcc_lo, exec_lo, s1
	s_cbranch_vccnz .LBB116_12
.LBB116_4:                              ; =>This Inner Loop Header: Depth=1
	v_cmp_gt_i32_e32 vcc_lo, v1, v9
	s_mov_b32 s1, 0
                                        ; implicit-def: $vgpr4_vgpr5
	s_and_b32 s11, s10, vcc_lo
	s_delay_alu instid0(SALU_CYCLE_1) | instskip(NEXT) | instid1(SALU_CYCLE_1)
	s_and_saveexec_b32 s15, s11
	s_xor_b32 s11, exec_lo, s15
	s_cbranch_execnz .LBB116_7
; %bb.5:                                ;   in Loop: Header=BB116_4 Depth=1
	s_or_saveexec_b32 s11, s11
	v_mov_b32_e32 v10, v9
	s_xor_b32 exec_lo, exec_lo, s11
	s_cbranch_execnz .LBB116_8
.LBB116_6:                              ;   in Loop: Header=BB116_4 Depth=1
	s_or_b32 exec_lo, exec_lo, s11
	s_and_saveexec_b32 s11, s1
	s_cbranch_execz .LBB116_3
	s_branch .LBB116_11
.LBB116_7:                              ;   in Loop: Header=BB116_4 Depth=1
	v_ashrrev_i32_e32 v10, 31, v9
	v_mul_lo_u32 v11, v9, s19
	s_waitcnt vmcnt(0)
	v_mad_u64_u32 v[4:5], null, v9, s18, 0
	s_mov_b32 s1, exec_lo
	v_mul_lo_u32 v10, v10, s18
	s_delay_alu instid0(VALU_DEP_1) | instskip(NEXT) | instid1(VALU_DEP_1)
	v_add3_u32 v5, v5, v11, v10
	v_lshlrev_b64 v[4:5], 3, v[4:5]
	s_delay_alu instid0(VALU_DEP_1) | instskip(NEXT) | instid1(VALU_DEP_2)
	v_add_co_u32 v4, vcc_lo, v7, v4
	v_add_co_ci_u32_e32 v5, vcc_lo, v8, v5, vcc_lo
	global_load_b64 v[4:5], v[4:5], off
	s_or_saveexec_b32 s11, s11
	v_mov_b32_e32 v10, v9
	s_xor_b32 exec_lo, exec_lo, s11
	s_cbranch_execz .LBB116_6
.LBB116_8:                              ;   in Loop: Header=BB116_4 Depth=1
	v_cmp_eq_u32_e32 vcc_lo, v1, v9
	s_mov_b32 s25, s1
                                        ; implicit-def: $vgpr4_vgpr5
	s_and_b32 s26, s10, vcc_lo
	s_delay_alu instid0(SALU_CYCLE_1)
	s_and_saveexec_b32 s15, s26
	s_cbranch_execz .LBB116_10
; %bb.9:                                ;   in Loop: Header=BB116_4 Depth=1
	global_load_b64 v[4:5], v[2:3], off
	s_or_b32 s25, s1, exec_lo
	s_waitcnt vmcnt(0)
	v_div_scale_f64 v[10:11], null, v[4:5], v[4:5], 1.0
	s_delay_alu instid0(VALU_DEP_1) | instskip(SKIP_2) | instid1(VALU_DEP_1)
	v_rcp_f64_e32 v[12:13], v[10:11]
	s_waitcnt_depctr 0xfff
	v_fma_f64 v[14:15], -v[10:11], v[12:13], 1.0
	v_fma_f64 v[12:13], v[12:13], v[14:15], v[12:13]
	s_delay_alu instid0(VALU_DEP_1) | instskip(NEXT) | instid1(VALU_DEP_1)
	v_fma_f64 v[14:15], -v[10:11], v[12:13], 1.0
	v_fma_f64 v[12:13], v[12:13], v[14:15], v[12:13]
	v_div_scale_f64 v[14:15], vcc_lo, 1.0, v[4:5], 1.0
	s_delay_alu instid0(VALU_DEP_1) | instskip(NEXT) | instid1(VALU_DEP_1)
	v_mul_f64 v[16:17], v[14:15], v[12:13]
	v_fma_f64 v[10:11], -v[10:11], v[16:17], v[14:15]
	s_delay_alu instid0(VALU_DEP_1) | instskip(NEXT) | instid1(VALU_DEP_1)
	v_div_fmas_f64 v[10:11], v[10:11], v[12:13], v[16:17]
	v_div_fixup_f64 v[4:5], v[10:11], v[4:5], 1.0
.LBB116_10:                             ;   in Loop: Header=BB116_4 Depth=1
	s_or_b32 exec_lo, exec_lo, s15
	v_mov_b32_e32 v10, v1
	s_and_not1_b32 s1, s1, exec_lo
	s_and_b32 s15, s25, exec_lo
	s_delay_alu instid0(SALU_CYCLE_1)
	s_or_b32 s1, s1, s15
	s_or_b32 exec_lo, exec_lo, s11
	s_and_saveexec_b32 s11, s1
	s_cbranch_execz .LBB116_3
.LBB116_11:                             ;   in Loop: Header=BB116_4 Depth=1
	s_load_b32 s1, s[20:21], 0xc
	s_waitcnt lgkmcnt(0)
	s_and_b32 s1, s1, 0xffff
	s_delay_alu instid0(SALU_CYCLE_1) | instskip(NEXT) | instid1(VALU_DEP_1)
	v_mul_lo_u32 v10, v10, s1
	v_lshl_add_u32 v10, v10, 3, v6
	s_waitcnt vmcnt(0)
	ds_store_b64 v10, v[4:5]
	s_branch .LBB116_3
.LBB116_12:
	s_load_b32 s10, s[20:21], 0xc
	s_mov_b64 s[0:1], src_shared_base
	s_mov_b32 s19, 0
	s_mov_b32 s25, s1
	s_waitcnt lgkmcnt(0)
	s_and_b32 s18, s10, 0xffff
	s_mov_b64 s[10:11], s[24:25]
.LBB116_13:
	s_waitcnt vmcnt(0)
	v_mad_u64_u32 v[3:4], null, s14, s3, v[0:1]
	v_mov_b32_e32 v4, 0
	s_mov_b32 s0, exec_lo
	s_delay_alu instid0(VALU_DEP_1)
	v_cmpx_gt_i64_e64 s[6:7], v[3:4]
	s_cbranch_execz .LBB116_25
; %bb.14:
	v_mov_b32_e32 v2, v4
	s_delay_alu instid0(VALU_DEP_1)
	v_cmp_gt_i64_e32 vcc_lo, s[4:5], v[1:2]
	s_and_b32 exec_lo, exec_lo, vcc_lo
	s_cbranch_execz .LBB116_25
; %bb.15:
	s_waitcnt lgkmcnt(0)
	v_mad_u64_u32 v[5:6], null, v1, s16, 0
	s_lshl_b64 s[0:1], s[22:23], 3
	v_lshlrev_b64 v[3:4], 3, v[3:4]
	s_add_u32 s0, s12, s0
	s_addc_u32 s1, s13, s1
	v_cmp_lt_u64_e64 s3, s[4:5], 2
	s_delay_alu instid0(VALU_DEP_3) | instskip(NEXT) | instid1(VALU_DEP_1)
	v_mad_u64_u32 v[7:8], null, v1, s17, v[6:7]
	v_mov_b32_e32 v6, v7
	s_delay_alu instid0(VALU_DEP_1) | instskip(NEXT) | instid1(VALU_DEP_1)
	v_lshlrev_b64 v[5:6], 3, v[5:6]
	v_add_co_u32 v5, vcc_lo, s0, v5
	s_delay_alu instid0(VALU_DEP_2) | instskip(SKIP_1) | instid1(VALU_DEP_2)
	v_add_co_ci_u32_e32 v6, vcc_lo, s1, v6, vcc_lo
	s_add_u32 s0, s4, -1
	v_add_co_u32 v3, vcc_lo, v5, v3
	s_delay_alu instid0(VALU_DEP_2)
	v_add_co_ci_u32_e32 v4, vcc_lo, v6, v4, vcc_lo
	s_addc_u32 s1, s5, -1
	s_and_b32 vcc_lo, exec_lo, s3
	global_load_b64 v[5:6], v[3:4], off
	s_waitcnt vmcnt(0)
	v_mul_f64 v[5:6], v[5:6], s[8:9]
	s_cbranch_vccnz .LBB116_22
; %bb.16:
	v_mad_u64_u32 v[7:8], null, v1, s18, v[1:2]
	v_lshl_add_u32 v0, v0, 3, 0
	s_lshl_b64 s[4:5], s[18:19], 3
	s_mov_b64 s[6:7], 0
	s_delay_alu instid0(VALU_DEP_2) | instskip(NEXT) | instid1(VALU_DEP_1)
	v_mad_u64_u32 v[9:10], null, v1, s19, v[8:9]
	v_dual_mov_b32 v8, v9 :: v_dual_lshlrev_b32 v9, 3, v1
	s_delay_alu instid0(VALU_DEP_1) | instskip(NEXT) | instid1(VALU_DEP_2)
	v_lshlrev_b64 v[7:8], 3, v[7:8]
	v_add_co_u32 v9, s3, s10, v9
	s_delay_alu instid0(VALU_DEP_1) | instskip(NEXT) | instid1(VALU_DEP_3)
	v_add_co_ci_u32_e64 v10, null, s11, 0, s3
	v_add_co_u32 v7, vcc_lo, s10, v7
	s_delay_alu instid0(VALU_DEP_4)
	v_add_co_ci_u32_e32 v8, vcc_lo, s11, v8, vcc_lo
	s_branch .LBB116_18
.LBB116_17:                             ;   in Loop: Header=BB116_18 Depth=1
	s_or_b32 exec_lo, exec_lo, s3
	v_add_co_u32 v9, vcc_lo, v9, s4
	s_add_u32 s6, s6, 1
	v_add_co_ci_u32_e32 v10, vcc_lo, s5, v10, vcc_lo
	s_addc_u32 s7, s7, 0
	s_delay_alu instid0(SALU_CYCLE_1)
	s_cmp_eq_u64 s[0:1], s[6:7]
	s_cbranch_scc1 .LBB116_22
.LBB116_18:                             ; =>This Inner Loop Header: Depth=1
	s_mov_b32 s3, exec_lo
	s_barrier
	buffer_gl0_inv
	v_cmpx_eq_u64_e64 s[6:7], v[1:2]
	s_cbranch_execz .LBB116_20
; %bb.19:                               ;   in Loop: Header=BB116_18 Depth=1
	flat_load_b64 v[11:12], v[7:8]
	s_waitcnt vmcnt(0) lgkmcnt(0)
	v_div_scale_f64 v[13:14], null, v[11:12], v[11:12], 1.0
	v_div_scale_f64 v[19:20], vcc_lo, 1.0, v[11:12], 1.0
	s_delay_alu instid0(VALU_DEP_2) | instskip(SKIP_2) | instid1(VALU_DEP_1)
	v_rcp_f64_e32 v[15:16], v[13:14]
	s_waitcnt_depctr 0xfff
	v_fma_f64 v[17:18], -v[13:14], v[15:16], 1.0
	v_fma_f64 v[15:16], v[15:16], v[17:18], v[15:16]
	s_delay_alu instid0(VALU_DEP_1) | instskip(NEXT) | instid1(VALU_DEP_1)
	v_fma_f64 v[17:18], -v[13:14], v[15:16], 1.0
	v_fma_f64 v[15:16], v[15:16], v[17:18], v[15:16]
	s_delay_alu instid0(VALU_DEP_1) | instskip(NEXT) | instid1(VALU_DEP_1)
	v_mul_f64 v[17:18], v[19:20], v[15:16]
	v_fma_f64 v[13:14], -v[13:14], v[17:18], v[19:20]
	s_delay_alu instid0(VALU_DEP_1) | instskip(NEXT) | instid1(VALU_DEP_1)
	v_div_fmas_f64 v[13:14], v[13:14], v[15:16], v[17:18]
	v_div_fixup_f64 v[13:14], v[13:14], v[11:12], 1.0
	s_delay_alu instid0(VALU_DEP_1) | instskip(NEXT) | instid1(VALU_DEP_2)
	v_cndmask_b32_e64 v12, v14, v12, s2
	v_cndmask_b32_e64 v11, v13, v11, s2
	s_delay_alu instid0(VALU_DEP_1)
	v_mul_f64 v[5:6], v[5:6], v[11:12]
	ds_store_b64 v0, v[5:6]
.LBB116_20:                             ;   in Loop: Header=BB116_18 Depth=1
	s_or_b32 exec_lo, exec_lo, s3
	s_delay_alu instid0(SALU_CYCLE_1)
	s_mov_b32 s3, exec_lo
	s_waitcnt lgkmcnt(0)
	s_barrier
	buffer_gl0_inv
	v_cmpx_lt_u64_e64 s[6:7], v[1:2]
	s_cbranch_execz .LBB116_17
; %bb.21:                               ;   in Loop: Header=BB116_18 Depth=1
	flat_load_b64 v[11:12], v[9:10]
	ds_load_b64 v[13:14], v0
	s_waitcnt vmcnt(0) lgkmcnt(0)
	v_fma_f64 v[5:6], -v[11:12], v[13:14], v[5:6]
	s_branch .LBB116_17
.LBB116_22:
	v_cmp_eq_u64_e32 vcc_lo, s[0:1], v[1:2]
	s_and_saveexec_b32 s0, vcc_lo
	s_cbranch_execz .LBB116_24
; %bb.23:
	v_mad_u64_u32 v[7:8], null, v1, s18, v[1:2]
	s_delay_alu instid0(VALU_DEP_1) | instskip(NEXT) | instid1(VALU_DEP_1)
	v_mov_b32_e32 v0, v8
	v_mad_u64_u32 v[8:9], null, v1, s19, v[0:1]
	s_delay_alu instid0(VALU_DEP_1) | instskip(NEXT) | instid1(VALU_DEP_1)
	v_lshlrev_b64 v[0:1], 3, v[7:8]
	v_add_co_u32 v0, vcc_lo, s10, v0
	s_delay_alu instid0(VALU_DEP_2) | instskip(SKIP_4) | instid1(VALU_DEP_2)
	v_add_co_ci_u32_e32 v1, vcc_lo, s11, v1, vcc_lo
	flat_load_b64 v[0:1], v[0:1]
	s_waitcnt vmcnt(0) lgkmcnt(0)
	v_div_scale_f64 v[7:8], null, v[0:1], v[0:1], 1.0
	v_div_scale_f64 v[13:14], vcc_lo, 1.0, v[0:1], 1.0
	v_rcp_f64_e32 v[9:10], v[7:8]
	s_waitcnt_depctr 0xfff
	v_fma_f64 v[11:12], -v[7:8], v[9:10], 1.0
	s_delay_alu instid0(VALU_DEP_1) | instskip(NEXT) | instid1(VALU_DEP_1)
	v_fma_f64 v[9:10], v[9:10], v[11:12], v[9:10]
	v_fma_f64 v[11:12], -v[7:8], v[9:10], 1.0
	s_delay_alu instid0(VALU_DEP_1) | instskip(NEXT) | instid1(VALU_DEP_1)
	v_fma_f64 v[9:10], v[9:10], v[11:12], v[9:10]
	v_mul_f64 v[11:12], v[13:14], v[9:10]
	s_delay_alu instid0(VALU_DEP_1) | instskip(NEXT) | instid1(VALU_DEP_1)
	v_fma_f64 v[7:8], -v[7:8], v[11:12], v[13:14]
	v_div_fmas_f64 v[7:8], v[7:8], v[9:10], v[11:12]
	s_delay_alu instid0(VALU_DEP_1) | instskip(NEXT) | instid1(VALU_DEP_1)
	v_div_fixup_f64 v[7:8], v[7:8], v[0:1], 1.0
	v_cndmask_b32_e64 v1, v8, v1, s2
	s_delay_alu instid0(VALU_DEP_2) | instskip(NEXT) | instid1(VALU_DEP_1)
	v_cndmask_b32_e64 v0, v7, v0, s2
	v_mul_f64 v[5:6], v[5:6], v[0:1]
.LBB116_24:
	s_or_b32 exec_lo, exec_lo, s0
	global_store_b64 v[3:4], v[5:6], off
.LBB116_25:
	s_nop 0
	s_sendmsg sendmsg(MSG_DEALLOC_VGPRS)
	s_endpgm
	.section	.rodata,"a",@progbits
	.p2align	6, 0x0
	.amdhsa_kernel _ZL39rocblas_trsm_block_forward_substitutionIddPKPKdPKPdLb0ELb1ELb0EEv18rocblas_operation_llT0_T1_lllT2_lllib
		.amdhsa_group_segment_fixed_size 0
		.amdhsa_private_segment_fixed_size 0
		.amdhsa_kernarg_size 360
		.amdhsa_user_sgpr_count 13
		.amdhsa_user_sgpr_dispatch_ptr 0
		.amdhsa_user_sgpr_queue_ptr 0
		.amdhsa_user_sgpr_kernarg_segment_ptr 1
		.amdhsa_user_sgpr_dispatch_id 0
		.amdhsa_user_sgpr_private_segment_size 0
		.amdhsa_wavefront_size32 1
		.amdhsa_uses_dynamic_stack 0
		.amdhsa_enable_private_segment 0
		.amdhsa_system_sgpr_workgroup_id_x 1
		.amdhsa_system_sgpr_workgroup_id_y 1
		.amdhsa_system_sgpr_workgroup_id_z 1
		.amdhsa_system_sgpr_workgroup_info 0
		.amdhsa_system_vgpr_workitem_id 1
		.amdhsa_next_free_vgpr 21
		.amdhsa_next_free_sgpr 27
		.amdhsa_reserve_vcc 1
		.amdhsa_float_round_mode_32 0
		.amdhsa_float_round_mode_16_64 0
		.amdhsa_float_denorm_mode_32 3
		.amdhsa_float_denorm_mode_16_64 3
		.amdhsa_dx10_clamp 1
		.amdhsa_ieee_mode 1
		.amdhsa_fp16_overflow 0
		.amdhsa_workgroup_processor_mode 1
		.amdhsa_memory_ordered 1
		.amdhsa_forward_progress 0
		.amdhsa_shared_vgpr_count 0
		.amdhsa_exception_fp_ieee_invalid_op 0
		.amdhsa_exception_fp_denorm_src 0
		.amdhsa_exception_fp_ieee_div_zero 0
		.amdhsa_exception_fp_ieee_overflow 0
		.amdhsa_exception_fp_ieee_underflow 0
		.amdhsa_exception_fp_ieee_inexact 0
		.amdhsa_exception_int_div_zero 0
	.end_amdhsa_kernel
	.section	.text._ZL39rocblas_trsm_block_forward_substitutionIddPKPKdPKPdLb0ELb1ELb0EEv18rocblas_operation_llT0_T1_lllT2_lllib,"axG",@progbits,_ZL39rocblas_trsm_block_forward_substitutionIddPKPKdPKPdLb0ELb1ELb0EEv18rocblas_operation_llT0_T1_lllT2_lllib,comdat
.Lfunc_end116:
	.size	_ZL39rocblas_trsm_block_forward_substitutionIddPKPKdPKPdLb0ELb1ELb0EEv18rocblas_operation_llT0_T1_lllT2_lllib, .Lfunc_end116-_ZL39rocblas_trsm_block_forward_substitutionIddPKPKdPKPdLb0ELb1ELb0EEv18rocblas_operation_llT0_T1_lllT2_lllib
                                        ; -- End function
	.section	.AMDGPU.csdata,"",@progbits
; Kernel info:
; codeLenInByte = 1584
; NumSgprs: 29
; NumVgprs: 21
; ScratchSize: 0
; MemoryBound: 1
; FloatMode: 240
; IeeeMode: 1
; LDSByteSize: 0 bytes/workgroup (compile time only)
; SGPRBlocks: 3
; VGPRBlocks: 2
; NumSGPRsForWavesPerEU: 29
; NumVGPRsForWavesPerEU: 21
; Occupancy: 16
; WaveLimiterHint : 1
; COMPUTE_PGM_RSRC2:SCRATCH_EN: 0
; COMPUTE_PGM_RSRC2:USER_SGPR: 13
; COMPUTE_PGM_RSRC2:TRAP_HANDLER: 0
; COMPUTE_PGM_RSRC2:TGID_X_EN: 1
; COMPUTE_PGM_RSRC2:TGID_Y_EN: 1
; COMPUTE_PGM_RSRC2:TGID_Z_EN: 1
; COMPUTE_PGM_RSRC2:TIDIG_COMP_CNT: 1
	.section	.text._ZL40rocblas_trsm_block_backward_substitutionIddPKPKdPKPdLb0ELb1ELb0EEv18rocblas_operation_llT0_T1_lllT2_lllib,"axG",@progbits,_ZL40rocblas_trsm_block_backward_substitutionIddPKPKdPKPdLb0ELb1ELb0EEv18rocblas_operation_llT0_T1_lllT2_lllib,comdat
	.globl	_ZL40rocblas_trsm_block_backward_substitutionIddPKPKdPKPdLb0ELb1ELb0EEv18rocblas_operation_llT0_T1_lllT2_lllib ; -- Begin function _ZL40rocblas_trsm_block_backward_substitutionIddPKPKdPKPdLb0ELb1ELb0EEv18rocblas_operation_llT0_T1_lllT2_lllib
	.p2align	8
	.type	_ZL40rocblas_trsm_block_backward_substitutionIddPKPKdPKPdLb0ELb1ELb0EEv18rocblas_operation_llT0_T1_lllT2_lllib,@function
_ZL40rocblas_trsm_block_backward_substitutionIddPKPKdPKPdLb0ELb1ELb0EEv18rocblas_operation_llT0_T1_lllT2_lllib: ; @_ZL40rocblas_trsm_block_backward_substitutionIddPKPKdPKPdLb0ELb1ELb0EEv18rocblas_operation_llT0_T1_lllT2_lllib
; %bb.0:
	s_mov_b32 s12, s15
	s_clause 0x2
	s_load_b32 s15, s[0:1], 0x64
	s_load_b256 s[4:11], s[0:1], 0x8
	s_load_b32 s3, s[0:1], 0x74
	s_mov_b32 s13, 0
	v_and_b32_e32 v1, 0x3ff, v0
	v_bfe_u32 v0, v0, 10, 10
	s_waitcnt lgkmcnt(0)
	s_bitcmp1_b32 s15, 0
	s_cselect_b32 s2, -1, 0
	s_lshl_b64 s[24:25], s[12:13], 3
	s_delay_alu instid0(SALU_CYCLE_1)
	s_add_u32 s10, s10, s24
	s_addc_u32 s11, s11, s25
	s_load_b128 s[20:23], s[0:1], 0x28
	s_load_b64 s[10:11], s[10:11], 0x0
	s_load_b128 s[16:19], s[0:1], 0x40
	s_waitcnt lgkmcnt(0)
	s_lshl_b64 s[12:13], s[20:21], 3
	s_delay_alu instid0(SALU_CYCLE_1)
	s_add_u32 s12, s10, s12
	s_addc_u32 s13, s11, s13
	s_add_u32 s10, s16, s24
	s_addc_u32 s11, s17, s25
	s_load_b64 s[20:21], s[0:1], 0x50
	s_load_b64 s[16:17], s[10:11], 0x0
	s_add_u32 s24, s0, 0x68
	s_addc_u32 s25, s1, 0
	s_lshr_b32 s3, s3, 16
	s_bitcmp0_b32 s15, 0
	s_mov_b64 s[0:1], 1
	s_cbranch_scc1 .LBB117_14
; %bb.1:
	v_cmp_lt_i64_e64 s0, s[4:5], 1
	s_lshl_b32 s1, s3, 3
	s_mov_b64 s[10:11], 1
	s_add_i32 s26, s1, 0
	s_delay_alu instid0(VALU_DEP_1)
	s_and_b32 vcc_lo, exec_lo, s0
	s_cbranch_vccnz .LBB117_15
; %bb.2:
	v_mad_u64_u32 v[3:4], null, v1, s22, 0
	s_delay_alu instid0(VALU_DEP_1) | instskip(NEXT) | instid1(VALU_DEP_1)
	v_mov_b32_e32 v2, v4
	v_mad_u64_u32 v[4:5], null, v1, s23, v[2:3]
	v_dual_mov_b32 v2, 0 :: v_dual_lshlrev_b32 v5, 3, v1
	s_delay_alu instid0(VALU_DEP_1) | instskip(NEXT) | instid1(VALU_DEP_3)
	v_add_nc_u32_e32 v8, s26, v5
	v_lshlrev_b64 v[3:4], 3, v[3:4]
	s_delay_alu instid0(VALU_DEP_3) | instskip(SKIP_1) | instid1(VALU_DEP_3)
	v_cmp_le_u64_e64 s15, s[4:5], v[1:2]
	v_cmp_gt_u64_e64 s1, s[4:5], v[1:2]
	v_add_co_u32 v9, vcc_lo, s12, v3
	s_delay_alu instid0(VALU_DEP_4) | instskip(SKIP_1) | instid1(VALU_DEP_3)
	v_add_co_ci_u32_e32 v10, vcc_lo, s13, v4, vcc_lo
	v_mov_b32_e32 v4, v0
	v_add_co_u32 v2, vcc_lo, v9, v5
	s_delay_alu instid0(VALU_DEP_3)
	v_add_co_ci_u32_e32 v3, vcc_lo, 0, v10, vcc_lo
	s_xor_b32 s22, s15, -1
	s_mov_b32 s12, s3
	s_branch .LBB117_4
.LBB117_3:                              ;   in Loop: Header=BB117_4 Depth=1
	s_or_b32 exec_lo, exec_lo, s13
	s_ashr_i32 s13, s12, 31
	v_add_nc_u32_e32 v4, s3, v4
	v_cmp_ge_i64_e64 s0, s[12:13], s[4:5]
	s_add_i32 s12, s12, s3
	s_delay_alu instid0(VALU_DEP_1)
	s_and_b32 vcc_lo, exec_lo, s0
	s_cbranch_vccnz .LBB117_15
.LBB117_4:                              ; =>This Inner Loop Header: Depth=1
	s_mov_b32 s23, s15
	s_mov_b32 s0, 0
                                        ; implicit-def: $vgpr6_vgpr7
                                        ; implicit-def: $vgpr5
	s_and_saveexec_b32 s13, s1
	s_cbranch_execnz .LBB117_7
; %bb.5:                                ;   in Loop: Header=BB117_4 Depth=1
	s_or_b32 exec_lo, exec_lo, s13
	s_and_saveexec_b32 s13, s23
	s_cbranch_execnz .LBB117_10
.LBB117_6:                              ;   in Loop: Header=BB117_4 Depth=1
	s_or_b32 exec_lo, exec_lo, s13
	s_and_saveexec_b32 s13, s0
	s_cbranch_execz .LBB117_3
	s_branch .LBB117_13
.LBB117_7:                              ;   in Loop: Header=BB117_4 Depth=1
	v_ashrrev_i32_e32 v5, 31, v4
	v_cmp_lt_i32_e64 s0, v1, v4
	s_mov_b32 s23, -1
                                        ; implicit-def: $vgpr6_vgpr7
	s_delay_alu instid0(VALU_DEP_2) | instskip(NEXT) | instid1(VALU_DEP_2)
	v_cmp_gt_i64_e32 vcc_lo, s[4:5], v[4:5]
	s_and_b32 s28, s0, vcc_lo
	s_mov_b32 s0, 0
	s_and_saveexec_b32 s27, s28
	s_cbranch_execz .LBB117_9
; %bb.8:                                ;   in Loop: Header=BB117_4 Depth=1
	s_waitcnt vmcnt(0)
	v_lshlrev_b64 v[5:6], 3, v[4:5]
	s_mov_b32 s0, exec_lo
	s_xor_b32 s23, exec_lo, -1
	s_delay_alu instid0(VALU_DEP_1) | instskip(NEXT) | instid1(VALU_DEP_2)
	v_add_co_u32 v5, vcc_lo, v9, v5
	v_add_co_ci_u32_e32 v6, vcc_lo, v10, v6, vcc_lo
	global_load_b64 v[6:7], v[5:6], off
.LBB117_9:                              ;   in Loop: Header=BB117_4 Depth=1
	s_or_b32 exec_lo, exec_lo, s27
	v_mov_b32_e32 v5, v4
	s_and_not1_b32 s27, s15, exec_lo
	s_and_b32 s23, s23, exec_lo
	s_and_b32 s0, s0, exec_lo
	s_or_b32 s23, s27, s23
	s_or_b32 exec_lo, exec_lo, s13
	s_and_saveexec_b32 s13, s23
	s_cbranch_execz .LBB117_6
.LBB117_10:                             ;   in Loop: Header=BB117_4 Depth=1
	v_cmp_eq_u32_e32 vcc_lo, v1, v4
	s_mov_b32 s27, s0
                                        ; implicit-def: $vgpr6_vgpr7
	s_and_b32 s28, s22, vcc_lo
	s_delay_alu instid0(SALU_CYCLE_1)
	s_and_saveexec_b32 s23, s28
	s_cbranch_execz .LBB117_12
; %bb.11:                               ;   in Loop: Header=BB117_4 Depth=1
	global_load_b64 v[5:6], v[2:3], off
	s_or_b32 s27, s0, exec_lo
	s_waitcnt vmcnt(0)
	v_div_scale_f64 v[11:12], null, v[5:6], v[5:6], 1.0
	s_delay_alu instid0(VALU_DEP_1) | instskip(SKIP_2) | instid1(VALU_DEP_1)
	v_rcp_f64_e32 v[13:14], v[11:12]
	s_waitcnt_depctr 0xfff
	v_fma_f64 v[15:16], -v[11:12], v[13:14], 1.0
	v_fma_f64 v[13:14], v[13:14], v[15:16], v[13:14]
	s_delay_alu instid0(VALU_DEP_1) | instskip(NEXT) | instid1(VALU_DEP_1)
	v_fma_f64 v[15:16], -v[11:12], v[13:14], 1.0
	v_fma_f64 v[13:14], v[13:14], v[15:16], v[13:14]
	v_div_scale_f64 v[15:16], vcc_lo, 1.0, v[5:6], 1.0
	s_delay_alu instid0(VALU_DEP_1) | instskip(NEXT) | instid1(VALU_DEP_1)
	v_mul_f64 v[17:18], v[15:16], v[13:14]
	v_fma_f64 v[11:12], -v[11:12], v[17:18], v[15:16]
	s_delay_alu instid0(VALU_DEP_1) | instskip(NEXT) | instid1(VALU_DEP_1)
	v_div_fmas_f64 v[11:12], v[11:12], v[13:14], v[17:18]
	v_div_fixup_f64 v[6:7], v[11:12], v[5:6], 1.0
.LBB117_12:                             ;   in Loop: Header=BB117_4 Depth=1
	s_or_b32 exec_lo, exec_lo, s23
	v_mov_b32_e32 v5, v1
	s_and_not1_b32 s0, s0, exec_lo
	s_and_b32 s23, s27, exec_lo
	s_delay_alu instid0(SALU_CYCLE_1)
	s_or_b32 s0, s0, s23
	s_or_b32 exec_lo, exec_lo, s13
	s_and_saveexec_b32 s13, s0
	s_cbranch_execz .LBB117_3
.LBB117_13:                             ;   in Loop: Header=BB117_4 Depth=1
	s_load_b32 s0, s[24:25], 0xc
	s_waitcnt lgkmcnt(0)
	s_and_b32 s0, s0, 0xffff
	s_delay_alu instid0(SALU_CYCLE_1) | instskip(NEXT) | instid1(VALU_DEP_1)
	v_mul_lo_u32 v5, v5, s0
	v_lshl_add_u32 v5, v5, 3, v8
	s_waitcnt vmcnt(0)
	ds_store_b64 v5, v[6:7]
	s_branch .LBB117_3
.LBB117_14:
	s_mov_b32 s10, s22
	s_mov_b32 s11, s23
	s_branch .LBB117_16
.LBB117_15:
	s_load_b32 s0, s[24:25], 0xc
	s_mov_b64 s[12:13], src_shared_base
	s_mov_b32 s1, 0
	s_mov_b32 s27, s13
	s_delay_alu instid0(SALU_CYCLE_1)
	s_mov_b64 s[12:13], s[26:27]
	s_waitcnt lgkmcnt(0)
	s_and_b32 s0, s0, 0xffff
.LBB117_16:
	v_mad_u64_u32 v[3:4], null, s14, s3, v[0:1]
	v_mov_b32_e32 v4, 0
	s_mov_b32 s3, exec_lo
	s_delay_alu instid0(VALU_DEP_1)
	v_cmpx_gt_i64_e64 s[6:7], v[3:4]
	s_cbranch_execz .LBB117_29
; %bb.17:
	v_mov_b32_e32 v2, v4
	s_delay_alu instid0(VALU_DEP_1)
	v_cmp_gt_i64_e32 vcc_lo, s[4:5], v[1:2]
	s_and_b32 exec_lo, exec_lo, vcc_lo
	s_cbranch_execz .LBB117_29
; %bb.18:
	s_waitcnt lgkmcnt(0)
	v_mad_u64_u32 v[4:5], null, v3, s20, 0
	s_lshl_b64 s[6:7], s[18:19], 3
	s_delay_alu instid0(SALU_CYCLE_1) | instskip(SKIP_2) | instid1(VALU_DEP_1)
	s_add_u32 s3, s16, s6
	s_addc_u32 s6, s17, s7
	s_waitcnt vmcnt(0)
	v_mad_u64_u32 v[6:7], null, v3, s21, v[5:6]
	s_delay_alu instid0(VALU_DEP_1) | instskip(NEXT) | instid1(VALU_DEP_1)
	v_mov_b32_e32 v5, v6
	v_lshlrev_b64 v[3:4], 3, v[4:5]
	v_lshlrev_b32_e32 v5, 3, v1
	s_delay_alu instid0(VALU_DEP_2) | instskip(NEXT) | instid1(VALU_DEP_3)
	v_add_co_u32 v3, vcc_lo, s3, v3
	v_add_co_ci_u32_e32 v4, vcc_lo, s6, v4, vcc_lo
	v_cmp_lt_u64_e64 s3, s[4:5], 2
	s_delay_alu instid0(VALU_DEP_3) | instskip(NEXT) | instid1(VALU_DEP_3)
	v_add_co_u32 v3, vcc_lo, v3, v5
	v_add_co_ci_u32_e32 v4, vcc_lo, 0, v4, vcc_lo
	s_delay_alu instid0(VALU_DEP_3)
	s_and_b32 vcc_lo, exec_lo, s3
	global_load_b64 v[5:6], v[3:4], off
	s_waitcnt vmcnt(0)
	v_mul_f64 v[5:6], v[5:6], s[8:9]
	s_cbranch_vccnz .LBB117_26
; %bb.19:
	s_add_u32 s3, s0, s10
	v_mad_u64_u32 v[7:8], null, s10, v1, 0
	v_mad_u64_u32 v[9:10], null, s3, v1, 0
	s_addc_u32 s3, s1, s11
	s_add_u32 s4, s4, -1
	s_addc_u32 s5, s5, -1
	s_mul_i32 s6, s0, s4
	s_mul_i32 s7, s0, s5
	v_lshl_add_u32 v0, v0, 3, 0
	s_delay_alu instid0(VALU_DEP_2) | instskip(NEXT) | instid1(VALU_DEP_1)
	v_mad_u64_u32 v[11:12], null, s11, v1, v[8:9]
	v_mad_u64_u32 v[12:13], null, s3, v1, v[10:11]
	v_mov_b32_e32 v8, v11
	s_mul_hi_u32 s3, s0, s4
	s_delay_alu instid0(SALU_CYCLE_1) | instskip(NEXT) | instid1(VALU_DEP_1)
	s_add_i32 s7, s3, s7
	v_lshlrev_b64 v[7:8], 3, v[7:8]
	s_delay_alu instid0(VALU_DEP_3) | instskip(SKIP_1) | instid1(SALU_CYCLE_1)
	v_mov_b32_e32 v10, v12
	s_lshl_b64 s[6:7], s[6:7], 3
	s_add_u32 s3, s12, s6
	s_addc_u32 s6, s13, s7
	s_delay_alu instid0(VALU_DEP_1) | instskip(SKIP_3) | instid1(VALU_DEP_3)
	v_lshlrev_b64 v[9:10], 3, v[9:10]
	v_add_co_u32 v7, vcc_lo, s3, v7
	v_add_co_ci_u32_e32 v8, vcc_lo, s6, v8, vcc_lo
	s_lshl_b32 s3, s0, 3
	v_add_co_u32 v9, vcc_lo, s12, v9
	s_delay_alu instid0(VALU_DEP_4)
	v_add_co_ci_u32_e32 v10, vcc_lo, s13, v10, vcc_lo
	s_sub_u32 s3, 0, s3
	s_subb_u32 s8, 0, 0
.LBB117_20:                             ; =>This Inner Loop Header: Depth=1
	s_mov_b32 s6, exec_lo
	s_barrier
	buffer_gl0_inv
	v_cmpx_eq_u64_e64 s[4:5], v[1:2]
	s_cbranch_execz .LBB117_22
; %bb.21:                               ;   in Loop: Header=BB117_20 Depth=1
	flat_load_b64 v[11:12], v[9:10]
	s_waitcnt vmcnt(0) lgkmcnt(0)
	v_div_scale_f64 v[13:14], null, v[11:12], v[11:12], 1.0
	v_div_scale_f64 v[19:20], vcc_lo, 1.0, v[11:12], 1.0
	s_delay_alu instid0(VALU_DEP_2) | instskip(SKIP_2) | instid1(VALU_DEP_1)
	v_rcp_f64_e32 v[15:16], v[13:14]
	s_waitcnt_depctr 0xfff
	v_fma_f64 v[17:18], -v[13:14], v[15:16], 1.0
	v_fma_f64 v[15:16], v[15:16], v[17:18], v[15:16]
	s_delay_alu instid0(VALU_DEP_1) | instskip(NEXT) | instid1(VALU_DEP_1)
	v_fma_f64 v[17:18], -v[13:14], v[15:16], 1.0
	v_fma_f64 v[15:16], v[15:16], v[17:18], v[15:16]
	s_delay_alu instid0(VALU_DEP_1) | instskip(NEXT) | instid1(VALU_DEP_1)
	v_mul_f64 v[17:18], v[19:20], v[15:16]
	v_fma_f64 v[13:14], -v[13:14], v[17:18], v[19:20]
	s_delay_alu instid0(VALU_DEP_1) | instskip(NEXT) | instid1(VALU_DEP_1)
	v_div_fmas_f64 v[13:14], v[13:14], v[15:16], v[17:18]
	v_div_fixup_f64 v[13:14], v[13:14], v[11:12], 1.0
	s_delay_alu instid0(VALU_DEP_1) | instskip(NEXT) | instid1(VALU_DEP_2)
	v_cndmask_b32_e64 v12, v14, v12, s2
	v_cndmask_b32_e64 v11, v13, v11, s2
	s_delay_alu instid0(VALU_DEP_1)
	v_mul_f64 v[5:6], v[5:6], v[11:12]
	ds_store_b64 v0, v[5:6]
.LBB117_22:                             ;   in Loop: Header=BB117_20 Depth=1
	s_or_b32 exec_lo, exec_lo, s6
	s_delay_alu instid0(SALU_CYCLE_1)
	s_mov_b32 s6, exec_lo
	s_waitcnt lgkmcnt(0)
	s_barrier
	buffer_gl0_inv
	v_cmpx_gt_i64_e64 s[4:5], v[1:2]
	s_cbranch_execz .LBB117_24
; %bb.23:                               ;   in Loop: Header=BB117_20 Depth=1
	flat_load_b64 v[11:12], v[7:8]
	ds_load_b64 v[13:14], v0
	s_waitcnt vmcnt(0) lgkmcnt(0)
	v_fma_f64 v[5:6], -v[11:12], v[13:14], v[5:6]
.LBB117_24:                             ;   in Loop: Header=BB117_20 Depth=1
	s_or_b32 exec_lo, exec_lo, s6
	s_add_u32 s6, s4, -1
	s_addc_u32 s7, s5, -1
	s_add_u32 s4, s4, 1
	s_addc_u32 s5, s5, 0
	v_add_co_u32 v7, vcc_lo, v7, s3
	v_cmp_lt_u64_e64 s4, s[4:5], 3
	v_add_co_ci_u32_e32 v8, vcc_lo, s8, v8, vcc_lo
	s_delay_alu instid0(VALU_DEP_2)
	s_and_b32 vcc_lo, exec_lo, s4
	s_cbranch_vccnz .LBB117_26
; %bb.25:                               ;   in Loop: Header=BB117_20 Depth=1
	s_mov_b64 s[4:5], s[6:7]
	s_branch .LBB117_20
.LBB117_26:
	s_mov_b32 s3, exec_lo
	v_cmpx_eq_u32_e32 0, v1
	s_cbranch_execz .LBB117_28
; %bb.27:
	s_add_u32 s0, s0, s10
	s_delay_alu instid0(SALU_CYCLE_1) | instskip(SKIP_1) | instid1(VALU_DEP_1)
	v_mad_u64_u32 v[7:8], null, s0, v1, 0
	s_addc_u32 s0, s1, s11
	v_mov_b32_e32 v0, v8
	s_delay_alu instid0(VALU_DEP_1) | instskip(NEXT) | instid1(VALU_DEP_1)
	v_mad_u64_u32 v[8:9], null, s0, v1, v[0:1]
	v_lshlrev_b64 v[0:1], 3, v[7:8]
	s_delay_alu instid0(VALU_DEP_1) | instskip(NEXT) | instid1(VALU_DEP_2)
	v_add_co_u32 v0, vcc_lo, s12, v0
	v_add_co_ci_u32_e32 v1, vcc_lo, s13, v1, vcc_lo
	flat_load_b64 v[0:1], v[0:1]
	s_waitcnt vmcnt(0) lgkmcnt(0)
	v_div_scale_f64 v[7:8], null, v[0:1], v[0:1], 1.0
	v_div_scale_f64 v[13:14], vcc_lo, 1.0, v[0:1], 1.0
	s_delay_alu instid0(VALU_DEP_2) | instskip(SKIP_2) | instid1(VALU_DEP_1)
	v_rcp_f64_e32 v[9:10], v[7:8]
	s_waitcnt_depctr 0xfff
	v_fma_f64 v[11:12], -v[7:8], v[9:10], 1.0
	v_fma_f64 v[9:10], v[9:10], v[11:12], v[9:10]
	s_delay_alu instid0(VALU_DEP_1) | instskip(NEXT) | instid1(VALU_DEP_1)
	v_fma_f64 v[11:12], -v[7:8], v[9:10], 1.0
	v_fma_f64 v[9:10], v[9:10], v[11:12], v[9:10]
	s_delay_alu instid0(VALU_DEP_1) | instskip(NEXT) | instid1(VALU_DEP_1)
	v_mul_f64 v[11:12], v[13:14], v[9:10]
	v_fma_f64 v[7:8], -v[7:8], v[11:12], v[13:14]
	s_delay_alu instid0(VALU_DEP_1) | instskip(NEXT) | instid1(VALU_DEP_1)
	v_div_fmas_f64 v[7:8], v[7:8], v[9:10], v[11:12]
	v_div_fixup_f64 v[7:8], v[7:8], v[0:1], 1.0
	s_delay_alu instid0(VALU_DEP_1) | instskip(NEXT) | instid1(VALU_DEP_2)
	v_cndmask_b32_e64 v1, v8, v1, s2
	v_cndmask_b32_e64 v0, v7, v0, s2
	s_delay_alu instid0(VALU_DEP_1)
	v_mul_f64 v[5:6], v[5:6], v[0:1]
.LBB117_28:
	s_or_b32 exec_lo, exec_lo, s3
	global_store_b64 v[3:4], v[5:6], off
.LBB117_29:
	s_nop 0
	s_sendmsg sendmsg(MSG_DEALLOC_VGPRS)
	s_endpgm
	.section	.rodata,"a",@progbits
	.p2align	6, 0x0
	.amdhsa_kernel _ZL40rocblas_trsm_block_backward_substitutionIddPKPKdPKPdLb0ELb1ELb0EEv18rocblas_operation_llT0_T1_lllT2_lllib
		.amdhsa_group_segment_fixed_size 0
		.amdhsa_private_segment_fixed_size 0
		.amdhsa_kernarg_size 360
		.amdhsa_user_sgpr_count 13
		.amdhsa_user_sgpr_dispatch_ptr 0
		.amdhsa_user_sgpr_queue_ptr 0
		.amdhsa_user_sgpr_kernarg_segment_ptr 1
		.amdhsa_user_sgpr_dispatch_id 0
		.amdhsa_user_sgpr_private_segment_size 0
		.amdhsa_wavefront_size32 1
		.amdhsa_uses_dynamic_stack 0
		.amdhsa_enable_private_segment 0
		.amdhsa_system_sgpr_workgroup_id_x 1
		.amdhsa_system_sgpr_workgroup_id_y 1
		.amdhsa_system_sgpr_workgroup_id_z 1
		.amdhsa_system_sgpr_workgroup_info 0
		.amdhsa_system_vgpr_workitem_id 1
		.amdhsa_next_free_vgpr 21
		.amdhsa_next_free_sgpr 29
		.amdhsa_reserve_vcc 1
		.amdhsa_float_round_mode_32 0
		.amdhsa_float_round_mode_16_64 0
		.amdhsa_float_denorm_mode_32 3
		.amdhsa_float_denorm_mode_16_64 3
		.amdhsa_dx10_clamp 1
		.amdhsa_ieee_mode 1
		.amdhsa_fp16_overflow 0
		.amdhsa_workgroup_processor_mode 1
		.amdhsa_memory_ordered 1
		.amdhsa_forward_progress 0
		.amdhsa_shared_vgpr_count 0
		.amdhsa_exception_fp_ieee_invalid_op 0
		.amdhsa_exception_fp_denorm_src 0
		.amdhsa_exception_fp_ieee_div_zero 0
		.amdhsa_exception_fp_ieee_overflow 0
		.amdhsa_exception_fp_ieee_underflow 0
		.amdhsa_exception_fp_ieee_inexact 0
		.amdhsa_exception_int_div_zero 0
	.end_amdhsa_kernel
	.section	.text._ZL40rocblas_trsm_block_backward_substitutionIddPKPKdPKPdLb0ELb1ELb0EEv18rocblas_operation_llT0_T1_lllT2_lllib,"axG",@progbits,_ZL40rocblas_trsm_block_backward_substitutionIddPKPKdPKPdLb0ELb1ELb0EEv18rocblas_operation_llT0_T1_lllT2_lllib,comdat
.Lfunc_end117:
	.size	_ZL40rocblas_trsm_block_backward_substitutionIddPKPKdPKPdLb0ELb1ELb0EEv18rocblas_operation_llT0_T1_lllT2_lllib, .Lfunc_end117-_ZL40rocblas_trsm_block_backward_substitutionIddPKPKdPKPdLb0ELb1ELb0EEv18rocblas_operation_llT0_T1_lllT2_lllib
                                        ; -- End function
	.section	.AMDGPU.csdata,"",@progbits
; Kernel info:
; codeLenInByte = 1716
; NumSgprs: 31
; NumVgprs: 21
; ScratchSize: 0
; MemoryBound: 1
; FloatMode: 240
; IeeeMode: 1
; LDSByteSize: 0 bytes/workgroup (compile time only)
; SGPRBlocks: 3
; VGPRBlocks: 2
; NumSGPRsForWavesPerEU: 31
; NumVGPRsForWavesPerEU: 21
; Occupancy: 16
; WaveLimiterHint : 1
; COMPUTE_PGM_RSRC2:SCRATCH_EN: 0
; COMPUTE_PGM_RSRC2:USER_SGPR: 13
; COMPUTE_PGM_RSRC2:TRAP_HANDLER: 0
; COMPUTE_PGM_RSRC2:TGID_X_EN: 1
; COMPUTE_PGM_RSRC2:TGID_Y_EN: 1
; COMPUTE_PGM_RSRC2:TGID_Z_EN: 1
; COMPUTE_PGM_RSRC2:TIDIG_COMP_CNT: 1
	.section	.text._ZL39rocblas_trsm_block_forward_substitutionIddPKPKdPKPdLb0ELb1ELb1EEv18rocblas_operation_llT0_T1_lllT2_lllib,"axG",@progbits,_ZL39rocblas_trsm_block_forward_substitutionIddPKPKdPKPdLb0ELb1ELb1EEv18rocblas_operation_llT0_T1_lllT2_lllib,comdat
	.globl	_ZL39rocblas_trsm_block_forward_substitutionIddPKPKdPKPdLb0ELb1ELb1EEv18rocblas_operation_llT0_T1_lllT2_lllib ; -- Begin function _ZL39rocblas_trsm_block_forward_substitutionIddPKPKdPKPdLb0ELb1ELb1EEv18rocblas_operation_llT0_T1_lllT2_lllib
	.p2align	8
	.type	_ZL39rocblas_trsm_block_forward_substitutionIddPKPKdPKPdLb0ELb1ELb1EEv18rocblas_operation_llT0_T1_lllT2_lllib,@function
_ZL39rocblas_trsm_block_forward_substitutionIddPKPKdPKPdLb0ELb1ELb1EEv18rocblas_operation_llT0_T1_lllT2_lllib: ; @_ZL39rocblas_trsm_block_forward_substitutionIddPKPKdPKPdLb0ELb1ELb1EEv18rocblas_operation_llT0_T1_lllT2_lllib
; %bb.0:
	s_load_b256 s[4:11], s[0:1], 0x8
	s_mov_b32 s2, s15
	s_mov_b32 s3, 0
	v_and_b32_e32 v1, 0x3ff, v0
	s_lshl_b64 s[2:3], s[2:3], 3
	v_bfe_u32 v0, v0, 10, 10
	s_waitcnt lgkmcnt(0)
	s_add_u32 s10, s10, s2
	s_addc_u32 s11, s11, s3
	s_load_b128 s[16:19], s[0:1], 0x28
	s_load_b64 s[10:11], s[10:11], 0x0
	s_clause 0x2
	s_load_b128 s[20:23], s[0:1], 0x40
	s_load_b32 s15, s[0:1], 0x64
	s_load_b32 s24, s[0:1], 0x74
	s_waitcnt lgkmcnt(0)
	s_lshl_b64 s[12:13], s[16:17], 3
	s_delay_alu instid0(SALU_CYCLE_1)
	s_add_u32 s12, s10, s12
	s_addc_u32 s13, s11, s13
	s_add_u32 s2, s20, s2
	s_addc_u32 s3, s21, s3
	s_load_b64 s[10:11], s[0:1], 0x50
	s_load_b64 s[2:3], s[2:3], 0x0
	s_add_u32 s16, s0, 0x68
	s_addc_u32 s17, s1, 0
	s_lshr_b32 s1, s24, 16
	s_bitcmp0_b32 s15, 0
	s_cbranch_scc1 .LBB118_7
; %bb.1:
	v_cmp_lt_i64_e64 s0, s[4:5], 1
	s_lshl_b32 s15, s1, 3
	s_delay_alu instid0(SALU_CYCLE_1) | instskip(NEXT) | instid1(VALU_DEP_1)
	s_add_i32 s20, s15, 0
	s_and_b32 vcc_lo, exec_lo, s0
	s_cbranch_vccnz .LBB118_6
; %bb.2:
	v_lshlrev_b32_e32 v4, 3, v1
	s_delay_alu instid0(VALU_DEP_1) | instskip(NEXT) | instid1(VALU_DEP_1)
	v_dual_mov_b32 v2, 0 :: v_dual_add_nc_u32 v3, s20, v4
	v_cmp_gt_u64_e64 s0, s[4:5], v[1:2]
	v_add_co_u32 v2, s12, s12, v4
	s_delay_alu instid0(VALU_DEP_1)
	v_add_co_ci_u32_e64 v4, null, s13, 0, s12
	s_mov_b32 s12, 0
	s_set_inst_prefetch_distance 0x1
	s_branch .LBB118_4
	.p2align	6
.LBB118_3:                              ;   in Loop: Header=BB118_4 Depth=1
	s_or_b32 exec_lo, exec_lo, s13
	s_add_i32 s12, s12, s1
	s_delay_alu instid0(SALU_CYCLE_1) | instskip(NEXT) | instid1(SALU_CYCLE_1)
	s_ashr_i32 s13, s12, 31
	v_cmp_ge_i64_e64 s13, s[12:13], s[4:5]
	s_delay_alu instid0(VALU_DEP_1)
	s_and_b32 vcc_lo, exec_lo, s13
	s_cbranch_vccnz .LBB118_6
.LBB118_4:                              ; =>This Inner Loop Header: Depth=1
	v_add_nc_u32_e32 v5, s12, v0
	s_delay_alu instid0(VALU_DEP_1) | instskip(SKIP_1) | instid1(SALU_CYCLE_1)
	v_cmp_gt_i32_e32 vcc_lo, v1, v5
	s_and_b32 s15, s0, vcc_lo
	s_and_saveexec_b32 s13, s15
	s_cbranch_execz .LBB118_3
; %bb.5:                                ;   in Loop: Header=BB118_4 Depth=1
	v_ashrrev_i32_e32 v8, 31, v5
	v_mul_lo_u32 v9, v5, s19
	v_mad_u64_u32 v[6:7], null, v5, s18, 0
	s_load_b32 s15, s[16:17], 0xc
	s_delay_alu instid0(VALU_DEP_3) | instskip(NEXT) | instid1(VALU_DEP_1)
	v_mul_lo_u32 v8, v8, s18
	v_add3_u32 v7, v7, v9, v8
	s_delay_alu instid0(VALU_DEP_1) | instskip(SKIP_2) | instid1(VALU_DEP_1)
	v_lshlrev_b64 v[6:7], 3, v[6:7]
	s_waitcnt lgkmcnt(0)
	s_and_b32 s15, s15, 0xffff
	v_add_co_u32 v6, vcc_lo, v2, v6
	s_delay_alu instid0(VALU_DEP_2)
	v_add_co_ci_u32_e32 v7, vcc_lo, v4, v7, vcc_lo
	v_mul_lo_u32 v5, v5, s15
	global_load_b64 v[6:7], v[6:7], off
	v_lshl_add_u32 v5, v5, 3, v3
	s_waitcnt vmcnt(0)
	ds_store_b64 v5, v[6:7]
	s_branch .LBB118_3
.LBB118_6:
	s_set_inst_prefetch_distance 0x2
	s_load_b32 s0, s[16:17], 0xc
	s_mov_b64 s[12:13], src_shared_base
	s_mov_b32 s19, 0
	s_mov_b32 s21, s13
	s_delay_alu instid0(SALU_CYCLE_1)
	s_mov_b64 s[12:13], s[20:21]
	s_waitcnt lgkmcnt(0)
	s_and_b32 s18, s0, 0xffff
.LBB118_7:
	v_mad_u64_u32 v[3:4], null, s14, s1, v[0:1]
	v_mov_b32_e32 v4, 0
	s_mov_b32 s0, exec_lo
	s_delay_alu instid0(VALU_DEP_1)
	v_cmpx_gt_i64_e64 s[6:7], v[3:4]
	s_cbranch_execz .LBB118_17
; %bb.8:
	v_mov_b32_e32 v2, v4
	s_delay_alu instid0(VALU_DEP_1)
	v_cmp_gt_i64_e32 vcc_lo, s[4:5], v[1:2]
	s_and_b32 exec_lo, exec_lo, vcc_lo
	s_cbranch_execz .LBB118_17
; %bb.9:
	s_waitcnt lgkmcnt(0)
	v_mad_u64_u32 v[5:6], null, v1, s10, 0
	s_lshl_b64 s[0:1], s[22:23], 3
	v_lshlrev_b64 v[3:4], 3, v[3:4]
	s_add_u32 s0, s2, s0
	s_addc_u32 s1, s3, s1
	s_delay_alu instid0(VALU_DEP_2) | instskip(NEXT) | instid1(VALU_DEP_1)
	v_mad_u64_u32 v[7:8], null, v1, s11, v[6:7]
	v_mov_b32_e32 v6, v7
	s_delay_alu instid0(VALU_DEP_1) | instskip(NEXT) | instid1(VALU_DEP_1)
	v_lshlrev_b64 v[5:6], 3, v[5:6]
	v_add_co_u32 v5, vcc_lo, s0, v5
	s_delay_alu instid0(VALU_DEP_2) | instskip(SKIP_1) | instid1(VALU_DEP_3)
	v_add_co_ci_u32_e32 v6, vcc_lo, s1, v6, vcc_lo
	v_cmp_lt_u64_e64 s0, s[4:5], 2
	v_add_co_u32 v3, vcc_lo, v5, v3
	s_delay_alu instid0(VALU_DEP_3) | instskip(NEXT) | instid1(VALU_DEP_3)
	v_add_co_ci_u32_e32 v4, vcc_lo, v6, v4, vcc_lo
	s_and_b32 vcc_lo, exec_lo, s0
	global_load_b64 v[5:6], v[3:4], off
	s_waitcnt vmcnt(0)
	v_mul_f64 v[5:6], v[5:6], s[8:9]
	s_cbranch_vccnz .LBB118_16
; %bb.10:
	v_lshlrev_b32_e32 v7, 3, v1
	v_lshl_add_u32 v0, v0, 3, 0
	s_add_u32 s0, s4, -1
	s_delay_alu instid0(VALU_DEP_2) | instskip(NEXT) | instid1(VALU_DEP_1)
	v_add_co_u32 v7, s1, s12, v7
	v_add_co_ci_u32_e64 v8, null, s13, 0, s1
	s_addc_u32 s1, s5, -1
	s_lshl_b64 s[2:3], s[18:19], 3
	s_mov_b64 s[4:5], 0
	s_set_inst_prefetch_distance 0x1
	s_branch .LBB118_12
	.p2align	6
.LBB118_11:                             ;   in Loop: Header=BB118_12 Depth=1
	s_or_b32 exec_lo, exec_lo, s6
	v_add_co_u32 v7, vcc_lo, v7, s2
	s_add_u32 s4, s4, 1
	v_add_co_ci_u32_e32 v8, vcc_lo, s3, v8, vcc_lo
	s_addc_u32 s5, s5, 0
	s_delay_alu instid0(SALU_CYCLE_1)
	s_cmp_eq_u64 s[0:1], s[4:5]
	s_cbranch_scc1 .LBB118_16
.LBB118_12:                             ; =>This Inner Loop Header: Depth=1
	s_mov_b32 s6, exec_lo
	s_barrier
	buffer_gl0_inv
	v_cmpx_eq_u64_e64 s[4:5], v[1:2]
	s_cbranch_execz .LBB118_14
; %bb.13:                               ;   in Loop: Header=BB118_12 Depth=1
	ds_store_b64 v0, v[5:6]
.LBB118_14:                             ;   in Loop: Header=BB118_12 Depth=1
	s_or_b32 exec_lo, exec_lo, s6
	s_delay_alu instid0(SALU_CYCLE_1)
	s_mov_b32 s6, exec_lo
	s_waitcnt lgkmcnt(0)
	s_barrier
	buffer_gl0_inv
	v_cmpx_lt_u64_e64 s[4:5], v[1:2]
	s_cbranch_execz .LBB118_11
; %bb.15:                               ;   in Loop: Header=BB118_12 Depth=1
	flat_load_b64 v[9:10], v[7:8]
	ds_load_b64 v[11:12], v0
	s_waitcnt vmcnt(0) lgkmcnt(0)
	v_fma_f64 v[5:6], -v[9:10], v[11:12], v[5:6]
	s_branch .LBB118_11
.LBB118_16:
	s_set_inst_prefetch_distance 0x2
	global_store_b64 v[3:4], v[5:6], off
.LBB118_17:
	s_nop 0
	s_sendmsg sendmsg(MSG_DEALLOC_VGPRS)
	s_endpgm
	.section	.rodata,"a",@progbits
	.p2align	6, 0x0
	.amdhsa_kernel _ZL39rocblas_trsm_block_forward_substitutionIddPKPKdPKPdLb0ELb1ELb1EEv18rocblas_operation_llT0_T1_lllT2_lllib
		.amdhsa_group_segment_fixed_size 0
		.amdhsa_private_segment_fixed_size 0
		.amdhsa_kernarg_size 360
		.amdhsa_user_sgpr_count 13
		.amdhsa_user_sgpr_dispatch_ptr 0
		.amdhsa_user_sgpr_queue_ptr 0
		.amdhsa_user_sgpr_kernarg_segment_ptr 1
		.amdhsa_user_sgpr_dispatch_id 0
		.amdhsa_user_sgpr_private_segment_size 0
		.amdhsa_wavefront_size32 1
		.amdhsa_uses_dynamic_stack 0
		.amdhsa_enable_private_segment 0
		.amdhsa_system_sgpr_workgroup_id_x 1
		.amdhsa_system_sgpr_workgroup_id_y 1
		.amdhsa_system_sgpr_workgroup_id_z 1
		.amdhsa_system_sgpr_workgroup_info 0
		.amdhsa_system_vgpr_workitem_id 1
		.amdhsa_next_free_vgpr 13
		.amdhsa_next_free_sgpr 25
		.amdhsa_reserve_vcc 1
		.amdhsa_float_round_mode_32 0
		.amdhsa_float_round_mode_16_64 0
		.amdhsa_float_denorm_mode_32 3
		.amdhsa_float_denorm_mode_16_64 3
		.amdhsa_dx10_clamp 1
		.amdhsa_ieee_mode 1
		.amdhsa_fp16_overflow 0
		.amdhsa_workgroup_processor_mode 1
		.amdhsa_memory_ordered 1
		.amdhsa_forward_progress 0
		.amdhsa_shared_vgpr_count 0
		.amdhsa_exception_fp_ieee_invalid_op 0
		.amdhsa_exception_fp_denorm_src 0
		.amdhsa_exception_fp_ieee_div_zero 0
		.amdhsa_exception_fp_ieee_overflow 0
		.amdhsa_exception_fp_ieee_underflow 0
		.amdhsa_exception_fp_ieee_inexact 0
		.amdhsa_exception_int_div_zero 0
	.end_amdhsa_kernel
	.section	.text._ZL39rocblas_trsm_block_forward_substitutionIddPKPKdPKPdLb0ELb1ELb1EEv18rocblas_operation_llT0_T1_lllT2_lllib,"axG",@progbits,_ZL39rocblas_trsm_block_forward_substitutionIddPKPKdPKPdLb0ELb1ELb1EEv18rocblas_operation_llT0_T1_lllT2_lllib,comdat
.Lfunc_end118:
	.size	_ZL39rocblas_trsm_block_forward_substitutionIddPKPKdPKPdLb0ELb1ELb1EEv18rocblas_operation_llT0_T1_lllT2_lllib, .Lfunc_end118-_ZL39rocblas_trsm_block_forward_substitutionIddPKPKdPKPdLb0ELb1ELb1EEv18rocblas_operation_llT0_T1_lllT2_lllib
                                        ; -- End function
	.section	.AMDGPU.csdata,"",@progbits
; Kernel info:
; codeLenInByte = 880
; NumSgprs: 27
; NumVgprs: 13
; ScratchSize: 0
; MemoryBound: 0
; FloatMode: 240
; IeeeMode: 1
; LDSByteSize: 0 bytes/workgroup (compile time only)
; SGPRBlocks: 3
; VGPRBlocks: 1
; NumSGPRsForWavesPerEU: 27
; NumVGPRsForWavesPerEU: 13
; Occupancy: 16
; WaveLimiterHint : 1
; COMPUTE_PGM_RSRC2:SCRATCH_EN: 0
; COMPUTE_PGM_RSRC2:USER_SGPR: 13
; COMPUTE_PGM_RSRC2:TRAP_HANDLER: 0
; COMPUTE_PGM_RSRC2:TGID_X_EN: 1
; COMPUTE_PGM_RSRC2:TGID_Y_EN: 1
; COMPUTE_PGM_RSRC2:TGID_Z_EN: 1
; COMPUTE_PGM_RSRC2:TIDIG_COMP_CNT: 1
	.section	.text._ZL40rocblas_trsm_block_backward_substitutionIddPKPKdPKPdLb0ELb1ELb1EEv18rocblas_operation_llT0_T1_lllT2_lllib,"axG",@progbits,_ZL40rocblas_trsm_block_backward_substitutionIddPKPKdPKPdLb0ELb1ELb1EEv18rocblas_operation_llT0_T1_lllT2_lllib,comdat
	.globl	_ZL40rocblas_trsm_block_backward_substitutionIddPKPKdPKPdLb0ELb1ELb1EEv18rocblas_operation_llT0_T1_lllT2_lllib ; -- Begin function _ZL40rocblas_trsm_block_backward_substitutionIddPKPKdPKPdLb0ELb1ELb1EEv18rocblas_operation_llT0_T1_lllT2_lllib
	.p2align	8
	.type	_ZL40rocblas_trsm_block_backward_substitutionIddPKPKdPKPdLb0ELb1ELb1EEv18rocblas_operation_llT0_T1_lllT2_lllib,@function
_ZL40rocblas_trsm_block_backward_substitutionIddPKPKdPKPdLb0ELb1ELb1EEv18rocblas_operation_llT0_T1_lllT2_lllib: ; @_ZL40rocblas_trsm_block_backward_substitutionIddPKPKdPKPdLb0ELb1ELb1EEv18rocblas_operation_llT0_T1_lllT2_lllib
; %bb.0:
	s_load_b256 s[4:11], s[0:1], 0x8
	s_mov_b32 s2, s15
	s_mov_b32 s3, 0
	v_and_b32_e32 v1, 0x3ff, v0
	s_lshl_b64 s[2:3], s[2:3], 3
	v_bfe_u32 v0, v0, 10, 10
	s_waitcnt lgkmcnt(0)
	s_add_u32 s10, s10, s2
	s_addc_u32 s11, s11, s3
	s_load_b128 s[20:23], s[0:1], 0x28
	s_load_b64 s[10:11], s[10:11], 0x0
	s_clause 0x2
	s_load_b128 s[16:19], s[0:1], 0x40
	s_load_b32 s24, s[0:1], 0x64
	s_load_b32 s15, s[0:1], 0x74
	s_waitcnt lgkmcnt(0)
	s_lshl_b64 s[12:13], s[20:21], 3
	s_delay_alu instid0(SALU_CYCLE_1)
	s_add_u32 s10, s10, s12
	s_addc_u32 s11, s11, s13
	s_add_u32 s2, s16, s2
	s_addc_u32 s3, s17, s3
	s_load_b64 s[16:17], s[0:1], 0x50
	s_load_b64 s[12:13], s[2:3], 0x0
	s_add_u32 s20, s0, 0x68
	s_addc_u32 s21, s1, 0
	s_lshr_b32 s15, s15, 16
	s_bitcmp0_b32 s24, 0
	s_mov_b64 s[0:1], 1
	s_cbranch_scc1 .LBB119_6
; %bb.1:
	v_cmp_lt_i64_e64 s0, s[4:5], 1
	s_lshl_b32 s1, s15, 3
	s_mov_b64 s[2:3], 1
	s_add_i32 s24, s1, 0
	s_delay_alu instid0(VALU_DEP_1)
	s_and_b32 vcc_lo, exec_lo, s0
	s_cbranch_vccnz .LBB119_7
; %bb.2:
	v_mad_u64_u32 v[3:4], null, v1, s22, 0
	s_delay_alu instid0(VALU_DEP_1) | instskip(NEXT) | instid1(VALU_DEP_1)
	v_mov_b32_e32 v2, v4
	v_mad_u64_u32 v[4:5], null, v1, s23, v[2:3]
	v_mov_b32_e32 v2, 0
	s_delay_alu instid0(VALU_DEP_1) | instskip(NEXT) | instid1(VALU_DEP_3)
	v_cmp_gt_u64_e64 s0, s[4:5], v[1:2]
	v_lshlrev_b64 v[5:6], 3, v[3:4]
	v_lshl_add_u32 v4, v1, 3, s24
	s_delay_alu instid0(VALU_DEP_2) | instskip(NEXT) | instid1(VALU_DEP_3)
	v_add_co_u32 v5, vcc_lo, s10, v5
	v_add_co_ci_u32_e32 v6, vcc_lo, s11, v6, vcc_lo
	s_mov_b32 s10, 0
	s_set_inst_prefetch_distance 0x1
	s_branch .LBB119_4
	.p2align	6
.LBB119_3:                              ;   in Loop: Header=BB119_4 Depth=1
	s_or_b32 exec_lo, exec_lo, s1
	s_add_i32 s10, s10, s15
	s_delay_alu instid0(SALU_CYCLE_1) | instskip(NEXT) | instid1(SALU_CYCLE_1)
	s_ashr_i32 s11, s10, 31
	v_cmp_ge_i64_e64 s1, s[10:11], s[4:5]
	s_delay_alu instid0(VALU_DEP_1)
	s_and_b32 vcc_lo, exec_lo, s1
	s_cbranch_vccnz .LBB119_7
.LBB119_4:                              ; =>This Inner Loop Header: Depth=1
	v_add_nc_u32_e32 v2, s10, v0
	s_delay_alu instid0(VALU_DEP_1) | instskip(SKIP_1) | instid1(VALU_DEP_2)
	v_ashrrev_i32_e32 v3, 31, v2
	v_cmp_lt_i32_e64 s1, v1, v2
	v_cmp_gt_i64_e32 vcc_lo, s[4:5], v[2:3]
	s_delay_alu instid0(VALU_DEP_2) | instskip(NEXT) | instid1(SALU_CYCLE_1)
	s_and_b32 s1, s1, vcc_lo
	s_and_b32 s11, s0, s1
	s_delay_alu instid0(SALU_CYCLE_1)
	s_and_saveexec_b32 s1, s11
	s_cbranch_execz .LBB119_3
; %bb.5:                                ;   in Loop: Header=BB119_4 Depth=1
	v_lshlrev_b64 v[7:8], 3, v[2:3]
	s_load_b32 s11, s[20:21], 0xc
	s_delay_alu instid0(VALU_DEP_1) | instskip(NEXT) | instid1(VALU_DEP_2)
	v_add_co_u32 v7, vcc_lo, v5, v7
	v_add_co_ci_u32_e32 v8, vcc_lo, v6, v8, vcc_lo
	global_load_b64 v[7:8], v[7:8], off
	s_waitcnt lgkmcnt(0)
	s_and_b32 s11, s11, 0xffff
	s_delay_alu instid0(SALU_CYCLE_1) | instskip(NEXT) | instid1(VALU_DEP_1)
	v_mul_lo_u32 v2, v2, s11
	v_lshl_add_u32 v2, v2, 3, v4
	s_waitcnt vmcnt(0)
	ds_store_b64 v2, v[7:8]
	s_branch .LBB119_3
.LBB119_6:
	s_mov_b32 s2, s22
	s_mov_b32 s3, s23
	s_branch .LBB119_8
.LBB119_7:
	s_set_inst_prefetch_distance 0x2
	s_load_b32 s10, s[20:21], 0xc
	s_mov_b64 s[0:1], src_shared_base
	s_delay_alu instid0(SALU_CYCLE_1)
	s_mov_b32 s25, s1
	s_waitcnt lgkmcnt(0)
	s_and_b32 s0, s10, 0xffff
	s_mov_b64 s[10:11], s[24:25]
.LBB119_8:
	v_mad_u64_u32 v[3:4], null, s14, s15, v[0:1]
	v_mov_b32_e32 v4, 0
	s_mov_b32 s1, exec_lo
	s_delay_alu instid0(VALU_DEP_1)
	v_cmpx_gt_i64_e64 s[6:7], v[3:4]
	s_cbranch_execz .LBB119_19
; %bb.9:
	v_mov_b32_e32 v2, v4
	s_delay_alu instid0(VALU_DEP_1)
	v_cmp_gt_i64_e32 vcc_lo, s[4:5], v[1:2]
	s_and_b32 exec_lo, exec_lo, vcc_lo
	s_cbranch_execz .LBB119_19
; %bb.10:
	s_waitcnt lgkmcnt(0)
	v_mad_u64_u32 v[4:5], null, v3, s16, 0
	s_lshl_b64 s[6:7], s[18:19], 3
	s_delay_alu instid0(SALU_CYCLE_1) | instskip(SKIP_1) | instid1(VALU_DEP_1)
	s_add_u32 s1, s12, s6
	s_addc_u32 s6, s13, s7
	v_mad_u64_u32 v[6:7], null, v3, s17, v[5:6]
	s_delay_alu instid0(VALU_DEP_1) | instskip(NEXT) | instid1(VALU_DEP_1)
	v_mov_b32_e32 v5, v6
	v_lshlrev_b64 v[3:4], 3, v[4:5]
	v_lshlrev_b32_e32 v5, 3, v1
	s_delay_alu instid0(VALU_DEP_2) | instskip(NEXT) | instid1(VALU_DEP_3)
	v_add_co_u32 v3, vcc_lo, s1, v3
	v_add_co_ci_u32_e32 v4, vcc_lo, s6, v4, vcc_lo
	v_cmp_lt_u64_e64 s1, s[4:5], 2
	s_delay_alu instid0(VALU_DEP_3) | instskip(NEXT) | instid1(VALU_DEP_3)
	v_add_co_u32 v3, vcc_lo, v3, v5
	v_add_co_ci_u32_e32 v4, vcc_lo, 0, v4, vcc_lo
	s_delay_alu instid0(VALU_DEP_3)
	s_and_b32 vcc_lo, exec_lo, s1
	global_load_b64 v[5:6], v[3:4], off
	s_waitcnt vmcnt(0)
	v_mul_f64 v[5:6], v[5:6], s[8:9]
	s_cbranch_vccnz .LBB119_18
; %bb.11:
	v_mad_u64_u32 v[7:8], null, s2, v1, 0
	s_add_u32 s2, s4, -1
	v_lshl_add_u32 v0, v0, 3, 0
	s_mul_hi_u32 s1, s0, s2
	s_mul_i32 s4, s0, s2
	s_delay_alu instid0(VALU_DEP_2) | instskip(SKIP_1) | instid1(SALU_CYCLE_1)
	v_mad_u64_u32 v[9:10], null, s3, v1, v[8:9]
	s_addc_u32 s3, s5, -1
	s_mul_i32 s5, s0, s3
	s_delay_alu instid0(SALU_CYCLE_1) | instskip(NEXT) | instid1(SALU_CYCLE_1)
	s_add_i32 s5, s1, s5
	s_lshl_b64 s[4:5], s[4:5], 3
	s_delay_alu instid0(VALU_DEP_1) | instskip(SKIP_3) | instid1(VALU_DEP_1)
	v_mov_b32_e32 v8, v9
	s_add_u32 s1, s10, s4
	s_addc_u32 s4, s11, s5
	s_lshl_b32 s0, s0, 3
	v_lshlrev_b64 v[7:8], 3, v[7:8]
	s_delay_alu instid0(VALU_DEP_1) | instskip(NEXT) | instid1(VALU_DEP_2)
	v_add_co_u32 v7, vcc_lo, s1, v7
	v_add_co_ci_u32_e32 v8, vcc_lo, s4, v8, vcc_lo
	s_sub_u32 s4, 0, s0
	s_subb_u32 s5, 0, 0
	s_set_inst_prefetch_distance 0x1
	.p2align	6
.LBB119_12:                             ; =>This Inner Loop Header: Depth=1
	s_mov_b32 s0, exec_lo
	s_barrier
	buffer_gl0_inv
	v_cmpx_eq_u64_e64 s[2:3], v[1:2]
	s_cbranch_execz .LBB119_14
; %bb.13:                               ;   in Loop: Header=BB119_12 Depth=1
	ds_store_b64 v0, v[5:6]
.LBB119_14:                             ;   in Loop: Header=BB119_12 Depth=1
	s_or_b32 exec_lo, exec_lo, s0
	s_delay_alu instid0(SALU_CYCLE_1)
	s_mov_b32 s0, exec_lo
	s_waitcnt lgkmcnt(0)
	s_barrier
	buffer_gl0_inv
	v_cmpx_gt_i64_e64 s[2:3], v[1:2]
	s_cbranch_execz .LBB119_16
; %bb.15:                               ;   in Loop: Header=BB119_12 Depth=1
	flat_load_b64 v[9:10], v[7:8]
	ds_load_b64 v[11:12], v0
	s_waitcnt vmcnt(0) lgkmcnt(0)
	v_fma_f64 v[5:6], -v[9:10], v[11:12], v[5:6]
.LBB119_16:                             ;   in Loop: Header=BB119_12 Depth=1
	s_or_b32 exec_lo, exec_lo, s0
	s_add_u32 s0, s2, -1
	s_addc_u32 s1, s3, -1
	s_add_u32 s2, s2, 1
	s_addc_u32 s3, s3, 0
	v_add_co_u32 v7, vcc_lo, v7, s4
	v_cmp_lt_u64_e64 s2, s[2:3], 3
	v_add_co_ci_u32_e32 v8, vcc_lo, s5, v8, vcc_lo
	s_delay_alu instid0(VALU_DEP_2)
	s_and_b32 vcc_lo, exec_lo, s2
	s_cbranch_vccnz .LBB119_18
; %bb.17:                               ;   in Loop: Header=BB119_12 Depth=1
	s_mov_b64 s[2:3], s[0:1]
	s_branch .LBB119_12
.LBB119_18:
	s_set_inst_prefetch_distance 0x2
	global_store_b64 v[3:4], v[5:6], off
.LBB119_19:
	s_nop 0
	s_sendmsg sendmsg(MSG_DEALLOC_VGPRS)
	s_endpgm
	.section	.rodata,"a",@progbits
	.p2align	6, 0x0
	.amdhsa_kernel _ZL40rocblas_trsm_block_backward_substitutionIddPKPKdPKPdLb0ELb1ELb1EEv18rocblas_operation_llT0_T1_lllT2_lllib
		.amdhsa_group_segment_fixed_size 0
		.amdhsa_private_segment_fixed_size 0
		.amdhsa_kernarg_size 360
		.amdhsa_user_sgpr_count 13
		.amdhsa_user_sgpr_dispatch_ptr 0
		.amdhsa_user_sgpr_queue_ptr 0
		.amdhsa_user_sgpr_kernarg_segment_ptr 1
		.amdhsa_user_sgpr_dispatch_id 0
		.amdhsa_user_sgpr_private_segment_size 0
		.amdhsa_wavefront_size32 1
		.amdhsa_uses_dynamic_stack 0
		.amdhsa_enable_private_segment 0
		.amdhsa_system_sgpr_workgroup_id_x 1
		.amdhsa_system_sgpr_workgroup_id_y 1
		.amdhsa_system_sgpr_workgroup_id_z 1
		.amdhsa_system_sgpr_workgroup_info 0
		.amdhsa_system_vgpr_workitem_id 1
		.amdhsa_next_free_vgpr 13
		.amdhsa_next_free_sgpr 26
		.amdhsa_reserve_vcc 1
		.amdhsa_float_round_mode_32 0
		.amdhsa_float_round_mode_16_64 0
		.amdhsa_float_denorm_mode_32 3
		.amdhsa_float_denorm_mode_16_64 3
		.amdhsa_dx10_clamp 1
		.amdhsa_ieee_mode 1
		.amdhsa_fp16_overflow 0
		.amdhsa_workgroup_processor_mode 1
		.amdhsa_memory_ordered 1
		.amdhsa_forward_progress 0
		.amdhsa_shared_vgpr_count 0
		.amdhsa_exception_fp_ieee_invalid_op 0
		.amdhsa_exception_fp_denorm_src 0
		.amdhsa_exception_fp_ieee_div_zero 0
		.amdhsa_exception_fp_ieee_overflow 0
		.amdhsa_exception_fp_ieee_underflow 0
		.amdhsa_exception_fp_ieee_inexact 0
		.amdhsa_exception_int_div_zero 0
	.end_amdhsa_kernel
	.section	.text._ZL40rocblas_trsm_block_backward_substitutionIddPKPKdPKPdLb0ELb1ELb1EEv18rocblas_operation_llT0_T1_lllT2_lllib,"axG",@progbits,_ZL40rocblas_trsm_block_backward_substitutionIddPKPKdPKPdLb0ELb1ELb1EEv18rocblas_operation_llT0_T1_lllT2_lllib,comdat
.Lfunc_end119:
	.size	_ZL40rocblas_trsm_block_backward_substitutionIddPKPKdPKPdLb0ELb1ELb1EEv18rocblas_operation_llT0_T1_lllT2_lllib, .Lfunc_end119-_ZL40rocblas_trsm_block_backward_substitutionIddPKPKdPKPdLb0ELb1ELb1EEv18rocblas_operation_llT0_T1_lllT2_lllib
                                        ; -- End function
	.section	.AMDGPU.csdata,"",@progbits
; Kernel info:
; codeLenInByte = 988
; NumSgprs: 28
; NumVgprs: 13
; ScratchSize: 0
; MemoryBound: 0
; FloatMode: 240
; IeeeMode: 1
; LDSByteSize: 0 bytes/workgroup (compile time only)
; SGPRBlocks: 3
; VGPRBlocks: 1
; NumSGPRsForWavesPerEU: 28
; NumVGPRsForWavesPerEU: 13
; Occupancy: 16
; WaveLimiterHint : 1
; COMPUTE_PGM_RSRC2:SCRATCH_EN: 0
; COMPUTE_PGM_RSRC2:USER_SGPR: 13
; COMPUTE_PGM_RSRC2:TRAP_HANDLER: 0
; COMPUTE_PGM_RSRC2:TGID_X_EN: 1
; COMPUTE_PGM_RSRC2:TGID_Y_EN: 1
; COMPUTE_PGM_RSRC2:TGID_Z_EN: 1
; COMPUTE_PGM_RSRC2:TIDIG_COMP_CNT: 1
	.section	.text._ZL39rocblas_trsm_block_forward_substitutionIddPKPKdPKPdLb1ELb1ELb0EEv18rocblas_operation_llT0_T1_lllT2_lllib,"axG",@progbits,_ZL39rocblas_trsm_block_forward_substitutionIddPKPKdPKPdLb1ELb1ELb0EEv18rocblas_operation_llT0_T1_lllT2_lllib,comdat
	.globl	_ZL39rocblas_trsm_block_forward_substitutionIddPKPKdPKPdLb1ELb1ELb0EEv18rocblas_operation_llT0_T1_lllT2_lllib ; -- Begin function _ZL39rocblas_trsm_block_forward_substitutionIddPKPKdPKPdLb1ELb1ELb0EEv18rocblas_operation_llT0_T1_lllT2_lllib
	.p2align	8
	.type	_ZL39rocblas_trsm_block_forward_substitutionIddPKPKdPKPdLb1ELb1ELb0EEv18rocblas_operation_llT0_T1_lllT2_lllib,@function
_ZL39rocblas_trsm_block_forward_substitutionIddPKPKdPKPdLb1ELb1ELb0EEv18rocblas_operation_llT0_T1_lllT2_lllib: ; @_ZL39rocblas_trsm_block_forward_substitutionIddPKPKdPKPdLb1ELb1ELb0EEv18rocblas_operation_llT0_T1_lllT2_lllib
; %bb.0:
	s_mov_b32 s12, s15
	s_clause 0x2
	s_load_b32 s15, s[0:1], 0x64
	s_load_b256 s[4:11], s[0:1], 0x8
	s_load_b32 s3, s[0:1], 0x74
	s_mov_b32 s13, 0
	v_and_b32_e32 v1, 0x3ff, v0
	v_bfe_u32 v0, v0, 10, 10
	s_waitcnt lgkmcnt(0)
	s_bitcmp1_b32 s15, 0
	s_cselect_b32 s2, -1, 0
	s_lshl_b64 s[24:25], s[12:13], 3
	s_delay_alu instid0(SALU_CYCLE_1)
	s_add_u32 s10, s10, s24
	s_addc_u32 s11, s11, s25
	s_load_b128 s[20:23], s[0:1], 0x28
	s_load_b64 s[10:11], s[10:11], 0x0
	s_load_b128 s[16:19], s[0:1], 0x40
	s_waitcnt lgkmcnt(0)
	s_lshl_b64 s[12:13], s[20:21], 3
	s_delay_alu instid0(SALU_CYCLE_1)
	s_add_u32 s12, s10, s12
	s_addc_u32 s13, s11, s13
	s_add_u32 s10, s16, s24
	s_addc_u32 s11, s17, s25
	s_load_b64 s[20:21], s[0:1], 0x50
	s_load_b64 s[16:17], s[10:11], 0x0
	s_add_u32 s24, s0, 0x68
	s_addc_u32 s25, s1, 0
	s_lshr_b32 s3, s3, 16
	s_bitcmp0_b32 s15, 0
	s_mov_b64 s[0:1], 1
	s_cbranch_scc1 .LBB120_12
; %bb.1:
	v_cmp_lt_i64_e64 s0, s[4:5], 1
	s_lshl_b32 s1, s3, 3
	s_mov_b64 s[10:11], 1
	s_add_i32 s26, s1, 0
	s_delay_alu instid0(VALU_DEP_1)
	s_and_b32 vcc_lo, exec_lo, s0
	s_cbranch_vccnz .LBB120_13
; %bb.2:
	v_mad_u64_u32 v[2:3], null, v1, s22, 0
	s_delay_alu instid0(VALU_DEP_1) | instskip(SKIP_1) | instid1(VALU_DEP_2)
	v_mad_u64_u32 v[4:5], null, v1, s23, v[3:4]
	v_lshlrev_b32_e32 v5, 3, v1
	v_mov_b32_e32 v3, v4
	s_delay_alu instid0(VALU_DEP_1) | instskip(SKIP_1) | instid1(VALU_DEP_2)
	v_lshlrev_b64 v[3:4], 3, v[2:3]
	v_mov_b32_e32 v2, 0
	v_add_co_u32 v8, vcc_lo, s12, v3
	s_delay_alu instid0(VALU_DEP_3) | instskip(NEXT) | instid1(VALU_DEP_3)
	v_add_co_ci_u32_e32 v9, vcc_lo, s13, v4, vcc_lo
	v_cmp_le_u64_e32 vcc_lo, s[4:5], v[1:2]
	v_mov_b32_e32 v4, v0
	s_delay_alu instid0(VALU_DEP_4)
	v_add_co_u32 v2, s0, v8, v5
	v_add_nc_u32_e32 v7, s26, v5
	v_add_co_ci_u32_e64 v3, s0, 0, v9, s0
	s_xor_b32 s12, vcc_lo, -1
	s_mov_b32 s0, s3
	s_branch .LBB120_4
.LBB120_3:                              ;   in Loop: Header=BB120_4 Depth=1
	s_or_b32 exec_lo, exec_lo, s13
	s_ashr_i32 s1, s0, 31
	v_add_nc_u32_e32 v4, s3, v4
	v_cmp_ge_i64_e64 s1, s[0:1], s[4:5]
	s_add_i32 s0, s0, s3
	s_delay_alu instid0(VALU_DEP_1)
	s_and_b32 vcc_lo, exec_lo, s1
	s_cbranch_vccnz .LBB120_13
.LBB120_4:                              ; =>This Inner Loop Header: Depth=1
	v_cmp_gt_i32_e32 vcc_lo, v1, v4
	s_mov_b32 s1, 0
                                        ; implicit-def: $vgpr5_vgpr6
	s_and_b32 s13, s12, vcc_lo
	s_delay_alu instid0(SALU_CYCLE_1) | instskip(NEXT) | instid1(SALU_CYCLE_1)
	s_and_saveexec_b32 s15, s13
	s_xor_b32 s13, exec_lo, s15
	s_cbranch_execnz .LBB120_7
; %bb.5:                                ;   in Loop: Header=BB120_4 Depth=1
	s_or_saveexec_b32 s13, s13
	v_mov_b32_e32 v10, v4
	s_xor_b32 exec_lo, exec_lo, s13
	s_cbranch_execnz .LBB120_8
.LBB120_6:                              ;   in Loop: Header=BB120_4 Depth=1
	s_or_b32 exec_lo, exec_lo, s13
	s_and_saveexec_b32 s13, s1
	s_cbranch_execz .LBB120_3
	s_branch .LBB120_11
.LBB120_7:                              ;   in Loop: Header=BB120_4 Depth=1
	s_waitcnt vmcnt(0)
	v_ashrrev_i32_e32 v5, 31, v4
	s_mov_b32 s1, exec_lo
	s_delay_alu instid0(VALU_DEP_1) | instskip(NEXT) | instid1(VALU_DEP_1)
	v_lshlrev_b64 v[5:6], 3, v[4:5]
	v_add_co_u32 v5, vcc_lo, v8, v5
	s_delay_alu instid0(VALU_DEP_2)
	v_add_co_ci_u32_e32 v6, vcc_lo, v9, v6, vcc_lo
	global_load_b64 v[5:6], v[5:6], off
	s_or_saveexec_b32 s13, s13
	v_mov_b32_e32 v10, v4
	s_xor_b32 exec_lo, exec_lo, s13
	s_cbranch_execz .LBB120_6
.LBB120_8:                              ;   in Loop: Header=BB120_4 Depth=1
	v_cmp_eq_u32_e32 vcc_lo, v1, v4
	s_mov_b32 s22, s1
                                        ; implicit-def: $vgpr5_vgpr6
	s_and_b32 s23, s12, vcc_lo
	s_delay_alu instid0(SALU_CYCLE_1)
	s_and_saveexec_b32 s15, s23
	s_cbranch_execz .LBB120_10
; %bb.9:                                ;   in Loop: Header=BB120_4 Depth=1
	global_load_b64 v[5:6], v[2:3], off
	s_or_b32 s22, s1, exec_lo
	s_waitcnt vmcnt(0)
	v_div_scale_f64 v[10:11], null, v[5:6], v[5:6], 1.0
	s_delay_alu instid0(VALU_DEP_1) | instskip(SKIP_2) | instid1(VALU_DEP_1)
	v_rcp_f64_e32 v[12:13], v[10:11]
	s_waitcnt_depctr 0xfff
	v_fma_f64 v[14:15], -v[10:11], v[12:13], 1.0
	v_fma_f64 v[12:13], v[12:13], v[14:15], v[12:13]
	s_delay_alu instid0(VALU_DEP_1) | instskip(NEXT) | instid1(VALU_DEP_1)
	v_fma_f64 v[14:15], -v[10:11], v[12:13], 1.0
	v_fma_f64 v[12:13], v[12:13], v[14:15], v[12:13]
	v_div_scale_f64 v[14:15], vcc_lo, 1.0, v[5:6], 1.0
	s_delay_alu instid0(VALU_DEP_1) | instskip(NEXT) | instid1(VALU_DEP_1)
	v_mul_f64 v[16:17], v[14:15], v[12:13]
	v_fma_f64 v[10:11], -v[10:11], v[16:17], v[14:15]
	s_delay_alu instid0(VALU_DEP_1) | instskip(NEXT) | instid1(VALU_DEP_1)
	v_div_fmas_f64 v[10:11], v[10:11], v[12:13], v[16:17]
	v_div_fixup_f64 v[5:6], v[10:11], v[5:6], 1.0
.LBB120_10:                             ;   in Loop: Header=BB120_4 Depth=1
	s_or_b32 exec_lo, exec_lo, s15
	v_mov_b32_e32 v10, v1
	s_and_not1_b32 s1, s1, exec_lo
	s_and_b32 s15, s22, exec_lo
	s_delay_alu instid0(SALU_CYCLE_1)
	s_or_b32 s1, s1, s15
	s_or_b32 exec_lo, exec_lo, s13
	s_and_saveexec_b32 s13, s1
	s_cbranch_execz .LBB120_3
.LBB120_11:                             ;   in Loop: Header=BB120_4 Depth=1
	s_load_b32 s1, s[24:25], 0xc
	s_waitcnt lgkmcnt(0)
	s_and_b32 s1, s1, 0xffff
	s_delay_alu instid0(SALU_CYCLE_1) | instskip(NEXT) | instid1(VALU_DEP_1)
	v_mul_lo_u32 v10, v10, s1
	v_lshl_add_u32 v10, v10, 3, v7
	s_waitcnt vmcnt(0)
	ds_store_b64 v10, v[5:6]
	s_branch .LBB120_3
.LBB120_12:
	s_mov_b32 s10, s22
	s_mov_b32 s11, s23
	s_branch .LBB120_14
.LBB120_13:
	s_load_b32 s0, s[24:25], 0xc
	s_mov_b64 s[12:13], src_shared_base
	s_mov_b32 s1, 0
	s_mov_b32 s27, s13
	s_delay_alu instid0(SALU_CYCLE_1)
	s_mov_b64 s[12:13], s[26:27]
	s_waitcnt lgkmcnt(0)
	s_and_b32 s0, s0, 0xffff
.LBB120_14:
	v_mad_u64_u32 v[3:4], null, s14, s3, v[0:1]
	v_mov_b32_e32 v4, 0
	s_mov_b32 s3, exec_lo
	s_delay_alu instid0(VALU_DEP_1)
	v_cmpx_gt_i64_e64 s[6:7], v[3:4]
	s_cbranch_execz .LBB120_26
; %bb.15:
	v_mov_b32_e32 v2, v4
	s_delay_alu instid0(VALU_DEP_1)
	v_cmp_gt_i64_e32 vcc_lo, s[4:5], v[1:2]
	s_and_b32 exec_lo, exec_lo, vcc_lo
	s_cbranch_execz .LBB120_26
; %bb.16:
	s_waitcnt vmcnt(0) lgkmcnt(0)
	v_mad_u64_u32 v[5:6], null, v1, s20, 0
	s_lshl_b64 s[6:7], s[18:19], 3
	v_lshlrev_b64 v[3:4], 3, v[3:4]
	s_add_u32 s3, s16, s6
	s_addc_u32 s6, s17, s7
	s_delay_alu instid0(VALU_DEP_2) | instskip(NEXT) | instid1(VALU_DEP_1)
	v_mad_u64_u32 v[7:8], null, v1, s21, v[6:7]
	v_mov_b32_e32 v6, v7
	s_delay_alu instid0(VALU_DEP_1) | instskip(NEXT) | instid1(VALU_DEP_1)
	v_lshlrev_b64 v[5:6], 3, v[5:6]
	v_add_co_u32 v5, vcc_lo, s3, v5
	s_delay_alu instid0(VALU_DEP_2) | instskip(SKIP_1) | instid1(VALU_DEP_3)
	v_add_co_ci_u32_e32 v6, vcc_lo, s6, v6, vcc_lo
	v_cmp_lt_u64_e64 s3, s[4:5], 2
	v_add_co_u32 v3, vcc_lo, v5, v3
	s_delay_alu instid0(VALU_DEP_3) | instskip(SKIP_2) | instid1(VALU_DEP_3)
	v_add_co_ci_u32_e32 v4, vcc_lo, v6, v4, vcc_lo
	s_add_u32 s4, s4, -1
	s_addc_u32 s5, s5, -1
	s_and_b32 vcc_lo, exec_lo, s3
	global_load_b64 v[5:6], v[3:4], off
	s_waitcnt vmcnt(0)
	v_mul_f64 v[5:6], v[5:6], s[8:9]
	s_cbranch_vccnz .LBB120_23
; %bb.17:
	s_add_u32 s3, s0, s10
	v_mad_u64_u32 v[9:10], null, s10, v1, 0
	v_mad_u64_u32 v[7:8], null, s3, v1, 0
	s_addc_u32 s3, s1, s11
	v_lshl_add_u32 v0, v0, 3, 0
	s_mov_b64 s[6:7], 0
	s_delay_alu instid0(VALU_DEP_2) | instskip(SKIP_1) | instid1(VALU_DEP_1)
	v_mad_u64_u32 v[11:12], null, s3, v1, v[8:9]
	s_lshl_b32 s3, s0, 3
	v_mad_u64_u32 v[12:13], null, s11, v1, v[10:11]
	v_mov_b32_e32 v8, v11
	s_delay_alu instid0(VALU_DEP_1) | instskip(NEXT) | instid1(VALU_DEP_3)
	v_lshlrev_b64 v[7:8], 3, v[7:8]
	v_mov_b32_e32 v10, v12
	s_delay_alu instid0(VALU_DEP_2) | instskip(NEXT) | instid1(VALU_DEP_2)
	v_add_co_u32 v7, vcc_lo, s12, v7
	v_lshlrev_b64 v[9:10], 3, v[9:10]
	s_delay_alu instid0(VALU_DEP_4) | instskip(NEXT) | instid1(VALU_DEP_2)
	v_add_co_ci_u32_e32 v8, vcc_lo, s13, v8, vcc_lo
	v_add_co_u32 v9, vcc_lo, s12, v9
	s_delay_alu instid0(VALU_DEP_3)
	v_add_co_ci_u32_e32 v10, vcc_lo, s13, v10, vcc_lo
	s_branch .LBB120_19
.LBB120_18:                             ;   in Loop: Header=BB120_19 Depth=1
	s_or_b32 exec_lo, exec_lo, s8
	v_add_co_u32 v9, vcc_lo, v9, s3
	s_add_u32 s6, s6, 1
	v_add_co_ci_u32_e32 v10, vcc_lo, 0, v10, vcc_lo
	s_addc_u32 s7, s7, 0
	s_delay_alu instid0(SALU_CYCLE_1)
	s_cmp_eq_u64 s[4:5], s[6:7]
	s_cbranch_scc1 .LBB120_23
.LBB120_19:                             ; =>This Inner Loop Header: Depth=1
	s_mov_b32 s8, exec_lo
	s_barrier
	buffer_gl0_inv
	v_cmpx_eq_u64_e64 s[6:7], v[1:2]
	s_cbranch_execz .LBB120_21
; %bb.20:                               ;   in Loop: Header=BB120_19 Depth=1
	flat_load_b64 v[11:12], v[7:8]
	s_waitcnt vmcnt(0) lgkmcnt(0)
	v_div_scale_f64 v[13:14], null, v[11:12], v[11:12], 1.0
	v_div_scale_f64 v[19:20], vcc_lo, 1.0, v[11:12], 1.0
	s_delay_alu instid0(VALU_DEP_2) | instskip(SKIP_2) | instid1(VALU_DEP_1)
	v_rcp_f64_e32 v[15:16], v[13:14]
	s_waitcnt_depctr 0xfff
	v_fma_f64 v[17:18], -v[13:14], v[15:16], 1.0
	v_fma_f64 v[15:16], v[15:16], v[17:18], v[15:16]
	s_delay_alu instid0(VALU_DEP_1) | instskip(NEXT) | instid1(VALU_DEP_1)
	v_fma_f64 v[17:18], -v[13:14], v[15:16], 1.0
	v_fma_f64 v[15:16], v[15:16], v[17:18], v[15:16]
	s_delay_alu instid0(VALU_DEP_1) | instskip(NEXT) | instid1(VALU_DEP_1)
	v_mul_f64 v[17:18], v[19:20], v[15:16]
	v_fma_f64 v[13:14], -v[13:14], v[17:18], v[19:20]
	s_delay_alu instid0(VALU_DEP_1) | instskip(NEXT) | instid1(VALU_DEP_1)
	v_div_fmas_f64 v[13:14], v[13:14], v[15:16], v[17:18]
	v_div_fixup_f64 v[13:14], v[13:14], v[11:12], 1.0
	s_delay_alu instid0(VALU_DEP_1) | instskip(NEXT) | instid1(VALU_DEP_2)
	v_cndmask_b32_e64 v12, v14, v12, s2
	v_cndmask_b32_e64 v11, v13, v11, s2
	s_delay_alu instid0(VALU_DEP_1)
	v_mul_f64 v[5:6], v[5:6], v[11:12]
	ds_store_b64 v0, v[5:6]
.LBB120_21:                             ;   in Loop: Header=BB120_19 Depth=1
	s_or_b32 exec_lo, exec_lo, s8
	s_delay_alu instid0(SALU_CYCLE_1)
	s_mov_b32 s8, exec_lo
	s_waitcnt lgkmcnt(0)
	s_barrier
	buffer_gl0_inv
	v_cmpx_lt_u64_e64 s[6:7], v[1:2]
	s_cbranch_execz .LBB120_18
; %bb.22:                               ;   in Loop: Header=BB120_19 Depth=1
	flat_load_b64 v[11:12], v[9:10]
	ds_load_b64 v[13:14], v0
	s_waitcnt vmcnt(0) lgkmcnt(0)
	v_fma_f64 v[5:6], -v[11:12], v[13:14], v[5:6]
	s_branch .LBB120_18
.LBB120_23:
	s_mov_b32 s3, exec_lo
	v_cmpx_eq_u64_e64 s[4:5], v[1:2]
	s_cbranch_execz .LBB120_25
; %bb.24:
	s_add_u32 s0, s0, s10
	s_delay_alu instid0(SALU_CYCLE_1) | instskip(SKIP_1) | instid1(VALU_DEP_1)
	v_mad_u64_u32 v[7:8], null, s0, v1, 0
	s_addc_u32 s0, s1, s11
	v_mov_b32_e32 v0, v8
	s_delay_alu instid0(VALU_DEP_1) | instskip(NEXT) | instid1(VALU_DEP_1)
	v_mad_u64_u32 v[8:9], null, s0, v1, v[0:1]
	v_lshlrev_b64 v[0:1], 3, v[7:8]
	s_delay_alu instid0(VALU_DEP_1) | instskip(NEXT) | instid1(VALU_DEP_2)
	v_add_co_u32 v0, vcc_lo, s12, v0
	v_add_co_ci_u32_e32 v1, vcc_lo, s13, v1, vcc_lo
	flat_load_b64 v[0:1], v[0:1]
	s_waitcnt vmcnt(0) lgkmcnt(0)
	v_div_scale_f64 v[7:8], null, v[0:1], v[0:1], 1.0
	v_div_scale_f64 v[13:14], vcc_lo, 1.0, v[0:1], 1.0
	s_delay_alu instid0(VALU_DEP_2) | instskip(SKIP_2) | instid1(VALU_DEP_1)
	v_rcp_f64_e32 v[9:10], v[7:8]
	s_waitcnt_depctr 0xfff
	v_fma_f64 v[11:12], -v[7:8], v[9:10], 1.0
	v_fma_f64 v[9:10], v[9:10], v[11:12], v[9:10]
	s_delay_alu instid0(VALU_DEP_1) | instskip(NEXT) | instid1(VALU_DEP_1)
	v_fma_f64 v[11:12], -v[7:8], v[9:10], 1.0
	v_fma_f64 v[9:10], v[9:10], v[11:12], v[9:10]
	s_delay_alu instid0(VALU_DEP_1) | instskip(NEXT) | instid1(VALU_DEP_1)
	v_mul_f64 v[11:12], v[13:14], v[9:10]
	v_fma_f64 v[7:8], -v[7:8], v[11:12], v[13:14]
	s_delay_alu instid0(VALU_DEP_1) | instskip(NEXT) | instid1(VALU_DEP_1)
	v_div_fmas_f64 v[7:8], v[7:8], v[9:10], v[11:12]
	v_div_fixup_f64 v[7:8], v[7:8], v[0:1], 1.0
	s_delay_alu instid0(VALU_DEP_1) | instskip(NEXT) | instid1(VALU_DEP_2)
	v_cndmask_b32_e64 v1, v8, v1, s2
	v_cndmask_b32_e64 v0, v7, v0, s2
	s_delay_alu instid0(VALU_DEP_1)
	v_mul_f64 v[5:6], v[5:6], v[0:1]
.LBB120_25:
	s_or_b32 exec_lo, exec_lo, s3
	global_store_b64 v[3:4], v[5:6], off
.LBB120_26:
	s_nop 0
	s_sendmsg sendmsg(MSG_DEALLOC_VGPRS)
	s_endpgm
	.section	.rodata,"a",@progbits
	.p2align	6, 0x0
	.amdhsa_kernel _ZL39rocblas_trsm_block_forward_substitutionIddPKPKdPKPdLb1ELb1ELb0EEv18rocblas_operation_llT0_T1_lllT2_lllib
		.amdhsa_group_segment_fixed_size 0
		.amdhsa_private_segment_fixed_size 0
		.amdhsa_kernarg_size 360
		.amdhsa_user_sgpr_count 13
		.amdhsa_user_sgpr_dispatch_ptr 0
		.amdhsa_user_sgpr_queue_ptr 0
		.amdhsa_user_sgpr_kernarg_segment_ptr 1
		.amdhsa_user_sgpr_dispatch_id 0
		.amdhsa_user_sgpr_private_segment_size 0
		.amdhsa_wavefront_size32 1
		.amdhsa_uses_dynamic_stack 0
		.amdhsa_enable_private_segment 0
		.amdhsa_system_sgpr_workgroup_id_x 1
		.amdhsa_system_sgpr_workgroup_id_y 1
		.amdhsa_system_sgpr_workgroup_id_z 1
		.amdhsa_system_sgpr_workgroup_info 0
		.amdhsa_system_vgpr_workitem_id 1
		.amdhsa_next_free_vgpr 21
		.amdhsa_next_free_sgpr 28
		.amdhsa_reserve_vcc 1
		.amdhsa_float_round_mode_32 0
		.amdhsa_float_round_mode_16_64 0
		.amdhsa_float_denorm_mode_32 3
		.amdhsa_float_denorm_mode_16_64 3
		.amdhsa_dx10_clamp 1
		.amdhsa_ieee_mode 1
		.amdhsa_fp16_overflow 0
		.amdhsa_workgroup_processor_mode 1
		.amdhsa_memory_ordered 1
		.amdhsa_forward_progress 0
		.amdhsa_shared_vgpr_count 0
		.amdhsa_exception_fp_ieee_invalid_op 0
		.amdhsa_exception_fp_denorm_src 0
		.amdhsa_exception_fp_ieee_div_zero 0
		.amdhsa_exception_fp_ieee_overflow 0
		.amdhsa_exception_fp_ieee_underflow 0
		.amdhsa_exception_fp_ieee_inexact 0
		.amdhsa_exception_int_div_zero 0
	.end_amdhsa_kernel
	.section	.text._ZL39rocblas_trsm_block_forward_substitutionIddPKPKdPKPdLb1ELb1ELb0EEv18rocblas_operation_llT0_T1_lllT2_lllib,"axG",@progbits,_ZL39rocblas_trsm_block_forward_substitutionIddPKPKdPKPdLb1ELb1ELb0EEv18rocblas_operation_llT0_T1_lllT2_lllib,comdat
.Lfunc_end120:
	.size	_ZL39rocblas_trsm_block_forward_substitutionIddPKPKdPKPdLb1ELb1ELb0EEv18rocblas_operation_llT0_T1_lllT2_lllib, .Lfunc_end120-_ZL39rocblas_trsm_block_forward_substitutionIddPKPKdPKPdLb1ELb1ELb0EEv18rocblas_operation_llT0_T1_lllT2_lllib
                                        ; -- End function
	.section	.AMDGPU.csdata,"",@progbits
; Kernel info:
; codeLenInByte = 1616
; NumSgprs: 30
; NumVgprs: 21
; ScratchSize: 0
; MemoryBound: 1
; FloatMode: 240
; IeeeMode: 1
; LDSByteSize: 0 bytes/workgroup (compile time only)
; SGPRBlocks: 3
; VGPRBlocks: 2
; NumSGPRsForWavesPerEU: 30
; NumVGPRsForWavesPerEU: 21
; Occupancy: 16
; WaveLimiterHint : 1
; COMPUTE_PGM_RSRC2:SCRATCH_EN: 0
; COMPUTE_PGM_RSRC2:USER_SGPR: 13
; COMPUTE_PGM_RSRC2:TRAP_HANDLER: 0
; COMPUTE_PGM_RSRC2:TGID_X_EN: 1
; COMPUTE_PGM_RSRC2:TGID_Y_EN: 1
; COMPUTE_PGM_RSRC2:TGID_Z_EN: 1
; COMPUTE_PGM_RSRC2:TIDIG_COMP_CNT: 1
	.section	.text._ZL40rocblas_trsm_block_backward_substitutionIddPKPKdPKPdLb1ELb1ELb0EEv18rocblas_operation_llT0_T1_lllT2_lllib,"axG",@progbits,_ZL40rocblas_trsm_block_backward_substitutionIddPKPKdPKPdLb1ELb1ELb0EEv18rocblas_operation_llT0_T1_lllT2_lllib,comdat
	.globl	_ZL40rocblas_trsm_block_backward_substitutionIddPKPKdPKPdLb1ELb1ELb0EEv18rocblas_operation_llT0_T1_lllT2_lllib ; -- Begin function _ZL40rocblas_trsm_block_backward_substitutionIddPKPKdPKPdLb1ELb1ELb0EEv18rocblas_operation_llT0_T1_lllT2_lllib
	.p2align	8
	.type	_ZL40rocblas_trsm_block_backward_substitutionIddPKPKdPKPdLb1ELb1ELb0EEv18rocblas_operation_llT0_T1_lllT2_lllib,@function
_ZL40rocblas_trsm_block_backward_substitutionIddPKPKdPKPdLb1ELb1ELb0EEv18rocblas_operation_llT0_T1_lllT2_lllib: ; @_ZL40rocblas_trsm_block_backward_substitutionIddPKPKdPKPdLb1ELb1ELb0EEv18rocblas_operation_llT0_T1_lllT2_lllib
; %bb.0:
	s_mov_b32 s12, s15
	s_clause 0x2
	s_load_b32 s15, s[0:1], 0x64
	s_load_b256 s[4:11], s[0:1], 0x8
	s_load_b32 s3, s[0:1], 0x74
	s_mov_b32 s13, 0
	v_and_b32_e32 v1, 0x3ff, v0
	v_bfe_u32 v0, v0, 10, 10
	s_waitcnt lgkmcnt(0)
	s_bitcmp1_b32 s15, 0
	s_cselect_b32 s2, -1, 0
	s_lshl_b64 s[12:13], s[12:13], 3
	s_delay_alu instid0(SALU_CYCLE_1)
	s_add_u32 s10, s10, s12
	s_addc_u32 s11, s11, s13
	s_load_b128 s[16:19], s[0:1], 0x28
	s_load_b64 s[10:11], s[10:11], 0x0
	s_load_b128 s[20:23], s[0:1], 0x40
	s_waitcnt lgkmcnt(0)
	s_lshl_b64 s[16:17], s[16:17], 3
	s_delay_alu instid0(SALU_CYCLE_1)
	s_add_u32 s16, s10, s16
	s_addc_u32 s17, s11, s17
	s_add_u32 s10, s20, s12
	s_addc_u32 s11, s21, s13
	s_load_b64 s[12:13], s[0:1], 0x50
	s_load_b64 s[10:11], s[10:11], 0x0
	s_add_u32 s20, s0, 0x68
	s_addc_u32 s21, s1, 0
	s_lshr_b32 s3, s3, 16
	s_bitcmp0_b32 s15, 0
	s_cbranch_scc1 .LBB121_15
; %bb.1:
	v_cmp_lt_i64_e64 s0, s[4:5], 1
	s_lshl_b32 s1, s3, 3
	s_delay_alu instid0(SALU_CYCLE_1) | instskip(NEXT) | instid1(VALU_DEP_1)
	s_add_i32 s24, s1, 0
	s_and_b32 vcc_lo, exec_lo, s0
	s_cbranch_vccnz .LBB121_14
; %bb.2:
	v_mad_u64_u32 v[3:4], null, v1, s18, 0
	s_delay_alu instid0(VALU_DEP_1) | instskip(NEXT) | instid1(VALU_DEP_1)
	v_mov_b32_e32 v2, v4
	v_mad_u64_u32 v[4:5], null, v1, s19, v[2:3]
	v_dual_mov_b32 v2, 0 :: v_dual_lshlrev_b32 v5, 3, v1
	s_delay_alu instid0(VALU_DEP_1) | instskip(NEXT) | instid1(VALU_DEP_3)
	v_add_co_u32 v9, s0, s16, v5
	v_lshlrev_b64 v[3:4], 3, v[3:4]
	v_add_co_ci_u32_e64 v10, null, s17, 0, s0
	s_delay_alu instid0(VALU_DEP_4)
	v_cmp_le_u64_e64 s15, s[4:5], v[1:2]
	v_cmp_gt_u64_e64 s1, s[4:5], v[1:2]
	v_add_nc_u32_e32 v8, s24, v5
	v_add_co_u32 v2, vcc_lo, v9, v3
	v_add_co_ci_u32_e32 v3, vcc_lo, v10, v4, vcc_lo
	v_mov_b32_e32 v4, v0
	s_xor_b32 s25, s15, -1
	s_mov_b32 s16, s3
	s_branch .LBB121_4
.LBB121_3:                              ;   in Loop: Header=BB121_4 Depth=1
	s_or_b32 exec_lo, exec_lo, s17
	s_ashr_i32 s17, s16, 31
	v_add_nc_u32_e32 v4, s3, v4
	v_cmp_ge_i64_e64 s0, s[16:17], s[4:5]
	s_add_i32 s16, s16, s3
	s_delay_alu instid0(VALU_DEP_1)
	s_and_b32 vcc_lo, exec_lo, s0
	s_cbranch_vccnz .LBB121_14
.LBB121_4:                              ; =>This Inner Loop Header: Depth=1
	s_mov_b32 s26, s15
	s_mov_b32 s0, 0
                                        ; implicit-def: $vgpr6_vgpr7
                                        ; implicit-def: $vgpr5
	s_and_saveexec_b32 s17, s1
	s_cbranch_execnz .LBB121_7
; %bb.5:                                ;   in Loop: Header=BB121_4 Depth=1
	s_or_b32 exec_lo, exec_lo, s17
	s_and_saveexec_b32 s17, s26
	s_cbranch_execnz .LBB121_10
.LBB121_6:                              ;   in Loop: Header=BB121_4 Depth=1
	s_or_b32 exec_lo, exec_lo, s17
	s_and_saveexec_b32 s17, s0
	s_cbranch_execz .LBB121_3
	s_branch .LBB121_13
.LBB121_7:                              ;   in Loop: Header=BB121_4 Depth=1
	v_ashrrev_i32_e32 v5, 31, v4
	v_cmp_lt_i32_e64 s0, v1, v4
	s_mov_b32 s26, -1
                                        ; implicit-def: $vgpr6_vgpr7
	s_delay_alu instid0(VALU_DEP_2) | instskip(NEXT) | instid1(VALU_DEP_2)
	v_cmp_gt_i64_e32 vcc_lo, s[4:5], v[4:5]
	s_and_b32 s28, s0, vcc_lo
	s_mov_b32 s0, 0
	s_and_saveexec_b32 s27, s28
	s_cbranch_execz .LBB121_9
; %bb.8:                                ;   in Loop: Header=BB121_4 Depth=1
	s_waitcnt vmcnt(0)
	v_mul_lo_u32 v7, v5, s18
	v_mul_lo_u32 v11, v4, s19
	v_mad_u64_u32 v[5:6], null, v4, s18, 0
	s_mov_b32 s0, exec_lo
	s_xor_b32 s26, exec_lo, -1
	s_delay_alu instid0(VALU_DEP_1) | instskip(NEXT) | instid1(VALU_DEP_1)
	v_add3_u32 v6, v6, v11, v7
	v_lshlrev_b64 v[5:6], 3, v[5:6]
	s_delay_alu instid0(VALU_DEP_1) | instskip(NEXT) | instid1(VALU_DEP_2)
	v_add_co_u32 v5, vcc_lo, v9, v5
	v_add_co_ci_u32_e32 v6, vcc_lo, v10, v6, vcc_lo
	global_load_b64 v[6:7], v[5:6], off
.LBB121_9:                              ;   in Loop: Header=BB121_4 Depth=1
	s_or_b32 exec_lo, exec_lo, s27
	v_mov_b32_e32 v5, v4
	s_and_not1_b32 s27, s15, exec_lo
	s_and_b32 s26, s26, exec_lo
	s_and_b32 s0, s0, exec_lo
	s_or_b32 s26, s27, s26
	s_or_b32 exec_lo, exec_lo, s17
	s_and_saveexec_b32 s17, s26
	s_cbranch_execz .LBB121_6
.LBB121_10:                             ;   in Loop: Header=BB121_4 Depth=1
	v_cmp_eq_u32_e32 vcc_lo, v1, v4
	s_mov_b32 s27, s0
                                        ; implicit-def: $vgpr6_vgpr7
	s_and_b32 s28, s25, vcc_lo
	s_delay_alu instid0(SALU_CYCLE_1)
	s_and_saveexec_b32 s26, s28
	s_cbranch_execz .LBB121_12
; %bb.11:                               ;   in Loop: Header=BB121_4 Depth=1
	global_load_b64 v[5:6], v[2:3], off
	s_or_b32 s27, s0, exec_lo
	s_waitcnt vmcnt(0)
	v_div_scale_f64 v[11:12], null, v[5:6], v[5:6], 1.0
	s_delay_alu instid0(VALU_DEP_1) | instskip(SKIP_2) | instid1(VALU_DEP_1)
	v_rcp_f64_e32 v[13:14], v[11:12]
	s_waitcnt_depctr 0xfff
	v_fma_f64 v[15:16], -v[11:12], v[13:14], 1.0
	v_fma_f64 v[13:14], v[13:14], v[15:16], v[13:14]
	s_delay_alu instid0(VALU_DEP_1) | instskip(NEXT) | instid1(VALU_DEP_1)
	v_fma_f64 v[15:16], -v[11:12], v[13:14], 1.0
	v_fma_f64 v[13:14], v[13:14], v[15:16], v[13:14]
	v_div_scale_f64 v[15:16], vcc_lo, 1.0, v[5:6], 1.0
	s_delay_alu instid0(VALU_DEP_1) | instskip(NEXT) | instid1(VALU_DEP_1)
	v_mul_f64 v[17:18], v[15:16], v[13:14]
	v_fma_f64 v[11:12], -v[11:12], v[17:18], v[15:16]
	s_delay_alu instid0(VALU_DEP_1) | instskip(NEXT) | instid1(VALU_DEP_1)
	v_div_fmas_f64 v[11:12], v[11:12], v[13:14], v[17:18]
	v_div_fixup_f64 v[6:7], v[11:12], v[5:6], 1.0
.LBB121_12:                             ;   in Loop: Header=BB121_4 Depth=1
	s_or_b32 exec_lo, exec_lo, s26
	v_mov_b32_e32 v5, v1
	s_and_not1_b32 s0, s0, exec_lo
	s_and_b32 s26, s27, exec_lo
	s_delay_alu instid0(SALU_CYCLE_1)
	s_or_b32 s0, s0, s26
	s_or_b32 exec_lo, exec_lo, s17
	s_and_saveexec_b32 s17, s0
	s_cbranch_execz .LBB121_3
.LBB121_13:                             ;   in Loop: Header=BB121_4 Depth=1
	s_load_b32 s0, s[20:21], 0xc
	s_waitcnt lgkmcnt(0)
	s_and_b32 s0, s0, 0xffff
	s_delay_alu instid0(SALU_CYCLE_1) | instskip(NEXT) | instid1(VALU_DEP_1)
	v_mul_lo_u32 v5, v5, s0
	v_lshl_add_u32 v5, v5, 3, v8
	s_waitcnt vmcnt(0)
	ds_store_b64 v5, v[6:7]
	s_branch .LBB121_3
.LBB121_14:
	s_load_b32 s15, s[20:21], 0xc
	s_mov_b64 s[0:1], src_shared_base
	s_mov_b32 s19, 0
	s_mov_b32 s25, s1
	s_delay_alu instid0(SALU_CYCLE_1)
	s_mov_b64 s[16:17], s[24:25]
	s_waitcnt lgkmcnt(0)
	s_and_b32 s18, s15, 0xffff
.LBB121_15:
	v_mad_u64_u32 v[3:4], null, s14, s3, v[0:1]
	v_mov_b32_e32 v4, 0
	s_mov_b32 s0, exec_lo
	s_delay_alu instid0(VALU_DEP_1)
	v_cmpx_gt_i64_e64 s[6:7], v[3:4]
	s_cbranch_execz .LBB121_28
; %bb.16:
	v_mov_b32_e32 v2, v4
	s_delay_alu instid0(VALU_DEP_1)
	v_cmp_gt_i64_e32 vcc_lo, s[4:5], v[1:2]
	s_and_b32 exec_lo, exec_lo, vcc_lo
	s_cbranch_execz .LBB121_28
; %bb.17:
	s_waitcnt lgkmcnt(0)
	v_mad_u64_u32 v[4:5], null, v3, s12, 0
	s_lshl_b64 s[0:1], s[22:23], 3
	s_delay_alu instid0(SALU_CYCLE_1) | instskip(SKIP_2) | instid1(VALU_DEP_1)
	s_add_u32 s0, s10, s0
	s_addc_u32 s1, s11, s1
	s_waitcnt vmcnt(0)
	v_mad_u64_u32 v[6:7], null, v3, s13, v[5:6]
	v_lshlrev_b32_e32 v7, 3, v1
	s_delay_alu instid0(VALU_DEP_2) | instskip(NEXT) | instid1(VALU_DEP_1)
	v_mov_b32_e32 v5, v6
	v_lshlrev_b64 v[3:4], 3, v[4:5]
	s_delay_alu instid0(VALU_DEP_1) | instskip(NEXT) | instid1(VALU_DEP_2)
	v_add_co_u32 v3, vcc_lo, s0, v3
	v_add_co_ci_u32_e32 v4, vcc_lo, s1, v4, vcc_lo
	v_cmp_lt_u64_e64 s0, s[4:5], 2
	s_delay_alu instid0(VALU_DEP_3) | instskip(NEXT) | instid1(VALU_DEP_3)
	v_add_co_u32 v3, vcc_lo, v3, v7
	v_add_co_ci_u32_e32 v4, vcc_lo, 0, v4, vcc_lo
	s_delay_alu instid0(VALU_DEP_3)
	s_and_b32 vcc_lo, exec_lo, s0
	global_load_b64 v[5:6], v[3:4], off
	s_waitcnt vmcnt(0)
	v_mul_f64 v[5:6], v[5:6], s[8:9]
	s_cbranch_vccnz .LBB121_25
; %bb.18:
	v_mad_u64_u32 v[8:9], null, v1, s18, v[1:2]
	s_add_u32 s0, s4, -1
	s_addc_u32 s1, s5, -1
	s_mul_hi_u32 s3, s18, s0
	s_mul_i32 s4, s18, s1
	s_mul_i32 s5, s19, s0
	s_add_i32 s3, s3, s4
	s_delay_alu instid0(VALU_DEP_1) | instskip(SKIP_4) | instid1(SALU_CYCLE_1)
	v_mad_u64_u32 v[10:11], null, v1, s19, v[9:10]
	s_mul_i32 s4, s18, s0
	s_add_i32 s5, s3, s5
	v_lshl_add_u32 v0, v0, 3, 0
	s_lshl_b64 s[4:5], s[4:5], 3
	s_add_u32 s3, s16, s4
	s_delay_alu instid0(VALU_DEP_2) | instskip(SKIP_2) | instid1(VALU_DEP_2)
	v_mov_b32_e32 v9, v10
	s_addc_u32 s4, s17, s5
	v_add_co_u32 v7, s3, s3, v7
	v_lshlrev_b64 v[9:10], 3, v[8:9]
	v_add_co_ci_u32_e64 v8, null, s4, 0, s3
	s_lshl_b64 s[4:5], s[18:19], 3
	s_delay_alu instid0(SALU_CYCLE_1) | instskip(NEXT) | instid1(VALU_DEP_2)
	s_sub_u32 s3, 0, s4
	v_add_co_u32 v9, vcc_lo, s16, v9
	s_delay_alu instid0(VALU_DEP_3)
	v_add_co_ci_u32_e32 v10, vcc_lo, s17, v10, vcc_lo
	s_subb_u32 s6, 0, s5
.LBB121_19:                             ; =>This Inner Loop Header: Depth=1
	s_mov_b32 s4, exec_lo
	s_barrier
	buffer_gl0_inv
	v_cmpx_eq_u64_e64 s[0:1], v[1:2]
	s_cbranch_execz .LBB121_21
; %bb.20:                               ;   in Loop: Header=BB121_19 Depth=1
	flat_load_b64 v[11:12], v[9:10]
	s_waitcnt vmcnt(0) lgkmcnt(0)
	v_div_scale_f64 v[13:14], null, v[11:12], v[11:12], 1.0
	v_div_scale_f64 v[19:20], vcc_lo, 1.0, v[11:12], 1.0
	s_delay_alu instid0(VALU_DEP_2) | instskip(SKIP_2) | instid1(VALU_DEP_1)
	v_rcp_f64_e32 v[15:16], v[13:14]
	s_waitcnt_depctr 0xfff
	v_fma_f64 v[17:18], -v[13:14], v[15:16], 1.0
	v_fma_f64 v[15:16], v[15:16], v[17:18], v[15:16]
	s_delay_alu instid0(VALU_DEP_1) | instskip(NEXT) | instid1(VALU_DEP_1)
	v_fma_f64 v[17:18], -v[13:14], v[15:16], 1.0
	v_fma_f64 v[15:16], v[15:16], v[17:18], v[15:16]
	s_delay_alu instid0(VALU_DEP_1) | instskip(NEXT) | instid1(VALU_DEP_1)
	v_mul_f64 v[17:18], v[19:20], v[15:16]
	v_fma_f64 v[13:14], -v[13:14], v[17:18], v[19:20]
	s_delay_alu instid0(VALU_DEP_1) | instskip(NEXT) | instid1(VALU_DEP_1)
	v_div_fmas_f64 v[13:14], v[13:14], v[15:16], v[17:18]
	v_div_fixup_f64 v[13:14], v[13:14], v[11:12], 1.0
	s_delay_alu instid0(VALU_DEP_1) | instskip(NEXT) | instid1(VALU_DEP_2)
	v_cndmask_b32_e64 v12, v14, v12, s2
	v_cndmask_b32_e64 v11, v13, v11, s2
	s_delay_alu instid0(VALU_DEP_1)
	v_mul_f64 v[5:6], v[5:6], v[11:12]
	ds_store_b64 v0, v[5:6]
.LBB121_21:                             ;   in Loop: Header=BB121_19 Depth=1
	s_or_b32 exec_lo, exec_lo, s4
	s_delay_alu instid0(SALU_CYCLE_1)
	s_mov_b32 s4, exec_lo
	s_waitcnt lgkmcnt(0)
	s_barrier
	buffer_gl0_inv
	v_cmpx_gt_i64_e64 s[0:1], v[1:2]
	s_cbranch_execz .LBB121_23
; %bb.22:                               ;   in Loop: Header=BB121_19 Depth=1
	flat_load_b64 v[11:12], v[7:8]
	ds_load_b64 v[13:14], v0
	s_waitcnt vmcnt(0) lgkmcnt(0)
	v_fma_f64 v[5:6], -v[11:12], v[13:14], v[5:6]
.LBB121_23:                             ;   in Loop: Header=BB121_19 Depth=1
	s_or_b32 exec_lo, exec_lo, s4
	s_add_u32 s4, s0, -1
	s_addc_u32 s5, s1, -1
	s_add_u32 s0, s0, 1
	s_addc_u32 s1, s1, 0
	v_add_co_u32 v7, vcc_lo, v7, s3
	v_cmp_lt_u64_e64 s0, s[0:1], 3
	v_add_co_ci_u32_e32 v8, vcc_lo, s6, v8, vcc_lo
	s_delay_alu instid0(VALU_DEP_2)
	s_and_b32 vcc_lo, exec_lo, s0
	s_cbranch_vccnz .LBB121_25
; %bb.24:                               ;   in Loop: Header=BB121_19 Depth=1
	s_mov_b64 s[0:1], s[4:5]
	s_branch .LBB121_19
.LBB121_25:
	s_mov_b32 s0, exec_lo
	v_cmpx_eq_u32_e32 0, v1
	s_cbranch_execz .LBB121_27
; %bb.26:
	v_mad_u64_u32 v[7:8], null, v1, s18, v[1:2]
	s_delay_alu instid0(VALU_DEP_1) | instskip(NEXT) | instid1(VALU_DEP_1)
	v_mov_b32_e32 v0, v8
	v_mad_u64_u32 v[8:9], null, v1, s19, v[0:1]
	s_delay_alu instid0(VALU_DEP_1) | instskip(NEXT) | instid1(VALU_DEP_1)
	v_lshlrev_b64 v[0:1], 3, v[7:8]
	v_add_co_u32 v0, vcc_lo, s16, v0
	s_delay_alu instid0(VALU_DEP_2) | instskip(SKIP_4) | instid1(VALU_DEP_2)
	v_add_co_ci_u32_e32 v1, vcc_lo, s17, v1, vcc_lo
	flat_load_b64 v[0:1], v[0:1]
	s_waitcnt vmcnt(0) lgkmcnt(0)
	v_div_scale_f64 v[7:8], null, v[0:1], v[0:1], 1.0
	v_div_scale_f64 v[13:14], vcc_lo, 1.0, v[0:1], 1.0
	v_rcp_f64_e32 v[9:10], v[7:8]
	s_waitcnt_depctr 0xfff
	v_fma_f64 v[11:12], -v[7:8], v[9:10], 1.0
	s_delay_alu instid0(VALU_DEP_1) | instskip(NEXT) | instid1(VALU_DEP_1)
	v_fma_f64 v[9:10], v[9:10], v[11:12], v[9:10]
	v_fma_f64 v[11:12], -v[7:8], v[9:10], 1.0
	s_delay_alu instid0(VALU_DEP_1) | instskip(NEXT) | instid1(VALU_DEP_1)
	v_fma_f64 v[9:10], v[9:10], v[11:12], v[9:10]
	v_mul_f64 v[11:12], v[13:14], v[9:10]
	s_delay_alu instid0(VALU_DEP_1) | instskip(NEXT) | instid1(VALU_DEP_1)
	v_fma_f64 v[7:8], -v[7:8], v[11:12], v[13:14]
	v_div_fmas_f64 v[7:8], v[7:8], v[9:10], v[11:12]
	s_delay_alu instid0(VALU_DEP_1) | instskip(NEXT) | instid1(VALU_DEP_1)
	v_div_fixup_f64 v[7:8], v[7:8], v[0:1], 1.0
	v_cndmask_b32_e64 v1, v8, v1, s2
	s_delay_alu instid0(VALU_DEP_2) | instskip(NEXT) | instid1(VALU_DEP_1)
	v_cndmask_b32_e64 v0, v7, v0, s2
	v_mul_f64 v[5:6], v[5:6], v[0:1]
.LBB121_27:
	s_or_b32 exec_lo, exec_lo, s0
	global_store_b64 v[3:4], v[5:6], off
.LBB121_28:
	s_nop 0
	s_sendmsg sendmsg(MSG_DEALLOC_VGPRS)
	s_endpgm
	.section	.rodata,"a",@progbits
	.p2align	6, 0x0
	.amdhsa_kernel _ZL40rocblas_trsm_block_backward_substitutionIddPKPKdPKPdLb1ELb1ELb0EEv18rocblas_operation_llT0_T1_lllT2_lllib
		.amdhsa_group_segment_fixed_size 0
		.amdhsa_private_segment_fixed_size 0
		.amdhsa_kernarg_size 360
		.amdhsa_user_sgpr_count 13
		.amdhsa_user_sgpr_dispatch_ptr 0
		.amdhsa_user_sgpr_queue_ptr 0
		.amdhsa_user_sgpr_kernarg_segment_ptr 1
		.amdhsa_user_sgpr_dispatch_id 0
		.amdhsa_user_sgpr_private_segment_size 0
		.amdhsa_wavefront_size32 1
		.amdhsa_uses_dynamic_stack 0
		.amdhsa_enable_private_segment 0
		.amdhsa_system_sgpr_workgroup_id_x 1
		.amdhsa_system_sgpr_workgroup_id_y 1
		.amdhsa_system_sgpr_workgroup_id_z 1
		.amdhsa_system_sgpr_workgroup_info 0
		.amdhsa_system_vgpr_workitem_id 1
		.amdhsa_next_free_vgpr 21
		.amdhsa_next_free_sgpr 29
		.amdhsa_reserve_vcc 1
		.amdhsa_float_round_mode_32 0
		.amdhsa_float_round_mode_16_64 0
		.amdhsa_float_denorm_mode_32 3
		.amdhsa_float_denorm_mode_16_64 3
		.amdhsa_dx10_clamp 1
		.amdhsa_ieee_mode 1
		.amdhsa_fp16_overflow 0
		.amdhsa_workgroup_processor_mode 1
		.amdhsa_memory_ordered 1
		.amdhsa_forward_progress 0
		.amdhsa_shared_vgpr_count 0
		.amdhsa_exception_fp_ieee_invalid_op 0
		.amdhsa_exception_fp_denorm_src 0
		.amdhsa_exception_fp_ieee_div_zero 0
		.amdhsa_exception_fp_ieee_overflow 0
		.amdhsa_exception_fp_ieee_underflow 0
		.amdhsa_exception_fp_ieee_inexact 0
		.amdhsa_exception_int_div_zero 0
	.end_amdhsa_kernel
	.section	.text._ZL40rocblas_trsm_block_backward_substitutionIddPKPKdPKPdLb1ELb1ELb0EEv18rocblas_operation_llT0_T1_lllT2_lllib,"axG",@progbits,_ZL40rocblas_trsm_block_backward_substitutionIddPKPKdPKPdLb1ELb1ELb0EEv18rocblas_operation_llT0_T1_lllT2_lllib,comdat
.Lfunc_end121:
	.size	_ZL40rocblas_trsm_block_backward_substitutionIddPKPKdPKPdLb1ELb1ELb0EEv18rocblas_operation_llT0_T1_lllT2_lllib, .Lfunc_end121-_ZL40rocblas_trsm_block_backward_substitutionIddPKPKdPKPdLb1ELb1ELb0EEv18rocblas_operation_llT0_T1_lllT2_lllib
                                        ; -- End function
	.section	.AMDGPU.csdata,"",@progbits
; Kernel info:
; codeLenInByte = 1688
; NumSgprs: 31
; NumVgprs: 21
; ScratchSize: 0
; MemoryBound: 1
; FloatMode: 240
; IeeeMode: 1
; LDSByteSize: 0 bytes/workgroup (compile time only)
; SGPRBlocks: 3
; VGPRBlocks: 2
; NumSGPRsForWavesPerEU: 31
; NumVGPRsForWavesPerEU: 21
; Occupancy: 16
; WaveLimiterHint : 1
; COMPUTE_PGM_RSRC2:SCRATCH_EN: 0
; COMPUTE_PGM_RSRC2:USER_SGPR: 13
; COMPUTE_PGM_RSRC2:TRAP_HANDLER: 0
; COMPUTE_PGM_RSRC2:TGID_X_EN: 1
; COMPUTE_PGM_RSRC2:TGID_Y_EN: 1
; COMPUTE_PGM_RSRC2:TGID_Z_EN: 1
; COMPUTE_PGM_RSRC2:TIDIG_COMP_CNT: 1
	.section	.text._ZL39rocblas_trsm_block_forward_substitutionIddPKPKdPKPdLb1ELb1ELb1EEv18rocblas_operation_llT0_T1_lllT2_lllib,"axG",@progbits,_ZL39rocblas_trsm_block_forward_substitutionIddPKPKdPKPdLb1ELb1ELb1EEv18rocblas_operation_llT0_T1_lllT2_lllib,comdat
	.globl	_ZL39rocblas_trsm_block_forward_substitutionIddPKPKdPKPdLb1ELb1ELb1EEv18rocblas_operation_llT0_T1_lllT2_lllib ; -- Begin function _ZL39rocblas_trsm_block_forward_substitutionIddPKPKdPKPdLb1ELb1ELb1EEv18rocblas_operation_llT0_T1_lllT2_lllib
	.p2align	8
	.type	_ZL39rocblas_trsm_block_forward_substitutionIddPKPKdPKPdLb1ELb1ELb1EEv18rocblas_operation_llT0_T1_lllT2_lllib,@function
_ZL39rocblas_trsm_block_forward_substitutionIddPKPKdPKPdLb1ELb1ELb1EEv18rocblas_operation_llT0_T1_lllT2_lllib: ; @_ZL39rocblas_trsm_block_forward_substitutionIddPKPKdPKPdLb1ELb1ELb1EEv18rocblas_operation_llT0_T1_lllT2_lllib
; %bb.0:
	s_load_b256 s[4:11], s[0:1], 0x8
	s_mov_b32 s2, s15
	s_mov_b32 s3, 0
	v_and_b32_e32 v1, 0x3ff, v0
	s_lshl_b64 s[2:3], s[2:3], 3
	v_bfe_u32 v0, v0, 10, 10
	s_waitcnt lgkmcnt(0)
	s_add_u32 s10, s10, s2
	s_addc_u32 s11, s11, s3
	s_load_b128 s[20:23], s[0:1], 0x28
	s_load_b64 s[10:11], s[10:11], 0x0
	s_clause 0x2
	s_load_b128 s[16:19], s[0:1], 0x40
	s_load_b32 s24, s[0:1], 0x64
	s_load_b32 s15, s[0:1], 0x74
	s_waitcnt lgkmcnt(0)
	s_lshl_b64 s[12:13], s[20:21], 3
	s_delay_alu instid0(SALU_CYCLE_1)
	s_add_u32 s12, s10, s12
	s_addc_u32 s13, s11, s13
	s_add_u32 s2, s16, s2
	s_addc_u32 s3, s17, s3
	s_load_b64 s[16:17], s[0:1], 0x50
	s_load_b64 s[10:11], s[2:3], 0x0
	s_add_u32 s20, s0, 0x68
	s_addc_u32 s21, s1, 0
	s_lshr_b32 s15, s15, 16
	s_bitcmp0_b32 s24, 0
	s_mov_b64 s[0:1], 1
	s_cbranch_scc1 .LBB122_6
; %bb.1:
	v_cmp_lt_i64_e64 s0, s[4:5], 1
	s_lshl_b32 s1, s15, 3
	s_mov_b64 s[2:3], 1
	s_add_i32 s24, s1, 0
	s_delay_alu instid0(VALU_DEP_1)
	s_and_b32 vcc_lo, exec_lo, s0
	s_cbranch_vccnz .LBB122_7
; %bb.2:
	v_mad_u64_u32 v[3:4], null, v1, s22, 0
	s_delay_alu instid0(VALU_DEP_1) | instskip(NEXT) | instid1(VALU_DEP_1)
	v_mov_b32_e32 v2, v4
	v_mad_u64_u32 v[4:5], null, v1, s23, v[2:3]
	v_mov_b32_e32 v2, 0
	s_delay_alu instid0(VALU_DEP_1) | instskip(NEXT) | instid1(VALU_DEP_3)
	v_cmp_gt_u64_e64 s0, s[4:5], v[1:2]
	v_lshlrev_b64 v[5:6], 3, v[3:4]
	v_lshl_add_u32 v4, v1, 3, s24
	s_delay_alu instid0(VALU_DEP_2) | instskip(NEXT) | instid1(VALU_DEP_3)
	v_add_co_u32 v5, vcc_lo, s12, v5
	v_add_co_ci_u32_e32 v6, vcc_lo, s13, v6, vcc_lo
	s_mov_b32 s12, 0
	s_set_inst_prefetch_distance 0x1
	s_branch .LBB122_4
	.p2align	6
.LBB122_3:                              ;   in Loop: Header=BB122_4 Depth=1
	s_or_b32 exec_lo, exec_lo, s1
	s_add_i32 s12, s12, s15
	s_delay_alu instid0(SALU_CYCLE_1) | instskip(NEXT) | instid1(SALU_CYCLE_1)
	s_ashr_i32 s13, s12, 31
	v_cmp_ge_i64_e64 s1, s[12:13], s[4:5]
	s_delay_alu instid0(VALU_DEP_1)
	s_and_b32 vcc_lo, exec_lo, s1
	s_cbranch_vccnz .LBB122_7
.LBB122_4:                              ; =>This Inner Loop Header: Depth=1
	v_add_nc_u32_e32 v2, s12, v0
	s_delay_alu instid0(VALU_DEP_1) | instskip(SKIP_1) | instid1(SALU_CYCLE_1)
	v_cmp_gt_i32_e32 vcc_lo, v1, v2
	s_and_b32 s13, s0, vcc_lo
	s_and_saveexec_b32 s1, s13
	s_cbranch_execz .LBB122_3
; %bb.5:                                ;   in Loop: Header=BB122_4 Depth=1
	v_ashrrev_i32_e32 v3, 31, v2
	s_load_b32 s13, s[20:21], 0xc
	s_delay_alu instid0(VALU_DEP_1) | instskip(NEXT) | instid1(VALU_DEP_1)
	v_lshlrev_b64 v[7:8], 3, v[2:3]
	v_add_co_u32 v7, vcc_lo, v5, v7
	s_delay_alu instid0(VALU_DEP_2) | instskip(SKIP_3) | instid1(SALU_CYCLE_1)
	v_add_co_ci_u32_e32 v8, vcc_lo, v6, v8, vcc_lo
	global_load_b64 v[7:8], v[7:8], off
	s_waitcnt lgkmcnt(0)
	s_and_b32 s13, s13, 0xffff
	v_mul_lo_u32 v2, v2, s13
	s_delay_alu instid0(VALU_DEP_1)
	v_lshl_add_u32 v2, v2, 3, v4
	s_waitcnt vmcnt(0)
	ds_store_b64 v2, v[7:8]
	s_branch .LBB122_3
.LBB122_6:
	s_mov_b32 s2, s22
	s_mov_b32 s3, s23
	s_branch .LBB122_8
.LBB122_7:
	s_set_inst_prefetch_distance 0x2
	s_load_b32 s12, s[20:21], 0xc
	s_mov_b64 s[0:1], src_shared_base
	s_delay_alu instid0(SALU_CYCLE_1)
	s_mov_b32 s25, s1
	s_waitcnt lgkmcnt(0)
	s_and_b32 s0, s12, 0xffff
	s_mov_b64 s[12:13], s[24:25]
.LBB122_8:
	v_mad_u64_u32 v[3:4], null, s14, s15, v[0:1]
	v_mov_b32_e32 v4, 0
	s_mov_b32 s1, exec_lo
	s_delay_alu instid0(VALU_DEP_1)
	v_cmpx_gt_i64_e64 s[6:7], v[3:4]
	s_cbranch_execz .LBB122_18
; %bb.9:
	v_mov_b32_e32 v2, v4
	s_delay_alu instid0(VALU_DEP_1)
	v_cmp_gt_i64_e32 vcc_lo, s[4:5], v[1:2]
	s_and_b32 exec_lo, exec_lo, vcc_lo
	s_cbranch_execz .LBB122_18
; %bb.10:
	s_waitcnt lgkmcnt(0)
	v_mad_u64_u32 v[5:6], null, v1, s16, 0
	s_lshl_b64 s[6:7], s[18:19], 3
	v_lshlrev_b64 v[3:4], 3, v[3:4]
	s_add_u32 s1, s10, s6
	s_addc_u32 s6, s11, s7
	s_delay_alu instid0(VALU_DEP_2) | instskip(NEXT) | instid1(VALU_DEP_1)
	v_mad_u64_u32 v[7:8], null, v1, s17, v[6:7]
	v_mov_b32_e32 v6, v7
	s_delay_alu instid0(VALU_DEP_1) | instskip(NEXT) | instid1(VALU_DEP_1)
	v_lshlrev_b64 v[5:6], 3, v[5:6]
	v_add_co_u32 v5, vcc_lo, s1, v5
	s_delay_alu instid0(VALU_DEP_2) | instskip(SKIP_1) | instid1(VALU_DEP_3)
	v_add_co_ci_u32_e32 v6, vcc_lo, s6, v6, vcc_lo
	v_cmp_lt_u64_e64 s1, s[4:5], 2
	v_add_co_u32 v3, vcc_lo, v5, v3
	s_delay_alu instid0(VALU_DEP_3) | instskip(NEXT) | instid1(VALU_DEP_3)
	v_add_co_ci_u32_e32 v4, vcc_lo, v6, v4, vcc_lo
	s_and_b32 vcc_lo, exec_lo, s1
	global_load_b64 v[5:6], v[3:4], off
	s_waitcnt vmcnt(0)
	v_mul_f64 v[5:6], v[5:6], s[8:9]
	s_cbranch_vccnz .LBB122_17
; %bb.11:
	v_mad_u64_u32 v[7:8], null, s2, v1, 0
	v_lshl_add_u32 v0, v0, 3, 0
	s_add_u32 s2, s4, -1
	s_delay_alu instid0(VALU_DEP_2) | instskip(SKIP_3) | instid1(VALU_DEP_1)
	v_mad_u64_u32 v[9:10], null, s3, v1, v[8:9]
	s_addc_u32 s3, s5, -1
	s_lshl_b32 s4, s0, 3
	s_mov_b64 s[0:1], 0
	v_mov_b32_e32 v8, v9
	s_delay_alu instid0(VALU_DEP_1) | instskip(NEXT) | instid1(VALU_DEP_1)
	v_lshlrev_b64 v[7:8], 3, v[7:8]
	v_add_co_u32 v7, vcc_lo, s12, v7
	s_delay_alu instid0(VALU_DEP_2)
	v_add_co_ci_u32_e32 v8, vcc_lo, s13, v8, vcc_lo
	s_set_inst_prefetch_distance 0x1
	s_branch .LBB122_13
	.p2align	6
.LBB122_12:                             ;   in Loop: Header=BB122_13 Depth=1
	s_or_b32 exec_lo, exec_lo, s5
	v_add_co_u32 v7, vcc_lo, v7, s4
	s_add_u32 s0, s0, 1
	v_add_co_ci_u32_e32 v8, vcc_lo, 0, v8, vcc_lo
	s_addc_u32 s1, s1, 0
	s_delay_alu instid0(SALU_CYCLE_1)
	s_cmp_eq_u64 s[2:3], s[0:1]
	s_cbranch_scc1 .LBB122_17
.LBB122_13:                             ; =>This Inner Loop Header: Depth=1
	s_mov_b32 s5, exec_lo
	s_barrier
	buffer_gl0_inv
	v_cmpx_eq_u64_e64 s[0:1], v[1:2]
	s_cbranch_execz .LBB122_15
; %bb.14:                               ;   in Loop: Header=BB122_13 Depth=1
	ds_store_b64 v0, v[5:6]
.LBB122_15:                             ;   in Loop: Header=BB122_13 Depth=1
	s_or_b32 exec_lo, exec_lo, s5
	s_delay_alu instid0(SALU_CYCLE_1)
	s_mov_b32 s5, exec_lo
	s_waitcnt lgkmcnt(0)
	s_barrier
	buffer_gl0_inv
	v_cmpx_lt_u64_e64 s[0:1], v[1:2]
	s_cbranch_execz .LBB122_12
; %bb.16:                               ;   in Loop: Header=BB122_13 Depth=1
	flat_load_b64 v[9:10], v[7:8]
	ds_load_b64 v[11:12], v0
	s_waitcnt vmcnt(0) lgkmcnt(0)
	v_fma_f64 v[5:6], -v[9:10], v[11:12], v[5:6]
	s_branch .LBB122_12
.LBB122_17:
	s_set_inst_prefetch_distance 0x2
	global_store_b64 v[3:4], v[5:6], off
.LBB122_18:
	s_nop 0
	s_sendmsg sendmsg(MSG_DEALLOC_VGPRS)
	s_endpgm
	.section	.rodata,"a",@progbits
	.p2align	6, 0x0
	.amdhsa_kernel _ZL39rocblas_trsm_block_forward_substitutionIddPKPKdPKPdLb1ELb1ELb1EEv18rocblas_operation_llT0_T1_lllT2_lllib
		.amdhsa_group_segment_fixed_size 0
		.amdhsa_private_segment_fixed_size 0
		.amdhsa_kernarg_size 360
		.amdhsa_user_sgpr_count 13
		.amdhsa_user_sgpr_dispatch_ptr 0
		.amdhsa_user_sgpr_queue_ptr 0
		.amdhsa_user_sgpr_kernarg_segment_ptr 1
		.amdhsa_user_sgpr_dispatch_id 0
		.amdhsa_user_sgpr_private_segment_size 0
		.amdhsa_wavefront_size32 1
		.amdhsa_uses_dynamic_stack 0
		.amdhsa_enable_private_segment 0
		.amdhsa_system_sgpr_workgroup_id_x 1
		.amdhsa_system_sgpr_workgroup_id_y 1
		.amdhsa_system_sgpr_workgroup_id_z 1
		.amdhsa_system_sgpr_workgroup_info 0
		.amdhsa_system_vgpr_workitem_id 1
		.amdhsa_next_free_vgpr 13
		.amdhsa_next_free_sgpr 26
		.amdhsa_reserve_vcc 1
		.amdhsa_float_round_mode_32 0
		.amdhsa_float_round_mode_16_64 0
		.amdhsa_float_denorm_mode_32 3
		.amdhsa_float_denorm_mode_16_64 3
		.amdhsa_dx10_clamp 1
		.amdhsa_ieee_mode 1
		.amdhsa_fp16_overflow 0
		.amdhsa_workgroup_processor_mode 1
		.amdhsa_memory_ordered 1
		.amdhsa_forward_progress 0
		.amdhsa_shared_vgpr_count 0
		.amdhsa_exception_fp_ieee_invalid_op 0
		.amdhsa_exception_fp_denorm_src 0
		.amdhsa_exception_fp_ieee_div_zero 0
		.amdhsa_exception_fp_ieee_overflow 0
		.amdhsa_exception_fp_ieee_underflow 0
		.amdhsa_exception_fp_ieee_inexact 0
		.amdhsa_exception_int_div_zero 0
	.end_amdhsa_kernel
	.section	.text._ZL39rocblas_trsm_block_forward_substitutionIddPKPKdPKPdLb1ELb1ELb1EEv18rocblas_operation_llT0_T1_lllT2_lllib,"axG",@progbits,_ZL39rocblas_trsm_block_forward_substitutionIddPKPKdPKPdLb1ELb1ELb1EEv18rocblas_operation_llT0_T1_lllT2_lllib,comdat
.Lfunc_end122:
	.size	_ZL39rocblas_trsm_block_forward_substitutionIddPKPKdPKPdLb1ELb1ELb1EEv18rocblas_operation_llT0_T1_lllT2_lllib, .Lfunc_end122-_ZL39rocblas_trsm_block_forward_substitutionIddPKPKdPKPdLb1ELb1ELb1EEv18rocblas_operation_llT0_T1_lllT2_lllib
                                        ; -- End function
	.section	.AMDGPU.csdata,"",@progbits
; Kernel info:
; codeLenInByte = 920
; NumSgprs: 28
; NumVgprs: 13
; ScratchSize: 0
; MemoryBound: 0
; FloatMode: 240
; IeeeMode: 1
; LDSByteSize: 0 bytes/workgroup (compile time only)
; SGPRBlocks: 3
; VGPRBlocks: 1
; NumSGPRsForWavesPerEU: 28
; NumVGPRsForWavesPerEU: 13
; Occupancy: 16
; WaveLimiterHint : 1
; COMPUTE_PGM_RSRC2:SCRATCH_EN: 0
; COMPUTE_PGM_RSRC2:USER_SGPR: 13
; COMPUTE_PGM_RSRC2:TRAP_HANDLER: 0
; COMPUTE_PGM_RSRC2:TGID_X_EN: 1
; COMPUTE_PGM_RSRC2:TGID_Y_EN: 1
; COMPUTE_PGM_RSRC2:TGID_Z_EN: 1
; COMPUTE_PGM_RSRC2:TIDIG_COMP_CNT: 1
	.section	.text._ZL40rocblas_trsm_block_backward_substitutionIddPKPKdPKPdLb1ELb1ELb1EEv18rocblas_operation_llT0_T1_lllT2_lllib,"axG",@progbits,_ZL40rocblas_trsm_block_backward_substitutionIddPKPKdPKPdLb1ELb1ELb1EEv18rocblas_operation_llT0_T1_lllT2_lllib,comdat
	.globl	_ZL40rocblas_trsm_block_backward_substitutionIddPKPKdPKPdLb1ELb1ELb1EEv18rocblas_operation_llT0_T1_lllT2_lllib ; -- Begin function _ZL40rocblas_trsm_block_backward_substitutionIddPKPKdPKPdLb1ELb1ELb1EEv18rocblas_operation_llT0_T1_lllT2_lllib
	.p2align	8
	.type	_ZL40rocblas_trsm_block_backward_substitutionIddPKPKdPKPdLb1ELb1ELb1EEv18rocblas_operation_llT0_T1_lllT2_lllib,@function
_ZL40rocblas_trsm_block_backward_substitutionIddPKPKdPKPdLb1ELb1ELb1EEv18rocblas_operation_llT0_T1_lllT2_lllib: ; @_ZL40rocblas_trsm_block_backward_substitutionIddPKPKdPKPdLb1ELb1ELb1EEv18rocblas_operation_llT0_T1_lllT2_lllib
; %bb.0:
	s_load_b256 s[4:11], s[0:1], 0x8
	s_mov_b32 s2, s15
	s_mov_b32 s3, 0
	v_and_b32_e32 v1, 0x3ff, v0
	s_lshl_b64 s[2:3], s[2:3], 3
	v_bfe_u32 v0, v0, 10, 10
	s_waitcnt lgkmcnt(0)
	s_add_u32 s10, s10, s2
	s_addc_u32 s11, s11, s3
	s_load_b128 s[16:19], s[0:1], 0x28
	s_load_b64 s[10:11], s[10:11], 0x0
	s_clause 0x2
	s_load_b128 s[20:23], s[0:1], 0x40
	s_load_b32 s24, s[0:1], 0x64
	s_load_b32 s15, s[0:1], 0x74
	s_waitcnt lgkmcnt(0)
	s_lshl_b64 s[12:13], s[16:17], 3
	s_delay_alu instid0(SALU_CYCLE_1)
	s_add_u32 s12, s10, s12
	s_addc_u32 s13, s11, s13
	s_add_u32 s2, s20, s2
	s_addc_u32 s3, s21, s3
	s_load_b64 s[10:11], s[0:1], 0x50
	s_load_b64 s[2:3], s[2:3], 0x0
	s_add_u32 s16, s0, 0x68
	s_addc_u32 s17, s1, 0
	s_lshr_b32 s15, s15, 16
	s_bitcmp0_b32 s24, 0
	s_cbranch_scc1 .LBB123_7
; %bb.1:
	v_cmp_lt_i64_e64 s0, s[4:5], 1
	s_lshl_b32 s1, s15, 3
	s_delay_alu instid0(SALU_CYCLE_1) | instskip(NEXT) | instid1(VALU_DEP_1)
	s_add_i32 s20, s1, 0
	s_and_b32 vcc_lo, exec_lo, s0
	s_cbranch_vccnz .LBB123_6
; %bb.2:
	v_dual_mov_b32 v2, 0 :: v_dual_lshlrev_b32 v3, 3, v1
	s_delay_alu instid0(VALU_DEP_1) | instskip(NEXT) | instid1(VALU_DEP_2)
	v_add_co_u32 v5, s1, s12, v3
	v_cmp_gt_u64_e64 s0, s[4:5], v[1:2]
	v_add_nc_u32_e32 v4, s20, v3
	v_add_co_ci_u32_e64 v6, null, s13, 0, s1
	s_mov_b32 s12, 0
	s_set_inst_prefetch_distance 0x1
	s_branch .LBB123_4
	.p2align	6
.LBB123_3:                              ;   in Loop: Header=BB123_4 Depth=1
	s_or_b32 exec_lo, exec_lo, s1
	s_add_i32 s12, s12, s15
	s_delay_alu instid0(SALU_CYCLE_1) | instskip(NEXT) | instid1(SALU_CYCLE_1)
	s_ashr_i32 s13, s12, 31
	v_cmp_ge_i64_e64 s1, s[12:13], s[4:5]
	s_delay_alu instid0(VALU_DEP_1)
	s_and_b32 vcc_lo, exec_lo, s1
	s_cbranch_vccnz .LBB123_6
.LBB123_4:                              ; =>This Inner Loop Header: Depth=1
	v_add_nc_u32_e32 v2, s12, v0
	s_delay_alu instid0(VALU_DEP_1) | instskip(SKIP_1) | instid1(VALU_DEP_2)
	v_ashrrev_i32_e32 v3, 31, v2
	v_cmp_lt_i32_e64 s1, v1, v2
	v_cmp_gt_i64_e32 vcc_lo, s[4:5], v[2:3]
	s_delay_alu instid0(VALU_DEP_2) | instskip(NEXT) | instid1(SALU_CYCLE_1)
	s_and_b32 s1, s1, vcc_lo
	s_and_b32 s13, s0, s1
	s_delay_alu instid0(SALU_CYCLE_1)
	s_and_saveexec_b32 s1, s13
	s_cbranch_execz .LBB123_3
; %bb.5:                                ;   in Loop: Header=BB123_4 Depth=1
	v_mul_lo_u32 v3, v3, s18
	v_mul_lo_u32 v9, v2, s19
	v_mad_u64_u32 v[7:8], null, v2, s18, 0
	s_load_b32 s13, s[16:17], 0xc
	s_delay_alu instid0(VALU_DEP_1) | instskip(NEXT) | instid1(VALU_DEP_1)
	v_add3_u32 v8, v8, v9, v3
	v_lshlrev_b64 v[7:8], 3, v[7:8]
	s_delay_alu instid0(VALU_DEP_1) | instskip(NEXT) | instid1(VALU_DEP_2)
	v_add_co_u32 v7, vcc_lo, v5, v7
	v_add_co_ci_u32_e32 v8, vcc_lo, v6, v8, vcc_lo
	s_waitcnt lgkmcnt(0)
	s_and_b32 s13, s13, 0xffff
	s_delay_alu instid0(SALU_CYCLE_1)
	v_mul_lo_u32 v2, v2, s13
	global_load_b64 v[7:8], v[7:8], off
	v_lshl_add_u32 v2, v2, 3, v4
	s_waitcnt vmcnt(0)
	ds_store_b64 v2, v[7:8]
	s_branch .LBB123_3
.LBB123_6:
	s_set_inst_prefetch_distance 0x2
	s_load_b32 s12, s[16:17], 0xc
	s_mov_b64 s[0:1], src_shared_base
	s_mov_b32 s19, 0
	s_mov_b32 s21, s1
	s_waitcnt lgkmcnt(0)
	s_and_b32 s18, s12, 0xffff
	s_mov_b64 s[12:13], s[20:21]
.LBB123_7:
	v_mad_u64_u32 v[3:4], null, s14, s15, v[0:1]
	v_mov_b32_e32 v4, 0
	s_mov_b32 s0, exec_lo
	s_delay_alu instid0(VALU_DEP_1)
	v_cmpx_gt_i64_e64 s[6:7], v[3:4]
	s_cbranch_execz .LBB123_18
; %bb.8:
	v_mov_b32_e32 v2, v4
	s_delay_alu instid0(VALU_DEP_1)
	v_cmp_gt_i64_e32 vcc_lo, s[4:5], v[1:2]
	s_and_b32 exec_lo, exec_lo, vcc_lo
	s_cbranch_execz .LBB123_18
; %bb.9:
	s_waitcnt lgkmcnt(0)
	v_mad_u64_u32 v[4:5], null, v3, s10, 0
	s_lshl_b64 s[0:1], s[22:23], 3
	s_delay_alu instid0(SALU_CYCLE_1) | instskip(SKIP_1) | instid1(VALU_DEP_1)
	s_add_u32 s0, s2, s0
	s_addc_u32 s1, s3, s1
	v_mad_u64_u32 v[6:7], null, v3, s11, v[5:6]
	v_lshlrev_b32_e32 v7, 3, v1
	s_delay_alu instid0(VALU_DEP_2) | instskip(NEXT) | instid1(VALU_DEP_1)
	v_mov_b32_e32 v5, v6
	v_lshlrev_b64 v[3:4], 3, v[4:5]
	s_delay_alu instid0(VALU_DEP_1) | instskip(NEXT) | instid1(VALU_DEP_2)
	v_add_co_u32 v3, vcc_lo, s0, v3
	v_add_co_ci_u32_e32 v4, vcc_lo, s1, v4, vcc_lo
	v_cmp_lt_u64_e64 s0, s[4:5], 2
	s_delay_alu instid0(VALU_DEP_3) | instskip(NEXT) | instid1(VALU_DEP_3)
	v_add_co_u32 v3, vcc_lo, v3, v7
	v_add_co_ci_u32_e32 v4, vcc_lo, 0, v4, vcc_lo
	s_delay_alu instid0(VALU_DEP_3)
	s_and_b32 vcc_lo, exec_lo, s0
	global_load_b64 v[5:6], v[3:4], off
	s_waitcnt vmcnt(0)
	v_mul_f64 v[5:6], v[5:6], s[8:9]
	s_cbranch_vccnz .LBB123_17
; %bb.10:
	s_add_u32 s0, s4, -1
	s_addc_u32 s1, s5, -1
	s_mul_hi_u32 s2, s18, s0
	s_mul_i32 s3, s18, s1
	s_mul_i32 s4, s19, s0
	s_add_i32 s3, s2, s3
	s_mul_i32 s2, s18, s0
	s_add_i32 s3, s3, s4
	v_lshl_add_u32 v0, v0, 3, 0
	s_lshl_b64 s[2:3], s[2:3], 3
	s_delay_alu instid0(SALU_CYCLE_1) | instskip(SKIP_2) | instid1(VALU_DEP_1)
	s_add_u32 s2, s12, s2
	s_addc_u32 s3, s13, s3
	v_add_co_u32 v7, s2, s2, v7
	v_add_co_ci_u32_e64 v8, null, s3, 0, s2
	s_lshl_b64 s[2:3], s[18:19], 3
	s_delay_alu instid0(SALU_CYCLE_1)
	s_sub_u32 s4, 0, s2
	s_subb_u32 s5, 0, s3
	s_set_inst_prefetch_distance 0x1
	.p2align	6
.LBB123_11:                             ; =>This Inner Loop Header: Depth=1
	s_mov_b32 s2, exec_lo
	s_barrier
	buffer_gl0_inv
	v_cmpx_eq_u64_e64 s[0:1], v[1:2]
	s_cbranch_execz .LBB123_13
; %bb.12:                               ;   in Loop: Header=BB123_11 Depth=1
	ds_store_b64 v0, v[5:6]
.LBB123_13:                             ;   in Loop: Header=BB123_11 Depth=1
	s_or_b32 exec_lo, exec_lo, s2
	s_delay_alu instid0(SALU_CYCLE_1)
	s_mov_b32 s2, exec_lo
	s_waitcnt lgkmcnt(0)
	s_barrier
	buffer_gl0_inv
	v_cmpx_gt_i64_e64 s[0:1], v[1:2]
	s_cbranch_execz .LBB123_15
; %bb.14:                               ;   in Loop: Header=BB123_11 Depth=1
	flat_load_b64 v[9:10], v[7:8]
	ds_load_b64 v[11:12], v0
	s_waitcnt vmcnt(0) lgkmcnt(0)
	v_fma_f64 v[5:6], -v[9:10], v[11:12], v[5:6]
.LBB123_15:                             ;   in Loop: Header=BB123_11 Depth=1
	s_or_b32 exec_lo, exec_lo, s2
	s_add_u32 s2, s0, -1
	s_addc_u32 s3, s1, -1
	s_add_u32 s0, s0, 1
	s_addc_u32 s1, s1, 0
	v_add_co_u32 v7, vcc_lo, v7, s4
	v_cmp_lt_u64_e64 s0, s[0:1], 3
	v_add_co_ci_u32_e32 v8, vcc_lo, s5, v8, vcc_lo
	s_delay_alu instid0(VALU_DEP_2)
	s_and_b32 vcc_lo, exec_lo, s0
	s_cbranch_vccnz .LBB123_17
; %bb.16:                               ;   in Loop: Header=BB123_11 Depth=1
	s_mov_b64 s[0:1], s[2:3]
	s_branch .LBB123_11
.LBB123_17:
	s_set_inst_prefetch_distance 0x2
	global_store_b64 v[3:4], v[5:6], off
.LBB123_18:
	s_nop 0
	s_sendmsg sendmsg(MSG_DEALLOC_VGPRS)
	s_endpgm
	.section	.rodata,"a",@progbits
	.p2align	6, 0x0
	.amdhsa_kernel _ZL40rocblas_trsm_block_backward_substitutionIddPKPKdPKPdLb1ELb1ELb1EEv18rocblas_operation_llT0_T1_lllT2_lllib
		.amdhsa_group_segment_fixed_size 0
		.amdhsa_private_segment_fixed_size 0
		.amdhsa_kernarg_size 360
		.amdhsa_user_sgpr_count 13
		.amdhsa_user_sgpr_dispatch_ptr 0
		.amdhsa_user_sgpr_queue_ptr 0
		.amdhsa_user_sgpr_kernarg_segment_ptr 1
		.amdhsa_user_sgpr_dispatch_id 0
		.amdhsa_user_sgpr_private_segment_size 0
		.amdhsa_wavefront_size32 1
		.amdhsa_uses_dynamic_stack 0
		.amdhsa_enable_private_segment 0
		.amdhsa_system_sgpr_workgroup_id_x 1
		.amdhsa_system_sgpr_workgroup_id_y 1
		.amdhsa_system_sgpr_workgroup_id_z 1
		.amdhsa_system_sgpr_workgroup_info 0
		.amdhsa_system_vgpr_workitem_id 1
		.amdhsa_next_free_vgpr 13
		.amdhsa_next_free_sgpr 25
		.amdhsa_reserve_vcc 1
		.amdhsa_float_round_mode_32 0
		.amdhsa_float_round_mode_16_64 0
		.amdhsa_float_denorm_mode_32 3
		.amdhsa_float_denorm_mode_16_64 3
		.amdhsa_dx10_clamp 1
		.amdhsa_ieee_mode 1
		.amdhsa_fp16_overflow 0
		.amdhsa_workgroup_processor_mode 1
		.amdhsa_memory_ordered 1
		.amdhsa_forward_progress 0
		.amdhsa_shared_vgpr_count 0
		.amdhsa_exception_fp_ieee_invalid_op 0
		.amdhsa_exception_fp_denorm_src 0
		.amdhsa_exception_fp_ieee_div_zero 0
		.amdhsa_exception_fp_ieee_overflow 0
		.amdhsa_exception_fp_ieee_underflow 0
		.amdhsa_exception_fp_ieee_inexact 0
		.amdhsa_exception_int_div_zero 0
	.end_amdhsa_kernel
	.section	.text._ZL40rocblas_trsm_block_backward_substitutionIddPKPKdPKPdLb1ELb1ELb1EEv18rocblas_operation_llT0_T1_lllT2_lllib,"axG",@progbits,_ZL40rocblas_trsm_block_backward_substitutionIddPKPKdPKPdLb1ELb1ELb1EEv18rocblas_operation_llT0_T1_lllT2_lllib,comdat
.Lfunc_end123:
	.size	_ZL40rocblas_trsm_block_backward_substitutionIddPKPKdPKPdLb1ELb1ELb1EEv18rocblas_operation_llT0_T1_lllT2_lllib, .Lfunc_end123-_ZL40rocblas_trsm_block_backward_substitutionIddPKPKdPKPdLb1ELb1ELb1EEv18rocblas_operation_llT0_T1_lllT2_lllib
                                        ; -- End function
	.section	.AMDGPU.csdata,"",@progbits
; Kernel info:
; codeLenInByte = 948
; NumSgprs: 27
; NumVgprs: 13
; ScratchSize: 0
; MemoryBound: 0
; FloatMode: 240
; IeeeMode: 1
; LDSByteSize: 0 bytes/workgroup (compile time only)
; SGPRBlocks: 3
; VGPRBlocks: 1
; NumSGPRsForWavesPerEU: 27
; NumVGPRsForWavesPerEU: 13
; Occupancy: 16
; WaveLimiterHint : 1
; COMPUTE_PGM_RSRC2:SCRATCH_EN: 0
; COMPUTE_PGM_RSRC2:USER_SGPR: 13
; COMPUTE_PGM_RSRC2:TRAP_HANDLER: 0
; COMPUTE_PGM_RSRC2:TGID_X_EN: 1
; COMPUTE_PGM_RSRC2:TGID_Y_EN: 1
; COMPUTE_PGM_RSRC2:TGID_Z_EN: 1
; COMPUTE_PGM_RSRC2:TIDIG_COMP_CNT: 1
	.section	.text._ZL39rocblas_trsm_block_forward_substitutionIddPKPKdPKPdLb1ELb0ELb0EEv18rocblas_operation_llT0_T1_lllT2_lllib,"axG",@progbits,_ZL39rocblas_trsm_block_forward_substitutionIddPKPKdPKPdLb1ELb0ELb0EEv18rocblas_operation_llT0_T1_lllT2_lllib,comdat
	.globl	_ZL39rocblas_trsm_block_forward_substitutionIddPKPKdPKPdLb1ELb0ELb0EEv18rocblas_operation_llT0_T1_lllT2_lllib ; -- Begin function _ZL39rocblas_trsm_block_forward_substitutionIddPKPKdPKPdLb1ELb0ELb0EEv18rocblas_operation_llT0_T1_lllT2_lllib
	.p2align	8
	.type	_ZL39rocblas_trsm_block_forward_substitutionIddPKPKdPKPdLb1ELb0ELb0EEv18rocblas_operation_llT0_T1_lllT2_lllib,@function
_ZL39rocblas_trsm_block_forward_substitutionIddPKPKdPKPdLb1ELb0ELb0EEv18rocblas_operation_llT0_T1_lllT2_lllib: ; @_ZL39rocblas_trsm_block_forward_substitutionIddPKPKdPKPdLb1ELb0ELb0EEv18rocblas_operation_llT0_T1_lllT2_lllib
; %bb.0:
	s_mov_b32 s12, s15
	s_clause 0x2
	s_load_b32 s15, s[0:1], 0x64
	s_load_b256 s[4:11], s[0:1], 0x8
	s_load_b32 s3, s[0:1], 0x74
	s_mov_b32 s13, 0
	v_and_b32_e32 v1, 0x3ff, v0
	v_bfe_u32 v0, v0, 10, 10
	s_waitcnt lgkmcnt(0)
	s_bitcmp1_b32 s15, 0
	s_cselect_b32 s2, -1, 0
	s_lshl_b64 s[24:25], s[12:13], 3
	s_delay_alu instid0(SALU_CYCLE_1)
	s_add_u32 s10, s10, s24
	s_addc_u32 s11, s11, s25
	s_load_b128 s[20:23], s[0:1], 0x28
	s_load_b64 s[10:11], s[10:11], 0x0
	s_load_b128 s[16:19], s[0:1], 0x40
	s_waitcnt lgkmcnt(0)
	s_lshl_b64 s[12:13], s[20:21], 3
	s_delay_alu instid0(SALU_CYCLE_1)
	s_add_u32 s12, s10, s12
	s_addc_u32 s13, s11, s13
	s_add_u32 s10, s16, s24
	s_addc_u32 s11, s17, s25
	s_load_b64 s[20:21], s[0:1], 0x50
	s_load_b64 s[16:17], s[10:11], 0x0
	s_add_u32 s24, s0, 0x68
	s_addc_u32 s25, s1, 0
	s_lshr_b32 s3, s3, 16
	s_bitcmp0_b32 s15, 0
	s_mov_b64 s[0:1], 1
	s_cbranch_scc1 .LBB124_12
; %bb.1:
	v_cmp_lt_i64_e64 s0, s[4:5], 1
	s_lshl_b32 s1, s3, 3
	s_mov_b64 s[10:11], 1
	s_add_i32 s26, s1, 0
	s_delay_alu instid0(VALU_DEP_1)
	s_and_b32 vcc_lo, exec_lo, s0
	s_cbranch_vccnz .LBB124_13
; %bb.2:
	v_mad_u64_u32 v[2:3], null, v1, s22, 0
	s_delay_alu instid0(VALU_DEP_1) | instskip(SKIP_1) | instid1(VALU_DEP_2)
	v_mad_u64_u32 v[4:5], null, v1, s23, v[3:4]
	v_lshlrev_b32_e32 v5, 3, v1
	v_mov_b32_e32 v3, v4
	s_delay_alu instid0(VALU_DEP_1) | instskip(SKIP_1) | instid1(VALU_DEP_2)
	v_lshlrev_b64 v[3:4], 3, v[2:3]
	v_mov_b32_e32 v2, 0
	v_add_co_u32 v8, vcc_lo, s12, v3
	s_delay_alu instid0(VALU_DEP_3) | instskip(NEXT) | instid1(VALU_DEP_3)
	v_add_co_ci_u32_e32 v9, vcc_lo, s13, v4, vcc_lo
	v_cmp_le_u64_e32 vcc_lo, s[4:5], v[1:2]
	v_mov_b32_e32 v4, v0
	s_delay_alu instid0(VALU_DEP_4)
	v_add_co_u32 v2, s0, v8, v5
	v_add_nc_u32_e32 v7, s26, v5
	v_add_co_ci_u32_e64 v3, s0, 0, v9, s0
	s_xor_b32 s12, vcc_lo, -1
	s_mov_b32 s0, s3
	s_branch .LBB124_4
.LBB124_3:                              ;   in Loop: Header=BB124_4 Depth=1
	s_or_b32 exec_lo, exec_lo, s13
	s_ashr_i32 s1, s0, 31
	v_add_nc_u32_e32 v4, s3, v4
	v_cmp_ge_i64_e64 s1, s[0:1], s[4:5]
	s_add_i32 s0, s0, s3
	s_delay_alu instid0(VALU_DEP_1)
	s_and_b32 vcc_lo, exec_lo, s1
	s_cbranch_vccnz .LBB124_13
.LBB124_4:                              ; =>This Inner Loop Header: Depth=1
	v_cmp_gt_i32_e32 vcc_lo, v1, v4
	s_mov_b32 s1, 0
                                        ; implicit-def: $vgpr5_vgpr6
	s_and_b32 s13, s12, vcc_lo
	s_delay_alu instid0(SALU_CYCLE_1) | instskip(NEXT) | instid1(SALU_CYCLE_1)
	s_and_saveexec_b32 s15, s13
	s_xor_b32 s13, exec_lo, s15
	s_cbranch_execnz .LBB124_7
; %bb.5:                                ;   in Loop: Header=BB124_4 Depth=1
	s_or_saveexec_b32 s13, s13
	v_mov_b32_e32 v10, v4
	s_xor_b32 exec_lo, exec_lo, s13
	s_cbranch_execnz .LBB124_8
.LBB124_6:                              ;   in Loop: Header=BB124_4 Depth=1
	s_or_b32 exec_lo, exec_lo, s13
	s_and_saveexec_b32 s13, s1
	s_cbranch_execz .LBB124_3
	s_branch .LBB124_11
.LBB124_7:                              ;   in Loop: Header=BB124_4 Depth=1
	s_waitcnt vmcnt(0)
	v_ashrrev_i32_e32 v5, 31, v4
	s_mov_b32 s1, exec_lo
	s_delay_alu instid0(VALU_DEP_1) | instskip(NEXT) | instid1(VALU_DEP_1)
	v_lshlrev_b64 v[5:6], 3, v[4:5]
	v_add_co_u32 v5, vcc_lo, v8, v5
	s_delay_alu instid0(VALU_DEP_2)
	v_add_co_ci_u32_e32 v6, vcc_lo, v9, v6, vcc_lo
	global_load_b64 v[5:6], v[5:6], off
	s_or_saveexec_b32 s13, s13
	v_mov_b32_e32 v10, v4
	s_xor_b32 exec_lo, exec_lo, s13
	s_cbranch_execz .LBB124_6
.LBB124_8:                              ;   in Loop: Header=BB124_4 Depth=1
	v_cmp_eq_u32_e32 vcc_lo, v1, v4
	s_mov_b32 s22, s1
                                        ; implicit-def: $vgpr5_vgpr6
	s_and_b32 s23, s12, vcc_lo
	s_delay_alu instid0(SALU_CYCLE_1)
	s_and_saveexec_b32 s15, s23
	s_cbranch_execz .LBB124_10
; %bb.9:                                ;   in Loop: Header=BB124_4 Depth=1
	global_load_b64 v[5:6], v[2:3], off
	s_or_b32 s22, s1, exec_lo
	s_waitcnt vmcnt(0)
	v_div_scale_f64 v[10:11], null, v[5:6], v[5:6], 1.0
	s_delay_alu instid0(VALU_DEP_1) | instskip(SKIP_2) | instid1(VALU_DEP_1)
	v_rcp_f64_e32 v[12:13], v[10:11]
	s_waitcnt_depctr 0xfff
	v_fma_f64 v[14:15], -v[10:11], v[12:13], 1.0
	v_fma_f64 v[12:13], v[12:13], v[14:15], v[12:13]
	s_delay_alu instid0(VALU_DEP_1) | instskip(NEXT) | instid1(VALU_DEP_1)
	v_fma_f64 v[14:15], -v[10:11], v[12:13], 1.0
	v_fma_f64 v[12:13], v[12:13], v[14:15], v[12:13]
	v_div_scale_f64 v[14:15], vcc_lo, 1.0, v[5:6], 1.0
	s_delay_alu instid0(VALU_DEP_1) | instskip(NEXT) | instid1(VALU_DEP_1)
	v_mul_f64 v[16:17], v[14:15], v[12:13]
	v_fma_f64 v[10:11], -v[10:11], v[16:17], v[14:15]
	s_delay_alu instid0(VALU_DEP_1) | instskip(NEXT) | instid1(VALU_DEP_1)
	v_div_fmas_f64 v[10:11], v[10:11], v[12:13], v[16:17]
	v_div_fixup_f64 v[5:6], v[10:11], v[5:6], 1.0
.LBB124_10:                             ;   in Loop: Header=BB124_4 Depth=1
	s_or_b32 exec_lo, exec_lo, s15
	v_mov_b32_e32 v10, v1
	s_and_not1_b32 s1, s1, exec_lo
	s_and_b32 s15, s22, exec_lo
	s_delay_alu instid0(SALU_CYCLE_1)
	s_or_b32 s1, s1, s15
	s_or_b32 exec_lo, exec_lo, s13
	s_and_saveexec_b32 s13, s1
	s_cbranch_execz .LBB124_3
.LBB124_11:                             ;   in Loop: Header=BB124_4 Depth=1
	s_load_b32 s1, s[24:25], 0xc
	s_waitcnt lgkmcnt(0)
	s_and_b32 s1, s1, 0xffff
	s_delay_alu instid0(SALU_CYCLE_1) | instskip(NEXT) | instid1(VALU_DEP_1)
	v_mul_lo_u32 v10, v10, s1
	v_lshl_add_u32 v10, v10, 3, v7
	s_waitcnt vmcnt(0)
	ds_store_b64 v10, v[5:6]
	s_branch .LBB124_3
.LBB124_12:
	s_mov_b32 s10, s22
	s_mov_b32 s11, s23
	s_branch .LBB124_14
.LBB124_13:
	s_load_b32 s0, s[24:25], 0xc
	s_mov_b64 s[12:13], src_shared_base
	s_mov_b32 s1, 0
	s_mov_b32 s27, s13
	s_delay_alu instid0(SALU_CYCLE_1)
	s_mov_b64 s[12:13], s[26:27]
	s_waitcnt lgkmcnt(0)
	s_and_b32 s0, s0, 0xffff
.LBB124_14:
	v_mad_u64_u32 v[3:4], null, s14, s3, v[0:1]
	v_mov_b32_e32 v4, 0
	s_mov_b32 s3, exec_lo
	s_delay_alu instid0(VALU_DEP_1)
	v_cmpx_gt_i64_e64 s[6:7], v[3:4]
	s_cbranch_execz .LBB124_26
; %bb.15:
	v_mov_b32_e32 v2, v4
	s_delay_alu instid0(VALU_DEP_1)
	v_cmp_gt_i64_e32 vcc_lo, s[4:5], v[1:2]
	s_and_b32 exec_lo, exec_lo, vcc_lo
	s_cbranch_execz .LBB124_26
; %bb.16:
	s_waitcnt vmcnt(0) lgkmcnt(0)
	v_mad_u64_u32 v[4:5], null, v3, s20, 0
	s_lshl_b64 s[6:7], s[18:19], 3
	s_delay_alu instid0(SALU_CYCLE_1) | instskip(SKIP_1) | instid1(VALU_DEP_1)
	s_add_u32 s3, s16, s6
	s_addc_u32 s6, s17, s7
	v_mad_u64_u32 v[6:7], null, v3, s21, v[5:6]
	s_delay_alu instid0(VALU_DEP_1) | instskip(NEXT) | instid1(VALU_DEP_1)
	v_mov_b32_e32 v5, v6
	v_lshlrev_b64 v[3:4], 3, v[4:5]
	v_lshlrev_b32_e32 v5, 3, v1
	s_delay_alu instid0(VALU_DEP_2) | instskip(NEXT) | instid1(VALU_DEP_3)
	v_add_co_u32 v3, vcc_lo, s3, v3
	v_add_co_ci_u32_e32 v4, vcc_lo, s6, v4, vcc_lo
	v_cmp_lt_u64_e64 s3, s[4:5], 2
	s_delay_alu instid0(VALU_DEP_3) | instskip(NEXT) | instid1(VALU_DEP_3)
	v_add_co_u32 v3, vcc_lo, v3, v5
	v_add_co_ci_u32_e32 v4, vcc_lo, 0, v4, vcc_lo
	s_add_u32 s4, s4, -1
	s_addc_u32 s5, s5, -1
	s_delay_alu instid0(VALU_DEP_3)
	s_and_b32 vcc_lo, exec_lo, s3
	global_load_b64 v[5:6], v[3:4], off
	s_waitcnt vmcnt(0)
	v_mul_f64 v[5:6], v[5:6], s[8:9]
	s_cbranch_vccnz .LBB124_23
; %bb.17:
	s_add_u32 s3, s0, s10
	v_mad_u64_u32 v[9:10], null, s10, v1, 0
	v_mad_u64_u32 v[7:8], null, s3, v1, 0
	s_addc_u32 s3, s1, s11
	v_lshl_add_u32 v0, v0, 3, 0
	s_mov_b64 s[6:7], 0
	s_delay_alu instid0(VALU_DEP_2) | instskip(SKIP_1) | instid1(VALU_DEP_1)
	v_mad_u64_u32 v[11:12], null, s3, v1, v[8:9]
	s_lshl_b32 s3, s0, 3
	v_mad_u64_u32 v[12:13], null, s11, v1, v[10:11]
	v_mov_b32_e32 v8, v11
	s_delay_alu instid0(VALU_DEP_1) | instskip(NEXT) | instid1(VALU_DEP_3)
	v_lshlrev_b64 v[7:8], 3, v[7:8]
	v_mov_b32_e32 v10, v12
	s_delay_alu instid0(VALU_DEP_2) | instskip(NEXT) | instid1(VALU_DEP_2)
	v_add_co_u32 v7, vcc_lo, s12, v7
	v_lshlrev_b64 v[9:10], 3, v[9:10]
	s_delay_alu instid0(VALU_DEP_4) | instskip(NEXT) | instid1(VALU_DEP_2)
	v_add_co_ci_u32_e32 v8, vcc_lo, s13, v8, vcc_lo
	v_add_co_u32 v9, vcc_lo, s12, v9
	s_delay_alu instid0(VALU_DEP_3)
	v_add_co_ci_u32_e32 v10, vcc_lo, s13, v10, vcc_lo
	s_branch .LBB124_19
.LBB124_18:                             ;   in Loop: Header=BB124_19 Depth=1
	s_or_b32 exec_lo, exec_lo, s8
	v_add_co_u32 v9, vcc_lo, v9, s3
	s_add_u32 s6, s6, 1
	v_add_co_ci_u32_e32 v10, vcc_lo, 0, v10, vcc_lo
	s_addc_u32 s7, s7, 0
	s_delay_alu instid0(SALU_CYCLE_1)
	s_cmp_eq_u64 s[4:5], s[6:7]
	s_cbranch_scc1 .LBB124_23
.LBB124_19:                             ; =>This Inner Loop Header: Depth=1
	s_mov_b32 s8, exec_lo
	s_barrier
	buffer_gl0_inv
	v_cmpx_eq_u64_e64 s[6:7], v[1:2]
	s_cbranch_execz .LBB124_21
; %bb.20:                               ;   in Loop: Header=BB124_19 Depth=1
	flat_load_b64 v[11:12], v[7:8]
	s_waitcnt vmcnt(0) lgkmcnt(0)
	v_div_scale_f64 v[13:14], null, v[11:12], v[11:12], 1.0
	v_div_scale_f64 v[19:20], vcc_lo, 1.0, v[11:12], 1.0
	s_delay_alu instid0(VALU_DEP_2) | instskip(SKIP_2) | instid1(VALU_DEP_1)
	v_rcp_f64_e32 v[15:16], v[13:14]
	s_waitcnt_depctr 0xfff
	v_fma_f64 v[17:18], -v[13:14], v[15:16], 1.0
	v_fma_f64 v[15:16], v[15:16], v[17:18], v[15:16]
	s_delay_alu instid0(VALU_DEP_1) | instskip(NEXT) | instid1(VALU_DEP_1)
	v_fma_f64 v[17:18], -v[13:14], v[15:16], 1.0
	v_fma_f64 v[15:16], v[15:16], v[17:18], v[15:16]
	s_delay_alu instid0(VALU_DEP_1) | instskip(NEXT) | instid1(VALU_DEP_1)
	v_mul_f64 v[17:18], v[19:20], v[15:16]
	v_fma_f64 v[13:14], -v[13:14], v[17:18], v[19:20]
	s_delay_alu instid0(VALU_DEP_1) | instskip(NEXT) | instid1(VALU_DEP_1)
	v_div_fmas_f64 v[13:14], v[13:14], v[15:16], v[17:18]
	v_div_fixup_f64 v[13:14], v[13:14], v[11:12], 1.0
	s_delay_alu instid0(VALU_DEP_1) | instskip(NEXT) | instid1(VALU_DEP_2)
	v_cndmask_b32_e64 v12, v14, v12, s2
	v_cndmask_b32_e64 v11, v13, v11, s2
	s_delay_alu instid0(VALU_DEP_1)
	v_mul_f64 v[5:6], v[5:6], v[11:12]
	ds_store_b64 v0, v[5:6]
.LBB124_21:                             ;   in Loop: Header=BB124_19 Depth=1
	s_or_b32 exec_lo, exec_lo, s8
	s_delay_alu instid0(SALU_CYCLE_1)
	s_mov_b32 s8, exec_lo
	s_waitcnt lgkmcnt(0)
	s_barrier
	buffer_gl0_inv
	v_cmpx_lt_u64_e64 s[6:7], v[1:2]
	s_cbranch_execz .LBB124_18
; %bb.22:                               ;   in Loop: Header=BB124_19 Depth=1
	flat_load_b64 v[11:12], v[9:10]
	ds_load_b64 v[13:14], v0
	s_waitcnt vmcnt(0) lgkmcnt(0)
	v_fma_f64 v[5:6], -v[11:12], v[13:14], v[5:6]
	s_branch .LBB124_18
.LBB124_23:
	s_mov_b32 s3, exec_lo
	v_cmpx_eq_u64_e64 s[4:5], v[1:2]
	s_cbranch_execz .LBB124_25
; %bb.24:
	s_add_u32 s0, s0, s10
	s_delay_alu instid0(SALU_CYCLE_1) | instskip(SKIP_1) | instid1(VALU_DEP_1)
	v_mad_u64_u32 v[7:8], null, s0, v1, 0
	s_addc_u32 s0, s1, s11
	v_mov_b32_e32 v0, v8
	s_delay_alu instid0(VALU_DEP_1) | instskip(NEXT) | instid1(VALU_DEP_1)
	v_mad_u64_u32 v[8:9], null, s0, v1, v[0:1]
	v_lshlrev_b64 v[0:1], 3, v[7:8]
	s_delay_alu instid0(VALU_DEP_1) | instskip(NEXT) | instid1(VALU_DEP_2)
	v_add_co_u32 v0, vcc_lo, s12, v0
	v_add_co_ci_u32_e32 v1, vcc_lo, s13, v1, vcc_lo
	flat_load_b64 v[0:1], v[0:1]
	s_waitcnt vmcnt(0) lgkmcnt(0)
	v_div_scale_f64 v[7:8], null, v[0:1], v[0:1], 1.0
	v_div_scale_f64 v[13:14], vcc_lo, 1.0, v[0:1], 1.0
	s_delay_alu instid0(VALU_DEP_2) | instskip(SKIP_2) | instid1(VALU_DEP_1)
	v_rcp_f64_e32 v[9:10], v[7:8]
	s_waitcnt_depctr 0xfff
	v_fma_f64 v[11:12], -v[7:8], v[9:10], 1.0
	v_fma_f64 v[9:10], v[9:10], v[11:12], v[9:10]
	s_delay_alu instid0(VALU_DEP_1) | instskip(NEXT) | instid1(VALU_DEP_1)
	v_fma_f64 v[11:12], -v[7:8], v[9:10], 1.0
	v_fma_f64 v[9:10], v[9:10], v[11:12], v[9:10]
	s_delay_alu instid0(VALU_DEP_1) | instskip(NEXT) | instid1(VALU_DEP_1)
	v_mul_f64 v[11:12], v[13:14], v[9:10]
	v_fma_f64 v[7:8], -v[7:8], v[11:12], v[13:14]
	s_delay_alu instid0(VALU_DEP_1) | instskip(NEXT) | instid1(VALU_DEP_1)
	v_div_fmas_f64 v[7:8], v[7:8], v[9:10], v[11:12]
	v_div_fixup_f64 v[7:8], v[7:8], v[0:1], 1.0
	s_delay_alu instid0(VALU_DEP_1) | instskip(NEXT) | instid1(VALU_DEP_2)
	v_cndmask_b32_e64 v1, v8, v1, s2
	v_cndmask_b32_e64 v0, v7, v0, s2
	s_delay_alu instid0(VALU_DEP_1)
	v_mul_f64 v[5:6], v[5:6], v[0:1]
.LBB124_25:
	s_or_b32 exec_lo, exec_lo, s3
	global_store_b64 v[3:4], v[5:6], off
.LBB124_26:
	s_nop 0
	s_sendmsg sendmsg(MSG_DEALLOC_VGPRS)
	s_endpgm
	.section	.rodata,"a",@progbits
	.p2align	6, 0x0
	.amdhsa_kernel _ZL39rocblas_trsm_block_forward_substitutionIddPKPKdPKPdLb1ELb0ELb0EEv18rocblas_operation_llT0_T1_lllT2_lllib
		.amdhsa_group_segment_fixed_size 0
		.amdhsa_private_segment_fixed_size 0
		.amdhsa_kernarg_size 360
		.amdhsa_user_sgpr_count 13
		.amdhsa_user_sgpr_dispatch_ptr 0
		.amdhsa_user_sgpr_queue_ptr 0
		.amdhsa_user_sgpr_kernarg_segment_ptr 1
		.amdhsa_user_sgpr_dispatch_id 0
		.amdhsa_user_sgpr_private_segment_size 0
		.amdhsa_wavefront_size32 1
		.amdhsa_uses_dynamic_stack 0
		.amdhsa_enable_private_segment 0
		.amdhsa_system_sgpr_workgroup_id_x 1
		.amdhsa_system_sgpr_workgroup_id_y 1
		.amdhsa_system_sgpr_workgroup_id_z 1
		.amdhsa_system_sgpr_workgroup_info 0
		.amdhsa_system_vgpr_workitem_id 1
		.amdhsa_next_free_vgpr 21
		.amdhsa_next_free_sgpr 28
		.amdhsa_reserve_vcc 1
		.amdhsa_float_round_mode_32 0
		.amdhsa_float_round_mode_16_64 0
		.amdhsa_float_denorm_mode_32 3
		.amdhsa_float_denorm_mode_16_64 3
		.amdhsa_dx10_clamp 1
		.amdhsa_ieee_mode 1
		.amdhsa_fp16_overflow 0
		.amdhsa_workgroup_processor_mode 1
		.amdhsa_memory_ordered 1
		.amdhsa_forward_progress 0
		.amdhsa_shared_vgpr_count 0
		.amdhsa_exception_fp_ieee_invalid_op 0
		.amdhsa_exception_fp_denorm_src 0
		.amdhsa_exception_fp_ieee_div_zero 0
		.amdhsa_exception_fp_ieee_overflow 0
		.amdhsa_exception_fp_ieee_underflow 0
		.amdhsa_exception_fp_ieee_inexact 0
		.amdhsa_exception_int_div_zero 0
	.end_amdhsa_kernel
	.section	.text._ZL39rocblas_trsm_block_forward_substitutionIddPKPKdPKPdLb1ELb0ELb0EEv18rocblas_operation_llT0_T1_lllT2_lllib,"axG",@progbits,_ZL39rocblas_trsm_block_forward_substitutionIddPKPKdPKPdLb1ELb0ELb0EEv18rocblas_operation_llT0_T1_lllT2_lllib,comdat
.Lfunc_end124:
	.size	_ZL39rocblas_trsm_block_forward_substitutionIddPKPKdPKPdLb1ELb0ELb0EEv18rocblas_operation_llT0_T1_lllT2_lllib, .Lfunc_end124-_ZL39rocblas_trsm_block_forward_substitutionIddPKPKdPKPdLb1ELb0ELb0EEv18rocblas_operation_llT0_T1_lllT2_lllib
                                        ; -- End function
	.section	.AMDGPU.csdata,"",@progbits
; Kernel info:
; codeLenInByte = 1616
; NumSgprs: 30
; NumVgprs: 21
; ScratchSize: 0
; MemoryBound: 1
; FloatMode: 240
; IeeeMode: 1
; LDSByteSize: 0 bytes/workgroup (compile time only)
; SGPRBlocks: 3
; VGPRBlocks: 2
; NumSGPRsForWavesPerEU: 30
; NumVGPRsForWavesPerEU: 21
; Occupancy: 16
; WaveLimiterHint : 1
; COMPUTE_PGM_RSRC2:SCRATCH_EN: 0
; COMPUTE_PGM_RSRC2:USER_SGPR: 13
; COMPUTE_PGM_RSRC2:TRAP_HANDLER: 0
; COMPUTE_PGM_RSRC2:TGID_X_EN: 1
; COMPUTE_PGM_RSRC2:TGID_Y_EN: 1
; COMPUTE_PGM_RSRC2:TGID_Z_EN: 1
; COMPUTE_PGM_RSRC2:TIDIG_COMP_CNT: 1
	.section	.text._ZL40rocblas_trsm_block_backward_substitutionIddPKPKdPKPdLb1ELb0ELb0EEv18rocblas_operation_llT0_T1_lllT2_lllib,"axG",@progbits,_ZL40rocblas_trsm_block_backward_substitutionIddPKPKdPKPdLb1ELb0ELb0EEv18rocblas_operation_llT0_T1_lllT2_lllib,comdat
	.globl	_ZL40rocblas_trsm_block_backward_substitutionIddPKPKdPKPdLb1ELb0ELb0EEv18rocblas_operation_llT0_T1_lllT2_lllib ; -- Begin function _ZL40rocblas_trsm_block_backward_substitutionIddPKPKdPKPdLb1ELb0ELb0EEv18rocblas_operation_llT0_T1_lllT2_lllib
	.p2align	8
	.type	_ZL40rocblas_trsm_block_backward_substitutionIddPKPKdPKPdLb1ELb0ELb0EEv18rocblas_operation_llT0_T1_lllT2_lllib,@function
_ZL40rocblas_trsm_block_backward_substitutionIddPKPKdPKPdLb1ELb0ELb0EEv18rocblas_operation_llT0_T1_lllT2_lllib: ; @_ZL40rocblas_trsm_block_backward_substitutionIddPKPKdPKPdLb1ELb0ELb0EEv18rocblas_operation_llT0_T1_lllT2_lllib
; %bb.0:
	s_mov_b32 s12, s15
	s_clause 0x2
	s_load_b32 s15, s[0:1], 0x64
	s_load_b256 s[4:11], s[0:1], 0x8
	s_load_b32 s3, s[0:1], 0x74
	s_mov_b32 s13, 0
	v_and_b32_e32 v1, 0x3ff, v0
	v_bfe_u32 v0, v0, 10, 10
	s_waitcnt lgkmcnt(0)
	s_bitcmp1_b32 s15, 0
	s_cselect_b32 s2, -1, 0
	s_lshl_b64 s[12:13], s[12:13], 3
	s_delay_alu instid0(SALU_CYCLE_1)
	s_add_u32 s10, s10, s12
	s_addc_u32 s11, s11, s13
	s_load_b128 s[16:19], s[0:1], 0x28
	s_load_b64 s[10:11], s[10:11], 0x0
	s_load_b128 s[20:23], s[0:1], 0x40
	s_waitcnt lgkmcnt(0)
	s_lshl_b64 s[16:17], s[16:17], 3
	s_delay_alu instid0(SALU_CYCLE_1)
	s_add_u32 s16, s10, s16
	s_addc_u32 s17, s11, s17
	s_add_u32 s10, s20, s12
	s_addc_u32 s11, s21, s13
	s_load_b64 s[12:13], s[0:1], 0x50
	s_load_b64 s[10:11], s[10:11], 0x0
	s_add_u32 s20, s0, 0x68
	s_addc_u32 s21, s1, 0
	s_lshr_b32 s3, s3, 16
	s_bitcmp0_b32 s15, 0
	s_cbranch_scc1 .LBB125_15
; %bb.1:
	v_cmp_lt_i64_e64 s0, s[4:5], 1
	s_lshl_b32 s1, s3, 3
	s_delay_alu instid0(SALU_CYCLE_1) | instskip(NEXT) | instid1(VALU_DEP_1)
	s_add_i32 s24, s1, 0
	s_and_b32 vcc_lo, exec_lo, s0
	s_cbranch_vccnz .LBB125_14
; %bb.2:
	v_mad_u64_u32 v[3:4], null, v1, s18, 0
	s_delay_alu instid0(VALU_DEP_1) | instskip(NEXT) | instid1(VALU_DEP_1)
	v_mov_b32_e32 v2, v4
	v_mad_u64_u32 v[4:5], null, v1, s19, v[2:3]
	v_dual_mov_b32 v2, 0 :: v_dual_lshlrev_b32 v5, 3, v1
	s_delay_alu instid0(VALU_DEP_1) | instskip(NEXT) | instid1(VALU_DEP_3)
	v_add_co_u32 v9, s0, s16, v5
	v_lshlrev_b64 v[3:4], 3, v[3:4]
	v_add_co_ci_u32_e64 v10, null, s17, 0, s0
	s_delay_alu instid0(VALU_DEP_4)
	v_cmp_le_u64_e64 s15, s[4:5], v[1:2]
	v_cmp_gt_u64_e64 s1, s[4:5], v[1:2]
	v_add_nc_u32_e32 v8, s24, v5
	v_add_co_u32 v2, vcc_lo, v9, v3
	v_add_co_ci_u32_e32 v3, vcc_lo, v10, v4, vcc_lo
	v_mov_b32_e32 v4, v0
	s_xor_b32 s25, s15, -1
	s_mov_b32 s16, s3
	s_branch .LBB125_4
.LBB125_3:                              ;   in Loop: Header=BB125_4 Depth=1
	s_or_b32 exec_lo, exec_lo, s17
	s_ashr_i32 s17, s16, 31
	v_add_nc_u32_e32 v4, s3, v4
	v_cmp_ge_i64_e64 s0, s[16:17], s[4:5]
	s_add_i32 s16, s16, s3
	s_delay_alu instid0(VALU_DEP_1)
	s_and_b32 vcc_lo, exec_lo, s0
	s_cbranch_vccnz .LBB125_14
.LBB125_4:                              ; =>This Inner Loop Header: Depth=1
	s_mov_b32 s26, s15
	s_mov_b32 s0, 0
                                        ; implicit-def: $vgpr6_vgpr7
                                        ; implicit-def: $vgpr5
	s_and_saveexec_b32 s17, s1
	s_cbranch_execnz .LBB125_7
; %bb.5:                                ;   in Loop: Header=BB125_4 Depth=1
	s_or_b32 exec_lo, exec_lo, s17
	s_and_saveexec_b32 s17, s26
	s_cbranch_execnz .LBB125_10
.LBB125_6:                              ;   in Loop: Header=BB125_4 Depth=1
	s_or_b32 exec_lo, exec_lo, s17
	s_and_saveexec_b32 s17, s0
	s_cbranch_execz .LBB125_3
	s_branch .LBB125_13
.LBB125_7:                              ;   in Loop: Header=BB125_4 Depth=1
	v_ashrrev_i32_e32 v5, 31, v4
	v_cmp_lt_i32_e64 s0, v1, v4
	s_mov_b32 s26, -1
                                        ; implicit-def: $vgpr6_vgpr7
	s_delay_alu instid0(VALU_DEP_2) | instskip(NEXT) | instid1(VALU_DEP_2)
	v_cmp_gt_i64_e32 vcc_lo, s[4:5], v[4:5]
	s_and_b32 s28, s0, vcc_lo
	s_mov_b32 s0, 0
	s_and_saveexec_b32 s27, s28
	s_cbranch_execz .LBB125_9
; %bb.8:                                ;   in Loop: Header=BB125_4 Depth=1
	s_waitcnt vmcnt(0)
	v_mul_lo_u32 v7, v5, s18
	v_mul_lo_u32 v11, v4, s19
	v_mad_u64_u32 v[5:6], null, v4, s18, 0
	s_mov_b32 s0, exec_lo
	s_xor_b32 s26, exec_lo, -1
	s_delay_alu instid0(VALU_DEP_1) | instskip(NEXT) | instid1(VALU_DEP_1)
	v_add3_u32 v6, v6, v11, v7
	v_lshlrev_b64 v[5:6], 3, v[5:6]
	s_delay_alu instid0(VALU_DEP_1) | instskip(NEXT) | instid1(VALU_DEP_2)
	v_add_co_u32 v5, vcc_lo, v9, v5
	v_add_co_ci_u32_e32 v6, vcc_lo, v10, v6, vcc_lo
	global_load_b64 v[6:7], v[5:6], off
.LBB125_9:                              ;   in Loop: Header=BB125_4 Depth=1
	s_or_b32 exec_lo, exec_lo, s27
	v_mov_b32_e32 v5, v4
	s_and_not1_b32 s27, s15, exec_lo
	s_and_b32 s26, s26, exec_lo
	s_and_b32 s0, s0, exec_lo
	s_or_b32 s26, s27, s26
	s_or_b32 exec_lo, exec_lo, s17
	s_and_saveexec_b32 s17, s26
	s_cbranch_execz .LBB125_6
.LBB125_10:                             ;   in Loop: Header=BB125_4 Depth=1
	v_cmp_eq_u32_e32 vcc_lo, v1, v4
	s_mov_b32 s27, s0
                                        ; implicit-def: $vgpr6_vgpr7
	s_and_b32 s28, s25, vcc_lo
	s_delay_alu instid0(SALU_CYCLE_1)
	s_and_saveexec_b32 s26, s28
	s_cbranch_execz .LBB125_12
; %bb.11:                               ;   in Loop: Header=BB125_4 Depth=1
	global_load_b64 v[5:6], v[2:3], off
	s_or_b32 s27, s0, exec_lo
	s_waitcnt vmcnt(0)
	v_div_scale_f64 v[11:12], null, v[5:6], v[5:6], 1.0
	s_delay_alu instid0(VALU_DEP_1) | instskip(SKIP_2) | instid1(VALU_DEP_1)
	v_rcp_f64_e32 v[13:14], v[11:12]
	s_waitcnt_depctr 0xfff
	v_fma_f64 v[15:16], -v[11:12], v[13:14], 1.0
	v_fma_f64 v[13:14], v[13:14], v[15:16], v[13:14]
	s_delay_alu instid0(VALU_DEP_1) | instskip(NEXT) | instid1(VALU_DEP_1)
	v_fma_f64 v[15:16], -v[11:12], v[13:14], 1.0
	v_fma_f64 v[13:14], v[13:14], v[15:16], v[13:14]
	v_div_scale_f64 v[15:16], vcc_lo, 1.0, v[5:6], 1.0
	s_delay_alu instid0(VALU_DEP_1) | instskip(NEXT) | instid1(VALU_DEP_1)
	v_mul_f64 v[17:18], v[15:16], v[13:14]
	v_fma_f64 v[11:12], -v[11:12], v[17:18], v[15:16]
	s_delay_alu instid0(VALU_DEP_1) | instskip(NEXT) | instid1(VALU_DEP_1)
	v_div_fmas_f64 v[11:12], v[11:12], v[13:14], v[17:18]
	v_div_fixup_f64 v[6:7], v[11:12], v[5:6], 1.0
.LBB125_12:                             ;   in Loop: Header=BB125_4 Depth=1
	s_or_b32 exec_lo, exec_lo, s26
	v_mov_b32_e32 v5, v1
	s_and_not1_b32 s0, s0, exec_lo
	s_and_b32 s26, s27, exec_lo
	s_delay_alu instid0(SALU_CYCLE_1)
	s_or_b32 s0, s0, s26
	s_or_b32 exec_lo, exec_lo, s17
	s_and_saveexec_b32 s17, s0
	s_cbranch_execz .LBB125_3
.LBB125_13:                             ;   in Loop: Header=BB125_4 Depth=1
	s_load_b32 s0, s[20:21], 0xc
	s_waitcnt lgkmcnt(0)
	s_and_b32 s0, s0, 0xffff
	s_delay_alu instid0(SALU_CYCLE_1) | instskip(NEXT) | instid1(VALU_DEP_1)
	v_mul_lo_u32 v5, v5, s0
	v_lshl_add_u32 v5, v5, 3, v8
	s_waitcnt vmcnt(0)
	ds_store_b64 v5, v[6:7]
	s_branch .LBB125_3
.LBB125_14:
	s_load_b32 s15, s[20:21], 0xc
	s_mov_b64 s[0:1], src_shared_base
	s_mov_b32 s19, 0
	s_mov_b32 s25, s1
	s_delay_alu instid0(SALU_CYCLE_1)
	s_mov_b64 s[16:17], s[24:25]
	s_waitcnt lgkmcnt(0)
	s_and_b32 s18, s15, 0xffff
.LBB125_15:
	v_mad_u64_u32 v[3:4], null, s14, s3, v[0:1]
	v_mov_b32_e32 v4, 0
	s_mov_b32 s0, exec_lo
	s_delay_alu instid0(VALU_DEP_1)
	v_cmpx_gt_i64_e64 s[6:7], v[3:4]
	s_cbranch_execz .LBB125_28
; %bb.16:
	v_mov_b32_e32 v2, v4
	s_delay_alu instid0(VALU_DEP_1)
	v_cmp_gt_i64_e32 vcc_lo, s[4:5], v[1:2]
	s_and_b32 exec_lo, exec_lo, vcc_lo
	s_cbranch_execz .LBB125_28
; %bb.17:
	s_waitcnt vmcnt(0) lgkmcnt(0)
	v_mad_u64_u32 v[5:6], null, v1, s12, 0
	s_lshl_b64 s[0:1], s[22:23], 3
	v_lshlrev_b64 v[3:4], 3, v[3:4]
	s_add_u32 s0, s10, s0
	s_addc_u32 s1, s11, s1
	s_delay_alu instid0(VALU_DEP_2) | instskip(NEXT) | instid1(VALU_DEP_1)
	v_mad_u64_u32 v[7:8], null, v1, s13, v[6:7]
	v_mov_b32_e32 v6, v7
	s_delay_alu instid0(VALU_DEP_1) | instskip(NEXT) | instid1(VALU_DEP_1)
	v_lshlrev_b64 v[5:6], 3, v[5:6]
	v_add_co_u32 v5, vcc_lo, s0, v5
	s_delay_alu instid0(VALU_DEP_2) | instskip(SKIP_1) | instid1(VALU_DEP_3)
	v_add_co_ci_u32_e32 v6, vcc_lo, s1, v6, vcc_lo
	v_cmp_lt_u64_e64 s0, s[4:5], 2
	v_add_co_u32 v3, vcc_lo, v5, v3
	s_delay_alu instid0(VALU_DEP_3) | instskip(NEXT) | instid1(VALU_DEP_3)
	v_add_co_ci_u32_e32 v4, vcc_lo, v6, v4, vcc_lo
	s_and_b32 vcc_lo, exec_lo, s0
	global_load_b64 v[5:6], v[3:4], off
	s_waitcnt vmcnt(0)
	v_mul_f64 v[5:6], v[5:6], s[8:9]
	s_cbranch_vccnz .LBB125_25
; %bb.18:
	v_mad_u64_u32 v[7:8], null, v1, s18, v[1:2]
	s_add_u32 s0, s4, -1
	s_addc_u32 s1, s5, -1
	s_mul_hi_u32 s3, s18, s0
	s_mul_i32 s4, s18, s1
	s_mul_i32 s5, s19, s0
	s_add_i32 s3, s3, s4
	s_delay_alu instid0(VALU_DEP_1)
	v_mad_u64_u32 v[9:10], null, v1, s19, v[8:9]
	s_mul_i32 s4, s18, s0
	s_add_i32 s5, s3, s5
	v_lshl_add_u32 v0, v0, 3, 0
	s_lshl_b64 s[4:5], s[4:5], 3
	v_lshlrev_b32_e32 v11, 3, v1
	s_add_u32 s3, s16, s4
	s_delay_alu instid0(VALU_DEP_3) | instskip(SKIP_1) | instid1(VALU_DEP_1)
	v_mov_b32_e32 v8, v9
	s_addc_u32 s4, s17, s5
	v_lshlrev_b64 v[9:10], 3, v[7:8]
	v_add_co_u32 v7, s3, s3, v11
	s_delay_alu instid0(VALU_DEP_1) | instskip(SKIP_1) | instid1(VALU_DEP_3)
	v_add_co_ci_u32_e64 v8, null, s4, 0, s3
	s_lshl_b64 s[4:5], s[18:19], 3
	v_add_co_u32 v9, vcc_lo, s16, v9
	s_delay_alu instid0(VALU_DEP_4)
	v_add_co_ci_u32_e32 v10, vcc_lo, s17, v10, vcc_lo
	s_sub_u32 s3, 0, s4
	s_subb_u32 s6, 0, s5
.LBB125_19:                             ; =>This Inner Loop Header: Depth=1
	s_mov_b32 s4, exec_lo
	s_barrier
	buffer_gl0_inv
	v_cmpx_eq_u64_e64 s[0:1], v[1:2]
	s_cbranch_execz .LBB125_21
; %bb.20:                               ;   in Loop: Header=BB125_19 Depth=1
	flat_load_b64 v[11:12], v[9:10]
	s_waitcnt vmcnt(0) lgkmcnt(0)
	v_div_scale_f64 v[13:14], null, v[11:12], v[11:12], 1.0
	v_div_scale_f64 v[19:20], vcc_lo, 1.0, v[11:12], 1.0
	s_delay_alu instid0(VALU_DEP_2) | instskip(SKIP_2) | instid1(VALU_DEP_1)
	v_rcp_f64_e32 v[15:16], v[13:14]
	s_waitcnt_depctr 0xfff
	v_fma_f64 v[17:18], -v[13:14], v[15:16], 1.0
	v_fma_f64 v[15:16], v[15:16], v[17:18], v[15:16]
	s_delay_alu instid0(VALU_DEP_1) | instskip(NEXT) | instid1(VALU_DEP_1)
	v_fma_f64 v[17:18], -v[13:14], v[15:16], 1.0
	v_fma_f64 v[15:16], v[15:16], v[17:18], v[15:16]
	s_delay_alu instid0(VALU_DEP_1) | instskip(NEXT) | instid1(VALU_DEP_1)
	v_mul_f64 v[17:18], v[19:20], v[15:16]
	v_fma_f64 v[13:14], -v[13:14], v[17:18], v[19:20]
	s_delay_alu instid0(VALU_DEP_1) | instskip(NEXT) | instid1(VALU_DEP_1)
	v_div_fmas_f64 v[13:14], v[13:14], v[15:16], v[17:18]
	v_div_fixup_f64 v[13:14], v[13:14], v[11:12], 1.0
	s_delay_alu instid0(VALU_DEP_1) | instskip(NEXT) | instid1(VALU_DEP_2)
	v_cndmask_b32_e64 v12, v14, v12, s2
	v_cndmask_b32_e64 v11, v13, v11, s2
	s_delay_alu instid0(VALU_DEP_1)
	v_mul_f64 v[5:6], v[5:6], v[11:12]
	ds_store_b64 v0, v[5:6]
.LBB125_21:                             ;   in Loop: Header=BB125_19 Depth=1
	s_or_b32 exec_lo, exec_lo, s4
	s_delay_alu instid0(SALU_CYCLE_1)
	s_mov_b32 s4, exec_lo
	s_waitcnt lgkmcnt(0)
	s_barrier
	buffer_gl0_inv
	v_cmpx_gt_i64_e64 s[0:1], v[1:2]
	s_cbranch_execz .LBB125_23
; %bb.22:                               ;   in Loop: Header=BB125_19 Depth=1
	flat_load_b64 v[11:12], v[7:8]
	ds_load_b64 v[13:14], v0
	s_waitcnt vmcnt(0) lgkmcnt(0)
	v_fma_f64 v[5:6], -v[11:12], v[13:14], v[5:6]
.LBB125_23:                             ;   in Loop: Header=BB125_19 Depth=1
	s_or_b32 exec_lo, exec_lo, s4
	s_add_u32 s4, s0, -1
	s_addc_u32 s5, s1, -1
	s_add_u32 s0, s0, 1
	s_addc_u32 s1, s1, 0
	v_add_co_u32 v7, vcc_lo, v7, s3
	v_cmp_lt_u64_e64 s0, s[0:1], 3
	v_add_co_ci_u32_e32 v8, vcc_lo, s6, v8, vcc_lo
	s_delay_alu instid0(VALU_DEP_2)
	s_and_b32 vcc_lo, exec_lo, s0
	s_cbranch_vccnz .LBB125_25
; %bb.24:                               ;   in Loop: Header=BB125_19 Depth=1
	s_mov_b64 s[0:1], s[4:5]
	s_branch .LBB125_19
.LBB125_25:
	s_mov_b32 s0, exec_lo
	v_cmpx_eq_u32_e32 0, v1
	s_cbranch_execz .LBB125_27
; %bb.26:
	v_mad_u64_u32 v[7:8], null, v1, s18, v[1:2]
	s_delay_alu instid0(VALU_DEP_1) | instskip(NEXT) | instid1(VALU_DEP_1)
	v_mov_b32_e32 v0, v8
	v_mad_u64_u32 v[8:9], null, v1, s19, v[0:1]
	s_delay_alu instid0(VALU_DEP_1) | instskip(NEXT) | instid1(VALU_DEP_1)
	v_lshlrev_b64 v[0:1], 3, v[7:8]
	v_add_co_u32 v0, vcc_lo, s16, v0
	s_delay_alu instid0(VALU_DEP_2) | instskip(SKIP_4) | instid1(VALU_DEP_2)
	v_add_co_ci_u32_e32 v1, vcc_lo, s17, v1, vcc_lo
	flat_load_b64 v[0:1], v[0:1]
	s_waitcnt vmcnt(0) lgkmcnt(0)
	v_div_scale_f64 v[7:8], null, v[0:1], v[0:1], 1.0
	v_div_scale_f64 v[13:14], vcc_lo, 1.0, v[0:1], 1.0
	v_rcp_f64_e32 v[9:10], v[7:8]
	s_waitcnt_depctr 0xfff
	v_fma_f64 v[11:12], -v[7:8], v[9:10], 1.0
	s_delay_alu instid0(VALU_DEP_1) | instskip(NEXT) | instid1(VALU_DEP_1)
	v_fma_f64 v[9:10], v[9:10], v[11:12], v[9:10]
	v_fma_f64 v[11:12], -v[7:8], v[9:10], 1.0
	s_delay_alu instid0(VALU_DEP_1) | instskip(NEXT) | instid1(VALU_DEP_1)
	v_fma_f64 v[9:10], v[9:10], v[11:12], v[9:10]
	v_mul_f64 v[11:12], v[13:14], v[9:10]
	s_delay_alu instid0(VALU_DEP_1) | instskip(NEXT) | instid1(VALU_DEP_1)
	v_fma_f64 v[7:8], -v[7:8], v[11:12], v[13:14]
	v_div_fmas_f64 v[7:8], v[7:8], v[9:10], v[11:12]
	s_delay_alu instid0(VALU_DEP_1) | instskip(NEXT) | instid1(VALU_DEP_1)
	v_div_fixup_f64 v[7:8], v[7:8], v[0:1], 1.0
	v_cndmask_b32_e64 v1, v8, v1, s2
	s_delay_alu instid0(VALU_DEP_2) | instskip(NEXT) | instid1(VALU_DEP_1)
	v_cndmask_b32_e64 v0, v7, v0, s2
	v_mul_f64 v[5:6], v[5:6], v[0:1]
.LBB125_27:
	s_or_b32 exec_lo, exec_lo, s0
	global_store_b64 v[3:4], v[5:6], off
.LBB125_28:
	s_nop 0
	s_sendmsg sendmsg(MSG_DEALLOC_VGPRS)
	s_endpgm
	.section	.rodata,"a",@progbits
	.p2align	6, 0x0
	.amdhsa_kernel _ZL40rocblas_trsm_block_backward_substitutionIddPKPKdPKPdLb1ELb0ELb0EEv18rocblas_operation_llT0_T1_lllT2_lllib
		.amdhsa_group_segment_fixed_size 0
		.amdhsa_private_segment_fixed_size 0
		.amdhsa_kernarg_size 360
		.amdhsa_user_sgpr_count 13
		.amdhsa_user_sgpr_dispatch_ptr 0
		.amdhsa_user_sgpr_queue_ptr 0
		.amdhsa_user_sgpr_kernarg_segment_ptr 1
		.amdhsa_user_sgpr_dispatch_id 0
		.amdhsa_user_sgpr_private_segment_size 0
		.amdhsa_wavefront_size32 1
		.amdhsa_uses_dynamic_stack 0
		.amdhsa_enable_private_segment 0
		.amdhsa_system_sgpr_workgroup_id_x 1
		.amdhsa_system_sgpr_workgroup_id_y 1
		.amdhsa_system_sgpr_workgroup_id_z 1
		.amdhsa_system_sgpr_workgroup_info 0
		.amdhsa_system_vgpr_workitem_id 1
		.amdhsa_next_free_vgpr 21
		.amdhsa_next_free_sgpr 29
		.amdhsa_reserve_vcc 1
		.amdhsa_float_round_mode_32 0
		.amdhsa_float_round_mode_16_64 0
		.amdhsa_float_denorm_mode_32 3
		.amdhsa_float_denorm_mode_16_64 3
		.amdhsa_dx10_clamp 1
		.amdhsa_ieee_mode 1
		.amdhsa_fp16_overflow 0
		.amdhsa_workgroup_processor_mode 1
		.amdhsa_memory_ordered 1
		.amdhsa_forward_progress 0
		.amdhsa_shared_vgpr_count 0
		.amdhsa_exception_fp_ieee_invalid_op 0
		.amdhsa_exception_fp_denorm_src 0
		.amdhsa_exception_fp_ieee_div_zero 0
		.amdhsa_exception_fp_ieee_overflow 0
		.amdhsa_exception_fp_ieee_underflow 0
		.amdhsa_exception_fp_ieee_inexact 0
		.amdhsa_exception_int_div_zero 0
	.end_amdhsa_kernel
	.section	.text._ZL40rocblas_trsm_block_backward_substitutionIddPKPKdPKPdLb1ELb0ELb0EEv18rocblas_operation_llT0_T1_lllT2_lllib,"axG",@progbits,_ZL40rocblas_trsm_block_backward_substitutionIddPKPKdPKPdLb1ELb0ELb0EEv18rocblas_operation_llT0_T1_lllT2_lllib,comdat
.Lfunc_end125:
	.size	_ZL40rocblas_trsm_block_backward_substitutionIddPKPKdPKPdLb1ELb0ELb0EEv18rocblas_operation_llT0_T1_lllT2_lllib, .Lfunc_end125-_ZL40rocblas_trsm_block_backward_substitutionIddPKPKdPKPdLb1ELb0ELb0EEv18rocblas_operation_llT0_T1_lllT2_lllib
                                        ; -- End function
	.section	.AMDGPU.csdata,"",@progbits
; Kernel info:
; codeLenInByte = 1688
; NumSgprs: 31
; NumVgprs: 21
; ScratchSize: 0
; MemoryBound: 1
; FloatMode: 240
; IeeeMode: 1
; LDSByteSize: 0 bytes/workgroup (compile time only)
; SGPRBlocks: 3
; VGPRBlocks: 2
; NumSGPRsForWavesPerEU: 31
; NumVGPRsForWavesPerEU: 21
; Occupancy: 16
; WaveLimiterHint : 1
; COMPUTE_PGM_RSRC2:SCRATCH_EN: 0
; COMPUTE_PGM_RSRC2:USER_SGPR: 13
; COMPUTE_PGM_RSRC2:TRAP_HANDLER: 0
; COMPUTE_PGM_RSRC2:TGID_X_EN: 1
; COMPUTE_PGM_RSRC2:TGID_Y_EN: 1
; COMPUTE_PGM_RSRC2:TGID_Z_EN: 1
; COMPUTE_PGM_RSRC2:TIDIG_COMP_CNT: 1
	.section	.text._ZL39rocblas_trsm_block_forward_substitutionIddPKPKdPKPdLb1ELb0ELb1EEv18rocblas_operation_llT0_T1_lllT2_lllib,"axG",@progbits,_ZL39rocblas_trsm_block_forward_substitutionIddPKPKdPKPdLb1ELb0ELb1EEv18rocblas_operation_llT0_T1_lllT2_lllib,comdat
	.globl	_ZL39rocblas_trsm_block_forward_substitutionIddPKPKdPKPdLb1ELb0ELb1EEv18rocblas_operation_llT0_T1_lllT2_lllib ; -- Begin function _ZL39rocblas_trsm_block_forward_substitutionIddPKPKdPKPdLb1ELb0ELb1EEv18rocblas_operation_llT0_T1_lllT2_lllib
	.p2align	8
	.type	_ZL39rocblas_trsm_block_forward_substitutionIddPKPKdPKPdLb1ELb0ELb1EEv18rocblas_operation_llT0_T1_lllT2_lllib,@function
_ZL39rocblas_trsm_block_forward_substitutionIddPKPKdPKPdLb1ELb0ELb1EEv18rocblas_operation_llT0_T1_lllT2_lllib: ; @_ZL39rocblas_trsm_block_forward_substitutionIddPKPKdPKPdLb1ELb0ELb1EEv18rocblas_operation_llT0_T1_lllT2_lllib
; %bb.0:
	s_load_b256 s[4:11], s[0:1], 0x8
	s_mov_b32 s2, s15
	s_mov_b32 s3, 0
	v_and_b32_e32 v1, 0x3ff, v0
	s_lshl_b64 s[2:3], s[2:3], 3
	v_bfe_u32 v0, v0, 10, 10
	s_waitcnt lgkmcnt(0)
	s_add_u32 s10, s10, s2
	s_addc_u32 s11, s11, s3
	s_load_b128 s[20:23], s[0:1], 0x28
	s_load_b64 s[10:11], s[10:11], 0x0
	s_clause 0x2
	s_load_b128 s[16:19], s[0:1], 0x40
	s_load_b32 s24, s[0:1], 0x64
	s_load_b32 s15, s[0:1], 0x74
	s_waitcnt lgkmcnt(0)
	s_lshl_b64 s[12:13], s[20:21], 3
	s_delay_alu instid0(SALU_CYCLE_1)
	s_add_u32 s12, s10, s12
	s_addc_u32 s13, s11, s13
	s_add_u32 s2, s16, s2
	s_addc_u32 s3, s17, s3
	s_load_b64 s[16:17], s[0:1], 0x50
	s_load_b64 s[10:11], s[2:3], 0x0
	s_add_u32 s20, s0, 0x68
	s_addc_u32 s21, s1, 0
	s_lshr_b32 s15, s15, 16
	s_bitcmp0_b32 s24, 0
	s_mov_b64 s[0:1], 1
	s_cbranch_scc1 .LBB126_6
; %bb.1:
	v_cmp_lt_i64_e64 s0, s[4:5], 1
	s_lshl_b32 s1, s15, 3
	s_mov_b64 s[2:3], 1
	s_add_i32 s24, s1, 0
	s_delay_alu instid0(VALU_DEP_1)
	s_and_b32 vcc_lo, exec_lo, s0
	s_cbranch_vccnz .LBB126_7
; %bb.2:
	v_mad_u64_u32 v[3:4], null, v1, s22, 0
	s_delay_alu instid0(VALU_DEP_1) | instskip(NEXT) | instid1(VALU_DEP_1)
	v_mov_b32_e32 v2, v4
	v_mad_u64_u32 v[4:5], null, v1, s23, v[2:3]
	v_mov_b32_e32 v2, 0
	s_delay_alu instid0(VALU_DEP_1) | instskip(NEXT) | instid1(VALU_DEP_3)
	v_cmp_gt_u64_e64 s0, s[4:5], v[1:2]
	v_lshlrev_b64 v[5:6], 3, v[3:4]
	v_lshl_add_u32 v4, v1, 3, s24
	s_delay_alu instid0(VALU_DEP_2) | instskip(NEXT) | instid1(VALU_DEP_3)
	v_add_co_u32 v5, vcc_lo, s12, v5
	v_add_co_ci_u32_e32 v6, vcc_lo, s13, v6, vcc_lo
	s_mov_b32 s12, 0
	s_set_inst_prefetch_distance 0x1
	s_branch .LBB126_4
	.p2align	6
.LBB126_3:                              ;   in Loop: Header=BB126_4 Depth=1
	s_or_b32 exec_lo, exec_lo, s1
	s_add_i32 s12, s12, s15
	s_delay_alu instid0(SALU_CYCLE_1) | instskip(NEXT) | instid1(SALU_CYCLE_1)
	s_ashr_i32 s13, s12, 31
	v_cmp_ge_i64_e64 s1, s[12:13], s[4:5]
	s_delay_alu instid0(VALU_DEP_1)
	s_and_b32 vcc_lo, exec_lo, s1
	s_cbranch_vccnz .LBB126_7
.LBB126_4:                              ; =>This Inner Loop Header: Depth=1
	v_add_nc_u32_e32 v2, s12, v0
	s_delay_alu instid0(VALU_DEP_1) | instskip(SKIP_1) | instid1(SALU_CYCLE_1)
	v_cmp_gt_i32_e32 vcc_lo, v1, v2
	s_and_b32 s13, s0, vcc_lo
	s_and_saveexec_b32 s1, s13
	s_cbranch_execz .LBB126_3
; %bb.5:                                ;   in Loop: Header=BB126_4 Depth=1
	v_ashrrev_i32_e32 v3, 31, v2
	s_load_b32 s13, s[20:21], 0xc
	s_delay_alu instid0(VALU_DEP_1) | instskip(NEXT) | instid1(VALU_DEP_1)
	v_lshlrev_b64 v[7:8], 3, v[2:3]
	v_add_co_u32 v7, vcc_lo, v5, v7
	s_delay_alu instid0(VALU_DEP_2) | instskip(SKIP_3) | instid1(SALU_CYCLE_1)
	v_add_co_ci_u32_e32 v8, vcc_lo, v6, v8, vcc_lo
	global_load_b64 v[7:8], v[7:8], off
	s_waitcnt lgkmcnt(0)
	s_and_b32 s13, s13, 0xffff
	v_mul_lo_u32 v2, v2, s13
	s_delay_alu instid0(VALU_DEP_1)
	v_lshl_add_u32 v2, v2, 3, v4
	s_waitcnt vmcnt(0)
	ds_store_b64 v2, v[7:8]
	s_branch .LBB126_3
.LBB126_6:
	s_mov_b32 s2, s22
	s_mov_b32 s3, s23
	s_branch .LBB126_8
.LBB126_7:
	s_set_inst_prefetch_distance 0x2
	s_load_b32 s12, s[20:21], 0xc
	s_mov_b64 s[0:1], src_shared_base
	s_delay_alu instid0(SALU_CYCLE_1)
	s_mov_b32 s25, s1
	s_waitcnt lgkmcnt(0)
	s_and_b32 s0, s12, 0xffff
	s_mov_b64 s[12:13], s[24:25]
.LBB126_8:
	v_mad_u64_u32 v[3:4], null, s14, s15, v[0:1]
	v_mov_b32_e32 v4, 0
	s_mov_b32 s1, exec_lo
	s_delay_alu instid0(VALU_DEP_1)
	v_cmpx_gt_i64_e64 s[6:7], v[3:4]
	s_cbranch_execz .LBB126_18
; %bb.9:
	v_mov_b32_e32 v2, v4
	s_delay_alu instid0(VALU_DEP_1)
	v_cmp_gt_i64_e32 vcc_lo, s[4:5], v[1:2]
	s_and_b32 exec_lo, exec_lo, vcc_lo
	s_cbranch_execz .LBB126_18
; %bb.10:
	s_waitcnt lgkmcnt(0)
	v_mad_u64_u32 v[4:5], null, v3, s16, 0
	s_lshl_b64 s[6:7], s[18:19], 3
	s_delay_alu instid0(SALU_CYCLE_1) | instskip(SKIP_1) | instid1(VALU_DEP_1)
	s_add_u32 s1, s10, s6
	s_addc_u32 s6, s11, s7
	v_mad_u64_u32 v[6:7], null, v3, s17, v[5:6]
	s_delay_alu instid0(VALU_DEP_1) | instskip(NEXT) | instid1(VALU_DEP_1)
	v_mov_b32_e32 v5, v6
	v_lshlrev_b64 v[3:4], 3, v[4:5]
	v_lshlrev_b32_e32 v5, 3, v1
	s_delay_alu instid0(VALU_DEP_2) | instskip(NEXT) | instid1(VALU_DEP_3)
	v_add_co_u32 v3, vcc_lo, s1, v3
	v_add_co_ci_u32_e32 v4, vcc_lo, s6, v4, vcc_lo
	v_cmp_lt_u64_e64 s1, s[4:5], 2
	s_delay_alu instid0(VALU_DEP_3) | instskip(NEXT) | instid1(VALU_DEP_3)
	v_add_co_u32 v3, vcc_lo, v3, v5
	v_add_co_ci_u32_e32 v4, vcc_lo, 0, v4, vcc_lo
	s_delay_alu instid0(VALU_DEP_3)
	s_and_b32 vcc_lo, exec_lo, s1
	global_load_b64 v[5:6], v[3:4], off
	s_waitcnt vmcnt(0)
	v_mul_f64 v[5:6], v[5:6], s[8:9]
	s_cbranch_vccnz .LBB126_17
; %bb.11:
	v_mad_u64_u32 v[7:8], null, s2, v1, 0
	v_lshl_add_u32 v0, v0, 3, 0
	s_add_u32 s2, s4, -1
	s_delay_alu instid0(VALU_DEP_2) | instskip(SKIP_3) | instid1(VALU_DEP_1)
	v_mad_u64_u32 v[9:10], null, s3, v1, v[8:9]
	s_addc_u32 s3, s5, -1
	s_lshl_b32 s4, s0, 3
	s_mov_b64 s[0:1], 0
	v_mov_b32_e32 v8, v9
	s_delay_alu instid0(VALU_DEP_1) | instskip(NEXT) | instid1(VALU_DEP_1)
	v_lshlrev_b64 v[7:8], 3, v[7:8]
	v_add_co_u32 v7, vcc_lo, s12, v7
	s_delay_alu instid0(VALU_DEP_2)
	v_add_co_ci_u32_e32 v8, vcc_lo, s13, v8, vcc_lo
	s_set_inst_prefetch_distance 0x1
	s_branch .LBB126_13
	.p2align	6
.LBB126_12:                             ;   in Loop: Header=BB126_13 Depth=1
	s_or_b32 exec_lo, exec_lo, s5
	v_add_co_u32 v7, vcc_lo, v7, s4
	s_add_u32 s0, s0, 1
	v_add_co_ci_u32_e32 v8, vcc_lo, 0, v8, vcc_lo
	s_addc_u32 s1, s1, 0
	s_delay_alu instid0(SALU_CYCLE_1)
	s_cmp_eq_u64 s[2:3], s[0:1]
	s_cbranch_scc1 .LBB126_17
.LBB126_13:                             ; =>This Inner Loop Header: Depth=1
	s_mov_b32 s5, exec_lo
	s_barrier
	buffer_gl0_inv
	v_cmpx_eq_u64_e64 s[0:1], v[1:2]
	s_cbranch_execz .LBB126_15
; %bb.14:                               ;   in Loop: Header=BB126_13 Depth=1
	ds_store_b64 v0, v[5:6]
.LBB126_15:                             ;   in Loop: Header=BB126_13 Depth=1
	s_or_b32 exec_lo, exec_lo, s5
	s_delay_alu instid0(SALU_CYCLE_1)
	s_mov_b32 s5, exec_lo
	s_waitcnt lgkmcnt(0)
	s_barrier
	buffer_gl0_inv
	v_cmpx_lt_u64_e64 s[0:1], v[1:2]
	s_cbranch_execz .LBB126_12
; %bb.16:                               ;   in Loop: Header=BB126_13 Depth=1
	flat_load_b64 v[9:10], v[7:8]
	ds_load_b64 v[11:12], v0
	s_waitcnt vmcnt(0) lgkmcnt(0)
	v_fma_f64 v[5:6], -v[9:10], v[11:12], v[5:6]
	s_branch .LBB126_12
.LBB126_17:
	s_set_inst_prefetch_distance 0x2
	global_store_b64 v[3:4], v[5:6], off
.LBB126_18:
	s_nop 0
	s_sendmsg sendmsg(MSG_DEALLOC_VGPRS)
	s_endpgm
	.section	.rodata,"a",@progbits
	.p2align	6, 0x0
	.amdhsa_kernel _ZL39rocblas_trsm_block_forward_substitutionIddPKPKdPKPdLb1ELb0ELb1EEv18rocblas_operation_llT0_T1_lllT2_lllib
		.amdhsa_group_segment_fixed_size 0
		.amdhsa_private_segment_fixed_size 0
		.amdhsa_kernarg_size 360
		.amdhsa_user_sgpr_count 13
		.amdhsa_user_sgpr_dispatch_ptr 0
		.amdhsa_user_sgpr_queue_ptr 0
		.amdhsa_user_sgpr_kernarg_segment_ptr 1
		.amdhsa_user_sgpr_dispatch_id 0
		.amdhsa_user_sgpr_private_segment_size 0
		.amdhsa_wavefront_size32 1
		.amdhsa_uses_dynamic_stack 0
		.amdhsa_enable_private_segment 0
		.amdhsa_system_sgpr_workgroup_id_x 1
		.amdhsa_system_sgpr_workgroup_id_y 1
		.amdhsa_system_sgpr_workgroup_id_z 1
		.amdhsa_system_sgpr_workgroup_info 0
		.amdhsa_system_vgpr_workitem_id 1
		.amdhsa_next_free_vgpr 13
		.amdhsa_next_free_sgpr 26
		.amdhsa_reserve_vcc 1
		.amdhsa_float_round_mode_32 0
		.amdhsa_float_round_mode_16_64 0
		.amdhsa_float_denorm_mode_32 3
		.amdhsa_float_denorm_mode_16_64 3
		.amdhsa_dx10_clamp 1
		.amdhsa_ieee_mode 1
		.amdhsa_fp16_overflow 0
		.amdhsa_workgroup_processor_mode 1
		.amdhsa_memory_ordered 1
		.amdhsa_forward_progress 0
		.amdhsa_shared_vgpr_count 0
		.amdhsa_exception_fp_ieee_invalid_op 0
		.amdhsa_exception_fp_denorm_src 0
		.amdhsa_exception_fp_ieee_div_zero 0
		.amdhsa_exception_fp_ieee_overflow 0
		.amdhsa_exception_fp_ieee_underflow 0
		.amdhsa_exception_fp_ieee_inexact 0
		.amdhsa_exception_int_div_zero 0
	.end_amdhsa_kernel
	.section	.text._ZL39rocblas_trsm_block_forward_substitutionIddPKPKdPKPdLb1ELb0ELb1EEv18rocblas_operation_llT0_T1_lllT2_lllib,"axG",@progbits,_ZL39rocblas_trsm_block_forward_substitutionIddPKPKdPKPdLb1ELb0ELb1EEv18rocblas_operation_llT0_T1_lllT2_lllib,comdat
.Lfunc_end126:
	.size	_ZL39rocblas_trsm_block_forward_substitutionIddPKPKdPKPdLb1ELb0ELb1EEv18rocblas_operation_llT0_T1_lllT2_lllib, .Lfunc_end126-_ZL39rocblas_trsm_block_forward_substitutionIddPKPKdPKPdLb1ELb0ELb1EEv18rocblas_operation_llT0_T1_lllT2_lllib
                                        ; -- End function
	.section	.AMDGPU.csdata,"",@progbits
; Kernel info:
; codeLenInByte = 920
; NumSgprs: 28
; NumVgprs: 13
; ScratchSize: 0
; MemoryBound: 0
; FloatMode: 240
; IeeeMode: 1
; LDSByteSize: 0 bytes/workgroup (compile time only)
; SGPRBlocks: 3
; VGPRBlocks: 1
; NumSGPRsForWavesPerEU: 28
; NumVGPRsForWavesPerEU: 13
; Occupancy: 16
; WaveLimiterHint : 1
; COMPUTE_PGM_RSRC2:SCRATCH_EN: 0
; COMPUTE_PGM_RSRC2:USER_SGPR: 13
; COMPUTE_PGM_RSRC2:TRAP_HANDLER: 0
; COMPUTE_PGM_RSRC2:TGID_X_EN: 1
; COMPUTE_PGM_RSRC2:TGID_Y_EN: 1
; COMPUTE_PGM_RSRC2:TGID_Z_EN: 1
; COMPUTE_PGM_RSRC2:TIDIG_COMP_CNT: 1
	.section	.text._ZL40rocblas_trsm_block_backward_substitutionIddPKPKdPKPdLb1ELb0ELb1EEv18rocblas_operation_llT0_T1_lllT2_lllib,"axG",@progbits,_ZL40rocblas_trsm_block_backward_substitutionIddPKPKdPKPdLb1ELb0ELb1EEv18rocblas_operation_llT0_T1_lllT2_lllib,comdat
	.globl	_ZL40rocblas_trsm_block_backward_substitutionIddPKPKdPKPdLb1ELb0ELb1EEv18rocblas_operation_llT0_T1_lllT2_lllib ; -- Begin function _ZL40rocblas_trsm_block_backward_substitutionIddPKPKdPKPdLb1ELb0ELb1EEv18rocblas_operation_llT0_T1_lllT2_lllib
	.p2align	8
	.type	_ZL40rocblas_trsm_block_backward_substitutionIddPKPKdPKPdLb1ELb0ELb1EEv18rocblas_operation_llT0_T1_lllT2_lllib,@function
_ZL40rocblas_trsm_block_backward_substitutionIddPKPKdPKPdLb1ELb0ELb1EEv18rocblas_operation_llT0_T1_lllT2_lllib: ; @_ZL40rocblas_trsm_block_backward_substitutionIddPKPKdPKPdLb1ELb0ELb1EEv18rocblas_operation_llT0_T1_lllT2_lllib
; %bb.0:
	s_load_b256 s[4:11], s[0:1], 0x8
	s_mov_b32 s2, s15
	s_mov_b32 s3, 0
	v_and_b32_e32 v1, 0x3ff, v0
	s_lshl_b64 s[2:3], s[2:3], 3
	v_bfe_u32 v0, v0, 10, 10
	s_waitcnt lgkmcnt(0)
	s_add_u32 s10, s10, s2
	s_addc_u32 s11, s11, s3
	s_load_b128 s[16:19], s[0:1], 0x28
	s_load_b64 s[10:11], s[10:11], 0x0
	s_clause 0x2
	s_load_b128 s[20:23], s[0:1], 0x40
	s_load_b32 s24, s[0:1], 0x64
	s_load_b32 s15, s[0:1], 0x74
	s_waitcnt lgkmcnt(0)
	s_lshl_b64 s[12:13], s[16:17], 3
	s_delay_alu instid0(SALU_CYCLE_1)
	s_add_u32 s12, s10, s12
	s_addc_u32 s13, s11, s13
	s_add_u32 s2, s20, s2
	s_addc_u32 s3, s21, s3
	s_load_b64 s[10:11], s[0:1], 0x50
	s_load_b64 s[2:3], s[2:3], 0x0
	s_add_u32 s16, s0, 0x68
	s_addc_u32 s17, s1, 0
	s_lshr_b32 s15, s15, 16
	s_bitcmp0_b32 s24, 0
	s_cbranch_scc1 .LBB127_7
; %bb.1:
	v_cmp_lt_i64_e64 s0, s[4:5], 1
	s_lshl_b32 s1, s15, 3
	s_delay_alu instid0(SALU_CYCLE_1) | instskip(NEXT) | instid1(VALU_DEP_1)
	s_add_i32 s20, s1, 0
	s_and_b32 vcc_lo, exec_lo, s0
	s_cbranch_vccnz .LBB127_6
; %bb.2:
	v_dual_mov_b32 v2, 0 :: v_dual_lshlrev_b32 v3, 3, v1
	s_delay_alu instid0(VALU_DEP_1) | instskip(NEXT) | instid1(VALU_DEP_2)
	v_add_co_u32 v5, s1, s12, v3
	v_cmp_gt_u64_e64 s0, s[4:5], v[1:2]
	v_add_nc_u32_e32 v4, s20, v3
	v_add_co_ci_u32_e64 v6, null, s13, 0, s1
	s_mov_b32 s12, 0
	s_set_inst_prefetch_distance 0x1
	s_branch .LBB127_4
	.p2align	6
.LBB127_3:                              ;   in Loop: Header=BB127_4 Depth=1
	s_or_b32 exec_lo, exec_lo, s1
	s_add_i32 s12, s12, s15
	s_delay_alu instid0(SALU_CYCLE_1) | instskip(NEXT) | instid1(SALU_CYCLE_1)
	s_ashr_i32 s13, s12, 31
	v_cmp_ge_i64_e64 s1, s[12:13], s[4:5]
	s_delay_alu instid0(VALU_DEP_1)
	s_and_b32 vcc_lo, exec_lo, s1
	s_cbranch_vccnz .LBB127_6
.LBB127_4:                              ; =>This Inner Loop Header: Depth=1
	v_add_nc_u32_e32 v2, s12, v0
	s_delay_alu instid0(VALU_DEP_1) | instskip(SKIP_1) | instid1(VALU_DEP_2)
	v_ashrrev_i32_e32 v3, 31, v2
	v_cmp_lt_i32_e64 s1, v1, v2
	v_cmp_gt_i64_e32 vcc_lo, s[4:5], v[2:3]
	s_delay_alu instid0(VALU_DEP_2) | instskip(NEXT) | instid1(SALU_CYCLE_1)
	s_and_b32 s1, s1, vcc_lo
	s_and_b32 s13, s0, s1
	s_delay_alu instid0(SALU_CYCLE_1)
	s_and_saveexec_b32 s1, s13
	s_cbranch_execz .LBB127_3
; %bb.5:                                ;   in Loop: Header=BB127_4 Depth=1
	v_mul_lo_u32 v3, v3, s18
	v_mul_lo_u32 v9, v2, s19
	v_mad_u64_u32 v[7:8], null, v2, s18, 0
	s_load_b32 s13, s[16:17], 0xc
	s_delay_alu instid0(VALU_DEP_1) | instskip(NEXT) | instid1(VALU_DEP_1)
	v_add3_u32 v8, v8, v9, v3
	v_lshlrev_b64 v[7:8], 3, v[7:8]
	s_delay_alu instid0(VALU_DEP_1) | instskip(NEXT) | instid1(VALU_DEP_2)
	v_add_co_u32 v7, vcc_lo, v5, v7
	v_add_co_ci_u32_e32 v8, vcc_lo, v6, v8, vcc_lo
	s_waitcnt lgkmcnt(0)
	s_and_b32 s13, s13, 0xffff
	s_delay_alu instid0(SALU_CYCLE_1)
	v_mul_lo_u32 v2, v2, s13
	global_load_b64 v[7:8], v[7:8], off
	v_lshl_add_u32 v2, v2, 3, v4
	s_waitcnt vmcnt(0)
	ds_store_b64 v2, v[7:8]
	s_branch .LBB127_3
.LBB127_6:
	s_set_inst_prefetch_distance 0x2
	s_load_b32 s12, s[16:17], 0xc
	s_mov_b64 s[0:1], src_shared_base
	s_mov_b32 s19, 0
	s_mov_b32 s21, s1
	s_waitcnt lgkmcnt(0)
	s_and_b32 s18, s12, 0xffff
	s_mov_b64 s[12:13], s[20:21]
.LBB127_7:
	v_mad_u64_u32 v[3:4], null, s14, s15, v[0:1]
	v_mov_b32_e32 v4, 0
	s_mov_b32 s0, exec_lo
	s_delay_alu instid0(VALU_DEP_1)
	v_cmpx_gt_i64_e64 s[6:7], v[3:4]
	s_cbranch_execz .LBB127_18
; %bb.8:
	v_mov_b32_e32 v2, v4
	s_delay_alu instid0(VALU_DEP_1)
	v_cmp_gt_i64_e32 vcc_lo, s[4:5], v[1:2]
	s_and_b32 exec_lo, exec_lo, vcc_lo
	s_cbranch_execz .LBB127_18
; %bb.9:
	s_waitcnt lgkmcnt(0)
	v_mad_u64_u32 v[5:6], null, v1, s10, 0
	s_lshl_b64 s[0:1], s[22:23], 3
	v_lshlrev_b64 v[3:4], 3, v[3:4]
	s_add_u32 s0, s2, s0
	s_addc_u32 s1, s3, s1
	s_delay_alu instid0(VALU_DEP_2) | instskip(NEXT) | instid1(VALU_DEP_1)
	v_mad_u64_u32 v[7:8], null, v1, s11, v[6:7]
	v_mov_b32_e32 v6, v7
	s_delay_alu instid0(VALU_DEP_1) | instskip(NEXT) | instid1(VALU_DEP_1)
	v_lshlrev_b64 v[5:6], 3, v[5:6]
	v_add_co_u32 v5, vcc_lo, s0, v5
	s_delay_alu instid0(VALU_DEP_2) | instskip(SKIP_1) | instid1(VALU_DEP_3)
	v_add_co_ci_u32_e32 v6, vcc_lo, s1, v6, vcc_lo
	v_cmp_lt_u64_e64 s0, s[4:5], 2
	v_add_co_u32 v3, vcc_lo, v5, v3
	s_delay_alu instid0(VALU_DEP_3) | instskip(NEXT) | instid1(VALU_DEP_3)
	v_add_co_ci_u32_e32 v4, vcc_lo, v6, v4, vcc_lo
	s_and_b32 vcc_lo, exec_lo, s0
	global_load_b64 v[5:6], v[3:4], off
	s_waitcnt vmcnt(0)
	v_mul_f64 v[5:6], v[5:6], s[8:9]
	s_cbranch_vccnz .LBB127_17
; %bb.10:
	s_add_u32 s0, s4, -1
	s_addc_u32 s1, s5, -1
	s_mul_hi_u32 s2, s18, s0
	s_mul_i32 s3, s18, s1
	s_mul_i32 s4, s19, s0
	s_add_i32 s3, s2, s3
	s_mul_i32 s2, s18, s0
	s_add_i32 s3, s3, s4
	v_lshlrev_b32_e32 v7, 3, v1
	s_lshl_b64 s[2:3], s[2:3], 3
	v_lshl_add_u32 v0, v0, 3, 0
	s_add_u32 s2, s12, s2
	s_addc_u32 s3, s13, s3
	v_add_co_u32 v7, s2, s2, v7
	s_delay_alu instid0(VALU_DEP_1) | instskip(SKIP_1) | instid1(SALU_CYCLE_1)
	v_add_co_ci_u32_e64 v8, null, s3, 0, s2
	s_lshl_b64 s[2:3], s[18:19], 3
	s_sub_u32 s4, 0, s2
	s_subb_u32 s5, 0, s3
	s_set_inst_prefetch_distance 0x1
	.p2align	6
.LBB127_11:                             ; =>This Inner Loop Header: Depth=1
	s_mov_b32 s2, exec_lo
	s_barrier
	buffer_gl0_inv
	v_cmpx_eq_u64_e64 s[0:1], v[1:2]
	s_cbranch_execz .LBB127_13
; %bb.12:                               ;   in Loop: Header=BB127_11 Depth=1
	ds_store_b64 v0, v[5:6]
.LBB127_13:                             ;   in Loop: Header=BB127_11 Depth=1
	s_or_b32 exec_lo, exec_lo, s2
	s_delay_alu instid0(SALU_CYCLE_1)
	s_mov_b32 s2, exec_lo
	s_waitcnt lgkmcnt(0)
	s_barrier
	buffer_gl0_inv
	v_cmpx_gt_i64_e64 s[0:1], v[1:2]
	s_cbranch_execz .LBB127_15
; %bb.14:                               ;   in Loop: Header=BB127_11 Depth=1
	flat_load_b64 v[9:10], v[7:8]
	ds_load_b64 v[11:12], v0
	s_waitcnt vmcnt(0) lgkmcnt(0)
	v_fma_f64 v[5:6], -v[9:10], v[11:12], v[5:6]
.LBB127_15:                             ;   in Loop: Header=BB127_11 Depth=1
	s_or_b32 exec_lo, exec_lo, s2
	s_add_u32 s2, s0, -1
	s_addc_u32 s3, s1, -1
	s_add_u32 s0, s0, 1
	s_addc_u32 s1, s1, 0
	v_add_co_u32 v7, vcc_lo, v7, s4
	v_cmp_lt_u64_e64 s0, s[0:1], 3
	v_add_co_ci_u32_e32 v8, vcc_lo, s5, v8, vcc_lo
	s_delay_alu instid0(VALU_DEP_2)
	s_and_b32 vcc_lo, exec_lo, s0
	s_cbranch_vccnz .LBB127_17
; %bb.16:                               ;   in Loop: Header=BB127_11 Depth=1
	s_mov_b64 s[0:1], s[2:3]
	s_branch .LBB127_11
.LBB127_17:
	s_set_inst_prefetch_distance 0x2
	global_store_b64 v[3:4], v[5:6], off
.LBB127_18:
	s_nop 0
	s_sendmsg sendmsg(MSG_DEALLOC_VGPRS)
	s_endpgm
	.section	.rodata,"a",@progbits
	.p2align	6, 0x0
	.amdhsa_kernel _ZL40rocblas_trsm_block_backward_substitutionIddPKPKdPKPdLb1ELb0ELb1EEv18rocblas_operation_llT0_T1_lllT2_lllib
		.amdhsa_group_segment_fixed_size 0
		.amdhsa_private_segment_fixed_size 0
		.amdhsa_kernarg_size 360
		.amdhsa_user_sgpr_count 13
		.amdhsa_user_sgpr_dispatch_ptr 0
		.amdhsa_user_sgpr_queue_ptr 0
		.amdhsa_user_sgpr_kernarg_segment_ptr 1
		.amdhsa_user_sgpr_dispatch_id 0
		.amdhsa_user_sgpr_private_segment_size 0
		.amdhsa_wavefront_size32 1
		.amdhsa_uses_dynamic_stack 0
		.amdhsa_enable_private_segment 0
		.amdhsa_system_sgpr_workgroup_id_x 1
		.amdhsa_system_sgpr_workgroup_id_y 1
		.amdhsa_system_sgpr_workgroup_id_z 1
		.amdhsa_system_sgpr_workgroup_info 0
		.amdhsa_system_vgpr_workitem_id 1
		.amdhsa_next_free_vgpr 13
		.amdhsa_next_free_sgpr 25
		.amdhsa_reserve_vcc 1
		.amdhsa_float_round_mode_32 0
		.amdhsa_float_round_mode_16_64 0
		.amdhsa_float_denorm_mode_32 3
		.amdhsa_float_denorm_mode_16_64 3
		.amdhsa_dx10_clamp 1
		.amdhsa_ieee_mode 1
		.amdhsa_fp16_overflow 0
		.amdhsa_workgroup_processor_mode 1
		.amdhsa_memory_ordered 1
		.amdhsa_forward_progress 0
		.amdhsa_shared_vgpr_count 0
		.amdhsa_exception_fp_ieee_invalid_op 0
		.amdhsa_exception_fp_denorm_src 0
		.amdhsa_exception_fp_ieee_div_zero 0
		.amdhsa_exception_fp_ieee_overflow 0
		.amdhsa_exception_fp_ieee_underflow 0
		.amdhsa_exception_fp_ieee_inexact 0
		.amdhsa_exception_int_div_zero 0
	.end_amdhsa_kernel
	.section	.text._ZL40rocblas_trsm_block_backward_substitutionIddPKPKdPKPdLb1ELb0ELb1EEv18rocblas_operation_llT0_T1_lllT2_lllib,"axG",@progbits,_ZL40rocblas_trsm_block_backward_substitutionIddPKPKdPKPdLb1ELb0ELb1EEv18rocblas_operation_llT0_T1_lllT2_lllib,comdat
.Lfunc_end127:
	.size	_ZL40rocblas_trsm_block_backward_substitutionIddPKPKdPKPdLb1ELb0ELb1EEv18rocblas_operation_llT0_T1_lllT2_lllib, .Lfunc_end127-_ZL40rocblas_trsm_block_backward_substitutionIddPKPKdPKPdLb1ELb0ELb1EEv18rocblas_operation_llT0_T1_lllT2_lllib
                                        ; -- End function
	.section	.AMDGPU.csdata,"",@progbits
; Kernel info:
; codeLenInByte = 948
; NumSgprs: 27
; NumVgprs: 13
; ScratchSize: 0
; MemoryBound: 0
; FloatMode: 240
; IeeeMode: 1
; LDSByteSize: 0 bytes/workgroup (compile time only)
; SGPRBlocks: 3
; VGPRBlocks: 1
; NumSGPRsForWavesPerEU: 27
; NumVGPRsForWavesPerEU: 13
; Occupancy: 16
; WaveLimiterHint : 1
; COMPUTE_PGM_RSRC2:SCRATCH_EN: 0
; COMPUTE_PGM_RSRC2:USER_SGPR: 13
; COMPUTE_PGM_RSRC2:TRAP_HANDLER: 0
; COMPUTE_PGM_RSRC2:TGID_X_EN: 1
; COMPUTE_PGM_RSRC2:TGID_Y_EN: 1
; COMPUTE_PGM_RSRC2:TGID_Z_EN: 1
; COMPUTE_PGM_RSRC2:TIDIG_COMP_CNT: 1
	.section	.text._ZL26setup_batched_array_kernelILi128EdEvPT0_lPS1_,"axG",@progbits,_ZL26setup_batched_array_kernelILi128EdEvPT0_lPS1_,comdat
	.globl	_ZL26setup_batched_array_kernelILi128EdEvPT0_lPS1_ ; -- Begin function _ZL26setup_batched_array_kernelILi128EdEvPT0_lPS1_
	.p2align	8
	.type	_ZL26setup_batched_array_kernelILi128EdEvPT0_lPS1_,@function
_ZL26setup_batched_array_kernelILi128EdEvPT0_lPS1_: ; @_ZL26setup_batched_array_kernelILi128EdEvPT0_lPS1_
; %bb.0:
	s_clause 0x1
	s_load_b128 s[4:7], s[0:1], 0x0
	s_load_b64 s[0:1], s[0:1], 0x10
	s_mov_b32 s2, s15
	s_waitcnt lgkmcnt(0)
	s_mul_i32 s3, s15, s7
	s_mul_hi_u32 s7, s15, s6
	s_mul_i32 s6, s15, s6
	s_add_i32 s7, s7, s3
	s_mov_b32 s3, 0
	s_lshl_b64 s[6:7], s[6:7], 3
	s_delay_alu instid0(SALU_CYCLE_1)
	s_add_u32 s4, s4, s6
	s_addc_u32 s5, s5, s7
	v_mov_b32_e32 v0, s4
	s_lshl_b64 s[2:3], s[2:3], 3
	v_dual_mov_b32 v2, 0 :: v_dual_mov_b32 v1, s5
	s_add_u32 s0, s0, s2
	s_addc_u32 s1, s1, s3
	global_store_b64 v2, v[0:1], s[0:1]
	s_nop 0
	s_sendmsg sendmsg(MSG_DEALLOC_VGPRS)
	s_endpgm
	.section	.rodata,"a",@progbits
	.p2align	6, 0x0
	.amdhsa_kernel _ZL26setup_batched_array_kernelILi128EdEvPT0_lPS1_
		.amdhsa_group_segment_fixed_size 0
		.amdhsa_private_segment_fixed_size 0
		.amdhsa_kernarg_size 24
		.amdhsa_user_sgpr_count 15
		.amdhsa_user_sgpr_dispatch_ptr 0
		.amdhsa_user_sgpr_queue_ptr 0
		.amdhsa_user_sgpr_kernarg_segment_ptr 1
		.amdhsa_user_sgpr_dispatch_id 0
		.amdhsa_user_sgpr_private_segment_size 0
		.amdhsa_wavefront_size32 1
		.amdhsa_uses_dynamic_stack 0
		.amdhsa_enable_private_segment 0
		.amdhsa_system_sgpr_workgroup_id_x 1
		.amdhsa_system_sgpr_workgroup_id_y 0
		.amdhsa_system_sgpr_workgroup_id_z 0
		.amdhsa_system_sgpr_workgroup_info 0
		.amdhsa_system_vgpr_workitem_id 0
		.amdhsa_next_free_vgpr 3
		.amdhsa_next_free_sgpr 16
		.amdhsa_reserve_vcc 0
		.amdhsa_float_round_mode_32 0
		.amdhsa_float_round_mode_16_64 0
		.amdhsa_float_denorm_mode_32 3
		.amdhsa_float_denorm_mode_16_64 3
		.amdhsa_dx10_clamp 1
		.amdhsa_ieee_mode 1
		.amdhsa_fp16_overflow 0
		.amdhsa_workgroup_processor_mode 1
		.amdhsa_memory_ordered 1
		.amdhsa_forward_progress 0
		.amdhsa_shared_vgpr_count 0
		.amdhsa_exception_fp_ieee_invalid_op 0
		.amdhsa_exception_fp_denorm_src 0
		.amdhsa_exception_fp_ieee_div_zero 0
		.amdhsa_exception_fp_ieee_overflow 0
		.amdhsa_exception_fp_ieee_underflow 0
		.amdhsa_exception_fp_ieee_inexact 0
		.amdhsa_exception_int_div_zero 0
	.end_amdhsa_kernel
	.section	.text._ZL26setup_batched_array_kernelILi128EdEvPT0_lPS1_,"axG",@progbits,_ZL26setup_batched_array_kernelILi128EdEvPT0_lPS1_,comdat
.Lfunc_end128:
	.size	_ZL26setup_batched_array_kernelILi128EdEvPT0_lPS1_, .Lfunc_end128-_ZL26setup_batched_array_kernelILi128EdEvPT0_lPS1_
                                        ; -- End function
	.section	.AMDGPU.csdata,"",@progbits
; Kernel info:
; codeLenInByte = 108
; NumSgprs: 16
; NumVgprs: 3
; ScratchSize: 0
; MemoryBound: 0
; FloatMode: 240
; IeeeMode: 1
; LDSByteSize: 0 bytes/workgroup (compile time only)
; SGPRBlocks: 1
; VGPRBlocks: 0
; NumSGPRsForWavesPerEU: 16
; NumVGPRsForWavesPerEU: 3
; Occupancy: 16
; WaveLimiterHint : 0
; COMPUTE_PGM_RSRC2:SCRATCH_EN: 0
; COMPUTE_PGM_RSRC2:USER_SGPR: 15
; COMPUTE_PGM_RSRC2:TRAP_HANDLER: 0
; COMPUTE_PGM_RSRC2:TGID_X_EN: 1
; COMPUTE_PGM_RSRC2:TGID_Y_EN: 0
; COMPUTE_PGM_RSRC2:TGID_Z_EN: 0
; COMPUTE_PGM_RSRC2:TIDIG_COMP_CNT: 0
	.section	.text._ZL25rocblas_trtri_trsm_kernelILi128ELi16ELi8EdPKPKdPKPdEv13rocblas_fill_17rocblas_diagonal_T3_lilT4_lli,"axG",@progbits,_ZL25rocblas_trtri_trsm_kernelILi128ELi16ELi8EdPKPKdPKPdEv13rocblas_fill_17rocblas_diagonal_T3_lilT4_lli,comdat
	.globl	_ZL25rocblas_trtri_trsm_kernelILi128ELi16ELi8EdPKPKdPKPdEv13rocblas_fill_17rocblas_diagonal_T3_lilT4_lli ; -- Begin function _ZL25rocblas_trtri_trsm_kernelILi128ELi16ELi8EdPKPKdPKPdEv13rocblas_fill_17rocblas_diagonal_T3_lilT4_lli
	.p2align	8
	.type	_ZL25rocblas_trtri_trsm_kernelILi128ELi16ELi8EdPKPKdPKPdEv13rocblas_fill_17rocblas_diagonal_T3_lilT4_lli,@function
_ZL25rocblas_trtri_trsm_kernelILi128ELi16ELi8EdPKPKdPKPdEv13rocblas_fill_17rocblas_diagonal_T3_lilT4_lli: ; @_ZL25rocblas_trtri_trsm_kernelILi128ELi16ELi8EdPKPKdPKPdEv13rocblas_fill_17rocblas_diagonal_T3_lilT4_lli
; %bb.0:
	s_clause 0x1
	s_load_b128 s[8:11], s[0:1], 0x8
	s_load_b128 s[4:7], s[0:1], 0x28
	s_mov_b32 s2, s15
	s_mov_b32 s3, 0
	v_cmp_lt_u32_e32 vcc_lo, 31, v0
	s_lshl_b64 s[2:3], s[2:3], 3
	v_mov_b32_e32 v1, v0
	s_waitcnt lgkmcnt(0)
	s_add_u32 s8, s8, s2
	s_addc_u32 s9, s9, s3
	s_add_u32 s2, s4, s2
	s_addc_u32 s3, s5, s3
	s_load_b64 s[18:19], s[8:9], 0x0
	s_load_b64 s[8:9], s[2:3], 0x0
	v_cmp_gt_u32_e64 s2, 16, v0
	v_cmp_gt_u32_e64 s3, 32, v0
	s_mov_b32 s5, exec_lo
	v_cmpx_lt_u32_e32 15, v0
	s_cbranch_execz .LBB129_6
; %bb.1:
                                        ; implicit-def: $vgpr1
	s_and_saveexec_b32 s4, vcc_lo
	s_delay_alu instid0(SALU_CYCLE_1)
	s_xor_b32 s4, exec_lo, s4
; %bb.2:
	v_subrev_nc_u32_e32 v1, 32, v0
; %bb.3:
	s_and_not1_saveexec_b32 s4, s4
; %bb.4:
	v_add_nc_u32_e32 v1, -16, v0
; %bb.5:
	s_or_b32 exec_lo, exec_lo, s4
.LBB129_6:
	s_delay_alu instid0(SALU_CYCLE_1)
	s_or_b32 exec_lo, exec_lo, s5
	s_clause 0x1
	s_load_b32 s12, s[0:1], 0x18
	s_load_b64 s[4:5], s[0:1], 0x0
	s_lshl_b32 s15, s14, 1
	v_cndmask_b32_e64 v4, 0, 0x1800, s3
	s_waitcnt lgkmcnt(0)
	s_ashr_i32 s13, s12, 31
	s_delay_alu instid0(SALU_CYCLE_1) | instskip(NEXT) | instid1(SALU_CYCLE_1)
	s_lshl_b64 s[16:17], s[12:13], 4
	s_add_u32 s0, s16, 16
	s_addc_u32 s20, s17, 0
	s_mul_hi_u32 s1, s0, s15
	s_mul_i32 s21, s20, s15
	s_mul_i32 s22, s0, s15
	s_add_i32 s23, s1, s21
	s_delay_alu instid0(SALU_CYCLE_1) | instskip(NEXT) | instid1(SALU_CYCLE_1)
	s_lshl_b64 s[22:23], s[22:23], 3
	s_add_u32 s1, s18, s22
	s_addc_u32 s18, s19, s23
	s_lshl_b64 s[10:11], s[10:11], 3
	s_delay_alu instid0(SALU_CYCLE_1) | instskip(SKIP_2) | instid1(SALU_CYCLE_1)
	s_add_u32 s10, s1, s10
	s_addc_u32 s11, s18, s11
	s_and_saveexec_b32 s1, vcc_lo
	s_xor_b32 s1, exec_lo, s1
	s_cbranch_execz .LBB129_13
; %bb.7:
	s_mov_b32 s18, exec_lo
	v_cmpx_gt_u32_e32 48, v0
	s_cbranch_execz .LBB129_12
; %bb.8:
	v_mov_b32_e32 v2, 0
	s_cmpk_eq_i32 s4, 0x7a
	s_mov_b32 s19, -1
	s_delay_alu instid0(VALU_DEP_1)
	v_lshlrev_b64 v[2:3], 3, v[1:2]
	s_cbranch_scc1 .LBB129_10
; %bb.9:
	s_lshl_b64 s[22:23], s[12:13], 7
	v_lshlrev_b32_e32 v37, 3, v1
	s_add_u32 s19, s10, s22
	s_addc_u32 s21, s11, s23
	v_add_co_u32 v5, vcc_lo, s19, v2
	v_add_co_ci_u32_e32 v6, vcc_lo, s21, v3, vcc_lo
	s_lshl_b64 s[22:23], s[12:13], 3
	s_mov_b32 s19, 0
	s_delay_alu instid0(VALU_DEP_1) | instskip(NEXT) | instid1(VALU_DEP_1)
	v_mad_i64_i32 v[7:8], null, 0x78, s12, v[5:6]
	v_sub_co_u32 v9, vcc_lo, v7, s22
	s_delay_alu instid0(VALU_DEP_2)
	v_subrev_co_ci_u32_e32 v10, vcc_lo, s23, v8, vcc_lo
	global_load_b64 v[7:8], v[7:8], off
	v_sub_co_u32 v11, vcc_lo, v9, s22
	v_subrev_co_ci_u32_e32 v12, vcc_lo, s23, v10, vcc_lo
	global_load_b64 v[9:10], v[9:10], off
	v_sub_co_u32 v13, vcc_lo, v11, s22
	;; [unrolled: 3-line block ×10, first 2 shown]
	v_subrev_co_ci_u32_e32 v30, vcc_lo, s23, v28, vcc_lo
	s_delay_alu instid0(VALU_DEP_2) | instskip(NEXT) | instid1(VALU_DEP_2)
	v_sub_co_u32 v31, vcc_lo, v29, s22
	v_subrev_co_ci_u32_e32 v32, vcc_lo, s23, v30, vcc_lo
	s_delay_alu instid0(VALU_DEP_2) | instskip(NEXT) | instid1(VALU_DEP_2)
	v_sub_co_u32 v33, vcc_lo, v31, s22
	;; [unrolled: 3-line block ×3, first 2 shown]
	v_subrev_co_ci_u32_e32 v36, vcc_lo, s23, v34, vcc_lo
	global_load_b64 v[27:28], v[27:28], off
	global_load_b64 v[29:30], v[29:30], off
	;; [unrolled: 1-line block ×6, first 2 shown]
	s_waitcnt vmcnt(14)
	ds_store_2addr_b64 v37, v[9:10], v[7:8] offset0:224 offset1:240
	s_waitcnt vmcnt(12)
	ds_store_2addr_b64 v37, v[13:14], v[11:12] offset0:192 offset1:208
	s_waitcnt vmcnt(10)
	ds_store_2addr_b64 v37, v[17:18], v[15:16] offset0:160 offset1:176
	s_waitcnt vmcnt(8)
	ds_store_2addr_b64 v37, v[21:22], v[19:20] offset0:128 offset1:144
	s_waitcnt vmcnt(6)
	ds_store_2addr_b64 v37, v[25:26], v[23:24] offset0:96 offset1:112
	s_waitcnt vmcnt(4)
	ds_store_2addr_b64 v37, v[29:30], v[27:28] offset0:64 offset1:80
	s_waitcnt vmcnt(2)
	ds_store_2addr_b64 v37, v[33:34], v[31:32] offset0:32 offset1:48
	s_waitcnt vmcnt(0)
	ds_store_2addr_b64 v37, v[5:6], v[35:36] offset1:16
.LBB129_10:
	s_and_not1_b32 vcc_lo, exec_lo, s19
	s_cbranch_vccnz .LBB129_12
; %bb.11:
	s_delay_alu instid0(VALU_DEP_1) | instskip(NEXT) | instid1(VALU_DEP_2)
	v_add_co_u32 v2, vcc_lo, s10, v2
	v_add_co_ci_u32_e32 v3, vcc_lo, s11, v3, vcc_lo
	s_lshl_b64 s[22:23], s[12:13], 3
	v_lshlrev_b32_e32 v35, 3, v1
	s_delay_alu instid0(VALU_DEP_3) | instskip(NEXT) | instid1(VALU_DEP_3)
	v_add_co_u32 v5, vcc_lo, v2, s22
	v_add_co_ci_u32_e32 v6, vcc_lo, s23, v3, vcc_lo
	s_delay_alu instid0(VALU_DEP_2) | instskip(NEXT) | instid1(VALU_DEP_2)
	v_add_co_u32 v7, vcc_lo, v5, s22
	v_add_co_ci_u32_e32 v8, vcc_lo, s23, v6, vcc_lo
	s_clause 0x1
	global_load_b64 v[2:3], v[2:3], off offset:128
	global_load_b64 v[5:6], v[5:6], off offset:128
	v_add_co_u32 v9, vcc_lo, v7, s22
	v_add_co_ci_u32_e32 v10, vcc_lo, s23, v8, vcc_lo
	global_load_b64 v[7:8], v[7:8], off offset:128
	v_add_co_u32 v11, vcc_lo, v9, s22
	v_add_co_ci_u32_e32 v12, vcc_lo, s23, v10, vcc_lo
	;; [unrolled: 3-line block ×10, first 2 shown]
	s_delay_alu instid0(VALU_DEP_2) | instskip(NEXT) | instid1(VALU_DEP_2)
	v_add_co_u32 v29, vcc_lo, v27, s22
	v_add_co_ci_u32_e32 v30, vcc_lo, s23, v28, vcc_lo
	s_delay_alu instid0(VALU_DEP_2) | instskip(NEXT) | instid1(VALU_DEP_2)
	v_add_co_u32 v31, vcc_lo, v29, s22
	v_add_co_ci_u32_e32 v32, vcc_lo, s23, v30, vcc_lo
	;; [unrolled: 3-line block ×3, first 2 shown]
	global_load_b64 v[25:26], v[25:26], off offset:128
	global_load_b64 v[27:28], v[27:28], off offset:128
	;; [unrolled: 1-line block ×5, first 2 shown]
	s_waitcnt vmcnt(14)
	ds_store_2addr_b64 v35, v[2:3], v[5:6] offset1:16
	s_waitcnt vmcnt(12)
	ds_store_2addr_b64 v35, v[7:8], v[9:10] offset0:32 offset1:48
	s_waitcnt vmcnt(10)
	ds_store_2addr_b64 v35, v[11:12], v[13:14] offset0:64 offset1:80
	;; [unrolled: 2-line block ×7, first 2 shown]
.LBB129_12:
	s_or_b32 exec_lo, exec_lo, s18
.LBB129_13:
	s_or_saveexec_b32 s1, s1
	v_cndmask_b32_e64 v3, v4, 0x1000, s2
	s_xor_b32 exec_lo, exec_lo, s1
	s_cbranch_execz .LBB129_80
; %bb.14:
	v_cndmask_b32_e64 v5, s20, 0, s2
	v_cndmask_b32_e64 v4, s0, 0, s2
	s_cmpk_eq_i32 s4, 0x7a
	s_mov_b32 s0, -1
	s_delay_alu instid0(VALU_DEP_1)
	v_lshlrev_b64 v[4:5], 3, v[4:5]
	s_cbranch_scc1 .LBB129_48
; %bb.15:
	v_mov_b32_e32 v2, 0
	v_mov_b32_e32 v8, 0
	;; [unrolled: 1-line block ×3, first 2 shown]
	s_delay_alu instid0(VALU_DEP_3) | instskip(SKIP_2) | instid1(VALU_DEP_2)
	v_lshlrev_b64 v[6:7], 3, v[1:2]
	v_add_co_u32 v2, vcc_lo, s10, v4
	v_add_co_ci_u32_e32 v10, vcc_lo, s11, v5, vcc_lo
	v_add_co_u32 v6, s0, v2, v6
	s_delay_alu instid0(VALU_DEP_1)
	v_add_co_ci_u32_e64 v7, s0, v10, v7, s0
	v_dual_mov_b32 v11, v9 :: v_dual_mov_b32 v10, v8
	s_mov_b32 s0, exec_lo
	v_cmpx_gt_u32_e32 16, v1
	s_cbranch_execz .LBB129_17
; %bb.16:
	v_mad_i64_i32 v[10:11], null, 0x78, s12, v[6:7]
	global_load_b64 v[10:11], v[10:11], off
.LBB129_17:
	s_or_b32 exec_lo, exec_lo, s0
	v_sub_nc_u32_e32 v2, 0xffffff10, v1
	s_mov_b32 s0, exec_lo
	s_delay_alu instid0(VALU_DEP_1)
	v_lshl_add_u32 v2, v2, 3, v3
	s_waitcnt vmcnt(0)
	ds_store_b64 v2, v[10:11] offset:2040
	v_cmpx_gt_u32_e32 15, v1
	s_cbranch_execz .LBB129_19
; %bb.18:
	v_mad_i64_i32 v[8:9], null, 0x70, s12, v[6:7]
	global_load_b64 v[8:9], v[8:9], off
.LBB129_19:
	s_or_b32 exec_lo, exec_lo, s0
	v_mov_b32_e32 v10, 0
	v_sub_nc_u32_e32 v2, 0xffffff20, v1
	v_mov_b32_e32 v11, 0
	s_mov_b32 s0, exec_lo
	s_delay_alu instid0(VALU_DEP_2) | instskip(NEXT) | instid1(VALU_DEP_2)
	v_lshl_add_u32 v2, v2, 3, v3
	v_dual_mov_b32 v13, v11 :: v_dual_mov_b32 v12, v10
	s_waitcnt vmcnt(0)
	ds_store_b64 v2, v[8:9] offset:2040
	v_cmpx_gt_u32_e32 14, v1
	s_cbranch_execz .LBB129_21
; %bb.20:
	v_mad_i64_i32 v[8:9], null, 0x68, s12, v[6:7]
	global_load_b64 v[12:13], v[8:9], off
.LBB129_21:
	s_or_b32 exec_lo, exec_lo, s0
	v_sub_nc_u32_e32 v2, 0xffffff30, v1
	s_mov_b32 s0, exec_lo
	s_delay_alu instid0(VALU_DEP_1)
	v_lshl_add_u32 v2, v2, 3, v3
	s_waitcnt vmcnt(0)
	ds_store_b64 v2, v[12:13] offset:2040
	v_cmpx_gt_u32_e32 13, v1
	s_cbranch_execz .LBB129_23
; %bb.22:
	v_mad_i64_i32 v[8:9], null, 0x60, s12, v[6:7]
	global_load_b64 v[10:11], v[8:9], off
.LBB129_23:
	s_or_b32 exec_lo, exec_lo, s0
	v_mov_b32_e32 v8, 0
	v_sub_nc_u32_e32 v2, 0xffffff40, v1
	v_mov_b32_e32 v9, 0
	s_mov_b32 s0, exec_lo
	s_delay_alu instid0(VALU_DEP_2) | instskip(NEXT) | instid1(VALU_DEP_2)
	v_lshl_add_u32 v2, v2, 3, v3
	v_dual_mov_b32 v13, v9 :: v_dual_mov_b32 v12, v8
	s_waitcnt vmcnt(0)
	ds_store_b64 v2, v[10:11] offset:2040
	;; [unrolled: 29-line block ×3, first 2 shown]
	v_cmpx_gt_u32_e32 10, v1
	s_cbranch_execz .LBB129_29
; %bb.28:
	v_mad_i64_i32 v[8:9], null, 0x48, s12, v[6:7]
	global_load_b64 v[12:13], v[8:9], off
.LBB129_29:
	s_or_b32 exec_lo, exec_lo, s0
	v_sub_nc_u32_e32 v2, 0xffffff70, v1
	s_mov_b32 s0, exec_lo
	s_delay_alu instid0(VALU_DEP_1)
	v_lshl_add_u32 v2, v2, 3, v3
	s_waitcnt vmcnt(0)
	ds_store_b64 v2, v[12:13] offset:2040
	v_cmpx_gt_u32_e32 9, v1
	s_cbranch_execz .LBB129_31
; %bb.30:
	s_lshl_b64 s[18:19], s[12:13], 6
	s_delay_alu instid0(SALU_CYCLE_1)
	v_add_co_u32 v8, vcc_lo, v6, s18
	v_add_co_ci_u32_e32 v9, vcc_lo, s19, v7, vcc_lo
	global_load_b64 v[10:11], v[8:9], off
.LBB129_31:
	s_or_b32 exec_lo, exec_lo, s0
	v_mov_b32_e32 v8, 0
	v_sub_nc_u32_e32 v2, 0xffffff80, v1
	v_mov_b32_e32 v9, 0
	s_mov_b32 s0, exec_lo
	s_delay_alu instid0(VALU_DEP_2) | instskip(NEXT) | instid1(VALU_DEP_2)
	v_lshl_add_u32 v2, v2, 3, v3
	v_dual_mov_b32 v13, v9 :: v_dual_mov_b32 v12, v8
	s_waitcnt vmcnt(0)
	ds_store_b64 v2, v[10:11] offset:2040
	v_cmpx_gt_u32_e32 8, v1
	s_cbranch_execz .LBB129_33
; %bb.32:
	v_mad_i64_i32 v[10:11], null, s12, 56, v[6:7]
	global_load_b64 v[12:13], v[10:11], off
.LBB129_33:
	s_or_b32 exec_lo, exec_lo, s0
	v_sub_nc_u32_e32 v2, 0xffffff90, v1
	s_mov_b32 s0, exec_lo
	s_delay_alu instid0(VALU_DEP_1)
	v_lshl_add_u32 v2, v2, 3, v3
	s_waitcnt vmcnt(0)
	ds_store_b64 v2, v[12:13] offset:2040
	v_cmpx_gt_u32_e32 7, v1
	s_cbranch_execz .LBB129_35
; %bb.34:
	v_mad_i64_i32 v[8:9], null, s12, 48, v[6:7]
	global_load_b64 v[8:9], v[8:9], off
.LBB129_35:
	s_or_b32 exec_lo, exec_lo, s0
	v_mov_b32_e32 v10, 0
	v_sub_nc_u32_e32 v2, 0xffffffa0, v1
	v_mov_b32_e32 v11, 0
	s_mov_b32 s0, exec_lo
	s_delay_alu instid0(VALU_DEP_2) | instskip(NEXT) | instid1(VALU_DEP_2)
	v_lshl_add_u32 v2, v2, 3, v3
	v_dual_mov_b32 v13, v11 :: v_dual_mov_b32 v12, v10
	s_waitcnt vmcnt(0)
	ds_store_b64 v2, v[8:9] offset:2040
	v_cmpx_gt_u32_e32 6, v1
	s_cbranch_execz .LBB129_37
; %bb.36:
	v_mad_i64_i32 v[8:9], null, s12, 40, v[6:7]
	global_load_b64 v[12:13], v[8:9], off
.LBB129_37:
	s_or_b32 exec_lo, exec_lo, s0
	v_sub_nc_u32_e32 v2, 0xffffffb0, v1
	s_mov_b32 s0, exec_lo
	s_delay_alu instid0(VALU_DEP_1)
	v_lshl_add_u32 v2, v2, 3, v3
	s_waitcnt vmcnt(0)
	ds_store_b64 v2, v[12:13] offset:2040
	v_cmpx_gt_u32_e32 5, v1
	s_cbranch_execz .LBB129_39
; %bb.38:
	s_lshl_b64 s[18:19], s[12:13], 5
	s_delay_alu instid0(SALU_CYCLE_1)
	v_add_co_u32 v8, vcc_lo, v6, s18
	v_add_co_ci_u32_e32 v9, vcc_lo, s19, v7, vcc_lo
	global_load_b64 v[10:11], v[8:9], off
.LBB129_39:
	s_or_b32 exec_lo, exec_lo, s0
	v_mov_b32_e32 v8, 0
	v_sub_nc_u32_e32 v2, 0xffffffc0, v1
	v_mov_b32_e32 v9, 0
	s_mov_b32 s0, exec_lo
	s_delay_alu instid0(VALU_DEP_2) | instskip(NEXT) | instid1(VALU_DEP_2)
	v_lshl_add_u32 v2, v2, 3, v3
	v_dual_mov_b32 v13, v9 :: v_dual_mov_b32 v12, v8
	s_waitcnt vmcnt(0)
	ds_store_b64 v2, v[10:11] offset:2040
	v_cmpx_gt_u32_e32 4, v1
	s_cbranch_execz .LBB129_41
; %bb.40:
	v_mad_i64_i32 v[10:11], null, s12, 24, v[6:7]
	global_load_b64 v[12:13], v[10:11], off
.LBB129_41:
	s_or_b32 exec_lo, exec_lo, s0
	v_sub_nc_u32_e32 v2, 0xffffffd0, v1
	s_mov_b32 s0, exec_lo
	s_delay_alu instid0(VALU_DEP_1)
	v_lshl_add_u32 v2, v2, 3, v3
	s_waitcnt vmcnt(0)
	ds_store_b64 v2, v[12:13] offset:2040
	v_cmpx_gt_u32_e32 3, v1
	s_cbranch_execz .LBB129_43
; %bb.42:
	v_add_co_u32 v8, vcc_lo, v6, s16
	v_add_co_ci_u32_e32 v9, vcc_lo, s17, v7, vcc_lo
	global_load_b64 v[8:9], v[8:9], off
.LBB129_43:
	s_or_b32 exec_lo, exec_lo, s0
	v_mov_b32_e32 v10, 0
	v_sub_nc_u32_e32 v2, 0xffffffe0, v1
	v_mov_b32_e32 v11, 0
	s_mov_b32 s0, exec_lo
	s_delay_alu instid0(VALU_DEP_2) | instskip(NEXT) | instid1(VALU_DEP_2)
	v_lshl_add_u32 v2, v2, 3, v3
	v_dual_mov_b32 v13, v11 :: v_dual_mov_b32 v12, v10
	s_waitcnt vmcnt(0)
	ds_store_b64 v2, v[8:9] offset:2040
	v_cmpx_gt_u32_e32 2, v1
	s_cbranch_execz .LBB129_45
; %bb.44:
	s_lshl_b64 s[18:19], s[12:13], 3
	s_delay_alu instid0(SALU_CYCLE_1)
	v_add_co_u32 v8, vcc_lo, v6, s18
	v_add_co_ci_u32_e32 v9, vcc_lo, s19, v7, vcc_lo
	global_load_b64 v[12:13], v[8:9], off
.LBB129_45:
	s_or_b32 exec_lo, exec_lo, s0
	v_sub_nc_u32_e32 v2, -16, v1
	s_mov_b32 s0, 0
	s_mov_b32 s18, exec_lo
	s_delay_alu instid0(VALU_DEP_1)
	v_lshl_add_u32 v2, v2, 3, v3
	s_waitcnt vmcnt(0)
	ds_store_b64 v2, v[12:13] offset:2040
	v_cmpx_eq_u32_e32 0, v1
	s_cbranch_execz .LBB129_47
; %bb.46:
	global_load_b64 v[10:11], v[6:7], off
.LBB129_47:
	s_or_b32 exec_lo, exec_lo, s18
	v_lshlrev_b32_e32 v2, 3, v1
	s_delay_alu instid0(VALU_DEP_1)
	v_sub_nc_u32_e32 v2, v3, v2
	s_waitcnt vmcnt(0)
	ds_store_b64 v2, v[10:11] offset:2040
.LBB129_48:
	s_and_b32 vcc_lo, exec_lo, s0
	s_cbranch_vccz .LBB129_80
; %bb.49:
	v_mov_b32_e32 v2, 0
	s_mov_b32 s0, exec_lo
	s_delay_alu instid0(VALU_DEP_1) | instskip(SKIP_2) | instid1(VALU_DEP_2)
	v_lshlrev_b64 v[6:7], 3, v[1:2]
	v_add_co_u32 v2, vcc_lo, s10, v4
	v_add_co_ci_u32_e32 v5, vcc_lo, s11, v5, vcc_lo
	v_add_co_u32 v4, vcc_lo, v2, v6
	s_delay_alu instid0(VALU_DEP_2)
	v_add_co_ci_u32_e32 v5, vcc_lo, v5, v7, vcc_lo
	v_mov_b32_e32 v6, 0
	v_mov_b32_e32 v7, 0
	v_lshl_add_u32 v2, v1, 3, v3
	global_load_b64 v[10:11], v[4:5], off
	v_dual_mov_b32 v9, v7 :: v_dual_mov_b32 v8, v6
	s_waitcnt vmcnt(0)
	ds_store_b64 v2, v[10:11]
	v_cmpx_ne_u32_e32 0, v1
	s_cbranch_execz .LBB129_51
; %bb.50:
	s_lshl_b64 s[10:11], s[12:13], 3
	s_delay_alu instid0(SALU_CYCLE_1)
	v_add_co_u32 v8, vcc_lo, v4, s10
	v_add_co_ci_u32_e32 v9, vcc_lo, s11, v5, vcc_lo
	global_load_b64 v[8:9], v[8:9], off
.LBB129_51:
	s_or_b32 exec_lo, exec_lo, s0
	s_delay_alu instid0(SALU_CYCLE_1)
	s_mov_b32 s0, exec_lo
	s_waitcnt vmcnt(0)
	ds_store_b64 v2, v[8:9] offset:128
	v_cmpx_lt_u32_e32 1, v1
	s_cbranch_execz .LBB129_53
; %bb.52:
	v_add_co_u32 v6, vcc_lo, v4, s16
	v_add_co_ci_u32_e32 v7, vcc_lo, s17, v5, vcc_lo
	global_load_b64 v[6:7], v[6:7], off
.LBB129_53:
	s_or_b32 exec_lo, exec_lo, s0
	v_mov_b32_e32 v8, 0
	v_mov_b32_e32 v9, 0
	s_mov_b32 s0, exec_lo
	s_waitcnt vmcnt(0)
	ds_store_b64 v2, v[6:7] offset:256
	v_dual_mov_b32 v11, v9 :: v_dual_mov_b32 v10, v8
	v_cmpx_lt_u32_e32 2, v1
	s_cbranch_execz .LBB129_55
; %bb.54:
	v_mad_i64_i32 v[6:7], null, s12, 24, v[4:5]
	global_load_b64 v[10:11], v[6:7], off
.LBB129_55:
	s_or_b32 exec_lo, exec_lo, s0
	s_delay_alu instid0(SALU_CYCLE_1)
	s_mov_b32 s0, exec_lo
	s_waitcnt vmcnt(0)
	ds_store_b64 v2, v[10:11] offset:384
	v_cmpx_lt_u32_e32 3, v1
	s_cbranch_execz .LBB129_57
; %bb.56:
	s_lshl_b64 s[10:11], s[12:13], 5
	s_delay_alu instid0(SALU_CYCLE_1)
	v_add_co_u32 v6, vcc_lo, v4, s10
	v_add_co_ci_u32_e32 v7, vcc_lo, s11, v5, vcc_lo
	global_load_b64 v[8:9], v[6:7], off
.LBB129_57:
	s_or_b32 exec_lo, exec_lo, s0
	v_mov_b32_e32 v6, 0
	v_mov_b32_e32 v7, 0
	s_mov_b32 s0, exec_lo
	s_waitcnt vmcnt(0)
	ds_store_b64 v2, v[8:9] offset:512
	v_dual_mov_b32 v11, v7 :: v_dual_mov_b32 v10, v6
	v_cmpx_lt_u32_e32 4, v1
	s_cbranch_execz .LBB129_59
; %bb.58:
	v_mad_i64_i32 v[8:9], null, s12, 40, v[4:5]
	global_load_b64 v[10:11], v[8:9], off
.LBB129_59:
	s_or_b32 exec_lo, exec_lo, s0
	s_delay_alu instid0(SALU_CYCLE_1)
	s_mov_b32 s0, exec_lo
	s_waitcnt vmcnt(0)
	ds_store_b64 v2, v[10:11] offset:640
	v_cmpx_lt_u32_e32 5, v1
	s_cbranch_execz .LBB129_61
; %bb.60:
	v_mad_i64_i32 v[6:7], null, s12, 48, v[4:5]
	global_load_b64 v[6:7], v[6:7], off
.LBB129_61:
	s_or_b32 exec_lo, exec_lo, s0
	v_mov_b32_e32 v8, 0
	v_mov_b32_e32 v9, 0
	s_mov_b32 s0, exec_lo
	s_waitcnt vmcnt(0)
	ds_store_b64 v2, v[6:7] offset:768
	v_dual_mov_b32 v11, v9 :: v_dual_mov_b32 v10, v8
	v_cmpx_lt_u32_e32 6, v1
	s_cbranch_execz .LBB129_63
; %bb.62:
	v_mad_i64_i32 v[6:7], null, s12, 56, v[4:5]
	global_load_b64 v[10:11], v[6:7], off
.LBB129_63:
	s_or_b32 exec_lo, exec_lo, s0
	s_delay_alu instid0(SALU_CYCLE_1)
	s_mov_b32 s0, exec_lo
	s_waitcnt vmcnt(0)
	ds_store_b64 v2, v[10:11] offset:896
	v_cmpx_lt_u32_e32 7, v1
	s_cbranch_execz .LBB129_65
; %bb.64:
	s_lshl_b64 s[10:11], s[12:13], 6
	s_delay_alu instid0(SALU_CYCLE_1)
	v_add_co_u32 v6, vcc_lo, v4, s10
	v_add_co_ci_u32_e32 v7, vcc_lo, s11, v5, vcc_lo
	global_load_b64 v[8:9], v[6:7], off
.LBB129_65:
	s_or_b32 exec_lo, exec_lo, s0
	v_mov_b32_e32 v6, 0
	v_mov_b32_e32 v7, 0
	s_mov_b32 s0, exec_lo
	s_waitcnt vmcnt(0)
	ds_store_b64 v2, v[8:9] offset:1024
	v_dual_mov_b32 v11, v7 :: v_dual_mov_b32 v10, v6
	v_cmpx_lt_u32_e32 8, v1
	s_cbranch_execz .LBB129_67
; %bb.66:
	v_mad_i64_i32 v[8:9], null, 0x48, s12, v[4:5]
	global_load_b64 v[10:11], v[8:9], off
.LBB129_67:
	s_or_b32 exec_lo, exec_lo, s0
	s_delay_alu instid0(SALU_CYCLE_1)
	s_mov_b32 s0, exec_lo
	s_waitcnt vmcnt(0)
	ds_store_b64 v2, v[10:11] offset:1152
	v_cmpx_lt_u32_e32 9, v1
	s_cbranch_execz .LBB129_69
; %bb.68:
	v_mad_i64_i32 v[6:7], null, 0x50, s12, v[4:5]
	global_load_b64 v[6:7], v[6:7], off
.LBB129_69:
	s_or_b32 exec_lo, exec_lo, s0
	v_mov_b32_e32 v8, 0
	v_mov_b32_e32 v9, 0
	s_mov_b32 s0, exec_lo
	s_waitcnt vmcnt(0)
	ds_store_b64 v2, v[6:7] offset:1280
	v_dual_mov_b32 v11, v9 :: v_dual_mov_b32 v10, v8
	v_cmpx_lt_u32_e32 10, v1
	s_cbranch_execz .LBB129_71
; %bb.70:
	v_mad_i64_i32 v[6:7], null, 0x58, s12, v[4:5]
	global_load_b64 v[10:11], v[6:7], off
.LBB129_71:
	s_or_b32 exec_lo, exec_lo, s0
	s_delay_alu instid0(SALU_CYCLE_1)
	s_mov_b32 s0, exec_lo
	s_waitcnt vmcnt(0)
	ds_store_b64 v2, v[10:11] offset:1408
	v_cmpx_lt_u32_e32 11, v1
	s_cbranch_execz .LBB129_73
; %bb.72:
	v_mad_i64_i32 v[6:7], null, 0x60, s12, v[4:5]
	global_load_b64 v[8:9], v[6:7], off
.LBB129_73:
	;; [unrolled: 24-line block ×3, first 2 shown]
	s_or_b32 exec_lo, exec_lo, s0
	v_mov_b32_e32 v8, 0
	v_mov_b32_e32 v9, 0
	s_mov_b32 s0, exec_lo
	s_waitcnt vmcnt(0)
	ds_store_b64 v2, v[6:7] offset:1792
	v_cmpx_lt_u32_e32 14, v1
	s_cbranch_execz .LBB129_79
; %bb.78:
	v_mad_i64_i32 v[6:7], null, 0x78, s12, v[4:5]
	global_load_b64 v[8:9], v[6:7], off
.LBB129_79:
	s_or_b32 exec_lo, exec_lo, s0
	s_waitcnt vmcnt(0)
	ds_store_b64 v2, v[8:9] offset:1920
.LBB129_80:
	s_or_b32 exec_lo, exec_lo, s1
	v_mul_i32_i24_e32 v10, 0x88, v1
	s_waitcnt lgkmcnt(0)
	s_barrier
	buffer_gl0_inv
	s_and_saveexec_b32 s0, s3
	s_cbranch_execz .LBB129_86
; %bb.81:
	v_mov_b32_e32 v4, 0
	v_dual_mov_b32 v5, 0x3ff00000 :: v_dual_add_nc_u32 v2, v3, v10
	s_cmpk_eq_i32 s5, 0x84
	s_cbranch_scc1 .LBB129_85
; %bb.82:
	ds_load_b64 v[6:7], v2
	v_mov_b32_e32 v4, 0
	v_mov_b32_e32 v5, 0x3ff00000
	s_mov_b32 s1, exec_lo
	s_waitcnt lgkmcnt(0)
	v_cmpx_neq_f64_e32 0, v[6:7]
; %bb.83:
	v_div_scale_f64 v[4:5], null, v[6:7], v[6:7], 1.0
	s_delay_alu instid0(VALU_DEP_1) | instskip(SKIP_2) | instid1(VALU_DEP_1)
	v_rcp_f64_e32 v[8:9], v[4:5]
	s_waitcnt_depctr 0xfff
	v_fma_f64 v[11:12], -v[4:5], v[8:9], 1.0
	v_fma_f64 v[8:9], v[8:9], v[11:12], v[8:9]
	s_delay_alu instid0(VALU_DEP_1) | instskip(NEXT) | instid1(VALU_DEP_1)
	v_fma_f64 v[11:12], -v[4:5], v[8:9], 1.0
	v_fma_f64 v[8:9], v[8:9], v[11:12], v[8:9]
	v_div_scale_f64 v[11:12], vcc_lo, 1.0, v[6:7], 1.0
	s_delay_alu instid0(VALU_DEP_1) | instskip(NEXT) | instid1(VALU_DEP_1)
	v_mul_f64 v[13:14], v[11:12], v[8:9]
	v_fma_f64 v[4:5], -v[4:5], v[13:14], v[11:12]
	s_delay_alu instid0(VALU_DEP_1) | instskip(NEXT) | instid1(VALU_DEP_1)
	v_div_fmas_f64 v[4:5], v[4:5], v[8:9], v[13:14]
	v_div_fixup_f64 v[4:5], v[4:5], v[6:7], 1.0
; %bb.84:
	s_or_b32 exec_lo, exec_lo, s1
.LBB129_85:
	ds_store_b64 v2, v[4:5]
.LBB129_86:
	s_or_b32 exec_lo, exec_lo, s0
	s_waitcnt lgkmcnt(0)
	s_barrier
	buffer_gl0_inv
	s_and_saveexec_b32 s5, s3
	s_cbranch_execz .LBB129_108
; %bb.87:
	v_lshl_add_u32 v2, v1, 3, v3
	v_add_nc_u32_e32 v6, 8, v3
	v_add_nc_u32_e32 v7, 0x90, v3
	;; [unrolled: 1-line block ×3, first 2 shown]
	s_mov_b32 s10, 0
	v_add_nc_u32_e32 v8, 0x80, v2
	v_add_nc_u32_e32 v9, 0x100, v2
	s_branch .LBB129_89
.LBB129_88:                             ;   in Loop: Header=BB129_89 Depth=1
	s_set_inst_prefetch_distance 0x2
	v_add_nc_u32_e32 v8, 0x100, v8
	v_add_nc_u32_e32 v6, 16, v6
	;; [unrolled: 1-line block ×4, first 2 shown]
	s_cmp_eq_u32 s10, 16
	s_cbranch_scc1 .LBB129_108
.LBB129_89:                             ; =>This Loop Header: Depth=1
                                        ;     Child Loop BB129_95 Depth 2
                                        ;     Child Loop BB129_104 Depth 2
	s_mov_b32 s11, exec_lo
                                        ; implicit-def: $sgpr0_sgpr1
                                        ; implicit-def: $sgpr12
	v_cmpx_ge_i32_e64 s10, v1
	s_xor_b32 s11, exec_lo, s11
; %bb.90:                               ;   in Loop: Header=BB129_89 Depth=1
	s_lshl_b32 s12, s10, 7
	s_mov_b64 s[0:1], 0
; %bb.91:                               ;   in Loop: Header=BB129_89 Depth=1
	s_or_saveexec_b32 s11, s11
	v_dual_mov_b32 v12, s12 :: v_dual_mov_b32 v5, s1
	v_mov_b32_e32 v4, s0
	s_xor_b32 exec_lo, exec_lo, s11
	s_cbranch_execz .LBB129_93
; %bb.92:                               ;   in Loop: Header=BB129_89 Depth=1
	s_delay_alu instid0(VALU_DEP_1) | instskip(SKIP_1) | instid1(SALU_CYCLE_1)
	v_mad_u64_u32 v[4:5], null, 0x88, s10, v[3:4]
	s_lshl_b32 s0, s10, 7
	v_add_nc_u32_e32 v5, s0, v2
	ds_load_b64 v[11:12], v5
	ds_load_b64 v[4:5], v4
	s_waitcnt lgkmcnt(0)
	v_fma_f64 v[4:5], v[11:12], v[4:5], 0
	v_mov_b32_e32 v12, s0
.LBB129_93:                             ;   in Loop: Header=BB129_89 Depth=1
	s_or_b32 exec_lo, exec_lo, s11
	s_delay_alu instid0(VALU_DEP_1) | instskip(SKIP_2) | instid1(SALU_CYCLE_1)
	v_add_nc_u32_e32 v11, v6, v12
	v_dual_mov_b32 v13, v8 :: v_dual_add_nc_u32 v12, v2, v12
	s_or_b32 s0, s10, 1
	s_mov_b32 s1, s0
	s_set_inst_prefetch_distance 0x1
	s_branch .LBB129_95
	.p2align	6
.LBB129_94:                             ;   in Loop: Header=BB129_95 Depth=2
	s_or_b32 exec_lo, exec_lo, s11
	v_add_nc_u32_e32 v13, 0x80, v13
	v_add_nc_u32_e32 v11, 8, v11
	s_add_i32 s11, s1, 1
	s_cmp_gt_u32 s1, 14
	s_mov_b32 s1, s11
	s_cbranch_scc1 .LBB129_99
.LBB129_95:                             ;   Parent Loop BB129_89 Depth=1
                                        ; =>  This Inner Loop Header: Depth=2
	s_mov_b32 s11, exec_lo
	v_cmpx_eq_u32_e64 s1, v1
	s_cbranch_execz .LBB129_97
; %bb.96:                               ;   in Loop: Header=BB129_95 Depth=2
	s_delay_alu instid0(VALU_DEP_4)
	v_add_f64 v[14:15], -v[4:5], 0
	ds_load_b64 v[16:17], v10
	s_waitcnt lgkmcnt(0)
	v_mul_f64 v[14:15], v[14:15], v[16:17]
	ds_store_b64 v12, v[14:15]
.LBB129_97:                             ;   in Loop: Header=BB129_95 Depth=2
	s_or_b32 exec_lo, exec_lo, s11
	s_delay_alu instid0(SALU_CYCLE_1)
	s_mov_b32 s11, exec_lo
	v_cmpx_lt_i32_e64 s1, v1
	s_cbranch_execz .LBB129_94
; %bb.98:                               ;   in Loop: Header=BB129_95 Depth=2
	ds_load_b64 v[14:15], v13
	ds_load_b64 v[16:17], v11
	s_waitcnt lgkmcnt(0)
	v_fma_f64 v[4:5], v[14:15], v[16:17], v[4:5]
	s_branch .LBB129_94
.LBB129_99:                             ;   in Loop: Header=BB129_89 Depth=1
	s_set_inst_prefetch_distance 0x2
	v_mov_b32_e32 v4, 0
	v_mov_b32_e32 v5, 0
	s_mov_b32 s1, exec_lo
	v_cmpx_lt_i32_e64 s0, v1
	s_cbranch_execz .LBB129_101
; %bb.100:                              ;   in Loop: Header=BB129_89 Depth=1
	v_mad_u64_u32 v[4:5], null, 0x88, s0, v[3:4]
	v_lshl_add_u32 v5, s0, 7, v2
	ds_load_b64 v[11:12], v5
	ds_load_b64 v[4:5], v4
	s_waitcnt lgkmcnt(0)
	v_fma_f64 v[4:5], v[11:12], v[4:5], 0
.LBB129_101:                            ;   in Loop: Header=BB129_89 Depth=1
	s_or_b32 exec_lo, exec_lo, s1
	s_add_i32 s10, s10, 2
	s_cmp_gt_u32 s0, 14
	s_cbranch_scc1 .LBB129_88
; %bb.102:                              ;   in Loop: Header=BB129_89 Depth=1
	s_lshl_b32 s0, s0, 7
	s_delay_alu instid0(SALU_CYCLE_1)
	v_dual_mov_b32 v11, v9 :: v_dual_add_nc_u32 v12, s0, v2
	v_mov_b32_e32 v13, v7
	s_mov_b32 s0, s10
	s_set_inst_prefetch_distance 0x1
	s_branch .LBB129_104
	.p2align	6
.LBB129_103:                            ;   in Loop: Header=BB129_104 Depth=2
	s_or_b32 exec_lo, exec_lo, s1
	v_add_nc_u32_e32 v13, 8, v13
	v_add_nc_u32_e32 v11, 0x80, v11
	s_add_i32 s1, s0, 1
	s_cmp_lt_u32 s0, 15
	s_mov_b32 s0, s1
	s_cbranch_scc0 .LBB129_88
.LBB129_104:                            ;   Parent Loop BB129_89 Depth=1
                                        ; =>  This Inner Loop Header: Depth=2
	s_mov_b32 s1, exec_lo
	v_cmpx_eq_u32_e64 s0, v1
	s_cbranch_execz .LBB129_106
; %bb.105:                              ;   in Loop: Header=BB129_104 Depth=2
	s_delay_alu instid0(VALU_DEP_4)
	v_add_f64 v[14:15], -v[4:5], 0
	ds_load_b64 v[16:17], v10
	s_waitcnt lgkmcnt(0)
	v_mul_f64 v[14:15], v[14:15], v[16:17]
	ds_store_b64 v12, v[14:15]
.LBB129_106:                            ;   in Loop: Header=BB129_104 Depth=2
	s_or_b32 exec_lo, exec_lo, s1
	s_delay_alu instid0(SALU_CYCLE_1)
	s_mov_b32 s1, exec_lo
	v_cmpx_lt_i32_e64 s0, v1
	s_cbranch_execz .LBB129_103
; %bb.107:                              ;   in Loop: Header=BB129_104 Depth=2
	ds_load_b64 v[14:15], v11
	ds_load_b64 v[16:17], v13
	s_waitcnt lgkmcnt(0)
	v_fma_f64 v[4:5], v[14:15], v[16:17], v[4:5]
	s_branch .LBB129_103
.LBB129_108:
	s_or_b32 exec_lo, exec_lo, s5
	s_cmpk_lg_i32 s4, 0x7a
	v_and_b32_e32 v2, 15, v0
	v_lshrrev_b32_e32 v6, 4, v0
	v_cmp_gt_u32_e64 s0, 0x100, v0
	s_cselect_b32 s1, -1, 0
	s_waitcnt lgkmcnt(0)
	s_and_b32 vcc_lo, exec_lo, s1
	s_barrier
	buffer_gl0_inv
	s_cbranch_vccz .LBB129_119
; %bb.109:
	s_mov_b32 s4, 0
	s_mov_b32 s10, 0
                                        ; implicit-def: $vgpr4_vgpr5
	s_and_saveexec_b32 s5, s0
	s_cbranch_execz .LBB129_120
; %bb.110:
	v_dual_mov_b32 v4, 0 :: v_dual_and_b32 v7, 0xf0, v0
	v_add_nc_u32_e32 v9, 1, v6
	v_mov_b32_e32 v5, 0
	s_mov_b32 s10, exec_lo
	s_delay_alu instid0(VALU_DEP_3)
	v_xor_b32_e32 v8, 0xff, v7
	v_mov_b32_e32 v7, 0
	v_cmpx_lt_u32_e32 0x6f, v0
	s_cbranch_execz .LBB129_114
; %bb.111:
	v_dual_mov_b32 v4, 0 :: v_dual_and_b32 v7, 24, v9
	v_dual_mov_b32 v5, 0 :: v_dual_lshlrev_b32 v10, 3, v2
	v_lshl_add_u32 v11, v8, 3, 0x17c8
	s_mov_b32 s11, 0
	s_mov_b32 s12, 0
	s_set_inst_prefetch_distance 0x1
	.p2align	6
.LBB129_112:                            ; =>This Inner Loop Header: Depth=1
	ds_load_2addr_b64 v[12:15], v10 offset1:16
	ds_load_b128 v[16:19], v11 offset:48
	ds_load_b128 v[20:23], v11 offset:32
	s_add_i32 s12, s12, 8
	s_delay_alu instid0(SALU_CYCLE_1) | instskip(SKIP_3) | instid1(VALU_DEP_1)
	v_cmp_eq_u32_e32 vcc_lo, s12, v7
	s_or_b32 s11, vcc_lo, s11
	s_waitcnt lgkmcnt(1)
	v_fma_f64 v[4:5], v[12:13], v[18:19], v[4:5]
	v_fma_f64 v[4:5], v[14:15], v[16:17], v[4:5]
	ds_load_2addr_b64 v[12:15], v10 offset0:32 offset1:48
	s_waitcnt lgkmcnt(0)
	v_fma_f64 v[4:5], v[12:13], v[22:23], v[4:5]
	s_delay_alu instid0(VALU_DEP_1)
	v_fma_f64 v[4:5], v[14:15], v[20:21], v[4:5]
	ds_load_b128 v[12:15], v11 offset:16
	ds_load_2addr_b64 v[16:19], v10 offset0:64 offset1:80
	ds_load_b128 v[20:23], v11
	v_subrev_nc_u32_e32 v11, 64, v11
	s_waitcnt lgkmcnt(1)
	v_fma_f64 v[4:5], v[16:17], v[14:15], v[4:5]
	s_delay_alu instid0(VALU_DEP_1) | instskip(SKIP_4) | instid1(VALU_DEP_1)
	v_fma_f64 v[4:5], v[18:19], v[12:13], v[4:5]
	ds_load_2addr_b64 v[12:15], v10 offset0:96 offset1:112
	v_add_nc_u32_e32 v10, 0x400, v10
	s_waitcnt lgkmcnt(0)
	v_fma_f64 v[4:5], v[12:13], v[22:23], v[4:5]
	v_fma_f64 v[4:5], v[14:15], v[20:21], v[4:5]
	s_and_not1_b32 exec_lo, exec_lo, s11
	s_cbranch_execnz .LBB129_112
; %bb.113:
	s_set_inst_prefetch_distance 0x2
	s_or_b32 exec_lo, exec_lo, s11
.LBB129_114:
	s_delay_alu instid0(SALU_CYCLE_1) | instskip(SKIP_3) | instid1(VALU_DEP_1)
	s_or_b32 exec_lo, exec_lo, s10
	v_and_b32_e32 v9, 7, v9
	s_mov_b32 s11, 0
	s_mov_b32 s10, exec_lo
	v_cmpx_ne_u32_e32 0, v9
	s_cbranch_execz .LBB129_118
; %bb.115:
	v_lshlrev_b32_e32 v8, 3, v8
	v_lshlrev_b32_e32 v10, 3, v7
	s_delay_alu instid0(VALU_DEP_1) | instskip(SKIP_1) | instid1(VALU_DEP_2)
	v_sub_nc_u32_e32 v8, v8, v10
	v_lshlrev_b32_e32 v10, 3, v2
	v_add_nc_u32_e32 v8, 0x1800, v8
	s_delay_alu instid0(VALU_DEP_2)
	v_lshl_or_b32 v7, v7, 7, v10
.LBB129_116:                            ; =>This Inner Loop Header: Depth=1
	ds_load_b64 v[10:11], v7
	ds_load_b64 v[12:13], v8
	v_add_nc_u32_e32 v9, -1, v9
	v_add_nc_u32_e32 v8, -8, v8
	v_add_nc_u32_e32 v7, 0x80, v7
	s_delay_alu instid0(VALU_DEP_3)
	v_cmp_eq_u32_e32 vcc_lo, 0, v9
	s_or_b32 s11, vcc_lo, s11
	s_waitcnt lgkmcnt(0)
	v_fma_f64 v[4:5], v[10:11], v[12:13], v[4:5]
	s_and_not1_b32 exec_lo, exec_lo, s11
	s_cbranch_execnz .LBB129_116
; %bb.117:
	s_or_b32 exec_lo, exec_lo, s11
.LBB129_118:
	s_delay_alu instid0(SALU_CYCLE_1) | instskip(NEXT) | instid1(SALU_CYCLE_1)
	s_or_b32 exec_lo, exec_lo, s10
	s_mov_b32 s10, exec_lo
	s_or_b32 exec_lo, exec_lo, s5
	s_delay_alu instid0(SALU_CYCLE_1)
	s_and_b32 vcc_lo, exec_lo, s4
	s_cbranch_vccnz .LBB129_121
	s_branch .LBB129_126
.LBB129_119:
	s_mov_b32 s10, 0
                                        ; implicit-def: $vgpr4_vgpr5
	s_cbranch_execnz .LBB129_121
	s_branch .LBB129_126
.LBB129_120:
	s_or_b32 exec_lo, exec_lo, s5
	s_delay_alu instid0(SALU_CYCLE_1)
	s_and_b32 vcc_lo, exec_lo, s4
	s_cbranch_vccz .LBB129_126
.LBB129_121:
                                        ; implicit-def: $vgpr4_vgpr5
	s_and_saveexec_b32 s4, s0
	s_cbranch_execz .LBB129_125
; %bb.122:
	v_lshlrev_b32_e32 v4, 3, v0
	v_lshlrev_b32_e32 v8, 3, v6
	;; [unrolled: 1-line block ×3, first 2 shown]
	v_add_nc_u32_e32 v7, -1, v6
	s_mov_b32 s5, 0
	v_dual_mov_b32 v4, 0 :: v_dual_and_b32 v9, 0x780, v4
	v_mov_b32_e32 v5, 0
	s_delay_alu instid0(VALU_DEP_2)
	v_or3_b32 v8, v9, v8, 0x1000
	v_lshl_or_b32 v9, v6, 7, v10
.LBB129_123:                            ; =>This Inner Loop Header: Depth=1
	ds_load_b64 v[10:11], v9
	ds_load_b64 v[12:13], v8
	v_add_nc_u32_e32 v7, 1, v7
	v_add_nc_u32_e32 v8, 8, v8
	;; [unrolled: 1-line block ×3, first 2 shown]
	s_delay_alu instid0(VALU_DEP_3)
	v_cmp_lt_u32_e32 vcc_lo, 14, v7
	s_or_b32 s5, vcc_lo, s5
	s_waitcnt lgkmcnt(0)
	v_fma_f64 v[4:5], v[10:11], v[12:13], v[4:5]
	s_and_not1_b32 exec_lo, exec_lo, s5
	s_cbranch_execnz .LBB129_123
; %bb.124:
	s_or_b32 exec_lo, exec_lo, s5
	s_delay_alu instid0(SALU_CYCLE_1)
	s_or_b32 s10, s10, exec_lo
.LBB129_125:
	s_or_b32 exec_lo, exec_lo, s4
.LBB129_126:
	s_and_saveexec_b32 s4, s10
	s_cbranch_execz .LBB129_128
; %bb.127:
	v_lshlrev_b32_e32 v7, 3, v0
	ds_store_b64 v7, v[4:5] offset:2048
.LBB129_128:
	s_or_b32 exec_lo, exec_lo, s4
	s_bfe_u32 s4, s14, 0x1d0002
	s_and_b32 s10, s15, 6
	s_mov_b32 s5, 0
	s_mul_i32 s12, s10, 0x4080
	s_lshl_b64 s[10:11], s[4:5], 17
	s_waitcnt lgkmcnt(0)
	s_or_b32 s4, s10, s12
	s_barrier
	s_add_u32 s4, s8, s4
	s_addc_u32 s8, s9, s11
	s_lshl_b64 s[6:7], s[6:7], 3
	buffer_gl0_inv
	s_add_u32 s4, s4, s6
	s_addc_u32 s6, s8, s7
	s_and_b32 vcc_lo, exec_lo, s1
	s_cbranch_vccz .LBB129_134
; %bb.129:
	s_mov_b32 s7, 0
                                        ; implicit-def: $vgpr4_vgpr5
                                        ; implicit-def: $sgpr8
	s_and_saveexec_b32 s9, s0
	s_cbranch_execz .LBB129_133
; %bb.130:
	v_xor_b32_e32 v4, 0xff, v2
	v_lshlrev_b32_e32 v5, 3, v0
	v_lshlrev_b32_e32 v7, 7, v2
	;; [unrolled: 1-line block ×3, first 2 shown]
	s_delay_alu instid0(VALU_DEP_4) | instskip(NEXT) | instid1(VALU_DEP_4)
	v_lshlrev_b32_e32 v4, 3, v4
	v_and_b32_e32 v5, 0x780, v5
	s_delay_alu instid0(VALU_DEP_2) | instskip(NEXT) | instid1(VALU_DEP_2)
	v_sub_nc_u32_e32 v9, v4, v7
	v_or3_b32 v8, v5, v8, 0x800
	v_mov_b32_e32 v4, 0
	v_mov_b32_e32 v5, 0
	v_add_nc_u32_e32 v7, -1, v2
	v_or_b32_e32 v9, 0x1000, v9
.LBB129_131:                            ; =>This Inner Loop Header: Depth=1
	ds_load_b64 v[10:11], v9
	ds_load_b64 v[12:13], v8
	v_add_nc_u32_e32 v7, 1, v7
	v_add_nc_u32_e32 v8, 8, v8
	;; [unrolled: 1-line block ×3, first 2 shown]
	s_delay_alu instid0(VALU_DEP_3)
	v_cmp_lt_u32_e32 vcc_lo, 14, v7
	s_or_b32 s5, vcc_lo, s5
	s_waitcnt lgkmcnt(0)
	v_fma_f64 v[4:5], -v[10:11], v[12:13], v[4:5]
	s_and_not1_b32 exec_lo, exec_lo, s5
	s_cbranch_execnz .LBB129_131
; %bb.132:
	s_or_b32 exec_lo, exec_lo, s5
	s_delay_alu instid0(SALU_CYCLE_1)
	s_mov_b32 s5, exec_lo
	s_movk_i32 s8, 0x800
.LBB129_133:
	s_or_b32 exec_lo, exec_lo, s9
	s_delay_alu instid0(SALU_CYCLE_1)
	s_and_b32 vcc_lo, exec_lo, s7
	s_cbranch_vccnz .LBB129_135
	s_branch .LBB129_146
.LBB129_134:
                                        ; implicit-def: $vgpr4_vgpr5
                                        ; implicit-def: $sgpr8
	s_cbranch_execz .LBB129_146
.LBB129_135:
                                        ; implicit-def: $vgpr4_vgpr5
                                        ; implicit-def: $sgpr8
	s_and_saveexec_b32 s7, s0
	s_cbranch_execz .LBB129_145
; %bb.136:
	v_dual_mov_b32 v4, 0 :: v_dual_mov_b32 v7, 0
	v_dual_mov_b32 v5, 0 :: v_dual_add_nc_u32 v8, 1, v2
	v_lshlrev_b32_e32 v0, 3, v0
	s_mov_b32 s0, exec_lo
	v_cmpx_lt_u32_e32 6, v2
	s_cbranch_execz .LBB129_140
; %bb.137:
	s_movk_i32 s8, 0x780
	v_dual_mov_b32 v4, 0 :: v_dual_and_b32 v7, 24, v8
	v_lshl_or_b32 v9, v2, 3, 0x1800
	v_mov_b32_e32 v5, 0
	v_and_or_b32 v10, v0, s8, 0x800
	s_mov_b32 s8, 0
	s_mov_b32 s9, 0
	s_set_inst_prefetch_distance 0x1
	.p2align	6
.LBB129_138:                            ; =>This Inner Loop Header: Depth=1
	ds_load_2addr_b64 v[11:14], v9 offset1:16
	ds_load_b128 v[15:18], v10
	ds_load_b128 v[19:22], v10 offset:16
	s_add_i32 s9, s9, 8
	s_delay_alu instid0(SALU_CYCLE_1) | instskip(SKIP_3) | instid1(VALU_DEP_1)
	v_cmp_eq_u32_e32 vcc_lo, s9, v7
	s_or_b32 s8, vcc_lo, s8
	s_waitcnt lgkmcnt(1)
	v_fma_f64 v[4:5], -v[11:12], v[15:16], v[4:5]
	v_fma_f64 v[4:5], -v[13:14], v[17:18], v[4:5]
	ds_load_2addr_b64 v[11:14], v9 offset0:32 offset1:48
	s_waitcnt lgkmcnt(0)
	v_fma_f64 v[4:5], -v[11:12], v[19:20], v[4:5]
	s_delay_alu instid0(VALU_DEP_1)
	v_fma_f64 v[4:5], -v[13:14], v[21:22], v[4:5]
	ds_load_2addr_b64 v[11:14], v9 offset0:64 offset1:80
	ds_load_b128 v[15:18], v10 offset:32
	ds_load_b128 v[19:22], v10 offset:48
	v_add_nc_u32_e32 v10, 64, v10
	s_waitcnt lgkmcnt(1)
	v_fma_f64 v[4:5], -v[11:12], v[15:16], v[4:5]
	s_delay_alu instid0(VALU_DEP_1) | instskip(SKIP_4) | instid1(VALU_DEP_1)
	v_fma_f64 v[4:5], -v[13:14], v[17:18], v[4:5]
	ds_load_2addr_b64 v[11:14], v9 offset0:96 offset1:112
	v_add_nc_u32_e32 v9, 0x400, v9
	s_waitcnt lgkmcnt(0)
	v_fma_f64 v[4:5], -v[11:12], v[19:20], v[4:5]
	v_fma_f64 v[4:5], -v[13:14], v[21:22], v[4:5]
	s_and_not1_b32 exec_lo, exec_lo, s8
	s_cbranch_execnz .LBB129_138
; %bb.139:
	s_set_inst_prefetch_distance 0x2
	s_or_b32 exec_lo, exec_lo, s8
.LBB129_140:
	s_delay_alu instid0(SALU_CYCLE_1) | instskip(SKIP_3) | instid1(VALU_DEP_1)
	s_or_b32 exec_lo, exec_lo, s0
	v_and_b32_e32 v8, 7, v8
	s_mov_b32 s8, 0
	s_mov_b32 s0, exec_lo
	v_cmpx_ne_u32_e32 0, v8
	s_cbranch_execz .LBB129_144
; %bb.141:
	v_lshlrev_b32_e32 v9, 3, v2
	v_and_b32_e32 v0, 0x780, v0
	v_lshlrev_b32_e32 v10, 3, v7
	s_delay_alu instid0(VALU_DEP_3) | instskip(NEXT) | instid1(VALU_DEP_2)
	v_lshl_or_b32 v7, v7, 7, v9
	v_add3_u32 v0, v0, v10, 0x800
	s_delay_alu instid0(VALU_DEP_2)
	v_add_nc_u32_e32 v7, 0x1800, v7
.LBB129_142:                            ; =>This Inner Loop Header: Depth=1
	ds_load_b64 v[9:10], v7
	ds_load_b64 v[11:12], v0
	v_add_nc_u32_e32 v8, -1, v8
	v_add_nc_u32_e32 v0, 8, v0
	v_add_nc_u32_e32 v7, 0x80, v7
	s_delay_alu instid0(VALU_DEP_3)
	v_cmp_eq_u32_e32 vcc_lo, 0, v8
	s_or_b32 s8, vcc_lo, s8
	s_waitcnt lgkmcnt(0)
	v_fma_f64 v[4:5], -v[9:10], v[11:12], v[4:5]
	s_and_not1_b32 exec_lo, exec_lo, s8
	s_cbranch_execnz .LBB129_142
; %bb.143:
	s_or_b32 exec_lo, exec_lo, s8
.LBB129_144:
	s_delay_alu instid0(SALU_CYCLE_1)
	s_or_b32 exec_lo, exec_lo, s0
	s_mov_b32 s8, 16
	s_or_b32 s5, s5, exec_lo
.LBB129_145:
	s_or_b32 exec_lo, exec_lo, s7
.LBB129_146:
	s_and_saveexec_b32 s0, s5
	s_cbranch_execnz .LBB129_148
; %bb.147:
	s_or_b32 exec_lo, exec_lo, s0
	s_and_saveexec_b32 s0, s3
	s_cbranch_execnz .LBB129_149
	s_branch .LBB129_158
.LBB129_148:
	v_dual_mov_b32 v7, 0 :: v_dual_lshlrev_b32 v0, 7, v6
	s_delay_alu instid0(VALU_DEP_1) | instskip(NEXT) | instid1(VALU_DEP_1)
	v_or3_b32 v6, v0, s8, v2
	v_lshlrev_b64 v[6:7], 3, v[6:7]
	s_delay_alu instid0(VALU_DEP_1) | instskip(NEXT) | instid1(VALU_DEP_2)
	v_add_co_u32 v6, vcc_lo, s4, v6
	v_add_co_ci_u32_e32 v7, vcc_lo, s6, v7, vcc_lo
	global_store_b64 v[6:7], v[4:5], off
	s_or_b32 exec_lo, exec_lo, s0
	s_and_saveexec_b32 s0, s3
	s_cbranch_execz .LBB129_158
.LBB129_149:
	v_cndmask_b32_e64 v0, 0x810, 0, s2
	s_and_not1_b32 vcc_lo, exec_lo, s1
	s_mov_b32 s0, -1
	s_cbranch_vccnz .LBB129_154
; %bb.150:
	s_mov_b32 s2, 16
	s_mov_b32 s1, exec_lo
	v_cmpx_gt_i32_e32 16, v1
	s_cbranch_execz .LBB129_153
; %bb.151:
	v_dual_mov_b32 v2, 0 :: v_dual_lshlrev_b32 v7, 3, v1
	v_lshlrev_b32_e32 v6, 3, v0
	s_mov_b32 s3, 0
	s_mov_b32 s5, 0
	s_delay_alu instid0(VALU_DEP_2) | instskip(SKIP_2) | instid1(VALU_DEP_1)
	v_lshlrev_b64 v[4:5], 3, v[1:2]
	v_sub_nc_u32_e32 v7, v3, v7
	v_add_co_u32 v2, s0, s4, v6
	v_add_co_ci_u32_e64 v6, null, s6, 0, s0
	s_delay_alu instid0(VALU_DEP_2) | instskip(NEXT) | instid1(VALU_DEP_2)
	v_add_co_u32 v2, vcc_lo, v2, v4
	v_add_co_ci_u32_e32 v4, vcc_lo, v6, v5, vcc_lo
	v_add_nc_u32_e32 v5, 0x78, v7
.LBB129_152:                            ; =>This Inner Loop Header: Depth=1
	ds_load_b64 v[6:7], v5
	s_add_i32 s2, s2, -1
	v_add_nc_u32_e32 v5, 0x80, v5
	s_lshl_b64 s[8:9], s[2:3], 10
	v_cmp_le_i32_e32 vcc_lo, s2, v1
	v_add_co_u32 v8, s0, v2, s8
	s_delay_alu instid0(VALU_DEP_1)
	v_add_co_ci_u32_e64 v9, s0, s9, v4, s0
	s_or_b32 s5, vcc_lo, s5
	s_waitcnt lgkmcnt(0)
	global_store_b64 v[8:9], v[6:7], off
	s_and_not1_b32 exec_lo, exec_lo, s5
	s_cbranch_execnz .LBB129_152
.LBB129_153:
	s_or_b32 exec_lo, exec_lo, s1
	s_mov_b32 s0, 0
.LBB129_154:
	s_delay_alu instid0(SALU_CYCLE_1)
	s_and_not1_b32 vcc_lo, exec_lo, s0
	s_cbranch_vccnz .LBB129_158
; %bb.155:
	v_cmp_lt_i32_e32 vcc_lo, -1, v1
	s_and_b32 exec_lo, exec_lo, vcc_lo
	s_cbranch_execz .LBB129_158
; %bb.156:
	v_mov_b32_e32 v2, 0
	v_lshlrev_b32_e32 v0, 3, v0
	s_mov_b32 s1, 0
	s_delay_alu instid0(VALU_DEP_2) | instskip(NEXT) | instid1(VALU_DEP_2)
	v_lshlrev_b64 v[4:5], 3, v[1:2]
	v_add_co_u32 v2, s0, s4, v0
	s_delay_alu instid0(VALU_DEP_1) | instskip(SKIP_2) | instid1(VALU_DEP_4)
	v_add_co_ci_u32_e64 v6, null, s6, 0, s0
	v_lshl_add_u32 v0, v1, 3, v3
	v_add_nc_u32_e32 v1, 1, v1
	v_add_co_u32 v2, vcc_lo, v2, v4
	s_delay_alu instid0(VALU_DEP_4)
	v_add_co_ci_u32_e32 v3, vcc_lo, v6, v5, vcc_lo
.LBB129_157:                            ; =>This Inner Loop Header: Depth=1
	ds_load_b64 v[4:5], v0
	v_add_nc_u32_e32 v1, -1, v1
	v_add_nc_u32_e32 v0, 0x80, v0
	s_delay_alu instid0(VALU_DEP_2) | instskip(SKIP_4) | instid1(VALU_DEP_1)
	v_cmp_eq_u32_e32 vcc_lo, 0, v1
	s_or_b32 s1, vcc_lo, s1
	s_waitcnt lgkmcnt(0)
	global_store_b64 v[2:3], v[4:5], off
	v_add_co_u32 v2, s0, 0x400, v2
	v_add_co_ci_u32_e64 v3, s0, 0, v3, s0
	s_and_not1_b32 exec_lo, exec_lo, s1
	s_cbranch_execnz .LBB129_157
.LBB129_158:
	s_nop 0
	s_sendmsg sendmsg(MSG_DEALLOC_VGPRS)
	s_endpgm
	.section	.rodata,"a",@progbits
	.p2align	6, 0x0
	.amdhsa_kernel _ZL25rocblas_trtri_trsm_kernelILi128ELi16ELi8EdPKPKdPKPdEv13rocblas_fill_17rocblas_diagonal_T3_lilT4_lli
		.amdhsa_group_segment_fixed_size 8192
		.amdhsa_private_segment_fixed_size 0
		.amdhsa_kernarg_size 68
		.amdhsa_user_sgpr_count 14
		.amdhsa_user_sgpr_dispatch_ptr 0
		.amdhsa_user_sgpr_queue_ptr 0
		.amdhsa_user_sgpr_kernarg_segment_ptr 1
		.amdhsa_user_sgpr_dispatch_id 0
		.amdhsa_user_sgpr_private_segment_size 0
		.amdhsa_wavefront_size32 1
		.amdhsa_uses_dynamic_stack 0
		.amdhsa_enable_private_segment 0
		.amdhsa_system_sgpr_workgroup_id_x 1
		.amdhsa_system_sgpr_workgroup_id_y 0
		.amdhsa_system_sgpr_workgroup_id_z 1
		.amdhsa_system_sgpr_workgroup_info 0
		.amdhsa_system_vgpr_workitem_id 0
		.amdhsa_next_free_vgpr 38
		.amdhsa_next_free_sgpr 24
		.amdhsa_reserve_vcc 1
		.amdhsa_float_round_mode_32 0
		.amdhsa_float_round_mode_16_64 0
		.amdhsa_float_denorm_mode_32 3
		.amdhsa_float_denorm_mode_16_64 3
		.amdhsa_dx10_clamp 1
		.amdhsa_ieee_mode 1
		.amdhsa_fp16_overflow 0
		.amdhsa_workgroup_processor_mode 1
		.amdhsa_memory_ordered 1
		.amdhsa_forward_progress 0
		.amdhsa_shared_vgpr_count 0
		.amdhsa_exception_fp_ieee_invalid_op 0
		.amdhsa_exception_fp_denorm_src 0
		.amdhsa_exception_fp_ieee_div_zero 0
		.amdhsa_exception_fp_ieee_overflow 0
		.amdhsa_exception_fp_ieee_underflow 0
		.amdhsa_exception_fp_ieee_inexact 0
		.amdhsa_exception_int_div_zero 0
	.end_amdhsa_kernel
	.section	.text._ZL25rocblas_trtri_trsm_kernelILi128ELi16ELi8EdPKPKdPKPdEv13rocblas_fill_17rocblas_diagonal_T3_lilT4_lli,"axG",@progbits,_ZL25rocblas_trtri_trsm_kernelILi128ELi16ELi8EdPKPKdPKPdEv13rocblas_fill_17rocblas_diagonal_T3_lilT4_lli,comdat
.Lfunc_end129:
	.size	_ZL25rocblas_trtri_trsm_kernelILi128ELi16ELi8EdPKPKdPKPdEv13rocblas_fill_17rocblas_diagonal_T3_lilT4_lli, .Lfunc_end129-_ZL25rocblas_trtri_trsm_kernelILi128ELi16ELi8EdPKPKdPKPdEv13rocblas_fill_17rocblas_diagonal_T3_lilT4_lli
                                        ; -- End function
	.section	.AMDGPU.csdata,"",@progbits
; Kernel info:
; codeLenInByte = 6288
; NumSgprs: 26
; NumVgprs: 38
; ScratchSize: 0
; MemoryBound: 0
; FloatMode: 240
; IeeeMode: 1
; LDSByteSize: 8192 bytes/workgroup (compile time only)
; SGPRBlocks: 3
; VGPRBlocks: 4
; NumSGPRsForWavesPerEU: 26
; NumVGPRsForWavesPerEU: 38
; Occupancy: 16
; WaveLimiterHint : 1
; COMPUTE_PGM_RSRC2:SCRATCH_EN: 0
; COMPUTE_PGM_RSRC2:USER_SGPR: 14
; COMPUTE_PGM_RSRC2:TRAP_HANDLER: 0
; COMPUTE_PGM_RSRC2:TGID_X_EN: 1
; COMPUTE_PGM_RSRC2:TGID_Y_EN: 0
; COMPUTE_PGM_RSRC2:TGID_Z_EN: 1
; COMPUTE_PGM_RSRC2:TIDIG_COMP_CNT: 0
	.section	.text._ZL18rocblas_trtri_fillILi128EdPKPdEvP15_rocblas_handle13rocblas_fill_ililT1_llii,"axG",@progbits,_ZL18rocblas_trtri_fillILi128EdPKPdEvP15_rocblas_handle13rocblas_fill_ililT1_llii,comdat
	.globl	_ZL18rocblas_trtri_fillILi128EdPKPdEvP15_rocblas_handle13rocblas_fill_ililT1_llii ; -- Begin function _ZL18rocblas_trtri_fillILi128EdPKPdEvP15_rocblas_handle13rocblas_fill_ililT1_llii
	.p2align	8
	.type	_ZL18rocblas_trtri_fillILi128EdPKPdEvP15_rocblas_handle13rocblas_fill_ililT1_llii,@function
_ZL18rocblas_trtri_fillILi128EdPKPdEvP15_rocblas_handle13rocblas_fill_ililT1_llii: ; @_ZL18rocblas_trtri_fillILi128EdPKPdEvP15_rocblas_handle13rocblas_fill_ililT1_llii
; %bb.0:
	s_clause 0x1
	s_load_b64 s[2:3], s[0:1], 0x10
	s_load_b32 s6, s[0:1], 0x40
	s_mov_b32 s12, s15
	s_mov_b32 s15, 0
	s_delay_alu instid0(SALU_CYCLE_1) | instskip(NEXT) | instid1(SALU_CYCLE_1)
	s_lshl_b64 s[4:5], s[14:15], 7
	v_mov_b32_e32 v1, s5
	v_or_b32_e32 v0, s4, v0
	s_waitcnt lgkmcnt(0)
	s_mul_i32 s4, s6, s3
	s_mul_hi_u32 s5, s6, s2
	s_ashr_i32 s7, s6, 31
	s_add_i32 s4, s5, s4
	s_mul_i32 s7, s7, s2
	s_mul_i32 s8, s6, s2
	s_add_i32 s9, s4, s7
	s_mov_b32 s4, exec_lo
	v_cmpx_gt_u64_e64 s[8:9], v[0:1]
	s_cbranch_execz .LBB130_16
; %bb.1:
	s_clause 0x1
	s_load_b32 s10, s[0:1], 0x18
	s_load_b128 s[4:7], s[0:1], 0x20
	s_mov_b32 s13, s15
	s_load_b64 s[16:17], s[0:1], 0x30
	s_lshl_b64 s[12:13], s[12:13], 3
	v_cvt_f32_u32_e32 v4, s2
	v_cvt_f32_u32_e32 v2, s2
	;; [unrolled: 1-line block ×3, first 2 shown]
	s_delay_alu instid0(VALU_DEP_3) | instskip(NEXT) | instid1(VALU_DEP_1)
	v_rcp_iflag_f32_e32 v4, v4
	v_fmamk_f32 v5, v3, 0x4f800000, v2
	s_delay_alu instid0(VALU_DEP_1)
	v_rcp_f32_e32 v5, v5
	s_waitcnt_depctr 0xfff
	v_mul_f32_e32 v4, 0x4f7ffffe, v4
	s_waitcnt lgkmcnt(0)
	s_ashr_i32 s11, s10, 31
	s_add_u32 s6, s6, s12
	s_addc_u32 s7, s7, s13
	s_load_b64 s[12:13], s[6:7], 0x0
	s_load_b64 s[6:7], s[0:1], 0x8
	s_lshl_b64 s[16:17], s[16:17], 3
	v_cvt_u32_f32_e32 v6, v4
	v_mul_f32_e32 v5, 0x5f7ffffc, v5
	s_clause 0x1
	s_load_b32 s20, s[0:1], 0x48
	s_load_b32 s0, s[0:1], 0x54
	s_delay_alu instid0(VALU_DEP_1) | instskip(NEXT) | instid1(VALU_DEP_1)
	v_mul_f32_e32 v4, 0x2f800000, v5
	v_trunc_f32_e32 v8, v4
	s_delay_alu instid0(VALU_DEP_1)
	v_dual_mov_b32 v4, 0 :: v_dual_fmamk_f32 v5, v8, 0xcf800000, v5
	s_waitcnt lgkmcnt(0)
	s_add_u32 s14, s12, s16
	s_addc_u32 s16, s13, s17
	s_add_i32 s12, s7, -2
	s_ashr_i32 s17, s7, 31
	v_cvt_f64_i32_e32 v[2:3], s12
	s_add_i32 s12, s7, -1
	v_cvt_u32_f32_e32 v11, v5
	s_mul_hi_i32 s13, s12, s7
	s_mul_i32 s12, s12, s7
	v_cvt_u32_f32_e32 v12, v8
	s_lshl_b64 s[18:19], s[12:13], 2
	s_delay_alu instid0(SALU_CYCLE_1)
	s_add_u32 s1, s18, -7
	s_addc_u32 s18, s19, -1
	s_sub_i32 s19, 0, s2
	s_and_b32 s0, s0, 0xffff
	v_mul_lo_u32 v7, s19, v6
	s_lshr_b64 s[12:13], s[12:13], 1
	s_mul_hi_u32 s19, s0, s20
	s_mul_i32 s20, s0, s20
	s_delay_alu instid0(VALU_DEP_1) | instskip(NEXT) | instid1(VALU_DEP_1)
	v_mul_hi_u32 v7, v6, v7
	v_add_nc_u32_e32 v13, v6, v7
	s_branch .LBB130_3
.LBB130_2:                              ;   in Loop: Header=BB130_3 Depth=1
	v_add_co_u32 v0, vcc_lo, v0, s20
	v_add_co_ci_u32_e32 v1, vcc_lo, s19, v1, vcc_lo
	s_delay_alu instid0(VALU_DEP_1) | instskip(SKIP_1) | instid1(SALU_CYCLE_1)
	v_cmp_le_u64_e32 vcc_lo, s[8:9], v[0:1]
	s_or_b32 s15, vcc_lo, s15
	s_and_not1_b32 exec_lo, exec_lo, s15
	s_cbranch_execz .LBB130_16
.LBB130_3:                              ; =>This Inner Loop Header: Depth=1
	v_or_b32_e32 v5, s3, v1
	s_delay_alu instid0(VALU_DEP_1) | instskip(SKIP_1) | instid1(SALU_CYCLE_1)
	v_cmp_ne_u64_e32 vcc_lo, 0, v[4:5]
                                        ; implicit-def: $vgpr5_vgpr6
	s_and_saveexec_b32 s0, vcc_lo
	s_xor_b32 s21, exec_lo, s0
	s_cbranch_execz .LBB130_5
; %bb.4:                                ;   in Loop: Header=BB130_3 Depth=1
	s_sub_u32 s0, 0, s2
	s_subb_u32 s22, 0, s3
	v_mul_hi_u32 v5, s0, v11
	v_mul_lo_u32 v6, s0, v12
	v_mul_lo_u32 v7, s22, v11
	s_delay_alu instid0(VALU_DEP_2) | instskip(SKIP_1) | instid1(VALU_DEP_2)
	v_add_nc_u32_e32 v5, v5, v6
	v_mul_lo_u32 v6, s0, v11
	v_add_nc_u32_e32 v5, v5, v7
	s_delay_alu instid0(VALU_DEP_2) | instskip(NEXT) | instid1(VALU_DEP_2)
	v_mul_hi_u32 v7, v11, v6
	v_mul_lo_u32 v8, v11, v5
	v_mul_hi_u32 v9, v11, v5
	v_mul_hi_u32 v10, v12, v6
	v_mul_lo_u32 v6, v12, v6
	v_mul_hi_u32 v14, v12, v5
	v_mul_lo_u32 v5, v12, v5
	v_add_co_u32 v7, vcc_lo, v7, v8
	v_add_co_ci_u32_e32 v8, vcc_lo, 0, v9, vcc_lo
	s_delay_alu instid0(VALU_DEP_2) | instskip(NEXT) | instid1(VALU_DEP_2)
	v_add_co_u32 v6, vcc_lo, v7, v6
	v_add_co_ci_u32_e32 v6, vcc_lo, v8, v10, vcc_lo
	v_add_co_ci_u32_e32 v7, vcc_lo, 0, v14, vcc_lo
	s_delay_alu instid0(VALU_DEP_2) | instskip(NEXT) | instid1(VALU_DEP_2)
	v_add_co_u32 v5, vcc_lo, v6, v5
	v_add_co_ci_u32_e32 v6, vcc_lo, 0, v7, vcc_lo
	s_delay_alu instid0(VALU_DEP_2) | instskip(NEXT) | instid1(VALU_DEP_2)
	v_add_co_u32 v5, vcc_lo, v11, v5
	v_add_co_ci_u32_e32 v6, vcc_lo, v12, v6, vcc_lo
	s_delay_alu instid0(VALU_DEP_2) | instskip(SKIP_1) | instid1(VALU_DEP_3)
	v_mul_hi_u32 v7, s0, v5
	v_mul_lo_u32 v9, s22, v5
	v_mul_lo_u32 v8, s0, v6
	s_delay_alu instid0(VALU_DEP_1) | instskip(SKIP_1) | instid1(VALU_DEP_2)
	v_add_nc_u32_e32 v7, v7, v8
	v_mul_lo_u32 v8, s0, v5
	v_add_nc_u32_e32 v7, v7, v9
	s_delay_alu instid0(VALU_DEP_2) | instskip(NEXT) | instid1(VALU_DEP_2)
	v_mul_hi_u32 v9, v5, v8
	v_mul_lo_u32 v10, v5, v7
	v_mul_hi_u32 v14, v5, v7
	v_mul_hi_u32 v15, v6, v8
	v_mul_lo_u32 v8, v6, v8
	v_mul_hi_u32 v16, v6, v7
	v_mul_lo_u32 v7, v6, v7
	v_add_co_u32 v9, vcc_lo, v9, v10
	v_add_co_ci_u32_e32 v10, vcc_lo, 0, v14, vcc_lo
	s_delay_alu instid0(VALU_DEP_2) | instskip(NEXT) | instid1(VALU_DEP_2)
	v_add_co_u32 v8, vcc_lo, v9, v8
	v_add_co_ci_u32_e32 v8, vcc_lo, v10, v15, vcc_lo
	v_add_co_ci_u32_e32 v9, vcc_lo, 0, v16, vcc_lo
	s_delay_alu instid0(VALU_DEP_2) | instskip(NEXT) | instid1(VALU_DEP_2)
	v_add_co_u32 v7, vcc_lo, v8, v7
	v_add_co_ci_u32_e32 v8, vcc_lo, 0, v9, vcc_lo
	s_delay_alu instid0(VALU_DEP_2) | instskip(NEXT) | instid1(VALU_DEP_2)
	v_add_co_u32 v9, vcc_lo, v5, v7
	v_add_co_ci_u32_e32 v14, vcc_lo, v6, v8, vcc_lo
	s_delay_alu instid0(VALU_DEP_2) | instskip(SKIP_1) | instid1(VALU_DEP_3)
	v_mul_hi_u32 v15, v0, v9
	v_mad_u64_u32 v[7:8], null, v1, v9, 0
	v_mad_u64_u32 v[5:6], null, v0, v14, 0
	;; [unrolled: 1-line block ×3, first 2 shown]
	s_delay_alu instid0(VALU_DEP_2) | instskip(NEXT) | instid1(VALU_DEP_3)
	v_add_co_u32 v5, vcc_lo, v15, v5
	v_add_co_ci_u32_e32 v6, vcc_lo, 0, v6, vcc_lo
	s_delay_alu instid0(VALU_DEP_2) | instskip(NEXT) | instid1(VALU_DEP_2)
	v_add_co_u32 v5, vcc_lo, v5, v7
	v_add_co_ci_u32_e32 v5, vcc_lo, v6, v8, vcc_lo
	v_add_co_ci_u32_e32 v6, vcc_lo, 0, v10, vcc_lo
	s_delay_alu instid0(VALU_DEP_2) | instskip(NEXT) | instid1(VALU_DEP_2)
	v_add_co_u32 v7, vcc_lo, v5, v9
	v_add_co_ci_u32_e32 v8, vcc_lo, 0, v6, vcc_lo
	s_delay_alu instid0(VALU_DEP_2) | instskip(SKIP_1) | instid1(VALU_DEP_3)
	v_mul_lo_u32 v9, s3, v7
	v_mad_u64_u32 v[5:6], null, s2, v7, 0
	v_mul_lo_u32 v10, s2, v8
	s_delay_alu instid0(VALU_DEP_2) | instskip(NEXT) | instid1(VALU_DEP_2)
	v_sub_co_u32 v5, vcc_lo, v0, v5
	v_add3_u32 v6, v6, v10, v9
	s_delay_alu instid0(VALU_DEP_1) | instskip(NEXT) | instid1(VALU_DEP_1)
	v_sub_nc_u32_e32 v9, v1, v6
	v_subrev_co_ci_u32_e64 v9, s0, s3, v9, vcc_lo
	v_add_co_u32 v10, s0, v7, 2
	s_delay_alu instid0(VALU_DEP_1) | instskip(SKIP_3) | instid1(VALU_DEP_3)
	v_add_co_ci_u32_e64 v14, s0, 0, v8, s0
	v_sub_co_u32 v15, s0, v5, s2
	v_sub_co_ci_u32_e32 v6, vcc_lo, v1, v6, vcc_lo
	v_subrev_co_ci_u32_e64 v9, s0, 0, v9, s0
	v_cmp_le_u32_e32 vcc_lo, s2, v15
	s_delay_alu instid0(VALU_DEP_3) | instskip(SKIP_1) | instid1(VALU_DEP_4)
	v_cmp_eq_u32_e64 s0, s3, v6
	v_cndmask_b32_e64 v15, 0, -1, vcc_lo
	v_cmp_le_u32_e32 vcc_lo, s3, v9
	v_cndmask_b32_e64 v16, 0, -1, vcc_lo
	v_cmp_le_u32_e32 vcc_lo, s2, v5
	;; [unrolled: 2-line block ×3, first 2 shown]
	v_cndmask_b32_e64 v17, 0, -1, vcc_lo
	v_cmp_eq_u32_e32 vcc_lo, s3, v9
	s_delay_alu instid0(VALU_DEP_2) | instskip(SKIP_3) | instid1(VALU_DEP_3)
	v_cndmask_b32_e64 v5, v17, v5, s0
	v_cndmask_b32_e32 v9, v16, v15, vcc_lo
	v_add_co_u32 v15, vcc_lo, v7, 1
	v_add_co_ci_u32_e32 v16, vcc_lo, 0, v8, vcc_lo
	v_cmp_ne_u32_e32 vcc_lo, 0, v9
	s_delay_alu instid0(VALU_DEP_2) | instskip(NEXT) | instid1(VALU_DEP_4)
	v_cndmask_b32_e32 v6, v16, v14, vcc_lo
	v_cndmask_b32_e32 v9, v15, v10, vcc_lo
	v_cmp_ne_u32_e32 vcc_lo, 0, v5
	s_delay_alu instid0(VALU_DEP_2)
	v_dual_cndmask_b32 v6, v8, v6 :: v_dual_cndmask_b32 v5, v7, v9
.LBB130_5:                              ;   in Loop: Header=BB130_3 Depth=1
	s_and_not1_saveexec_b32 s0, s21
; %bb.6:                                ;   in Loop: Header=BB130_3 Depth=1
	v_mul_hi_u32 v5, v0, v13
	s_delay_alu instid0(VALU_DEP_1) | instskip(NEXT) | instid1(VALU_DEP_1)
	v_mul_lo_u32 v6, v5, s2
	v_sub_nc_u32_e32 v6, v0, v6
	s_delay_alu instid0(VALU_DEP_1) | instskip(SKIP_1) | instid1(VALU_DEP_2)
	v_subrev_nc_u32_e32 v8, s2, v6
	v_cmp_le_u32_e32 vcc_lo, s2, v6
	v_dual_cndmask_b32 v6, v6, v8 :: v_dual_add_nc_u32 v7, 1, v5
	s_delay_alu instid0(VALU_DEP_1) | instskip(NEXT) | instid1(VALU_DEP_2)
	v_cndmask_b32_e32 v5, v5, v7, vcc_lo
	v_cmp_le_u32_e32 vcc_lo, s2, v6
	s_delay_alu instid0(VALU_DEP_2) | instskip(NEXT) | instid1(VALU_DEP_1)
	v_dual_mov_b32 v6, v4 :: v_dual_add_nc_u32 v7, 1, v5
	v_cndmask_b32_e32 v5, v5, v7, vcc_lo
; %bb.7:                                ;   in Loop: Header=BB130_3 Depth=1
	s_or_b32 exec_lo, exec_lo, s0
	s_delay_alu instid0(VALU_DEP_2) | instskip(NEXT) | instid1(VALU_DEP_2)
	v_mul_lo_u32 v9, v6, s2
	v_mul_lo_u32 v10, v5, s3
	v_mad_u64_u32 v[7:8], null, v5, s2, 0
	s_cmpk_lt_i32 s6, 0x7a
	s_delay_alu instid0(VALU_DEP_1) | instskip(NEXT) | instid1(VALU_DEP_2)
	v_add3_u32 v8, v8, v10, v9
	v_sub_co_u32 v7, vcc_lo, v0, v7
	s_delay_alu instid0(VALU_DEP_2)
	v_sub_co_ci_u32_e32 v8, vcc_lo, v1, v8, vcc_lo
	s_cbranch_scc1 .LBB130_10
; %bb.8:                                ;   in Loop: Header=BB130_3 Depth=1
	s_mov_b32 s0, 0
	s_cmpk_eq_i32 s6, 0x7a
	s_mov_b32 s21, 0
                                        ; implicit-def: $vgpr9_vgpr10
	s_cbranch_scc0 .LBB130_11
; %bb.9:                                ;   in Loop: Header=BB130_3 Depth=1
	v_lshlrev_b64 v[9:10], 3, v[7:8]
	s_mov_b32 s21, -1
	s_delay_alu instid0(VALU_DEP_1) | instskip(NEXT) | instid1(VALU_DEP_2)
	v_sub_co_u32 v14, vcc_lo, s1, v9
	v_sub_co_ci_u32_e32 v9, vcc_lo, s18, v10, vcc_lo
	s_delay_alu instid0(VALU_DEP_2) | instskip(NEXT) | instid1(VALU_DEP_2)
	v_cvt_f64_u32_e32 v[14:15], v14
	v_cvt_f64_u32_e32 v[9:10], v9
	s_delay_alu instid0(VALU_DEP_1) | instskip(NEXT) | instid1(VALU_DEP_1)
	v_ldexp_f64 v[9:10], v[9:10], 32
	v_add_f64 v[9:10], v[9:10], v[14:15]
	s_delay_alu instid0(VALU_DEP_1) | instskip(SKIP_1) | instid1(VALU_DEP_1)
	v_cmp_gt_f64_e32 vcc_lo, 0x10000000, v[9:10]
	v_cndmask_b32_e64 v14, 0, 1, vcc_lo
	v_lshlrev_b32_e32 v14, 8, v14
	s_delay_alu instid0(VALU_DEP_1) | instskip(NEXT) | instid1(VALU_DEP_1)
	v_ldexp_f64 v[9:10], v[9:10], v14
	v_rsq_f64_e32 v[14:15], v[9:10]
	s_waitcnt_depctr 0xfff
	v_mul_f64 v[16:17], v[9:10], v[14:15]
	v_mul_f64 v[14:15], v[14:15], 0.5
	s_delay_alu instid0(VALU_DEP_1) | instskip(NEXT) | instid1(VALU_DEP_1)
	v_fma_f64 v[18:19], -v[14:15], v[16:17], 0.5
	v_fma_f64 v[16:17], v[16:17], v[18:19], v[16:17]
	v_fma_f64 v[14:15], v[14:15], v[18:19], v[14:15]
	s_delay_alu instid0(VALU_DEP_2) | instskip(NEXT) | instid1(VALU_DEP_1)
	v_fma_f64 v[18:19], -v[16:17], v[16:17], v[9:10]
	v_fma_f64 v[16:17], v[18:19], v[14:15], v[16:17]
	s_delay_alu instid0(VALU_DEP_1) | instskip(NEXT) | instid1(VALU_DEP_1)
	v_fma_f64 v[18:19], -v[16:17], v[16:17], v[9:10]
	v_fma_f64 v[14:15], v[18:19], v[14:15], v[16:17]
	v_cndmask_b32_e64 v16, 0, 0xffffff80, vcc_lo
	v_cmp_class_f64_e64 vcc_lo, v[9:10], 0x260
	v_mul_lo_u32 v17, v5, s5
	s_delay_alu instid0(VALU_DEP_3) | instskip(SKIP_1) | instid1(VALU_DEP_2)
	v_ldexp_f64 v[14:15], v[14:15], v16
	v_mul_lo_u32 v16, v6, s4
	v_dual_cndmask_b32 v10, v15, v10 :: v_dual_cndmask_b32 v9, v14, v9
	s_delay_alu instid0(VALU_DEP_1) | instskip(NEXT) | instid1(VALU_DEP_1)
	v_fma_f64 v[9:10], v[9:10], 0.5, -0.5
	v_floor_f64_e32 v[9:10], v[9:10]
	s_delay_alu instid0(VALU_DEP_1) | instskip(NEXT) | instid1(VALU_DEP_1)
	v_add_f64 v[9:10], v[2:3], -v[9:10]
	v_trunc_f64_e32 v[9:10], v[9:10]
	s_delay_alu instid0(VALU_DEP_1) | instskip(NEXT) | instid1(VALU_DEP_1)
	v_ldexp_f64 v[14:15], v[9:10], 0xffffffe0
	v_floor_f64_e32 v[14:15], v[14:15]
	s_delay_alu instid0(VALU_DEP_1) | instskip(SKIP_1) | instid1(VALU_DEP_2)
	v_fma_f64 v[9:10], 0xc1f00000, v[14:15], v[9:10]
	v_cvt_u32_f64_e32 v15, v[14:15]
	v_cvt_u32_f64_e32 v14, v[9:10]
	v_mad_u64_u32 v[9:10], null, v5, s4, 0
	s_delay_alu instid0(VALU_DEP_3) | instskip(NEXT) | instid1(VALU_DEP_2)
	v_mul_lo_u32 v20, v15, s10
	v_add3_u32 v10, v10, v17, v16
	s_delay_alu instid0(VALU_DEP_1) | instskip(SKIP_4) | instid1(VALU_DEP_4)
	v_lshlrev_b64 v[9:10], 3, v[9:10]
	v_sub_co_u32 v22, vcc_lo, s7, v14
	v_sub_co_ci_u32_e32 v21, vcc_lo, s17, v15, vcc_lo
	v_mul_lo_u32 v23, v14, s11
	v_mad_u64_u32 v[16:17], null, v14, s10, 0
	v_add_co_u32 v24, vcc_lo, v22, -1
	s_delay_alu instid0(VALU_DEP_4) | instskip(SKIP_1) | instid1(VALU_DEP_4)
	v_add_co_ci_u32_e32 v25, vcc_lo, -1, v21, vcc_lo
	v_sub_co_u32 v18, vcc_lo, v7, s12
	v_add3_u32 v17, v17, v23, v20
	s_delay_alu instid0(VALU_DEP_3)
	v_mul_lo_u32 v23, v25, v22
	v_mul_lo_u32 v25, v24, v21
	v_mad_u64_u32 v[20:21], null, v24, v22, 0
	v_subrev_co_ci_u32_e32 v19, vcc_lo, s13, v8, vcc_lo
	v_lshlrev_b64 v[16:17], 3, v[16:17]
	v_add_co_u32 v9, vcc_lo, s14, v9
	v_add_co_ci_u32_e32 v10, vcc_lo, s16, v10, vcc_lo
	s_delay_alu instid0(VALU_DEP_4) | instskip(SKIP_1) | instid1(VALU_DEP_4)
	v_lshlrev_b64 v[18:19], 3, v[18:19]
	v_add3_u32 v21, v21, v25, v23
	v_add_co_u32 v16, vcc_lo, v9, v16
	s_delay_alu instid0(VALU_DEP_4) | instskip(NEXT) | instid1(VALU_DEP_3)
	v_add_co_ci_u32_e32 v17, vcc_lo, v10, v17, vcc_lo
	v_lshlrev_b64 v[9:10], 2, v[20:21]
	v_lshlrev_b64 v[14:15], 3, v[14:15]
	s_delay_alu instid0(VALU_DEP_4) | instskip(NEXT) | instid1(VALU_DEP_4)
	v_add_co_u32 v16, vcc_lo, v16, v18
	v_add_co_ci_u32_e32 v17, vcc_lo, v17, v19, vcc_lo
	s_delay_alu instid0(VALU_DEP_4) | instskip(NEXT) | instid1(VALU_DEP_3)
	v_and_b32_e32 v9, -8, v9
	v_add_co_u32 v14, vcc_lo, v16, v14
	s_delay_alu instid0(VALU_DEP_3) | instskip(NEXT) | instid1(VALU_DEP_2)
	v_add_co_ci_u32_e32 v15, vcc_lo, v17, v15, vcc_lo
	v_add_co_u32 v9, vcc_lo, v14, v9
	s_delay_alu instid0(VALU_DEP_2) | instskip(NEXT) | instid1(VALU_DEP_2)
	v_add_co_ci_u32_e32 v10, vcc_lo, v15, v10, vcc_lo
	v_add_co_u32 v9, vcc_lo, v9, 8
	s_delay_alu instid0(VALU_DEP_2)
	v_add_co_ci_u32_e32 v10, vcc_lo, 0, v10, vcc_lo
	s_branch .LBB130_11
.LBB130_10:                             ;   in Loop: Header=BB130_3 Depth=1
	s_mov_b32 s0, -1
	s_mov_b32 s21, 0
                                        ; implicit-def: $vgpr9_vgpr10
.LBB130_11:                             ;   in Loop: Header=BB130_3 Depth=1
	s_and_b32 vcc_lo, exec_lo, s0
	s_cbranch_vccz .LBB130_14
; %bb.12:                               ;   in Loop: Header=BB130_3 Depth=1
	s_cmpk_eq_i32 s6, 0x79
                                        ; implicit-def: $vgpr9_vgpr10
	s_cbranch_scc0 .LBB130_14
; %bb.13:                               ;   in Loop: Header=BB130_3 Depth=1
	v_lshlrev_b64 v[9:10], 3, v[7:8]
	s_mov_b32 s21, -1
	s_delay_alu instid0(VALU_DEP_1) | instskip(NEXT) | instid1(VALU_DEP_2)
	v_cvt_f64_u32_e32 v[14:15], v10
	v_or_b32_e32 v9, 1, v9
	s_delay_alu instid0(VALU_DEP_1) | instskip(NEXT) | instid1(VALU_DEP_3)
	v_cvt_f64_u32_e32 v[9:10], v9
	v_ldexp_f64 v[14:15], v[14:15], 32
	s_delay_alu instid0(VALU_DEP_1) | instskip(NEXT) | instid1(VALU_DEP_1)
	v_add_f64 v[9:10], v[14:15], v[9:10]
	v_cmp_gt_f64_e32 vcc_lo, 0x10000000, v[9:10]
	v_cndmask_b32_e64 v14, 0, 1, vcc_lo
	s_delay_alu instid0(VALU_DEP_1) | instskip(NEXT) | instid1(VALU_DEP_1)
	v_lshlrev_b32_e32 v14, 8, v14
	v_ldexp_f64 v[9:10], v[9:10], v14
	s_delay_alu instid0(VALU_DEP_1) | instskip(SKIP_3) | instid1(VALU_DEP_1)
	v_rsq_f64_e32 v[14:15], v[9:10]
	s_waitcnt_depctr 0xfff
	v_mul_f64 v[16:17], v[9:10], v[14:15]
	v_mul_f64 v[14:15], v[14:15], 0.5
	v_fma_f64 v[18:19], -v[14:15], v[16:17], 0.5
	s_delay_alu instid0(VALU_DEP_1) | instskip(SKIP_1) | instid1(VALU_DEP_2)
	v_fma_f64 v[16:17], v[16:17], v[18:19], v[16:17]
	v_fma_f64 v[14:15], v[14:15], v[18:19], v[14:15]
	v_fma_f64 v[18:19], -v[16:17], v[16:17], v[9:10]
	s_delay_alu instid0(VALU_DEP_1) | instskip(NEXT) | instid1(VALU_DEP_1)
	v_fma_f64 v[16:17], v[18:19], v[14:15], v[16:17]
	v_fma_f64 v[18:19], -v[16:17], v[16:17], v[9:10]
	s_delay_alu instid0(VALU_DEP_1) | instskip(SKIP_4) | instid1(VALU_DEP_4)
	v_fma_f64 v[14:15], v[18:19], v[14:15], v[16:17]
	v_cndmask_b32_e64 v16, 0, 0xffffff80, vcc_lo
	v_cmp_class_f64_e64 vcc_lo, v[9:10], 0x260
	v_mul_lo_u32 v17, v6, s4
	v_mul_lo_u32 v18, v5, s5
	v_ldexp_f64 v[14:15], v[14:15], v16
	s_delay_alu instid0(VALU_DEP_1) | instskip(NEXT) | instid1(VALU_DEP_1)
	v_dual_cndmask_b32 v10, v15, v10 :: v_dual_cndmask_b32 v9, v14, v9
	v_add_f64 v[9:10], v[9:10], -1.0
	s_delay_alu instid0(VALU_DEP_1) | instskip(NEXT) | instid1(VALU_DEP_1)
	v_mul_f64 v[9:10], v[9:10], 0.5
	v_trunc_f64_e32 v[9:10], v[9:10]
	s_delay_alu instid0(VALU_DEP_1) | instskip(NEXT) | instid1(VALU_DEP_1)
	v_ldexp_f64 v[14:15], v[9:10], 0xffffffe0
	v_floor_f64_e32 v[14:15], v[14:15]
	s_delay_alu instid0(VALU_DEP_1) | instskip(SKIP_1) | instid1(VALU_DEP_2)
	v_fma_f64 v[9:10], 0xc1f00000, v[14:15], v[9:10]
	v_cvt_u32_f64_e32 v15, v[14:15]
	v_cvt_u32_f64_e32 v14, v[9:10]
	v_mad_u64_u32 v[9:10], null, v5, s4, 0
	s_delay_alu instid0(VALU_DEP_3) | instskip(NEXT) | instid1(VALU_DEP_2)
	v_mul_lo_u32 v20, s10, v15
	v_add3_u32 v10, v10, v18, v17
	s_delay_alu instid0(VALU_DEP_1) | instskip(SKIP_4) | instid1(VALU_DEP_3)
	v_lshlrev_b64 v[9:10], 3, v[9:10]
	v_mad_u64_u32 v[5:6], null, v14, v14, v[14:15]
	v_mul_lo_u32 v19, v14, v15
	v_mul_lo_u32 v21, s11, v14
	v_mad_u64_u32 v[15:16], null, s10, v14, s[10:11]
	v_add3_u32 v6, v19, v6, v19
	s_delay_alu instid0(VALU_DEP_2) | instskip(NEXT) | instid1(VALU_DEP_2)
	v_add3_u32 v16, v21, v16, v20
	v_lshrrev_b64 v[5:6], 1, v[5:6]
	s_delay_alu instid0(VALU_DEP_2) | instskip(NEXT) | instid1(VALU_DEP_2)
	v_lshlrev_b64 v[14:15], 3, v[15:16]
	v_sub_co_u32 v5, vcc_lo, v7, v5
	s_delay_alu instid0(VALU_DEP_3) | instskip(SKIP_2) | instid1(VALU_DEP_3)
	v_sub_co_ci_u32_e32 v6, vcc_lo, v8, v6, vcc_lo
	v_add_co_u32 v7, vcc_lo, s14, v9
	v_add_co_ci_u32_e32 v8, vcc_lo, s16, v10, vcc_lo
	v_lshlrev_b64 v[5:6], 3, v[5:6]
	s_delay_alu instid0(VALU_DEP_3) | instskip(NEXT) | instid1(VALU_DEP_3)
	v_add_co_u32 v7, vcc_lo, v7, v14
	v_add_co_ci_u32_e32 v8, vcc_lo, v8, v15, vcc_lo
	s_delay_alu instid0(VALU_DEP_2) | instskip(NEXT) | instid1(VALU_DEP_2)
	v_add_co_u32 v9, vcc_lo, v7, v5
	v_add_co_ci_u32_e32 v10, vcc_lo, v8, v6, vcc_lo
.LBB130_14:                             ;   in Loop: Header=BB130_3 Depth=1
	s_and_b32 vcc_lo, exec_lo, s21
	s_cbranch_vccz .LBB130_2
; %bb.15:                               ;   in Loop: Header=BB130_3 Depth=1
	v_mov_b32_e32 v5, v4
	global_store_b64 v[9:10], v[4:5], off
	s_branch .LBB130_2
.LBB130_16:
	s_nop 0
	s_sendmsg sendmsg(MSG_DEALLOC_VGPRS)
	s_endpgm
	.section	.rodata,"a",@progbits
	.p2align	6, 0x0
	.amdhsa_kernel _ZL18rocblas_trtri_fillILi128EdPKPdEvP15_rocblas_handle13rocblas_fill_ililT1_llii
		.amdhsa_group_segment_fixed_size 0
		.amdhsa_private_segment_fixed_size 0
		.amdhsa_kernarg_size 328
		.amdhsa_user_sgpr_count 14
		.amdhsa_user_sgpr_dispatch_ptr 0
		.amdhsa_user_sgpr_queue_ptr 0
		.amdhsa_user_sgpr_kernarg_segment_ptr 1
		.amdhsa_user_sgpr_dispatch_id 0
		.amdhsa_user_sgpr_private_segment_size 0
		.amdhsa_wavefront_size32 1
		.amdhsa_uses_dynamic_stack 0
		.amdhsa_enable_private_segment 0
		.amdhsa_system_sgpr_workgroup_id_x 1
		.amdhsa_system_sgpr_workgroup_id_y 0
		.amdhsa_system_sgpr_workgroup_id_z 1
		.amdhsa_system_sgpr_workgroup_info 0
		.amdhsa_system_vgpr_workitem_id 0
		.amdhsa_next_free_vgpr 26
		.amdhsa_next_free_sgpr 23
		.amdhsa_reserve_vcc 1
		.amdhsa_float_round_mode_32 0
		.amdhsa_float_round_mode_16_64 0
		.amdhsa_float_denorm_mode_32 3
		.amdhsa_float_denorm_mode_16_64 3
		.amdhsa_dx10_clamp 1
		.amdhsa_ieee_mode 1
		.amdhsa_fp16_overflow 0
		.amdhsa_workgroup_processor_mode 1
		.amdhsa_memory_ordered 1
		.amdhsa_forward_progress 0
		.amdhsa_shared_vgpr_count 0
		.amdhsa_exception_fp_ieee_invalid_op 0
		.amdhsa_exception_fp_denorm_src 0
		.amdhsa_exception_fp_ieee_div_zero 0
		.amdhsa_exception_fp_ieee_overflow 0
		.amdhsa_exception_fp_ieee_underflow 0
		.amdhsa_exception_fp_ieee_inexact 0
		.amdhsa_exception_int_div_zero 0
	.end_amdhsa_kernel
	.section	.text._ZL18rocblas_trtri_fillILi128EdPKPdEvP15_rocblas_handle13rocblas_fill_ililT1_llii,"axG",@progbits,_ZL18rocblas_trtri_fillILi128EdPKPdEvP15_rocblas_handle13rocblas_fill_ililT1_llii,comdat
.Lfunc_end130:
	.size	_ZL18rocblas_trtri_fillILi128EdPKPdEvP15_rocblas_handle13rocblas_fill_ililT1_llii, .Lfunc_end130-_ZL18rocblas_trtri_fillILi128EdPKPdEvP15_rocblas_handle13rocblas_fill_ililT1_llii
                                        ; -- End function
	.section	.AMDGPU.csdata,"",@progbits
; Kernel info:
; codeLenInByte = 2420
; NumSgprs: 25
; NumVgprs: 26
; ScratchSize: 0
; MemoryBound: 0
; FloatMode: 240
; IeeeMode: 1
; LDSByteSize: 0 bytes/workgroup (compile time only)
; SGPRBlocks: 3
; VGPRBlocks: 3
; NumSGPRsForWavesPerEU: 25
; NumVGPRsForWavesPerEU: 26
; Occupancy: 16
; WaveLimiterHint : 0
; COMPUTE_PGM_RSRC2:SCRATCH_EN: 0
; COMPUTE_PGM_RSRC2:USER_SGPR: 14
; COMPUTE_PGM_RSRC2:TRAP_HANDLER: 0
; COMPUTE_PGM_RSRC2:TGID_X_EN: 1
; COMPUTE_PGM_RSRC2:TGID_Y_EN: 0
; COMPUTE_PGM_RSRC2:TGID_Z_EN: 1
; COMPUTE_PGM_RSRC2:TIDIG_COMP_CNT: 0
	.section	.text._ZL24rocblas_copy_matrix_trsmILi128ELi8EdPKPKdPKPdEviiiT2_ilT3_illli,"axG",@progbits,_ZL24rocblas_copy_matrix_trsmILi128ELi8EdPKPKdPKPdEviiiT2_ilT3_illli,comdat
	.globl	_ZL24rocblas_copy_matrix_trsmILi128ELi8EdPKPKdPKPdEviiiT2_ilT3_illli ; -- Begin function _ZL24rocblas_copy_matrix_trsmILi128ELi8EdPKPKdPKPdEviiiT2_ilT3_illli
	.p2align	8
	.type	_ZL24rocblas_copy_matrix_trsmILi128ELi8EdPKPKdPKPdEviiiT2_ilT3_illli,@function
_ZL24rocblas_copy_matrix_trsmILi128ELi8EdPKPKdPKPdEviiiT2_ilT3_illli: ; @_ZL24rocblas_copy_matrix_trsmILi128ELi8EdPKPKdPKPdEviiiT2_ilT3_illli
; %bb.0:
	s_load_b64 s[2:3], s[0:1], 0x0
	v_dual_mov_b32 v3, 0 :: v_dual_and_b32 v2, 0x3ff, v0
	v_bfe_u32 v0, v0, 10, 10
	s_mov_b32 s5, 0
	s_delay_alu instid0(VALU_DEP_2) | instskip(NEXT) | instid1(VALU_DEP_3)
	v_mov_b32_e32 v1, v3
	v_lshl_add_u32 v2, s13, 7, v2
	s_delay_alu instid0(VALU_DEP_3) | instskip(SKIP_4) | instid1(SALU_CYCLE_1)
	v_lshl_add_u32 v0, s14, 3, v0
	s_waitcnt lgkmcnt(0)
	s_ashr_i32 s7, s3, 31
	s_mov_b32 s6, s3
	s_ashr_i32 s3, s2, 31
	v_cmp_gt_u64_e32 vcc_lo, s[2:3], v[2:3]
	v_cmp_gt_u64_e64 s2, s[6:7], v[0:1]
	s_delay_alu instid0(VALU_DEP_1) | instskip(NEXT) | instid1(SALU_CYCLE_1)
	s_and_b32 s2, vcc_lo, s2
	s_and_saveexec_b32 s3, s2
	s_cbranch_execz .LBB131_3
; %bb.1:
	s_mov_b32 s4, s15
	s_clause 0x5
	s_load_b32 s14, s[0:1], 0x30
	s_load_b32 s16, s[0:1], 0x18
	s_load_b64 s[2:3], s[0:1], 0x10
	s_load_b64 s[12:13], s[0:1], 0x28
	s_load_b32 s15, s[0:1], 0x5c
	s_load_b128 s[8:11], s[0:1], 0x40
	s_lshl_b64 s[0:1], s[4:5], 3
	v_lshlrev_b64 v[2:3], 3, v[2:3]
	s_waitcnt lgkmcnt(0)
	v_mad_u64_u32 v[4:5], null, s14, v0, 0
	v_mad_u64_u32 v[6:7], null, s16, v0, 0
	s_ashr_i32 s17, s14, 31
	s_ashr_i32 s4, s16, 31
	s_add_u32 s2, s2, s0
	s_addc_u32 s3, s3, s1
	s_add_u32 s12, s12, s0
	s_addc_u32 s13, s13, s1
	s_delay_alu instid0(VALU_DEP_1)
	v_mad_u64_u32 v[8:9], null, s17, v0, v[5:6]
	s_load_b64 s[12:13], s[12:13], 0x0
	s_load_b64 s[2:3], s[2:3], 0x0
	s_lshl_b64 s[10:11], s[10:11], 3
	s_lshl_b64 s[8:9], s[8:9], 3
	s_lshl_b32 s1, s15, 3
	s_delay_alu instid0(VALU_DEP_1)
	v_mad_u64_u32 v[9:10], null, s4, v0, v[7:8]
	v_mov_b32_e32 v5, v8
	s_mul_i32 s17, s17, s1
	s_mul_hi_u32 s0, s14, s1
	s_mul_i32 s4, s4, s1
	s_mul_hi_u32 s18, s16, s1
	v_lshlrev_b64 v[4:5], 3, v[4:5]
	s_delay_alu instid0(VALU_DEP_3) | instskip(SKIP_2) | instid1(VALU_DEP_1)
	v_mov_b32_e32 v7, v9
	s_mul_i32 s14, s14, s1
	s_add_i32 s15, s0, s17
	v_lshlrev_b64 v[6:7], 3, v[6:7]
	s_delay_alu instid0(VALU_DEP_3) | instskip(SKIP_1) | instid1(VALU_DEP_3)
	v_add_co_u32 v4, vcc_lo, v4, s10
	v_add_co_ci_u32_e32 v5, vcc_lo, s11, v5, vcc_lo
	v_add_co_u32 v6, vcc_lo, v6, s8
	s_delay_alu instid0(VALU_DEP_4) | instskip(NEXT) | instid1(VALU_DEP_4)
	v_add_co_ci_u32_e32 v7, vcc_lo, s9, v7, vcc_lo
	v_add_co_u32 v4, vcc_lo, v4, v2
	s_delay_alu instid0(VALU_DEP_4) | instskip(NEXT) | instid1(VALU_DEP_4)
	v_add_co_ci_u32_e32 v5, vcc_lo, v5, v3, vcc_lo
	v_add_co_u32 v6, vcc_lo, v6, v2
	s_delay_alu instid0(VALU_DEP_4)
	v_add_co_ci_u32_e32 v7, vcc_lo, v7, v3, vcc_lo
	s_waitcnt lgkmcnt(0)
	v_add_co_u32 v2, vcc_lo, s12, v4
	v_add_co_ci_u32_e32 v3, vcc_lo, s13, v5, vcc_lo
	v_add_co_u32 v4, vcc_lo, s2, v6
	v_add_co_ci_u32_e32 v5, vcc_lo, s3, v7, vcc_lo
	s_add_i32 s9, s18, s4
	s_mul_i32 s8, s16, s1
	s_lshl_b64 s[2:3], s[14:15], 3
	s_lshl_b64 s[8:9], s[8:9], 3
	.p2align	6
.LBB131_2:                              ; =>This Inner Loop Header: Depth=1
	global_load_b64 v[6:7], v[4:5], off
	v_add_co_u32 v0, vcc_lo, v0, s1
	v_add_co_ci_u32_e32 v1, vcc_lo, 0, v1, vcc_lo
	v_add_co_u32 v4, vcc_lo, v4, s8
	v_add_co_ci_u32_e32 v5, vcc_lo, s9, v5, vcc_lo
	s_delay_alu instid0(VALU_DEP_3) | instskip(SKIP_4) | instid1(VALU_DEP_1)
	v_cmp_le_u64_e32 vcc_lo, s[6:7], v[0:1]
	s_or_b32 s5, vcc_lo, s5
	s_waitcnt vmcnt(0)
	global_store_b64 v[2:3], v[6:7], off
	v_add_co_u32 v2, s0, v2, s2
	v_add_co_ci_u32_e64 v3, s0, s3, v3, s0
	s_and_not1_b32 exec_lo, exec_lo, s5
	s_cbranch_execnz .LBB131_2
.LBB131_3:
	s_nop 0
	s_sendmsg sendmsg(MSG_DEALLOC_VGPRS)
	s_endpgm
	.section	.rodata,"a",@progbits
	.p2align	6, 0x0
	.amdhsa_kernel _ZL24rocblas_copy_matrix_trsmILi128ELi8EdPKPKdPKPdEviiiT2_ilT3_illli
		.amdhsa_group_segment_fixed_size 0
		.amdhsa_private_segment_fixed_size 0
		.amdhsa_kernarg_size 344
		.amdhsa_user_sgpr_count 13
		.amdhsa_user_sgpr_dispatch_ptr 0
		.amdhsa_user_sgpr_queue_ptr 0
		.amdhsa_user_sgpr_kernarg_segment_ptr 1
		.amdhsa_user_sgpr_dispatch_id 0
		.amdhsa_user_sgpr_private_segment_size 0
		.amdhsa_wavefront_size32 1
		.amdhsa_uses_dynamic_stack 0
		.amdhsa_enable_private_segment 0
		.amdhsa_system_sgpr_workgroup_id_x 1
		.amdhsa_system_sgpr_workgroup_id_y 1
		.amdhsa_system_sgpr_workgroup_id_z 1
		.amdhsa_system_sgpr_workgroup_info 0
		.amdhsa_system_vgpr_workitem_id 1
		.amdhsa_next_free_vgpr 11
		.amdhsa_next_free_sgpr 19
		.amdhsa_reserve_vcc 1
		.amdhsa_float_round_mode_32 0
		.amdhsa_float_round_mode_16_64 0
		.amdhsa_float_denorm_mode_32 3
		.amdhsa_float_denorm_mode_16_64 3
		.amdhsa_dx10_clamp 1
		.amdhsa_ieee_mode 1
		.amdhsa_fp16_overflow 0
		.amdhsa_workgroup_processor_mode 1
		.amdhsa_memory_ordered 1
		.amdhsa_forward_progress 0
		.amdhsa_shared_vgpr_count 0
		.amdhsa_exception_fp_ieee_invalid_op 0
		.amdhsa_exception_fp_denorm_src 0
		.amdhsa_exception_fp_ieee_div_zero 0
		.amdhsa_exception_fp_ieee_overflow 0
		.amdhsa_exception_fp_ieee_underflow 0
		.amdhsa_exception_fp_ieee_inexact 0
		.amdhsa_exception_int_div_zero 0
	.end_amdhsa_kernel
	.section	.text._ZL24rocblas_copy_matrix_trsmILi128ELi8EdPKPKdPKPdEviiiT2_ilT3_illli,"axG",@progbits,_ZL24rocblas_copy_matrix_trsmILi128ELi8EdPKPKdPKPdEviiiT2_ilT3_illli,comdat
.Lfunc_end131:
	.size	_ZL24rocblas_copy_matrix_trsmILi128ELi8EdPKPKdPKPdEviiiT2_ilT3_illli, .Lfunc_end131-_ZL24rocblas_copy_matrix_trsmILi128ELi8EdPKPKdPKPdEviiiT2_ilT3_illli
                                        ; -- End function
	.section	.AMDGPU.csdata,"",@progbits
; Kernel info:
; codeLenInByte = 520
; NumSgprs: 21
; NumVgprs: 11
; ScratchSize: 0
; MemoryBound: 0
; FloatMode: 240
; IeeeMode: 1
; LDSByteSize: 0 bytes/workgroup (compile time only)
; SGPRBlocks: 2
; VGPRBlocks: 1
; NumSGPRsForWavesPerEU: 21
; NumVGPRsForWavesPerEU: 11
; Occupancy: 16
; WaveLimiterHint : 0
; COMPUTE_PGM_RSRC2:SCRATCH_EN: 0
; COMPUTE_PGM_RSRC2:USER_SGPR: 13
; COMPUTE_PGM_RSRC2:TRAP_HANDLER: 0
; COMPUTE_PGM_RSRC2:TGID_X_EN: 1
; COMPUTE_PGM_RSRC2:TGID_Y_EN: 1
; COMPUTE_PGM_RSRC2:TGID_Z_EN: 1
; COMPUTE_PGM_RSRC2:TIDIG_COMP_CNT: 1
	.section	.text._ZL23rocblas_set_matrix_trsmILi128ELi8E19rocblas_complex_numIfEPKPS1_EvlliT2_llT1_li,"axG",@progbits,_ZL23rocblas_set_matrix_trsmILi128ELi8E19rocblas_complex_numIfEPKPS1_EvlliT2_llT1_li,comdat
	.globl	_ZL23rocblas_set_matrix_trsmILi128ELi8E19rocblas_complex_numIfEPKPS1_EvlliT2_llT1_li ; -- Begin function _ZL23rocblas_set_matrix_trsmILi128ELi8E19rocblas_complex_numIfEPKPS1_EvlliT2_llT1_li
	.p2align	8
	.type	_ZL23rocblas_set_matrix_trsmILi128ELi8E19rocblas_complex_numIfEPKPS1_EvlliT2_llT1_li,@function
_ZL23rocblas_set_matrix_trsmILi128ELi8E19rocblas_complex_numIfEPKPS1_EvlliT2_llT1_li: ; @_ZL23rocblas_set_matrix_trsmILi128ELi8E19rocblas_complex_numIfEPKPS1_EvlliT2_llT1_li
; %bb.0:
	s_load_b128 s[8:11], s[0:1], 0x0
	v_dual_mov_b32 v1, 0 :: v_dual_and_b32 v2, 0x3ff, v0
	v_bfe_u32 v4, v0, 10, 10
	s_mov_b32 s5, 0
	s_delay_alu instid0(VALU_DEP_2) | instskip(NEXT) | instid1(VALU_DEP_3)
	v_mov_b32_e32 v3, v1
	v_lshl_add_u32 v0, s13, 7, v2
	s_delay_alu instid0(VALU_DEP_3) | instskip(SKIP_1) | instid1(VALU_DEP_2)
	v_lshl_add_u32 v2, s14, 3, v4
	s_waitcnt lgkmcnt(0)
	v_cmp_gt_u64_e32 vcc_lo, s[8:9], v[0:1]
	s_delay_alu instid0(VALU_DEP_2) | instskip(NEXT) | instid1(VALU_DEP_1)
	v_cmp_gt_u64_e64 s2, s[10:11], v[2:3]
	s_and_b32 s2, vcc_lo, s2
	s_delay_alu instid0(SALU_CYCLE_1)
	s_and_saveexec_b32 s3, s2
	s_cbranch_execz .LBB132_2
; %bb.1:
	s_clause 0x1
	s_load_b128 s[8:11], s[0:1], 0x18
	s_load_b64 s[0:1], s[0:1], 0x38
	s_mov_b32 s4, s15
	s_delay_alu instid0(SALU_CYCLE_1)
	s_lshl_b64 s[2:3], s[4:5], 3
	s_waitcnt lgkmcnt(0)
	v_mad_u64_u32 v[3:4], null, v2, s10, 0
	s_add_u32 s2, s8, s2
	s_addc_u32 s3, s9, s3
	s_lshl_b64 s[0:1], s[0:1], 3
	s_load_b64 s[2:3], s[2:3], 0x0
	s_delay_alu instid0(VALU_DEP_1) | instskip(NEXT) | instid1(VALU_DEP_1)
	v_mad_u64_u32 v[5:6], null, v2, s11, v[4:5]
	v_mov_b32_e32 v4, v5
	s_delay_alu instid0(VALU_DEP_1) | instskip(SKIP_4) | instid1(VALU_DEP_2)
	v_lshlrev_b64 v[2:3], 3, v[3:4]
	v_lshlrev_b64 v[4:5], 3, v[0:1]
	s_waitcnt lgkmcnt(0)
	s_add_u32 s0, s2, s0
	s_addc_u32 s1, s3, s1
	v_add_co_u32 v0, vcc_lo, s0, v2
	v_add_co_ci_u32_e32 v3, vcc_lo, s1, v3, vcc_lo
	s_delay_alu instid0(VALU_DEP_2) | instskip(NEXT) | instid1(VALU_DEP_2)
	v_add_co_u32 v2, vcc_lo, v0, v4
	v_add_co_ci_u32_e32 v3, vcc_lo, v3, v5, vcc_lo
	v_mov_b32_e32 v0, v1
	global_store_b64 v[2:3], v[0:1], off
.LBB132_2:
	s_nop 0
	s_sendmsg sendmsg(MSG_DEALLOC_VGPRS)
	s_endpgm
	.section	.rodata,"a",@progbits
	.p2align	6, 0x0
	.amdhsa_kernel _ZL23rocblas_set_matrix_trsmILi128ELi8E19rocblas_complex_numIfEPKPS1_EvlliT2_llT1_li
		.amdhsa_group_segment_fixed_size 0
		.amdhsa_private_segment_fixed_size 0
		.amdhsa_kernarg_size 68
		.amdhsa_user_sgpr_count 13
		.amdhsa_user_sgpr_dispatch_ptr 0
		.amdhsa_user_sgpr_queue_ptr 0
		.amdhsa_user_sgpr_kernarg_segment_ptr 1
		.amdhsa_user_sgpr_dispatch_id 0
		.amdhsa_user_sgpr_private_segment_size 0
		.amdhsa_wavefront_size32 1
		.amdhsa_uses_dynamic_stack 0
		.amdhsa_enable_private_segment 0
		.amdhsa_system_sgpr_workgroup_id_x 1
		.amdhsa_system_sgpr_workgroup_id_y 1
		.amdhsa_system_sgpr_workgroup_id_z 1
		.amdhsa_system_sgpr_workgroup_info 0
		.amdhsa_system_vgpr_workitem_id 1
		.amdhsa_next_free_vgpr 7
		.amdhsa_next_free_sgpr 16
		.amdhsa_reserve_vcc 1
		.amdhsa_float_round_mode_32 0
		.amdhsa_float_round_mode_16_64 0
		.amdhsa_float_denorm_mode_32 3
		.amdhsa_float_denorm_mode_16_64 3
		.amdhsa_dx10_clamp 1
		.amdhsa_ieee_mode 1
		.amdhsa_fp16_overflow 0
		.amdhsa_workgroup_processor_mode 1
		.amdhsa_memory_ordered 1
		.amdhsa_forward_progress 0
		.amdhsa_shared_vgpr_count 0
		.amdhsa_exception_fp_ieee_invalid_op 0
		.amdhsa_exception_fp_denorm_src 0
		.amdhsa_exception_fp_ieee_div_zero 0
		.amdhsa_exception_fp_ieee_overflow 0
		.amdhsa_exception_fp_ieee_underflow 0
		.amdhsa_exception_fp_ieee_inexact 0
		.amdhsa_exception_int_div_zero 0
	.end_amdhsa_kernel
	.section	.text._ZL23rocblas_set_matrix_trsmILi128ELi8E19rocblas_complex_numIfEPKPS1_EvlliT2_llT1_li,"axG",@progbits,_ZL23rocblas_set_matrix_trsmILi128ELi8E19rocblas_complex_numIfEPKPS1_EvlliT2_llT1_li,comdat
.Lfunc_end132:
	.size	_ZL23rocblas_set_matrix_trsmILi128ELi8E19rocblas_complex_numIfEPKPS1_EvlliT2_llT1_li, .Lfunc_end132-_ZL23rocblas_set_matrix_trsmILi128ELi8E19rocblas_complex_numIfEPKPS1_EvlliT2_llT1_li
                                        ; -- End function
	.section	.AMDGPU.csdata,"",@progbits
; Kernel info:
; codeLenInByte = 260
; NumSgprs: 18
; NumVgprs: 7
; ScratchSize: 0
; MemoryBound: 0
; FloatMode: 240
; IeeeMode: 1
; LDSByteSize: 0 bytes/workgroup (compile time only)
; SGPRBlocks: 2
; VGPRBlocks: 0
; NumSGPRsForWavesPerEU: 18
; NumVGPRsForWavesPerEU: 7
; Occupancy: 16
; WaveLimiterHint : 1
; COMPUTE_PGM_RSRC2:SCRATCH_EN: 0
; COMPUTE_PGM_RSRC2:USER_SGPR: 13
; COMPUTE_PGM_RSRC2:TRAP_HANDLER: 0
; COMPUTE_PGM_RSRC2:TGID_X_EN: 1
; COMPUTE_PGM_RSRC2:TGID_Y_EN: 1
; COMPUTE_PGM_RSRC2:TGID_Z_EN: 1
; COMPUTE_PGM_RSRC2:TIDIG_COMP_CNT: 1
	.section	.text._ZL38rocblas_trsm_small_left_device_sharedBILi4ELi4ELb0E19rocblas_complex_numIfES1_PKPKS1_PKPS1_Ev13rocblas_fill_18rocblas_operation_17rocblas_diagonal_iiT3_T4_lilT5_lili,"axG",@progbits,_ZL38rocblas_trsm_small_left_device_sharedBILi4ELi4ELb0E19rocblas_complex_numIfES1_PKPKS1_PKPS1_Ev13rocblas_fill_18rocblas_operation_17rocblas_diagonal_iiT3_T4_lilT5_lili,comdat
	.globl	_ZL38rocblas_trsm_small_left_device_sharedBILi4ELi4ELb0E19rocblas_complex_numIfES1_PKPKS1_PKPS1_Ev13rocblas_fill_18rocblas_operation_17rocblas_diagonal_iiT3_T4_lilT5_lili ; -- Begin function _ZL38rocblas_trsm_small_left_device_sharedBILi4ELi4ELb0E19rocblas_complex_numIfES1_PKPKS1_PKPS1_Ev13rocblas_fill_18rocblas_operation_17rocblas_diagonal_iiT3_T4_lilT5_lili
	.p2align	8
	.type	_ZL38rocblas_trsm_small_left_device_sharedBILi4ELi4ELb0E19rocblas_complex_numIfES1_PKPKS1_PKPS1_Ev13rocblas_fill_18rocblas_operation_17rocblas_diagonal_iiT3_T4_lilT5_lili,@function
_ZL38rocblas_trsm_small_left_device_sharedBILi4ELi4ELb0E19rocblas_complex_numIfES1_PKPKS1_PKPS1_Ev13rocblas_fill_18rocblas_operation_17rocblas_diagonal_iiT3_T4_lilT5_lili: ; @_ZL38rocblas_trsm_small_left_device_sharedBILi4ELi4ELb0E19rocblas_complex_numIfES1_PKPKS1_PKPS1_Ev13rocblas_fill_18rocblas_operation_17rocblas_diagonal_iiT3_T4_lilT5_lili
; %bb.0:
	s_clause 0x1
	s_load_b128 s[4:7], s[2:3], 0x40
	s_load_b128 s[8:11], s[2:3], 0x4
	s_mov_b32 s20, s15
	s_mov_b32 s21, 0
	s_load_b32 s30, s[2:3], 0x68
	s_lshl_b64 s[24:25], s[20:21], 3
	v_and_b32_e32 v7, 0x3ff, v0
	s_mov_b32 s31, exec_lo
	s_waitcnt lgkmcnt(0)
	s_add_u32 s4, s4, s24
	s_addc_u32 s5, s5, s25
	s_load_b64 s[12:13], s[2:3], 0x14
	s_load_b64 s[4:5], s[4:5], 0x0
	s_min_i32 s15, s10, 4
	s_delay_alu instid0(SALU_CYCLE_1)
	s_add_i32 s20, s15, -1
	v_cmpx_gt_i32_e64 s15, v7
	s_cbranch_execz .LBB133_35
; %bb.1:
	s_clause 0x1
	s_load_b32 s22, s[2:3], 0x30
	s_load_b128 s[16:19], s[2:3], 0x20
	s_waitcnt lgkmcnt(0)
	s_ashr_i32 s23, s22, 31
	s_cmpk_lg_i32 s8, 0x71
	s_cselect_b32 s33, -1, 0
	s_add_u32 s16, s16, s24
	s_addc_u32 s17, s17, s25
	v_cndmask_b32_e64 v8, 0, 1, s33
	s_load_b64 s[16:17], s[16:17], 0x0
	s_cmp_lt_u32 s20, 3
	s_cbranch_scc1 .LBB133_20
; %bb.2:
	v_lshlrev_b32_e32 v9, 3, v7
	s_lshl_b64 s[24:25], s[18:19], 3
	s_mul_hi_i32 s34, s22, 24
	s_waitcnt lgkmcnt(0)
	s_add_u32 s21, s16, s24
	s_addc_u32 s24, s17, s25
	v_add_co_u32 v1, s21, s21, v9
	s_delay_alu instid0(VALU_DEP_1)
	v_add_co_ci_u32_e64 v2, null, s24, 0, s21
	s_and_b32 s21, s15, -4
	s_mul_i32 s35, s22, 24
	s_lshl_b64 s[24:25], s[22:23], 5
	s_lshl_b64 s[26:27], s[22:23], 4
	;; [unrolled: 1-line block ×3, first 2 shown]
	s_mov_b32 s36, 0
	s_branch .LBB133_4
.LBB133_3:                              ;   in Loop: Header=BB133_4 Depth=1
	global_load_b32 v3, v[5:6], off
	v_add_co_u32 v1, vcc_lo, v1, s24
	v_add_co_ci_u32_e32 v2, vcc_lo, s25, v2, vcc_lo
	s_add_i32 s36, s36, 4
	s_delay_alu instid0(SALU_CYCLE_1)
	s_cmp_eq_u32 s21, s36
	s_waitcnt vmcnt(0)
	ds_store_b64 v9, v[3:4] offset:96
	v_add_nc_u32_e32 v9, 0x80, v9
	s_cbranch_scc1 .LBB133_20
.LBB133_4:                              ; =>This Inner Loop Header: Depth=1
	s_and_b32 vcc_lo, exec_lo, s33
	s_cbranch_vccz .LBB133_6
; %bb.5:                                ;   in Loop: Header=BB133_4 Depth=1
	global_load_b32 v4, v[1:2], off offset:4
	s_cbranch_execz .LBB133_7
	s_branch .LBB133_8
.LBB133_6:                              ;   in Loop: Header=BB133_4 Depth=1
                                        ; implicit-def: $vgpr4
.LBB133_7:                              ;   in Loop: Header=BB133_4 Depth=1
	global_load_b32 v3, v[1:2], off offset:4
	s_waitcnt vmcnt(0)
	v_xor_b32_e32 v4, 0x80000000, v3
.LBB133_8:                              ;   in Loop: Header=BB133_4 Depth=1
	global_load_b32 v3, v[1:2], off
	v_add_co_u32 v5, vcc_lo, v1, s28
	v_add_co_ci_u32_e32 v6, vcc_lo, s29, v2, vcc_lo
	s_and_not1_b32 vcc_lo, exec_lo, s33
	s_waitcnt vmcnt(0)
	ds_store_b64 v9, v[3:4]
	s_cbranch_vccnz .LBB133_10
; %bb.9:                                ;   in Loop: Header=BB133_4 Depth=1
	global_load_b32 v4, v[5:6], off offset:4
	s_cbranch_execz .LBB133_11
	s_branch .LBB133_12
.LBB133_10:                             ;   in Loop: Header=BB133_4 Depth=1
                                        ; implicit-def: $vgpr4
.LBB133_11:                             ;   in Loop: Header=BB133_4 Depth=1
	global_load_b32 v3, v[5:6], off offset:4
	s_waitcnt vmcnt(0)
	v_xor_b32_e32 v4, 0x80000000, v3
.LBB133_12:                             ;   in Loop: Header=BB133_4 Depth=1
	global_load_b32 v3, v[5:6], off
	v_add_co_u32 v5, vcc_lo, v1, s26
	v_add_co_ci_u32_e32 v6, vcc_lo, s27, v2, vcc_lo
	s_and_not1_b32 vcc_lo, exec_lo, s33
	s_waitcnt vmcnt(0)
	ds_store_b64 v9, v[3:4] offset:32
	s_cbranch_vccnz .LBB133_14
; %bb.13:                               ;   in Loop: Header=BB133_4 Depth=1
	global_load_b32 v4, v[5:6], off offset:4
	s_cbranch_execz .LBB133_15
	s_branch .LBB133_16
.LBB133_14:                             ;   in Loop: Header=BB133_4 Depth=1
                                        ; implicit-def: $vgpr4
.LBB133_15:                             ;   in Loop: Header=BB133_4 Depth=1
	global_load_b32 v3, v[5:6], off offset:4
	s_waitcnt vmcnt(0)
	v_xor_b32_e32 v4, 0x80000000, v3
.LBB133_16:                             ;   in Loop: Header=BB133_4 Depth=1
	global_load_b32 v3, v[5:6], off
	v_add_co_u32 v5, vcc_lo, v1, s35
	v_add_co_ci_u32_e32 v6, vcc_lo, s34, v2, vcc_lo
	s_and_not1_b32 vcc_lo, exec_lo, s33
	s_waitcnt vmcnt(0)
	ds_store_b64 v9, v[3:4] offset:64
	s_cbranch_vccnz .LBB133_18
; %bb.17:                               ;   in Loop: Header=BB133_4 Depth=1
	global_load_b32 v4, v[5:6], off offset:4
	s_cbranch_execnz .LBB133_3
	s_branch .LBB133_19
.LBB133_18:                             ;   in Loop: Header=BB133_4 Depth=1
                                        ; implicit-def: $vgpr4
.LBB133_19:                             ;   in Loop: Header=BB133_4 Depth=1
	global_load_b32 v3, v[5:6], off offset:4
	s_waitcnt vmcnt(0)
	v_xor_b32_e32 v4, 0x80000000, v3
	s_branch .LBB133_3
.LBB133_20:
	s_and_b32 s24, s15, 3
	s_delay_alu instid0(SALU_CYCLE_1)
	s_cmp_eq_u32 s24, 0
	s_cbranch_scc1 .LBB133_27
; %bb.21:
	s_mul_i32 s25, s23, s21
	s_mul_hi_u32 s27, s22, s21
	s_mul_i32 s26, s22, s21
	s_add_i32 s27, s27, s25
	s_lshl_b64 s[18:19], s[18:19], 3
	s_lshl_b64 s[26:27], s[26:27], 3
	v_lshlrev_b32_e32 v1, 3, v7
	s_add_u32 s18, s26, s18
	s_addc_u32 s19, s27, s19
	s_waitcnt lgkmcnt(0)
	s_add_u32 s16, s16, s18
	s_addc_u32 s17, s17, s19
	v_add_co_u32 v2, s16, s16, v1
	s_delay_alu instid0(VALU_DEP_1) | instskip(SKIP_1) | instid1(VALU_DEP_3)
	v_add_co_ci_u32_e64 v3, null, s17, 0, s16
	v_lshl_or_b32 v5, s21, 5, v1
	v_add_co_u32 v1, vcc_lo, v2, 4
	s_delay_alu instid0(VALU_DEP_3)
	v_add_co_ci_u32_e32 v2, vcc_lo, 0, v3, vcc_lo
	s_lshl_b64 s[16:17], s[22:23], 3
	s_set_inst_prefetch_distance 0x1
	s_branch .LBB133_23
	.p2align	6
.LBB133_22:                             ;   in Loop: Header=BB133_23 Depth=1
	global_load_b32 v3, v[1:2], off offset:-4
	v_add_co_u32 v1, vcc_lo, v1, s16
	v_add_co_ci_u32_e32 v2, vcc_lo, s17, v2, vcc_lo
	s_add_i32 s24, s24, -1
	s_delay_alu instid0(SALU_CYCLE_1)
	s_cmp_lg_u32 s24, 0
	s_waitcnt vmcnt(0)
	ds_store_b64 v5, v[3:4]
	v_add_nc_u32_e32 v5, 32, v5
	s_cbranch_scc0 .LBB133_27
.LBB133_23:                             ; =>This Inner Loop Header: Depth=1
	v_cmp_ne_u32_e32 vcc_lo, 1, v8
	s_mov_b32 s18, -1
                                        ; implicit-def: $vgpr4
	s_cbranch_vccnz .LBB133_25
; %bb.24:                               ;   in Loop: Header=BB133_23 Depth=1
	global_load_b32 v4, v[1:2], off
	s_mov_b32 s18, 0
.LBB133_25:                             ;   in Loop: Header=BB133_23 Depth=1
	s_delay_alu instid0(SALU_CYCLE_1)
	s_and_not1_b32 vcc_lo, exec_lo, s18
	s_cbranch_vccnz .LBB133_22
; %bb.26:                               ;   in Loop: Header=BB133_23 Depth=1
	global_load_b32 v3, v[1:2], off
	s_waitcnt vmcnt(0)
	v_xor_b32_e32 v4, 0x80000000, v3
	s_branch .LBB133_22
.LBB133_27:
	s_set_inst_prefetch_distance 0x2
	v_mul_u32_u24_e32 v1, 5, v7
	s_cmpk_lg_i32 s9, 0x84
	s_mov_b32 s9, -1
	s_delay_alu instid0(VALU_DEP_1)
	v_lshlrev_b32_e32 v5, 3, v1
	s_cbranch_scc0 .LBB133_33
; %bb.28:
	ds_load_b64 v[1:2], v5
	s_waitcnt lgkmcnt(0)
	v_cmp_gt_f32_e32 vcc_lo, 0, v1
	v_cndmask_b32_e64 v3, v1, -v1, vcc_lo
	v_cmp_gt_f32_e32 vcc_lo, 0, v2
	v_cndmask_b32_e64 v4, v2, -v2, vcc_lo
	s_delay_alu instid0(VALU_DEP_1) | instskip(SKIP_1) | instid1(SALU_CYCLE_1)
	v_cmp_ngt_f32_e32 vcc_lo, v3, v4
                                        ; implicit-def: $vgpr3
	s_and_saveexec_b32 s9, vcc_lo
	s_xor_b32 s9, exec_lo, s9
	s_cbranch_execz .LBB133_30
; %bb.29:
	v_div_scale_f32 v3, null, v2, v2, v1
	v_div_scale_f32 v8, vcc_lo, v1, v2, v1
	s_delay_alu instid0(VALU_DEP_2) | instskip(SKIP_2) | instid1(VALU_DEP_1)
	v_rcp_f32_e32 v4, v3
	s_waitcnt_depctr 0xfff
	v_fma_f32 v6, -v3, v4, 1.0
	v_fmac_f32_e32 v4, v6, v4
	s_delay_alu instid0(VALU_DEP_1) | instskip(NEXT) | instid1(VALU_DEP_1)
	v_mul_f32_e32 v6, v8, v4
	v_fma_f32 v9, -v3, v6, v8
	s_delay_alu instid0(VALU_DEP_1) | instskip(NEXT) | instid1(VALU_DEP_1)
	v_fmac_f32_e32 v6, v9, v4
	v_fma_f32 v3, -v3, v6, v8
	s_delay_alu instid0(VALU_DEP_1) | instskip(NEXT) | instid1(VALU_DEP_1)
	v_div_fmas_f32 v3, v3, v4, v6
	v_div_fixup_f32 v3, v3, v2, v1
	s_delay_alu instid0(VALU_DEP_1) | instskip(NEXT) | instid1(VALU_DEP_1)
	v_fmac_f32_e32 v2, v1, v3
	v_div_scale_f32 v1, null, v2, v2, 1.0
	v_div_scale_f32 v8, vcc_lo, 1.0, v2, 1.0
	s_delay_alu instid0(VALU_DEP_2) | instskip(SKIP_2) | instid1(VALU_DEP_1)
	v_rcp_f32_e32 v4, v1
	s_waitcnt_depctr 0xfff
	v_fma_f32 v6, -v1, v4, 1.0
	v_fmac_f32_e32 v4, v6, v4
	s_delay_alu instid0(VALU_DEP_1) | instskip(NEXT) | instid1(VALU_DEP_1)
	v_mul_f32_e32 v6, v8, v4
	v_fma_f32 v9, -v1, v6, v8
	s_delay_alu instid0(VALU_DEP_1) | instskip(NEXT) | instid1(VALU_DEP_1)
	v_fmac_f32_e32 v6, v9, v4
	v_fma_f32 v1, -v1, v6, v8
	s_delay_alu instid0(VALU_DEP_1) | instskip(SKIP_1) | instid1(VALU_DEP_2)
	v_div_fmas_f32 v1, v1, v4, v6
	v_add_f32_e32 v4, 0, v3
	v_div_fixup_f32 v1, v1, v2, 1.0
	v_fma_f32 v2, v3, 0, -1.0
	s_delay_alu instid0(VALU_DEP_2) | instskip(NEXT) | instid1(VALU_DEP_2)
	v_mul_f32_e32 v3, v4, v1
	v_mul_f32_e32 v4, v2, v1
                                        ; implicit-def: $vgpr1_vgpr2
.LBB133_30:
	s_and_not1_saveexec_b32 s9, s9
	s_cbranch_execz .LBB133_32
; %bb.31:
	v_div_scale_f32 v3, null, v1, v1, v2
	v_div_scale_f32 v8, vcc_lo, v2, v1, v2
	s_delay_alu instid0(VALU_DEP_2) | instskip(SKIP_2) | instid1(VALU_DEP_1)
	v_rcp_f32_e32 v4, v3
	s_waitcnt_depctr 0xfff
	v_fma_f32 v6, -v3, v4, 1.0
	v_fmac_f32_e32 v4, v6, v4
	s_delay_alu instid0(VALU_DEP_1) | instskip(NEXT) | instid1(VALU_DEP_1)
	v_mul_f32_e32 v6, v8, v4
	v_fma_f32 v9, -v3, v6, v8
	s_delay_alu instid0(VALU_DEP_1) | instskip(NEXT) | instid1(VALU_DEP_1)
	v_fmac_f32_e32 v6, v9, v4
	v_fma_f32 v3, -v3, v6, v8
	s_delay_alu instid0(VALU_DEP_1) | instskip(NEXT) | instid1(VALU_DEP_1)
	v_div_fmas_f32 v3, v3, v4, v6
	v_div_fixup_f32 v4, v3, v1, v2
	s_delay_alu instid0(VALU_DEP_1) | instskip(NEXT) | instid1(VALU_DEP_1)
	v_fmac_f32_e32 v1, v2, v4
	v_div_scale_f32 v2, null, v1, v1, 1.0
	v_div_scale_f32 v8, vcc_lo, 1.0, v1, 1.0
	s_delay_alu instid0(VALU_DEP_2) | instskip(SKIP_2) | instid1(VALU_DEP_1)
	v_rcp_f32_e32 v3, v2
	s_waitcnt_depctr 0xfff
	v_fma_f32 v6, -v2, v3, 1.0
	v_fmac_f32_e32 v3, v6, v3
	s_delay_alu instid0(VALU_DEP_1) | instskip(NEXT) | instid1(VALU_DEP_1)
	v_mul_f32_e32 v6, v8, v3
	v_fma_f32 v9, -v2, v6, v8
	s_delay_alu instid0(VALU_DEP_1) | instskip(NEXT) | instid1(VALU_DEP_1)
	v_fmac_f32_e32 v6, v9, v3
	v_fma_f32 v2, -v2, v6, v8
	s_delay_alu instid0(VALU_DEP_1) | instskip(SKIP_1) | instid1(VALU_DEP_2)
	v_div_fmas_f32 v2, v2, v3, v6
	v_fma_f32 v3, v4, 0, 1.0
	v_div_fixup_f32 v1, v2, v1, 1.0
	s_delay_alu instid0(VALU_DEP_1)
	v_mul_f32_e32 v3, v3, v1
	v_mul_f32_e64 v4, -v4, v1
.LBB133_32:
	s_or_b32 exec_lo, exec_lo, s9
	s_mov_b32 s9, 0
	ds_store_b64 v5, v[3:4]
.LBB133_33:
	s_and_b32 vcc_lo, exec_lo, s9
	s_cbranch_vccz .LBB133_35
; %bb.34:
	v_dual_mov_b32 v1, 1.0 :: v_dual_mov_b32 v2, 0
	ds_store_b64 v5, v[1:2]
.LBB133_35:
	s_or_b32 exec_lo, exec_lo, s31
	s_load_b32 s9, s[2:3], 0x50
	s_lshl_b32 s2, s14, 2
	s_add_i32 s30, s30, -1
	s_sub_i32 s3, s11, s2
	s_waitcnt lgkmcnt(0)
	s_ashr_i32 s16, s9, 31
	s_cmp_ge_u32 s14, s30
	s_cselect_b32 s11, s3, 4
	s_ashr_i32 s3, s2, 31
	v_cmp_gt_i32_e32 vcc_lo, s11, v7
	s_cmp_gt_i32 s10, 0
	s_cselect_b32 s10, -1, 0
	s_delay_alu instid0(SALU_CYCLE_1) | instskip(NEXT) | instid1(SALU_CYCLE_1)
	s_and_b32 s10, vcc_lo, s10
	s_and_saveexec_b32 s11, s10
	s_cbranch_execz .LBB133_38
; %bb.36:
	v_lshlrev_b32_e32 v3, 3, v7
	s_lshl_b64 s[18:19], s[2:3], 3
	s_lshl_b64 s[22:23], s[6:7], 3
	s_delay_alu instid0(VALU_DEP_1) | instskip(NEXT) | instid1(VALU_DEP_1)
	v_add_co_u32 v4, s3, s18, v3
	v_add_co_ci_u32_e64 v1, null, s19, 0, s3
	s_add_u32 s18, s4, s22
	s_addc_u32 s19, s5, s23
	s_delay_alu instid0(VALU_DEP_2) | instskip(NEXT) | instid1(VALU_DEP_2)
	v_mul_lo_u32 v5, v4, s16
	v_mul_lo_u32 v6, v1, s9
	v_mad_u64_u32 v[1:2], null, v4, s9, s[18:19]
	v_or_b32_e32 v3, 0x80, v3
	s_mov_b32 s3, s15
	s_delay_alu instid0(VALU_DEP_2) | instskip(NEXT) | instid1(VALU_DEP_3)
	v_add3_u32 v2, v6, v2, v5
	v_add_co_u32 v1, vcc_lo, v1, 4
	s_delay_alu instid0(VALU_DEP_2)
	v_add_co_ci_u32_e32 v2, vcc_lo, 0, v2, vcc_lo
.LBB133_37:                             ; =>This Inner Loop Header: Depth=1
	global_load_b64 v[4:5], v[1:2], off offset:-4
	v_add_co_u32 v1, vcc_lo, v1, 8
	v_add_co_ci_u32_e32 v2, vcc_lo, 0, v2, vcc_lo
	s_add_i32 s3, s3, -1
	s_delay_alu instid0(SALU_CYCLE_1) | instskip(SKIP_3) | instid1(VALU_DEP_2)
	s_cmp_lg_u32 s3, 0
	s_waitcnt vmcnt(0)
	v_mul_f32_e32 v8, s13, v5
	v_mul_f32_e32 v6, s12, v5
	v_fma_f32 v5, s12, v4, -v8
	s_delay_alu instid0(VALU_DEP_2)
	v_fmac_f32_e32 v6, s13, v4
	ds_store_b64 v3, v[5:6]
	v_add_nc_u32_e32 v3, 32, v3
	s_cbranch_scc1 .LBB133_37
.LBB133_38:
	s_or_b32 exec_lo, exec_lo, s11
	s_load_b64 s[0:1], s[0:1], 0x4
	v_bfe_u32 v1, v0, 10, 10
	v_bfe_u32 v0, v0, 20, 10
	s_waitcnt vmcnt(0) lgkmcnt(0)
	s_waitcnt_vscnt null, 0x0
	; wave barrier
	s_waitcnt lgkmcnt(0)
	buffer_gl0_inv
	s_lshr_b32 s0, s0, 16
	v_mul_u32_u24_e32 v1, s1, v1
	s_mul_i32 s0, s0, s1
	s_cmpk_eq_i32 s8, 0x6f
	v_mul_u32_u24_e32 v2, s0, v7
	s_mov_b32 s0, -1
	s_delay_alu instid0(VALU_DEP_1) | instskip(NEXT) | instid1(VALU_DEP_1)
	v_add3_u32 v0, v2, v1, v0
	v_lshl_add_u32 v2, v0, 5, 0x100
	s_cbranch_scc1 .LBB133_60
; %bb.39:
	v_lshl_or_b32 v3, v7, 3, 0x80
	v_lshlrev_b32_e32 v4, 3, v7
	s_mov_b32 s1, 0
	s_delay_alu instid0(SALU_CYCLE_1)
	s_mov_b32 s0, s1
	s_mov_b32 s3, s1
	s_branch .LBB133_41
.LBB133_40:                             ;   in Loop: Header=BB133_41 Depth=1
	s_cmp_ge_i32 s3, s15
	s_cselect_b32 s8, -1, 0
	s_add_i32 s0, s0, 1
	s_delay_alu instid0(SALU_CYCLE_1) | instskip(SKIP_1) | instid1(SALU_CYCLE_1)
	s_cmp_eq_u32 s0, 3
	s_cselect_b32 s11, -1, 0
	s_or_b32 s8, s8, s11
	s_delay_alu instid0(SALU_CYCLE_1)
	s_and_not1_b32 vcc_lo, exec_lo, s8
	s_cbranch_vccz .LBB133_59
.LBB133_41:                             ; =>This Loop Header: Depth=1
                                        ;     Child Loop BB133_44 Depth 2
                                        ;       Child Loop BB133_45 Depth 3
                                        ;       Child Loop BB133_48 Depth 3
                                        ;         Child Loop BB133_49 Depth 4
                                        ;       Child Loop BB133_53 Depth 3
                                        ;         Child Loop BB133_55 Depth 4
	s_getpc_b64 s[12:13]
	s_add_u32 s12, s12, __const._ZL38rocblas_trsm_small_left_device_sharedBILi4ELi4ELb0E19rocblas_complex_numIfES1_PKPKS1_PKPS1_Ev13rocblas_fill_18rocblas_operation_17rocblas_diagonal_iiT3_T4_lilT5_lili.step_sizes@rel32@lo+4
	s_addc_u32 s13, s13, __const._ZL38rocblas_trsm_small_left_device_sharedBILi4ELi4ELb0E19rocblas_complex_numIfES1_PKPKS1_PKPS1_Ev13rocblas_fill_18rocblas_operation_17rocblas_diagonal_iiT3_T4_lilT5_lili.step_sizes@rel32@hi+12
	s_lshl_b64 s[16:17], s[0:1], 2
	s_delay_alu instid0(SALU_CYCLE_1) | instskip(SKIP_4) | instid1(SALU_CYCLE_1)
	s_add_u32 s12, s16, s12
	s_addc_u32 s13, s17, s13
	s_load_b32 s8, s[12:13], 0x0
	s_waitcnt lgkmcnt(0)
	s_add_i32 s11, s8, -1
	s_add_i32 s12, s11, s3
	s_delay_alu instid0(SALU_CYCLE_1)
	s_cmp_ge_i32 s12, s15
	s_cbranch_scc1 .LBB133_40
; %bb.42:                               ;   in Loop: Header=BB133_41 Depth=1
	s_lshl_b32 s12, s3, 5
	s_max_i32 s13, s8, 1
	v_add_nc_u32_e32 v5, s12, v3
	s_lshl_b32 s14, s8, 5
	s_mul_i32 s16, s3, 40
	s_mul_i32 s17, s8, 40
	s_branch .LBB133_44
.LBB133_43:                             ;   in Loop: Header=BB133_44 Depth=2
	s_add_i32 s3, s3, s8
	v_add_nc_u32_e32 v5, s14, v5
	s_add_i32 s18, s11, s3
	s_add_i32 s12, s12, s14
	;; [unrolled: 1-line block ×3, first 2 shown]
	s_cmp_ge_i32 s18, s15
	s_cbranch_scc1 .LBB133_40
.LBB133_44:                             ;   Parent Loop BB133_41 Depth=1
                                        ; =>  This Loop Header: Depth=2
                                        ;       Child Loop BB133_45 Depth 3
                                        ;       Child Loop BB133_48 Depth 3
                                        ;         Child Loop BB133_49 Depth 4
                                        ;       Child Loop BB133_53 Depth 3
                                        ;         Child Loop BB133_55 Depth 4
	v_dual_mov_b32 v0, v2 :: v_dual_mov_b32 v1, v5
	s_mov_b32 s18, s13
.LBB133_45:                             ;   Parent Loop BB133_41 Depth=1
                                        ;     Parent Loop BB133_44 Depth=2
                                        ; =>    This Inner Loop Header: Depth=3
	ds_load_b64 v[8:9], v1
	v_add_nc_u32_e32 v1, 32, v1
	s_add_i32 s18, s18, -1
	s_delay_alu instid0(SALU_CYCLE_1)
	s_cmp_eq_u32 s18, 0
	s_waitcnt lgkmcnt(0)
	ds_store_b64 v0, v[8:9]
	v_add_nc_u32_e32 v0, 8, v0
	s_cbranch_scc0 .LBB133_45
; %bb.46:                               ;   in Loop: Header=BB133_44 Depth=2
	s_cmp_lt_i32 s3, 1
	s_cbranch_scc1 .LBB133_51
; %bb.47:                               ;   in Loop: Header=BB133_44 Depth=2
	s_mov_b32 s18, 0
	s_mov_b32 s19, s12
	.p2align	6
.LBB133_48:                             ;   Parent Loop BB133_41 Depth=1
                                        ;     Parent Loop BB133_44 Depth=2
                                        ; =>    This Loop Header: Depth=3
                                        ;         Child Loop BB133_49 Depth 4
	v_lshl_or_b32 v0, s18, 5, v4
	v_mov_b32_e32 v6, v2
	s_mov_b32 s21, s19
	s_mov_b32 s22, s13
	ds_load_b64 v[0:1], v0 offset:128
	.p2align	6
.LBB133_49:                             ;   Parent Loop BB133_41 Depth=1
                                        ;     Parent Loop BB133_44 Depth=2
                                        ;       Parent Loop BB133_48 Depth=3
                                        ; =>      This Inner Loop Header: Depth=4
	v_mov_b32_e32 v8, s21
	s_add_i32 s22, s22, -1
	s_add_i32 s21, s21, 32
	s_cmp_eq_u32 s22, 0
	ds_load_b64 v[8:9], v8
	ds_load_b64 v[10:11], v6
	s_waitcnt lgkmcnt(1)
	v_mul_f32_e32 v12, v9, v1
	v_mul_f32_e32 v9, v9, v0
	s_delay_alu instid0(VALU_DEP_2) | instskip(SKIP_1) | instid1(VALU_DEP_1)
	v_fma_f32 v12, v8, v0, -v12
	s_waitcnt lgkmcnt(0)
	v_dual_fmac_f32 v9, v8, v1 :: v_dual_sub_f32 v8, v10, v12
	s_delay_alu instid0(VALU_DEP_1)
	v_sub_f32_e32 v9, v11, v9
	ds_store_b64 v6, v[8:9]
	v_add_nc_u32_e32 v6, 8, v6
	s_cbranch_scc0 .LBB133_49
; %bb.50:                               ;   in Loop: Header=BB133_48 Depth=3
	s_add_i32 s18, s18, 1
	s_add_i32 s19, s19, 8
	s_cmp_ge_i32 s18, s3
	s_cbranch_scc0 .LBB133_48
.LBB133_51:                             ;   in Loop: Header=BB133_44 Depth=2
	s_lshl_b32 s18, s3, 2
	s_mov_b32 s19, 0
	s_mov_b32 s21, s16
	s_branch .LBB133_53
.LBB133_52:                             ;   in Loop: Header=BB133_53 Depth=3
	s_mul_i32 s23, s23, 40
	s_add_i32 s19, s19, 1
	v_mov_b32_e32 v8, s23
	s_add_i32 s21, s21, 32
	s_cmp_eq_u32 s19, s13
	ds_load_b64 v[8:9], v8
	s_waitcnt lgkmcnt(0)
	v_mul_f32_e32 v10, v9, v1
	v_mul_f32_e32 v11, v8, v1
	s_delay_alu instid0(VALU_DEP_2) | instskip(NEXT) | instid1(VALU_DEP_2)
	v_fma_f32 v10, v8, v0, -v10
	v_fmac_f32_e32 v11, v9, v0
	v_add_lshl_u32 v0, s22, v7, 3
	ds_store_b64 v6, v[10:11]
	ds_store_b64 v0, v[10:11] offset:128
	s_cbranch_scc1 .LBB133_43
.LBB133_53:                             ;   Parent Loop BB133_41 Depth=1
                                        ;     Parent Loop BB133_44 Depth=2
                                        ; =>    This Loop Header: Depth=3
                                        ;         Child Loop BB133_55 Depth 4
	v_lshl_add_u32 v6, s19, 3, v2
	s_cmp_lg_u32 s19, 0
	s_cbranch_scc0 .LBB133_57
; %bb.54:                               ;   in Loop: Header=BB133_53 Depth=3
	ds_load_b64 v[0:1], v6
	v_mov_b32_e32 v8, v2
	s_add_i32 s23, s19, s3
	s_mov_b32 s24, 0
	s_lshl_b32 s22, s23, 2
	s_mov_b32 s25, s21
	.p2align	6
.LBB133_55:                             ;   Parent Loop BB133_41 Depth=1
                                        ;     Parent Loop BB133_44 Depth=2
                                        ;       Parent Loop BB133_53 Depth=3
                                        ; =>      This Inner Loop Header: Depth=4
	s_delay_alu instid0(SALU_CYCLE_1)
	v_mov_b32_e32 v11, s25
	s_add_i32 s24, s24, 1
	s_add_i32 s25, s25, 8
	s_cmp_ge_u32 s24, s19
	ds_load_b64 v[9:10], v8
	ds_load_b64 v[11:12], v11
	s_waitcnt lgkmcnt(0)
	v_dual_mul_f32 v13, v12, v10 :: v_dual_add_nc_u32 v8, 8, v8
	v_mul_f32_e32 v10, v11, v10
	s_delay_alu instid0(VALU_DEP_2) | instskip(NEXT) | instid1(VALU_DEP_2)
	v_fma_f32 v11, v11, v9, -v13
	v_fmac_f32_e32 v10, v12, v9
	s_delay_alu instid0(VALU_DEP_1)
	v_dual_sub_f32 v0, v0, v11 :: v_dual_sub_f32 v1, v1, v10
	ds_store_b64 v6, v[0:1]
	s_cbranch_scc0 .LBB133_55
; %bb.56:                               ;   in Loop: Header=BB133_53 Depth=3
	s_branch .LBB133_52
.LBB133_57:                             ;   in Loop: Header=BB133_53 Depth=3
                                        ; implicit-def: $vgpr0
                                        ; implicit-def: $sgpr23
                                        ; implicit-def: $sgpr22
	s_cbranch_execz .LBB133_52
; %bb.58:                               ;   in Loop: Header=BB133_53 Depth=3
	ds_load_b64 v[0:1], v2
	s_mov_b32 s22, s18
	s_mov_b32 s23, s3
	s_branch .LBB133_52
.LBB133_59:
	s_mov_b32 s0, 0
.LBB133_60:
	s_delay_alu instid0(SALU_CYCLE_1)
	s_and_b32 vcc_lo, exec_lo, s0
	s_cbranch_vccz .LBB133_80
; %bb.61:
	v_lshl_or_b32 v3, v7, 3, 0x80
	v_lshlrev_b32_e32 v4, 3, v7
	s_lshl_b32 s0, s15, 5
	s_mov_b32 s1, 0
	s_sub_i32 s3, s0, 32
	s_mov_b32 s0, s1
	s_mov_b32 s8, s20
	s_branch .LBB133_63
.LBB133_62:                             ;   in Loop: Header=BB133_63 Depth=1
	s_cmp_lt_i32 s8, 0
	s_cselect_b32 s11, -1, 0
	s_add_i32 s0, s0, 1
	s_delay_alu instid0(SALU_CYCLE_1) | instskip(SKIP_1) | instid1(SALU_CYCLE_1)
	s_cmp_eq_u32 s0, 3
	s_cselect_b32 s12, -1, 0
	s_or_b32 s11, s11, s12
	s_delay_alu instid0(SALU_CYCLE_1)
	s_and_b32 vcc_lo, exec_lo, s11
	s_cbranch_vccnz .LBB133_80
.LBB133_63:                             ; =>This Loop Header: Depth=1
                                        ;     Child Loop BB133_66 Depth 2
                                        ;       Child Loop BB133_67 Depth 3
                                        ;       Child Loop BB133_69 Depth 3
                                        ;         Child Loop BB133_70 Depth 4
                                        ;       Child Loop BB133_74 Depth 3
                                        ;         Child Loop BB133_76 Depth 4
	s_getpc_b64 s[12:13]
	s_add_u32 s12, s12, __const._ZL38rocblas_trsm_small_left_device_sharedBILi4ELi4ELb0E19rocblas_complex_numIfES1_PKPKS1_PKPS1_Ev13rocblas_fill_18rocblas_operation_17rocblas_diagonal_iiT3_T4_lilT5_lili.step_sizes@rel32@lo+4
	s_addc_u32 s13, s13, __const._ZL38rocblas_trsm_small_left_device_sharedBILi4ELi4ELb0E19rocblas_complex_numIfES1_PKPKS1_PKPS1_Ev13rocblas_fill_18rocblas_operation_17rocblas_diagonal_iiT3_T4_lilT5_lili.step_sizes@rel32@hi+12
	s_lshl_b64 s[16:17], s[0:1], 2
	s_delay_alu instid0(SALU_CYCLE_1) | instskip(SKIP_4) | instid1(SALU_CYCLE_1)
	s_add_u32 s12, s16, s12
	s_addc_u32 s13, s17, s13
	s_load_b32 s11, s[12:13], 0x0
	s_waitcnt lgkmcnt(0)
	s_add_i32 s12, s11, -1
	s_cmp_lt_i32 s8, s12
	s_cbranch_scc1 .LBB133_62
; %bb.64:                               ;   in Loop: Header=BB133_63 Depth=1
	v_lshl_add_u32 v5, s8, 5, v3
	s_lshl_b32 s14, s11, 5
	s_lshl_b32 s16, s8, 3
	;; [unrolled: 1-line block ×3, first 2 shown]
	s_max_i32 s13, s11, 1
	s_sub_i32 s14, 0, s14
	s_add_i32 s16, s3, s16
	s_sub_i32 s17, 0, s17
	s_mul_i32 s18, s8, 40
	s_mul_i32 s19, s11, 0xffffffd8
	s_branch .LBB133_66
.LBB133_65:                             ;   in Loop: Header=BB133_66 Depth=2
	v_add_nc_u32_e32 v5, s14, v5
	s_sub_i32 s8, s8, s11
	s_add_i32 s16, s16, s17
	s_add_i32 s18, s18, s19
	s_cmp_lt_i32 s8, s12
	s_cbranch_scc1 .LBB133_62
.LBB133_66:                             ;   Parent Loop BB133_63 Depth=1
                                        ; =>  This Loop Header: Depth=2
                                        ;       Child Loop BB133_67 Depth 3
                                        ;       Child Loop BB133_69 Depth 3
                                        ;         Child Loop BB133_70 Depth 4
                                        ;       Child Loop BB133_74 Depth 3
                                        ;         Child Loop BB133_76 Depth 4
	v_dual_mov_b32 v0, v2 :: v_dual_mov_b32 v1, v5
	s_mov_b32 s21, s13
.LBB133_67:                             ;   Parent Loop BB133_63 Depth=1
                                        ;     Parent Loop BB133_66 Depth=2
                                        ; =>    This Inner Loop Header: Depth=3
	ds_load_b64 v[8:9], v1
	v_subrev_nc_u32_e32 v1, 32, v1
	s_add_i32 s21, s21, -1
	s_delay_alu instid0(SALU_CYCLE_1)
	s_cmp_eq_u32 s21, 0
	s_waitcnt lgkmcnt(0)
	ds_store_b64 v0, v[8:9]
	v_add_nc_u32_e32 v0, 8, v0
	s_cbranch_scc0 .LBB133_67
; %bb.68:                               ;   in Loop: Header=BB133_66 Depth=2
	s_cmp_le_i32 s20, s8
	s_mov_b32 s21, s16
	s_mov_b32 s22, s20
	s_cbranch_scc1 .LBB133_72
	.p2align	6
.LBB133_69:                             ;   Parent Loop BB133_63 Depth=1
                                        ;     Parent Loop BB133_66 Depth=2
                                        ; =>    This Loop Header: Depth=3
                                        ;         Child Loop BB133_70 Depth 4
	v_lshl_or_b32 v0, s22, 5, v4
	v_mov_b32_e32 v6, v2
	s_mov_b32 s23, s13
	s_mov_b32 s24, s21
	ds_load_b64 v[0:1], v0 offset:128
	.p2align	6
.LBB133_70:                             ;   Parent Loop BB133_63 Depth=1
                                        ;     Parent Loop BB133_66 Depth=2
                                        ;       Parent Loop BB133_69 Depth=3
                                        ; =>      This Inner Loop Header: Depth=4
	v_mov_b32_e32 v8, s24
	s_add_i32 s23, s23, -1
	s_add_i32 s24, s24, -8
	s_cmp_eq_u32 s23, 0
	ds_load_b64 v[8:9], v8
	ds_load_b64 v[10:11], v6
	s_waitcnt lgkmcnt(1)
	v_mul_f32_e32 v12, v9, v1
	v_mul_f32_e32 v9, v9, v0
	s_delay_alu instid0(VALU_DEP_2) | instskip(SKIP_1) | instid1(VALU_DEP_1)
	v_fma_f32 v12, v8, v0, -v12
	s_waitcnt lgkmcnt(0)
	v_dual_fmac_f32 v9, v8, v1 :: v_dual_sub_f32 v8, v10, v12
	s_delay_alu instid0(VALU_DEP_1)
	v_sub_f32_e32 v9, v11, v9
	ds_store_b64 v6, v[8:9]
	v_add_nc_u32_e32 v6, 8, v6
	s_cbranch_scc0 .LBB133_70
; %bb.71:                               ;   in Loop: Header=BB133_69 Depth=3
	s_add_i32 s22, s22, -1
	s_sub_i32 s21, s21, 32
	s_cmp_le_i32 s22, s8
	s_cbranch_scc0 .LBB133_69
.LBB133_72:                             ;   in Loop: Header=BB133_66 Depth=2
	s_mov_b32 s21, 0
	s_mov_b32 s22, s18
	s_branch .LBB133_74
.LBB133_73:                             ;   in Loop: Header=BB133_74 Depth=3
	s_mul_i32 s24, s23, 40
	s_add_i32 s21, s21, 1
	v_mov_b32_e32 v8, s24
	s_add_i32 s22, s22, -8
	s_cmp_eq_u32 s21, s13
	ds_load_b64 v[8:9], v8
	s_waitcnt lgkmcnt(0)
	v_mul_f32_e32 v10, v9, v1
	v_mul_f32_e32 v11, v8, v1
	s_delay_alu instid0(VALU_DEP_2) | instskip(NEXT) | instid1(VALU_DEP_2)
	v_fma_f32 v10, v8, v0, -v10
	v_fmac_f32_e32 v11, v9, v0
	v_lshl_or_b32 v0, s23, 5, v4
	ds_store_b64 v6, v[10:11]
	ds_store_b64 v0, v[10:11] offset:128
	s_cbranch_scc1 .LBB133_65
.LBB133_74:                             ;   Parent Loop BB133_63 Depth=1
                                        ;     Parent Loop BB133_66 Depth=2
                                        ; =>    This Loop Header: Depth=3
                                        ;         Child Loop BB133_76 Depth 4
	v_lshl_add_u32 v6, s21, 3, v2
	s_cmp_lg_u32 s21, 0
	s_cbranch_scc0 .LBB133_78
; %bb.75:                               ;   in Loop: Header=BB133_74 Depth=3
	ds_load_b64 v[0:1], v6
	v_mov_b32_e32 v8, v2
	s_sub_i32 s23, s8, s21
	s_mov_b32 s24, 0
	s_mov_b32 s25, s22
	.p2align	6
.LBB133_76:                             ;   Parent Loop BB133_63 Depth=1
                                        ;     Parent Loop BB133_66 Depth=2
                                        ;       Parent Loop BB133_74 Depth=3
                                        ; =>      This Inner Loop Header: Depth=4
	s_delay_alu instid0(SALU_CYCLE_1)
	v_mov_b32_e32 v11, s25
	s_add_i32 s24, s24, 1
	s_sub_i32 s25, s25, 32
	s_cmp_ge_u32 s24, s21
	ds_load_b64 v[9:10], v8
	ds_load_b64 v[11:12], v11
	s_waitcnt lgkmcnt(0)
	v_dual_mul_f32 v13, v12, v10 :: v_dual_add_nc_u32 v8, 8, v8
	v_mul_f32_e32 v10, v11, v10
	s_delay_alu instid0(VALU_DEP_2) | instskip(NEXT) | instid1(VALU_DEP_2)
	v_fma_f32 v11, v11, v9, -v13
	v_fmac_f32_e32 v10, v12, v9
	s_delay_alu instid0(VALU_DEP_1)
	v_dual_sub_f32 v0, v0, v11 :: v_dual_sub_f32 v1, v1, v10
	ds_store_b64 v6, v[0:1]
	s_cbranch_scc0 .LBB133_76
; %bb.77:                               ;   in Loop: Header=BB133_74 Depth=3
	s_branch .LBB133_73
.LBB133_78:                             ;   in Loop: Header=BB133_74 Depth=3
                                        ; implicit-def: $vgpr0
                                        ; implicit-def: $sgpr23
	s_cbranch_execz .LBB133_73
; %bb.79:                               ;   in Loop: Header=BB133_74 Depth=3
	ds_load_b64 v[0:1], v2
	s_mov_b32 s23, s8
	s_branch .LBB133_73
.LBB133_80:
	s_waitcnt vmcnt(0) lgkmcnt(0)
	s_waitcnt_vscnt null, 0x0
	; wave barrier
	s_waitcnt lgkmcnt(0)
	buffer_gl0_inv
	s_and_saveexec_b32 s0, s10
	s_cbranch_execz .LBB133_83
; %bb.81:
	v_mad_i64_i32 v[0:1], null, s9, v7, 0
	s_lshl_b64 s[0:1], s[6:7], 3
	s_mul_hi_i32 s3, s9, s2
	s_mul_i32 s2, s9, s2
	s_add_u32 s4, s4, s0
	s_addc_u32 s5, s5, s1
	s_lshl_b64 s[0:1], s[2:3], 3
	s_delay_alu instid0(VALU_DEP_1) | instskip(SKIP_3) | instid1(VALU_DEP_2)
	v_lshlrev_b64 v[0:1], 3, v[0:1]
	s_add_u32 s0, s4, s0
	s_addc_u32 s1, s5, s1
	v_lshl_or_b32 v2, v7, 3, 0x80
	v_add_co_u32 v0, vcc_lo, s0, v0
	s_delay_alu instid0(VALU_DEP_3)
	v_add_co_ci_u32_e32 v1, vcc_lo, s1, v1, vcc_lo
.LBB133_82:                             ; =>This Inner Loop Header: Depth=1
	ds_load_b64 v[3:4], v2
	v_add_nc_u32_e32 v2, 32, v2
	s_add_i32 s15, s15, -1
	s_delay_alu instid0(SALU_CYCLE_1)
	s_cmp_lg_u32 s15, 0
	s_waitcnt lgkmcnt(0)
	global_store_b64 v[0:1], v[3:4], off
	v_add_co_u32 v0, vcc_lo, v0, 8
	v_add_co_ci_u32_e32 v1, vcc_lo, 0, v1, vcc_lo
	s_cbranch_scc1 .LBB133_82
.LBB133_83:
	s_nop 0
	s_sendmsg sendmsg(MSG_DEALLOC_VGPRS)
	s_endpgm
	.section	.rodata,"a",@progbits
	.p2align	6, 0x0
	.amdhsa_kernel _ZL38rocblas_trsm_small_left_device_sharedBILi4ELi4ELb0E19rocblas_complex_numIfES1_PKPKS1_PKPS1_Ev13rocblas_fill_18rocblas_operation_17rocblas_diagonal_iiT3_T4_lilT5_lili
		.amdhsa_group_segment_fixed_size 384
		.amdhsa_private_segment_fixed_size 0
		.amdhsa_kernarg_size 360
		.amdhsa_user_sgpr_count 14
		.amdhsa_user_sgpr_dispatch_ptr 1
		.amdhsa_user_sgpr_queue_ptr 0
		.amdhsa_user_sgpr_kernarg_segment_ptr 1
		.amdhsa_user_sgpr_dispatch_id 0
		.amdhsa_user_sgpr_private_segment_size 0
		.amdhsa_wavefront_size32 1
		.amdhsa_uses_dynamic_stack 0
		.amdhsa_enable_private_segment 0
		.amdhsa_system_sgpr_workgroup_id_x 1
		.amdhsa_system_sgpr_workgroup_id_y 0
		.amdhsa_system_sgpr_workgroup_id_z 1
		.amdhsa_system_sgpr_workgroup_info 0
		.amdhsa_system_vgpr_workitem_id 2
		.amdhsa_next_free_vgpr 14
		.amdhsa_next_free_sgpr 37
		.amdhsa_reserve_vcc 1
		.amdhsa_float_round_mode_32 0
		.amdhsa_float_round_mode_16_64 0
		.amdhsa_float_denorm_mode_32 3
		.amdhsa_float_denorm_mode_16_64 3
		.amdhsa_dx10_clamp 1
		.amdhsa_ieee_mode 1
		.amdhsa_fp16_overflow 0
		.amdhsa_workgroup_processor_mode 1
		.amdhsa_memory_ordered 1
		.amdhsa_forward_progress 0
		.amdhsa_shared_vgpr_count 0
		.amdhsa_exception_fp_ieee_invalid_op 0
		.amdhsa_exception_fp_denorm_src 0
		.amdhsa_exception_fp_ieee_div_zero 0
		.amdhsa_exception_fp_ieee_overflow 0
		.amdhsa_exception_fp_ieee_underflow 0
		.amdhsa_exception_fp_ieee_inexact 0
		.amdhsa_exception_int_div_zero 0
	.end_amdhsa_kernel
	.section	.text._ZL38rocblas_trsm_small_left_device_sharedBILi4ELi4ELb0E19rocblas_complex_numIfES1_PKPKS1_PKPS1_Ev13rocblas_fill_18rocblas_operation_17rocblas_diagonal_iiT3_T4_lilT5_lili,"axG",@progbits,_ZL38rocblas_trsm_small_left_device_sharedBILi4ELi4ELb0E19rocblas_complex_numIfES1_PKPKS1_PKPS1_Ev13rocblas_fill_18rocblas_operation_17rocblas_diagonal_iiT3_T4_lilT5_lili,comdat
.Lfunc_end133:
	.size	_ZL38rocblas_trsm_small_left_device_sharedBILi4ELi4ELb0E19rocblas_complex_numIfES1_PKPKS1_PKPS1_Ev13rocblas_fill_18rocblas_operation_17rocblas_diagonal_iiT3_T4_lilT5_lili, .Lfunc_end133-_ZL38rocblas_trsm_small_left_device_sharedBILi4ELi4ELb0E19rocblas_complex_numIfES1_PKPKS1_PKPS1_Ev13rocblas_fill_18rocblas_operation_17rocblas_diagonal_iiT3_T4_lilT5_lili
                                        ; -- End function
	.section	.AMDGPU.csdata,"",@progbits
; Kernel info:
; codeLenInByte = 3264
; NumSgprs: 39
; NumVgprs: 14
; ScratchSize: 0
; MemoryBound: 0
; FloatMode: 240
; IeeeMode: 1
; LDSByteSize: 384 bytes/workgroup (compile time only)
; SGPRBlocks: 4
; VGPRBlocks: 1
; NumSGPRsForWavesPerEU: 39
; NumVGPRsForWavesPerEU: 14
; Occupancy: 16
; WaveLimiterHint : 0
; COMPUTE_PGM_RSRC2:SCRATCH_EN: 0
; COMPUTE_PGM_RSRC2:USER_SGPR: 14
; COMPUTE_PGM_RSRC2:TRAP_HANDLER: 0
; COMPUTE_PGM_RSRC2:TGID_X_EN: 1
; COMPUTE_PGM_RSRC2:TGID_Y_EN: 0
; COMPUTE_PGM_RSRC2:TGID_Z_EN: 1
; COMPUTE_PGM_RSRC2:TIDIG_COMP_CNT: 2
	.section	.text._ZL30rocblas_trsm_small_left_deviceILi4ELi4ELb0E19rocblas_complex_numIfES1_PKPKS1_PKPS1_Ev13rocblas_fill_18rocblas_operation_17rocblas_diagonal_iiT3_T4_lilT5_lili,"axG",@progbits,_ZL30rocblas_trsm_small_left_deviceILi4ELi4ELb0E19rocblas_complex_numIfES1_PKPKS1_PKPS1_Ev13rocblas_fill_18rocblas_operation_17rocblas_diagonal_iiT3_T4_lilT5_lili,comdat
	.globl	_ZL30rocblas_trsm_small_left_deviceILi4ELi4ELb0E19rocblas_complex_numIfES1_PKPKS1_PKPS1_Ev13rocblas_fill_18rocblas_operation_17rocblas_diagonal_iiT3_T4_lilT5_lili ; -- Begin function _ZL30rocblas_trsm_small_left_deviceILi4ELi4ELb0E19rocblas_complex_numIfES1_PKPKS1_PKPS1_Ev13rocblas_fill_18rocblas_operation_17rocblas_diagonal_iiT3_T4_lilT5_lili
	.p2align	8
	.type	_ZL30rocblas_trsm_small_left_deviceILi4ELi4ELb0E19rocblas_complex_numIfES1_PKPKS1_PKPS1_Ev13rocblas_fill_18rocblas_operation_17rocblas_diagonal_iiT3_T4_lilT5_lili,@function
_ZL30rocblas_trsm_small_left_deviceILi4ELi4ELb0E19rocblas_complex_numIfES1_PKPKS1_PKPS1_Ev13rocblas_fill_18rocblas_operation_17rocblas_diagonal_iiT3_T4_lilT5_lili: ; @_ZL30rocblas_trsm_small_left_deviceILi4ELi4ELb0E19rocblas_complex_numIfES1_PKPKS1_PKPS1_Ev13rocblas_fill_18rocblas_operation_17rocblas_diagonal_iiT3_T4_lilT5_lili
; %bb.0:
	s_clause 0x1
	s_load_b128 s[8:11], s[2:3], 0x40
	s_load_b128 s[4:7], s[2:3], 0x4
	s_mov_b32 s20, s15
	s_mov_b32 s21, 0
	s_load_b32 s15, s[2:3], 0x68
	s_lshl_b64 s[24:25], s[20:21], 3
	v_and_b32_e32 v7, 0x3ff, v0
	s_waitcnt lgkmcnt(0)
	s_add_u32 s12, s8, s24
	s_addc_u32 s13, s9, s25
	s_load_b64 s[8:9], s[2:3], 0x14
	s_load_b64 s[12:13], s[12:13], 0x0
	s_min_i32 s30, s6, 4
	s_mov_b32 s6, exec_lo
	s_add_i32 s20, s30, -1
	v_cmpx_gt_i32_e64 s30, v7
	s_cbranch_execz .LBB134_35
; %bb.1:
	s_clause 0x1
	s_load_b32 s22, s[2:3], 0x30
	s_load_b128 s[16:19], s[2:3], 0x20
	v_lshlrev_b32_e32 v9, 3, v7
	s_waitcnt lgkmcnt(0)
	s_ashr_i32 s23, s22, 31
	s_cmpk_lg_i32 s4, 0x71
	s_cselect_b32 s31, -1, 0
	s_add_u32 s16, s16, s24
	s_addc_u32 s17, s17, s25
	v_cndmask_b32_e64 v8, 0, 1, s31
	s_load_b64 s[16:17], s[16:17], 0x0
	s_cmp_lt_u32 s20, 3
	s_cbranch_scc1 .LBB134_20
; %bb.2:
	s_lshl_b64 s[24:25], s[18:19], 3
	v_mov_b32_e32 v10, v9
	s_waitcnt lgkmcnt(0)
	s_add_u32 s21, s16, s24
	s_addc_u32 s24, s17, s25
	v_add_co_u32 v1, s21, s21, v9
	s_delay_alu instid0(VALU_DEP_1)
	v_add_co_ci_u32_e64 v2, null, s24, 0, s21
	s_and_b32 s21, s30, -4
	s_mul_hi_i32 s33, s22, 24
	s_mul_i32 s34, s22, 24
	s_lshl_b64 s[24:25], s[22:23], 5
	s_lshl_b64 s[26:27], s[22:23], 4
	;; [unrolled: 1-line block ×3, first 2 shown]
	s_mov_b32 s35, 0
	s_branch .LBB134_4
.LBB134_3:                              ;   in Loop: Header=BB134_4 Depth=1
	global_load_b32 v3, v[5:6], off
	v_add_co_u32 v1, vcc_lo, v1, s24
	v_add_co_ci_u32_e32 v2, vcc_lo, s25, v2, vcc_lo
	s_add_i32 s35, s35, 4
	s_delay_alu instid0(SALU_CYCLE_1)
	s_cmp_eq_u32 s21, s35
	s_waitcnt vmcnt(0)
	ds_store_b64 v10, v[3:4] offset:96
	v_add_nc_u32_e32 v10, 0x80, v10
	s_cbranch_scc1 .LBB134_20
.LBB134_4:                              ; =>This Inner Loop Header: Depth=1
	s_and_b32 vcc_lo, exec_lo, s31
	s_cbranch_vccz .LBB134_6
; %bb.5:                                ;   in Loop: Header=BB134_4 Depth=1
	global_load_b32 v4, v[1:2], off offset:4
	s_cbranch_execz .LBB134_7
	s_branch .LBB134_8
.LBB134_6:                              ;   in Loop: Header=BB134_4 Depth=1
                                        ; implicit-def: $vgpr4
.LBB134_7:                              ;   in Loop: Header=BB134_4 Depth=1
	global_load_b32 v3, v[1:2], off offset:4
	s_waitcnt vmcnt(0)
	v_xor_b32_e32 v4, 0x80000000, v3
.LBB134_8:                              ;   in Loop: Header=BB134_4 Depth=1
	global_load_b32 v3, v[1:2], off
	v_add_co_u32 v5, vcc_lo, v1, s28
	v_add_co_ci_u32_e32 v6, vcc_lo, s29, v2, vcc_lo
	s_and_not1_b32 vcc_lo, exec_lo, s31
	s_waitcnt vmcnt(0)
	ds_store_b64 v10, v[3:4]
	s_cbranch_vccnz .LBB134_10
; %bb.9:                                ;   in Loop: Header=BB134_4 Depth=1
	global_load_b32 v4, v[5:6], off offset:4
	s_cbranch_execz .LBB134_11
	s_branch .LBB134_12
.LBB134_10:                             ;   in Loop: Header=BB134_4 Depth=1
                                        ; implicit-def: $vgpr4
.LBB134_11:                             ;   in Loop: Header=BB134_4 Depth=1
	global_load_b32 v3, v[5:6], off offset:4
	s_waitcnt vmcnt(0)
	v_xor_b32_e32 v4, 0x80000000, v3
.LBB134_12:                             ;   in Loop: Header=BB134_4 Depth=1
	global_load_b32 v3, v[5:6], off
	v_add_co_u32 v5, vcc_lo, v1, s26
	v_add_co_ci_u32_e32 v6, vcc_lo, s27, v2, vcc_lo
	s_and_not1_b32 vcc_lo, exec_lo, s31
	s_waitcnt vmcnt(0)
	ds_store_b64 v10, v[3:4] offset:32
	s_cbranch_vccnz .LBB134_14
; %bb.13:                               ;   in Loop: Header=BB134_4 Depth=1
	global_load_b32 v4, v[5:6], off offset:4
	s_cbranch_execz .LBB134_15
	s_branch .LBB134_16
.LBB134_14:                             ;   in Loop: Header=BB134_4 Depth=1
                                        ; implicit-def: $vgpr4
.LBB134_15:                             ;   in Loop: Header=BB134_4 Depth=1
	global_load_b32 v3, v[5:6], off offset:4
	s_waitcnt vmcnt(0)
	v_xor_b32_e32 v4, 0x80000000, v3
.LBB134_16:                             ;   in Loop: Header=BB134_4 Depth=1
	global_load_b32 v3, v[5:6], off
	v_add_co_u32 v5, vcc_lo, v1, s34
	v_add_co_ci_u32_e32 v6, vcc_lo, s33, v2, vcc_lo
	s_and_not1_b32 vcc_lo, exec_lo, s31
	s_waitcnt vmcnt(0)
	ds_store_b64 v10, v[3:4] offset:64
	s_cbranch_vccnz .LBB134_18
; %bb.17:                               ;   in Loop: Header=BB134_4 Depth=1
	global_load_b32 v4, v[5:6], off offset:4
	s_cbranch_execnz .LBB134_3
	s_branch .LBB134_19
.LBB134_18:                             ;   in Loop: Header=BB134_4 Depth=1
                                        ; implicit-def: $vgpr4
.LBB134_19:                             ;   in Loop: Header=BB134_4 Depth=1
	global_load_b32 v3, v[5:6], off offset:4
	s_waitcnt vmcnt(0)
	v_xor_b32_e32 v4, 0x80000000, v3
	s_branch .LBB134_3
.LBB134_20:
	s_and_b32 s24, s30, 3
	s_delay_alu instid0(SALU_CYCLE_1)
	s_cmp_eq_u32 s24, 0
	s_cbranch_scc1 .LBB134_27
; %bb.21:
	s_mul_i32 s25, s23, s21
	s_mul_hi_u32 s26, s22, s21
	s_lshl_b64 s[18:19], s[18:19], 3
	s_add_i32 s27, s26, s25
	s_mul_i32 s26, s22, s21
	v_lshl_or_b32 v5, s21, 5, v9
	s_lshl_b64 s[26:27], s[26:27], 3
	s_delay_alu instid0(SALU_CYCLE_1)
	s_add_u32 s18, s26, s18
	s_addc_u32 s19, s27, s19
	s_waitcnt lgkmcnt(0)
	s_add_u32 s16, s16, s18
	s_addc_u32 s17, s17, s19
	v_add_co_u32 v1, s16, s16, v9
	s_delay_alu instid0(VALU_DEP_1) | instskip(SKIP_1) | instid1(VALU_DEP_2)
	v_add_co_ci_u32_e64 v2, null, s17, 0, s16
	s_lshl_b64 s[16:17], s[22:23], 3
	v_add_co_u32 v1, vcc_lo, v1, 4
	s_delay_alu instid0(VALU_DEP_2)
	v_add_co_ci_u32_e32 v2, vcc_lo, 0, v2, vcc_lo
	s_set_inst_prefetch_distance 0x1
	s_branch .LBB134_23
	.p2align	6
.LBB134_22:                             ;   in Loop: Header=BB134_23 Depth=1
	global_load_b32 v3, v[1:2], off offset:-4
	v_add_co_u32 v1, vcc_lo, v1, s16
	v_add_co_ci_u32_e32 v2, vcc_lo, s17, v2, vcc_lo
	s_add_i32 s24, s24, -1
	s_delay_alu instid0(SALU_CYCLE_1)
	s_cmp_lg_u32 s24, 0
	s_waitcnt vmcnt(0)
	ds_store_b64 v5, v[3:4]
	v_add_nc_u32_e32 v5, 32, v5
	s_cbranch_scc0 .LBB134_27
.LBB134_23:                             ; =>This Inner Loop Header: Depth=1
	v_cmp_ne_u32_e32 vcc_lo, 1, v8
	s_mov_b32 s18, -1
                                        ; implicit-def: $vgpr4
	s_cbranch_vccnz .LBB134_25
; %bb.24:                               ;   in Loop: Header=BB134_23 Depth=1
	global_load_b32 v4, v[1:2], off
	s_mov_b32 s18, 0
.LBB134_25:                             ;   in Loop: Header=BB134_23 Depth=1
	s_delay_alu instid0(SALU_CYCLE_1)
	s_and_not1_b32 vcc_lo, exec_lo, s18
	s_cbranch_vccnz .LBB134_22
; %bb.26:                               ;   in Loop: Header=BB134_23 Depth=1
	global_load_b32 v3, v[1:2], off
	s_waitcnt vmcnt(0)
	v_xor_b32_e32 v4, 0x80000000, v3
	s_branch .LBB134_22
.LBB134_27:
	s_set_inst_prefetch_distance 0x2
	v_mul_u32_u24_e32 v1, 5, v7
	s_cmpk_lg_i32 s5, 0x84
	s_mov_b32 s5, -1
	s_delay_alu instid0(VALU_DEP_1)
	v_lshlrev_b32_e32 v5, 3, v1
	s_cbranch_scc0 .LBB134_33
; %bb.28:
	ds_load_b64 v[1:2], v5
	s_waitcnt lgkmcnt(0)
	v_cmp_gt_f32_e32 vcc_lo, 0, v1
	v_cndmask_b32_e64 v3, v1, -v1, vcc_lo
	v_cmp_gt_f32_e32 vcc_lo, 0, v2
	v_cndmask_b32_e64 v4, v2, -v2, vcc_lo
	s_delay_alu instid0(VALU_DEP_1) | instskip(SKIP_1) | instid1(SALU_CYCLE_1)
	v_cmp_ngt_f32_e32 vcc_lo, v3, v4
                                        ; implicit-def: $vgpr3
	s_and_saveexec_b32 s5, vcc_lo
	s_xor_b32 s5, exec_lo, s5
	s_cbranch_execz .LBB134_30
; %bb.29:
	v_div_scale_f32 v3, null, v2, v2, v1
	v_div_scale_f32 v8, vcc_lo, v1, v2, v1
	s_delay_alu instid0(VALU_DEP_2) | instskip(SKIP_2) | instid1(VALU_DEP_1)
	v_rcp_f32_e32 v4, v3
	s_waitcnt_depctr 0xfff
	v_fma_f32 v6, -v3, v4, 1.0
	v_fmac_f32_e32 v4, v6, v4
	s_delay_alu instid0(VALU_DEP_1) | instskip(NEXT) | instid1(VALU_DEP_1)
	v_mul_f32_e32 v6, v8, v4
	v_fma_f32 v9, -v3, v6, v8
	s_delay_alu instid0(VALU_DEP_1) | instskip(NEXT) | instid1(VALU_DEP_1)
	v_fmac_f32_e32 v6, v9, v4
	v_fma_f32 v3, -v3, v6, v8
	s_delay_alu instid0(VALU_DEP_1) | instskip(NEXT) | instid1(VALU_DEP_1)
	v_div_fmas_f32 v3, v3, v4, v6
	v_div_fixup_f32 v3, v3, v2, v1
	s_delay_alu instid0(VALU_DEP_1) | instskip(NEXT) | instid1(VALU_DEP_1)
	v_fmac_f32_e32 v2, v1, v3
	v_div_scale_f32 v1, null, v2, v2, 1.0
	v_div_scale_f32 v8, vcc_lo, 1.0, v2, 1.0
	s_delay_alu instid0(VALU_DEP_2) | instskip(SKIP_2) | instid1(VALU_DEP_1)
	v_rcp_f32_e32 v4, v1
	s_waitcnt_depctr 0xfff
	v_fma_f32 v6, -v1, v4, 1.0
	v_fmac_f32_e32 v4, v6, v4
	s_delay_alu instid0(VALU_DEP_1) | instskip(NEXT) | instid1(VALU_DEP_1)
	v_mul_f32_e32 v6, v8, v4
	v_fma_f32 v9, -v1, v6, v8
	s_delay_alu instid0(VALU_DEP_1) | instskip(NEXT) | instid1(VALU_DEP_1)
	v_fmac_f32_e32 v6, v9, v4
	v_fma_f32 v1, -v1, v6, v8
	s_delay_alu instid0(VALU_DEP_1) | instskip(SKIP_1) | instid1(VALU_DEP_2)
	v_div_fmas_f32 v1, v1, v4, v6
	v_add_f32_e32 v4, 0, v3
	v_div_fixup_f32 v1, v1, v2, 1.0
	v_fma_f32 v2, v3, 0, -1.0
	s_delay_alu instid0(VALU_DEP_2) | instskip(NEXT) | instid1(VALU_DEP_2)
	v_mul_f32_e32 v3, v4, v1
	v_mul_f32_e32 v4, v2, v1
                                        ; implicit-def: $vgpr1_vgpr2
.LBB134_30:
	s_and_not1_saveexec_b32 s5, s5
	s_cbranch_execz .LBB134_32
; %bb.31:
	v_div_scale_f32 v3, null, v1, v1, v2
	v_div_scale_f32 v8, vcc_lo, v2, v1, v2
	s_delay_alu instid0(VALU_DEP_2) | instskip(SKIP_2) | instid1(VALU_DEP_1)
	v_rcp_f32_e32 v4, v3
	s_waitcnt_depctr 0xfff
	v_fma_f32 v6, -v3, v4, 1.0
	v_fmac_f32_e32 v4, v6, v4
	s_delay_alu instid0(VALU_DEP_1) | instskip(NEXT) | instid1(VALU_DEP_1)
	v_mul_f32_e32 v6, v8, v4
	v_fma_f32 v9, -v3, v6, v8
	s_delay_alu instid0(VALU_DEP_1) | instskip(NEXT) | instid1(VALU_DEP_1)
	v_fmac_f32_e32 v6, v9, v4
	v_fma_f32 v3, -v3, v6, v8
	s_delay_alu instid0(VALU_DEP_1) | instskip(NEXT) | instid1(VALU_DEP_1)
	v_div_fmas_f32 v3, v3, v4, v6
	v_div_fixup_f32 v4, v3, v1, v2
	s_delay_alu instid0(VALU_DEP_1) | instskip(NEXT) | instid1(VALU_DEP_1)
	v_fmac_f32_e32 v1, v2, v4
	v_div_scale_f32 v2, null, v1, v1, 1.0
	v_div_scale_f32 v8, vcc_lo, 1.0, v1, 1.0
	s_delay_alu instid0(VALU_DEP_2) | instskip(SKIP_2) | instid1(VALU_DEP_1)
	v_rcp_f32_e32 v3, v2
	s_waitcnt_depctr 0xfff
	v_fma_f32 v6, -v2, v3, 1.0
	v_fmac_f32_e32 v3, v6, v3
	s_delay_alu instid0(VALU_DEP_1) | instskip(NEXT) | instid1(VALU_DEP_1)
	v_mul_f32_e32 v6, v8, v3
	v_fma_f32 v9, -v2, v6, v8
	s_delay_alu instid0(VALU_DEP_1) | instskip(NEXT) | instid1(VALU_DEP_1)
	v_fmac_f32_e32 v6, v9, v3
	v_fma_f32 v2, -v2, v6, v8
	s_delay_alu instid0(VALU_DEP_1) | instskip(SKIP_1) | instid1(VALU_DEP_2)
	v_div_fmas_f32 v2, v2, v3, v6
	v_fma_f32 v3, v4, 0, 1.0
	v_div_fixup_f32 v1, v2, v1, 1.0
	s_delay_alu instid0(VALU_DEP_1)
	v_mul_f32_e32 v3, v3, v1
	v_mul_f32_e64 v4, -v4, v1
.LBB134_32:
	s_or_b32 exec_lo, exec_lo, s5
	s_mov_b32 s5, 0
	ds_store_b64 v5, v[3:4]
.LBB134_33:
	s_and_b32 vcc_lo, exec_lo, s5
	s_cbranch_vccz .LBB134_35
; %bb.34:
	v_dual_mov_b32 v1, 1.0 :: v_dual_mov_b32 v2, 0
	ds_store_b64 v5, v[1:2]
.LBB134_35:
	s_or_b32 exec_lo, exec_lo, s6
	s_lshl_b32 s6, s14, 2
	s_add_i32 s15, s15, -1
	s_sub_i32 s5, s7, s6
	s_cmp_ge_u32 s14, s15
	s_waitcnt lgkmcnt(0)
	s_cselect_b32 s5, s5, 4
	; wave barrier
	buffer_gl0_inv
	v_cmp_gt_i32_e32 vcc_lo, s5, v7
	s_mov_b32 s5, -1
	s_and_saveexec_b32 s7, vcc_lo
	s_cbranch_execz .LBB134_78
; %bb.36:
	s_load_b64 s[0:1], s[0:1], 0x4
	s_load_b32 s2, s[2:3], 0x50
	v_add_nc_u32_e32 v2, s6, v7
	v_bfe_u32 v3, v0, 10, 10
	v_bfe_u32 v4, v0, 20, 10
	s_waitcnt lgkmcnt(0)
	s_lshr_b32 s0, s0, 16
	v_mad_i64_i32 v[0:1], null, s2, v2, 0
	s_mul_i32 s0, s0, s1
	v_mul_u32_u24_e32 v2, s1, v3
	v_mul_u32_u24_e32 v3, s0, v7
	s_lshl_b64 s[0:1], s[10:11], 3
	s_delay_alu instid0(SALU_CYCLE_1) | instskip(NEXT) | instid1(VALU_DEP_3)
	s_add_u32 s2, s12, s0
	v_lshlrev_b64 v[0:1], 3, v[0:1]
	s_delay_alu instid0(VALU_DEP_2) | instskip(SKIP_2) | instid1(VALU_DEP_1)
	v_add3_u32 v2, v3, v2, v4
	s_addc_u32 s3, s13, s1
	s_cmpk_eq_i32 s4, 0x6f
	v_lshl_add_u32 v6, v2, 5, 0x80
	s_delay_alu instid0(VALU_DEP_3)
	v_add_co_u32 v7, vcc_lo, s2, v0
	v_add_co_ci_u32_e32 v8, vcc_lo, s3, v1, vcc_lo
	s_cbranch_scc1 .LBB134_58
; %bb.37:
	s_add_u32 s2, s12, s0
	s_addc_u32 s3, s13, s1
	v_add_co_u32 v2, vcc_lo, s2, v0
	v_add_co_ci_u32_e32 v3, vcc_lo, s3, v1, vcc_lo
	s_mov_b32 s3, 0
	s_delay_alu instid0(VALU_DEP_2) | instskip(NEXT) | instid1(VALU_DEP_2)
	v_add_co_u32 v9, vcc_lo, v2, 4
	v_add_co_ci_u32_e32 v10, vcc_lo, 0, v3, vcc_lo
	s_mov_b32 s4, s3
	s_mov_b32 s6, s3
	s_branch .LBB134_39
.LBB134_38:                             ;   in Loop: Header=BB134_39 Depth=1
	s_cmp_ge_i32 s6, s30
	s_cselect_b32 s2, -1, 0
	s_add_i32 s4, s4, 1
	s_delay_alu instid0(SALU_CYCLE_1) | instskip(SKIP_1) | instid1(SALU_CYCLE_1)
	s_cmp_eq_u32 s4, 3
	s_cselect_b32 s5, -1, 0
	s_or_b32 s2, s2, s5
	s_delay_alu instid0(SALU_CYCLE_1)
	s_and_not1_b32 vcc_lo, exec_lo, s2
	s_cbranch_vccz .LBB134_57
.LBB134_39:                             ; =>This Loop Header: Depth=1
                                        ;     Child Loop BB134_42 Depth 2
                                        ;       Child Loop BB134_43 Depth 3
                                        ;       Child Loop BB134_46 Depth 3
                                        ;         Child Loop BB134_47 Depth 4
                                        ;       Child Loop BB134_51 Depth 3
                                        ;         Child Loop BB134_53 Depth 4
	s_mov_b32 s5, s3
	s_getpc_b64 s[10:11]
	s_add_u32 s10, s10, __const._ZL30rocblas_trsm_small_left_deviceILi4ELi4ELb0E19rocblas_complex_numIfES1_PKPKS1_PKPS1_Ev13rocblas_fill_18rocblas_operation_17rocblas_diagonal_iiT3_T4_lilT5_lili.step_sizes@rel32@lo+4
	s_addc_u32 s11, s11, __const._ZL30rocblas_trsm_small_left_deviceILi4ELi4ELb0E19rocblas_complex_numIfES1_PKPKS1_PKPS1_Ev13rocblas_fill_18rocblas_operation_17rocblas_diagonal_iiT3_T4_lilT5_lili.step_sizes@rel32@hi+12
	s_lshl_b64 s[14:15], s[4:5], 2
	s_delay_alu instid0(SALU_CYCLE_1) | instskip(SKIP_4) | instid1(SALU_CYCLE_1)
	s_add_u32 s10, s14, s10
	s_addc_u32 s11, s15, s11
	s_load_b32 s10, s[10:11], 0x0
	s_waitcnt lgkmcnt(0)
	s_add_i32 s5, s10, -1
	s_add_i32 s2, s5, s6
	s_delay_alu instid0(SALU_CYCLE_1)
	s_cmp_ge_i32 s2, s30
	s_cbranch_scc1 .LBB134_38
; %bb.40:                               ;   in Loop: Header=BB134_39 Depth=1
	s_ashr_i32 s7, s6, 31
	s_ashr_i32 s11, s10, 31
	s_lshl_b64 s[14:15], s[6:7], 3
	s_max_i32 s18, s10, 1
	v_add_co_u32 v2, vcc_lo, v9, s14
	v_add_co_ci_u32_e32 v3, vcc_lo, s15, v10, vcc_lo
	s_lshl_b64 s[14:15], s[10:11], 3
	s_lshl_b32 s7, s6, 5
	s_lshl_b32 s11, s10, 5
	s_mul_i32 s19, s6, 40
	s_mul_i32 s21, s10, 40
	s_branch .LBB134_42
.LBB134_41:                             ;   in Loop: Header=BB134_42 Depth=2
	v_add_co_u32 v2, vcc_lo, v2, s14
	s_add_i32 s6, s6, s10
	v_add_co_ci_u32_e32 v3, vcc_lo, s15, v3, vcc_lo
	s_add_i32 s2, s5, s6
	s_add_i32 s7, s7, s11
	;; [unrolled: 1-line block ×3, first 2 shown]
	s_cmp_ge_i32 s2, s30
	s_cbranch_scc1 .LBB134_38
.LBB134_42:                             ;   Parent Loop BB134_39 Depth=1
                                        ; =>  This Loop Header: Depth=2
                                        ;       Child Loop BB134_43 Depth 3
                                        ;       Child Loop BB134_46 Depth 3
                                        ;         Child Loop BB134_47 Depth 4
                                        ;       Child Loop BB134_51 Depth 3
                                        ;         Child Loop BB134_53 Depth 4
	v_mov_b32_e32 v11, v6
	v_dual_mov_b32 v5, v3 :: v_dual_mov_b32 v4, v2
	s_mov_b32 s2, s18
.LBB134_43:                             ;   Parent Loop BB134_39 Depth=1
                                        ;     Parent Loop BB134_42 Depth=2
                                        ; =>    This Inner Loop Header: Depth=3
	global_load_b64 v[12:13], v[4:5], off offset:-4
	v_add_co_u32 v4, vcc_lo, v4, 8
	v_add_co_ci_u32_e32 v5, vcc_lo, 0, v5, vcc_lo
	s_add_i32 s2, s2, -1
	s_delay_alu instid0(SALU_CYCLE_1) | instskip(SKIP_2) | instid1(VALU_DEP_1)
	s_cmp_eq_u32 s2, 0
	s_waitcnt vmcnt(0)
	v_mul_f32_e32 v14, s8, v13
	v_dual_mul_f32 v15, s9, v13 :: v_dual_fmac_f32 v14, s9, v12
	s_delay_alu instid0(VALU_DEP_1)
	v_fma_f32 v13, v12, s8, -v15
	ds_store_b64 v11, v[13:14]
	v_add_nc_u32_e32 v11, 8, v11
	s_cbranch_scc0 .LBB134_43
; %bb.44:                               ;   in Loop: Header=BB134_42 Depth=2
	s_cmp_lt_i32 s6, 1
	s_cbranch_scc1 .LBB134_49
; %bb.45:                               ;   in Loop: Header=BB134_42 Depth=2
	s_mov_b32 s2, 0
	s_mov_b32 s16, s7
	.p2align	6
.LBB134_46:                             ;   Parent Loop BB134_39 Depth=1
                                        ;     Parent Loop BB134_42 Depth=2
                                        ; =>    This Loop Header: Depth=3
                                        ;         Child Loop BB134_47 Depth 4
	s_lshl_b64 s[22:23], s[2:3], 3
	v_mov_b32_e32 v11, v6
	v_add_co_u32 v4, vcc_lo, v7, s22
	v_add_co_ci_u32_e32 v5, vcc_lo, s23, v8, vcc_lo
	s_mov_b32 s17, s16
	s_mov_b32 s22, s18
	global_load_b64 v[4:5], v[4:5], off
	.p2align	6
.LBB134_47:                             ;   Parent Loop BB134_39 Depth=1
                                        ;     Parent Loop BB134_42 Depth=2
                                        ;       Parent Loop BB134_46 Depth=3
                                        ; =>      This Inner Loop Header: Depth=4
	v_mov_b32_e32 v12, s17
	s_add_i32 s22, s22, -1
	s_add_i32 s17, s17, 32
	s_cmp_eq_u32 s22, 0
	ds_load_b64 v[12:13], v12
	ds_load_b64 v[14:15], v11
	s_waitcnt vmcnt(0) lgkmcnt(1)
	v_mul_f32_e32 v16, v13, v5
	v_mul_f32_e32 v13, v13, v4
	s_delay_alu instid0(VALU_DEP_2) | instskip(SKIP_1) | instid1(VALU_DEP_1)
	v_fma_f32 v16, v12, v4, -v16
	s_waitcnt lgkmcnt(0)
	v_dual_fmac_f32 v13, v12, v5 :: v_dual_sub_f32 v12, v14, v16
	s_delay_alu instid0(VALU_DEP_1)
	v_sub_f32_e32 v13, v15, v13
	ds_store_b64 v11, v[12:13]
	v_add_nc_u32_e32 v11, 8, v11
	s_cbranch_scc0 .LBB134_47
; %bb.48:                               ;   in Loop: Header=BB134_46 Depth=3
	s_add_i32 s2, s2, 1
	s_add_i32 s16, s16, 8
	s_cmp_ge_i32 s2, s6
	s_cbranch_scc0 .LBB134_46
.LBB134_49:                             ;   in Loop: Header=BB134_42 Depth=2
	s_mov_b32 s2, 0
	s_mov_b32 s22, s19
	s_branch .LBB134_51
.LBB134_50:                             ;   in Loop: Header=BB134_51 Depth=3
	s_mul_i32 s17, s16, 40
	s_add_i32 s2, s2, 1
	v_mov_b32_e32 v12, s17
	s_ashr_i32 s17, s16, 31
	s_add_i32 s22, s22, 32
	s_lshl_b64 s[16:17], s[16:17], 3
	s_cmp_eq_u32 s2, s18
	ds_load_b64 v[12:13], v12
	s_waitcnt lgkmcnt(0)
	v_mul_f32_e32 v14, v13, v5
	v_mul_f32_e32 v15, v12, v5
	s_delay_alu instid0(VALU_DEP_2) | instskip(NEXT) | instid1(VALU_DEP_2)
	v_fma_f32 v14, v12, v4, -v14
	v_fmac_f32_e32 v15, v13, v4
	v_add_co_u32 v4, vcc_lo, v7, s16
	v_add_co_ci_u32_e32 v5, vcc_lo, s17, v8, vcc_lo
	ds_store_b64 v11, v[14:15]
	global_store_b64 v[4:5], v[14:15], off
	s_cbranch_scc1 .LBB134_41
.LBB134_51:                             ;   Parent Loop BB134_39 Depth=1
                                        ;     Parent Loop BB134_42 Depth=2
                                        ; =>    This Loop Header: Depth=3
                                        ;         Child Loop BB134_53 Depth 4
	v_lshl_add_u32 v11, s2, 3, v6
	s_cmp_lg_u32 s2, 0
	s_cbranch_scc0 .LBB134_55
; %bb.52:                               ;   in Loop: Header=BB134_51 Depth=3
	ds_load_b64 v[4:5], v11
	v_mov_b32_e32 v12, v6
	s_add_i32 s16, s2, s6
	s_mov_b32 s17, 0
	s_mov_b32 s23, s22
	.p2align	6
.LBB134_53:                             ;   Parent Loop BB134_39 Depth=1
                                        ;     Parent Loop BB134_42 Depth=2
                                        ;       Parent Loop BB134_51 Depth=3
                                        ; =>      This Inner Loop Header: Depth=4
	s_delay_alu instid0(SALU_CYCLE_1)
	v_mov_b32_e32 v15, s23
	s_add_i32 s17, s17, 1
	s_add_i32 s23, s23, 8
	s_cmp_ge_u32 s17, s2
	ds_load_b64 v[13:14], v12
	ds_load_b64 v[15:16], v15
	s_waitcnt lgkmcnt(0)
	v_dual_mul_f32 v17, v16, v14 :: v_dual_add_nc_u32 v12, 8, v12
	v_mul_f32_e32 v14, v15, v14
	s_delay_alu instid0(VALU_DEP_2) | instskip(NEXT) | instid1(VALU_DEP_2)
	v_fma_f32 v15, v15, v13, -v17
	v_fmac_f32_e32 v14, v16, v13
	s_delay_alu instid0(VALU_DEP_1)
	v_dual_sub_f32 v4, v4, v15 :: v_dual_sub_f32 v5, v5, v14
	ds_store_b64 v11, v[4:5]
	s_cbranch_scc0 .LBB134_53
; %bb.54:                               ;   in Loop: Header=BB134_51 Depth=3
	s_branch .LBB134_50
.LBB134_55:                             ;   in Loop: Header=BB134_51 Depth=3
                                        ; implicit-def: $vgpr4
                                        ; implicit-def: $sgpr16
	s_cbranch_execz .LBB134_50
; %bb.56:                               ;   in Loop: Header=BB134_51 Depth=3
	ds_load_b64 v[4:5], v6
	s_mov_b32 s16, s6
	s_branch .LBB134_50
.LBB134_57:
	s_mov_b32 s5, 0
.LBB134_58:
	s_delay_alu instid0(SALU_CYCLE_1)
	s_and_b32 vcc_lo, exec_lo, s5
	s_cbranch_vccz .LBB134_78
; %bb.59:
	s_add_u32 s0, s12, s0
	s_addc_u32 s1, s13, s1
	v_add_co_u32 v0, vcc_lo, s0, v0
	v_add_co_ci_u32_e32 v1, vcc_lo, s1, v1, vcc_lo
	s_lshl_b32 s0, s30, 5
	s_delay_alu instid0(VALU_DEP_2) | instskip(NEXT) | instid1(VALU_DEP_2)
	v_add_co_u32 v2, vcc_lo, v0, 4
	v_add_co_ci_u32_e32 v3, vcc_lo, 0, v1, vcc_lo
	s_mov_b32 s1, 0
	s_sub_i32 s10, s0, 32
	s_mov_b32 s2, s20
	s_mov_b32 s0, s1
	s_branch .LBB134_61
.LBB134_60:                             ;   in Loop: Header=BB134_61 Depth=1
	s_cmp_lt_i32 s2, 0
	s_cselect_b32 s3, -1, 0
	s_add_i32 s0, s0, 1
	s_delay_alu instid0(SALU_CYCLE_1) | instskip(SKIP_1) | instid1(SALU_CYCLE_1)
	s_cmp_eq_u32 s0, 3
	s_cselect_b32 s4, -1, 0
	s_or_b32 s3, s3, s4
	s_delay_alu instid0(SALU_CYCLE_1)
	s_and_b32 vcc_lo, exec_lo, s3
	s_cbranch_vccnz .LBB134_78
.LBB134_61:                             ; =>This Loop Header: Depth=1
                                        ;     Child Loop BB134_64 Depth 2
                                        ;       Child Loop BB134_65 Depth 3
                                        ;       Child Loop BB134_67 Depth 3
                                        ;         Child Loop BB134_68 Depth 4
                                        ;       Child Loop BB134_72 Depth 3
                                        ;         Child Loop BB134_74 Depth 4
	s_getpc_b64 s[4:5]
	s_add_u32 s4, s4, __const._ZL30rocblas_trsm_small_left_deviceILi4ELi4ELb0E19rocblas_complex_numIfES1_PKPKS1_PKPS1_Ev13rocblas_fill_18rocblas_operation_17rocblas_diagonal_iiT3_T4_lilT5_lili.step_sizes@rel32@lo+4
	s_addc_u32 s5, s5, __const._ZL30rocblas_trsm_small_left_deviceILi4ELi4ELb0E19rocblas_complex_numIfES1_PKPKS1_PKPS1_Ev13rocblas_fill_18rocblas_operation_17rocblas_diagonal_iiT3_T4_lilT5_lili.step_sizes@rel32@hi+12
	s_lshl_b64 s[6:7], s[0:1], 2
	s_delay_alu instid0(SALU_CYCLE_1) | instskip(SKIP_4) | instid1(SALU_CYCLE_1)
	s_add_u32 s4, s6, s4
	s_addc_u32 s5, s7, s5
	s_load_b32 s11, s[4:5], 0x0
	s_waitcnt lgkmcnt(0)
	s_add_i32 s12, s11, -1
	s_cmp_lt_i32 s2, s12
	s_cbranch_scc1 .LBB134_60
; %bb.62:                               ;   in Loop: Header=BB134_61 Depth=1
	s_lshl_b32 s3, s2, 3
	s_lshl_b32 s4, s11, 3
	s_max_i32 s13, s11, 1
	s_add_i32 s14, s10, s3
	s_sub_i32 s15, 0, s4
	s_mul_i32 s16, s2, 40
	s_mul_i32 s17, s11, 0xffffffd8
	s_branch .LBB134_64
.LBB134_63:                             ;   in Loop: Header=BB134_64 Depth=2
	s_sub_i32 s2, s2, s11
	s_add_i32 s14, s14, s15
	s_add_i32 s16, s16, s17
	s_cmp_lt_i32 s2, s12
	s_cbranch_scc1 .LBB134_60
.LBB134_64:                             ;   Parent Loop BB134_61 Depth=1
                                        ; =>  This Loop Header: Depth=2
                                        ;       Child Loop BB134_65 Depth 3
                                        ;       Child Loop BB134_67 Depth 3
                                        ;         Child Loop BB134_68 Depth 4
                                        ;       Child Loop BB134_72 Depth 3
                                        ;         Child Loop BB134_74 Depth 4
	s_ashr_i32 s3, s2, 31
	v_mov_b32_e32 v4, v6
	s_lshl_b64 s[4:5], s[2:3], 3
	s_delay_alu instid0(SALU_CYCLE_1)
	v_add_co_u32 v0, vcc_lo, v2, s4
	v_add_co_ci_u32_e32 v1, vcc_lo, s5, v3, vcc_lo
	s_mov_b32 s4, s13
.LBB134_65:                             ;   Parent Loop BB134_61 Depth=1
                                        ;     Parent Loop BB134_64 Depth=2
                                        ; =>    This Inner Loop Header: Depth=3
	global_load_b64 v[9:10], v[0:1], off offset:-4
	v_add_co_u32 v0, vcc_lo, v0, -8
	v_add_co_ci_u32_e32 v1, vcc_lo, -1, v1, vcc_lo
	s_add_i32 s4, s4, -1
	s_delay_alu instid0(SALU_CYCLE_1) | instskip(SKIP_3) | instid1(VALU_DEP_2)
	s_cmp_eq_u32 s4, 0
	s_waitcnt vmcnt(0)
	v_mul_f32_e32 v5, s9, v10
	v_mul_f32_e32 v11, s8, v10
	v_fma_f32 v10, v9, s8, -v5
	s_delay_alu instid0(VALU_DEP_2)
	v_fmac_f32_e32 v11, s9, v9
	ds_store_b64 v4, v[10:11]
	v_add_nc_u32_e32 v4, 8, v4
	s_cbranch_scc0 .LBB134_65
; %bb.66:                               ;   in Loop: Header=BB134_64 Depth=2
	s_cmp_le_i32 s20, s2
	s_mov_b32 s6, s14
	s_mov_b32 s4, s20
	s_cbranch_scc1 .LBB134_70
	.p2align	6
.LBB134_67:                             ;   Parent Loop BB134_61 Depth=1
                                        ;     Parent Loop BB134_64 Depth=2
                                        ; =>    This Loop Header: Depth=3
                                        ;         Child Loop BB134_68 Depth 4
	s_ashr_i32 s5, s4, 31
	v_mov_b32_e32 v4, v6
	s_lshl_b64 s[18:19], s[4:5], 3
	s_mov_b32 s5, s13
	v_add_co_u32 v0, vcc_lo, v7, s18
	v_add_co_ci_u32_e32 v1, vcc_lo, s19, v8, vcc_lo
	s_mov_b32 s7, s6
	global_load_b64 v[0:1], v[0:1], off
	.p2align	6
.LBB134_68:                             ;   Parent Loop BB134_61 Depth=1
                                        ;     Parent Loop BB134_64 Depth=2
                                        ;       Parent Loop BB134_67 Depth=3
                                        ; =>      This Inner Loop Header: Depth=4
	v_mov_b32_e32 v5, s7
	s_add_i32 s5, s5, -1
	s_add_i32 s7, s7, -8
	s_cmp_eq_u32 s5, 0
	ds_load_b64 v[9:10], v5
	ds_load_b64 v[11:12], v4
	s_waitcnt vmcnt(0) lgkmcnt(1)
	v_mul_f32_e32 v5, v10, v1
	v_mul_f32_e32 v10, v10, v0
	s_delay_alu instid0(VALU_DEP_1) | instskip(SKIP_1) | instid1(VALU_DEP_1)
	v_fmac_f32_e32 v10, v9, v1
	s_waitcnt lgkmcnt(0)
	v_sub_f32_e32 v10, v12, v10
	v_fma_f32 v5, v9, v0, -v5
	s_delay_alu instid0(VALU_DEP_1)
	v_sub_f32_e32 v9, v11, v5
	ds_store_b64 v4, v[9:10]
	v_add_nc_u32_e32 v4, 8, v4
	s_cbranch_scc0 .LBB134_68
; %bb.69:                               ;   in Loop: Header=BB134_67 Depth=3
	s_add_i32 s4, s4, -1
	s_sub_i32 s6, s6, 32
	s_cmp_le_i32 s4, s2
	s_cbranch_scc0 .LBB134_67
.LBB134_70:                             ;   in Loop: Header=BB134_64 Depth=2
	s_mov_b32 s18, 0
	s_mov_b32 s19, s16
	s_branch .LBB134_72
.LBB134_71:                             ;   in Loop: Header=BB134_72 Depth=3
	s_mul_i32 s6, s6, 40
	s_lshl_b64 s[4:5], s[4:5], 3
	v_mov_b32_e32 v5, s6
	s_add_i32 s18, s18, 1
	s_add_i32 s19, s19, -8
	s_cmp_eq_u32 s18, s13
	ds_load_b64 v[9:10], v5
	s_waitcnt lgkmcnt(0)
	v_mul_f32_e32 v12, v9, v1
	v_mul_f32_e32 v5, v10, v1
	s_delay_alu instid0(VALU_DEP_2) | instskip(NEXT) | instid1(VALU_DEP_2)
	v_fmac_f32_e32 v12, v10, v0
	v_fma_f32 v11, v9, v0, -v5
	v_add_co_u32 v0, vcc_lo, v7, s4
	v_add_co_ci_u32_e32 v1, vcc_lo, s5, v8, vcc_lo
	ds_store_b64 v4, v[11:12]
	global_store_b64 v[0:1], v[11:12], off
	s_cbranch_scc1 .LBB134_63
.LBB134_72:                             ;   Parent Loop BB134_61 Depth=1
                                        ;     Parent Loop BB134_64 Depth=2
                                        ; =>    This Loop Header: Depth=3
                                        ;         Child Loop BB134_74 Depth 4
	v_lshl_add_u32 v4, s18, 3, v6
	s_cmp_lg_u32 s18, 0
	s_cbranch_scc0 .LBB134_76
; %bb.73:                               ;   in Loop: Header=BB134_72 Depth=3
	ds_load_b64 v[0:1], v4
	v_mov_b32_e32 v5, v6
	s_mov_b32 s4, 0
	s_mov_b32 s5, s19
	.p2align	6
.LBB134_74:                             ;   Parent Loop BB134_61 Depth=1
                                        ;     Parent Loop BB134_64 Depth=2
                                        ;       Parent Loop BB134_72 Depth=3
                                        ; =>      This Inner Loop Header: Depth=4
	s_delay_alu instid0(SALU_CYCLE_1)
	v_mov_b32_e32 v11, s5
	s_add_i32 s4, s4, 1
	s_sub_i32 s5, s5, 32
	s_cmp_ge_u32 s4, s18
	ds_load_b64 v[9:10], v5
	ds_load_b64 v[11:12], v11
	v_add_nc_u32_e32 v5, 8, v5
	s_waitcnt lgkmcnt(0)
	v_mul_f32_e32 v13, v12, v10
	v_mul_f32_e32 v10, v11, v10
	s_delay_alu instid0(VALU_DEP_2) | instskip(NEXT) | instid1(VALU_DEP_2)
	v_fma_f32 v11, v11, v9, -v13
	v_fmac_f32_e32 v10, v12, v9
	s_delay_alu instid0(VALU_DEP_1)
	v_dual_sub_f32 v0, v0, v11 :: v_dual_sub_f32 v1, v1, v10
	ds_store_b64 v4, v[0:1]
	s_cbranch_scc0 .LBB134_74
; %bb.75:                               ;   in Loop: Header=BB134_72 Depth=3
	s_sub_i32 s6, s2, s18
	s_delay_alu instid0(SALU_CYCLE_1) | instskip(NEXT) | instid1(SALU_CYCLE_1)
	s_ashr_i32 s7, s6, 31
	s_mov_b64 s[4:5], s[6:7]
	s_branch .LBB134_71
.LBB134_76:                             ;   in Loop: Header=BB134_72 Depth=3
                                        ; implicit-def: $vgpr0
                                        ; implicit-def: $sgpr6
                                        ; implicit-def: $sgpr4_sgpr5
	s_cbranch_execz .LBB134_71
; %bb.77:                               ;   in Loop: Header=BB134_72 Depth=3
	ds_load_b64 v[0:1], v6
	s_mov_b64 s[4:5], s[2:3]
	s_mov_b32 s6, s2
	s_branch .LBB134_71
.LBB134_78:
	s_nop 0
	s_sendmsg sendmsg(MSG_DEALLOC_VGPRS)
	s_endpgm
	.section	.rodata,"a",@progbits
	.p2align	6, 0x0
	.amdhsa_kernel _ZL30rocblas_trsm_small_left_deviceILi4ELi4ELb0E19rocblas_complex_numIfES1_PKPKS1_PKPS1_Ev13rocblas_fill_18rocblas_operation_17rocblas_diagonal_iiT3_T4_lilT5_lili
		.amdhsa_group_segment_fixed_size 256
		.amdhsa_private_segment_fixed_size 0
		.amdhsa_kernarg_size 360
		.amdhsa_user_sgpr_count 14
		.amdhsa_user_sgpr_dispatch_ptr 1
		.amdhsa_user_sgpr_queue_ptr 0
		.amdhsa_user_sgpr_kernarg_segment_ptr 1
		.amdhsa_user_sgpr_dispatch_id 0
		.amdhsa_user_sgpr_private_segment_size 0
		.amdhsa_wavefront_size32 1
		.amdhsa_uses_dynamic_stack 0
		.amdhsa_enable_private_segment 0
		.amdhsa_system_sgpr_workgroup_id_x 1
		.amdhsa_system_sgpr_workgroup_id_y 0
		.amdhsa_system_sgpr_workgroup_id_z 1
		.amdhsa_system_sgpr_workgroup_info 0
		.amdhsa_system_vgpr_workitem_id 2
		.amdhsa_next_free_vgpr 18
		.amdhsa_next_free_sgpr 36
		.amdhsa_reserve_vcc 1
		.amdhsa_float_round_mode_32 0
		.amdhsa_float_round_mode_16_64 0
		.amdhsa_float_denorm_mode_32 3
		.amdhsa_float_denorm_mode_16_64 3
		.amdhsa_dx10_clamp 1
		.amdhsa_ieee_mode 1
		.amdhsa_fp16_overflow 0
		.amdhsa_workgroup_processor_mode 1
		.amdhsa_memory_ordered 1
		.amdhsa_forward_progress 0
		.amdhsa_shared_vgpr_count 0
		.amdhsa_exception_fp_ieee_invalid_op 0
		.amdhsa_exception_fp_denorm_src 0
		.amdhsa_exception_fp_ieee_div_zero 0
		.amdhsa_exception_fp_ieee_overflow 0
		.amdhsa_exception_fp_ieee_underflow 0
		.amdhsa_exception_fp_ieee_inexact 0
		.amdhsa_exception_int_div_zero 0
	.end_amdhsa_kernel
	.section	.text._ZL30rocblas_trsm_small_left_deviceILi4ELi4ELb0E19rocblas_complex_numIfES1_PKPKS1_PKPS1_Ev13rocblas_fill_18rocblas_operation_17rocblas_diagonal_iiT3_T4_lilT5_lili,"axG",@progbits,_ZL30rocblas_trsm_small_left_deviceILi4ELi4ELb0E19rocblas_complex_numIfES1_PKPKS1_PKPS1_Ev13rocblas_fill_18rocblas_operation_17rocblas_diagonal_iiT3_T4_lilT5_lili,comdat
.Lfunc_end134:
	.size	_ZL30rocblas_trsm_small_left_deviceILi4ELi4ELb0E19rocblas_complex_numIfES1_PKPKS1_PKPS1_Ev13rocblas_fill_18rocblas_operation_17rocblas_diagonal_iiT3_T4_lilT5_lili, .Lfunc_end134-_ZL30rocblas_trsm_small_left_deviceILi4ELi4ELb0E19rocblas_complex_numIfES1_PKPKS1_PKPS1_Ev13rocblas_fill_18rocblas_operation_17rocblas_diagonal_iiT3_T4_lilT5_lili
                                        ; -- End function
	.section	.AMDGPU.csdata,"",@progbits
; Kernel info:
; codeLenInByte = 3120
; NumSgprs: 38
; NumVgprs: 18
; ScratchSize: 0
; MemoryBound: 0
; FloatMode: 240
; IeeeMode: 1
; LDSByteSize: 256 bytes/workgroup (compile time only)
; SGPRBlocks: 4
; VGPRBlocks: 2
; NumSGPRsForWavesPerEU: 38
; NumVGPRsForWavesPerEU: 18
; Occupancy: 16
; WaveLimiterHint : 1
; COMPUTE_PGM_RSRC2:SCRATCH_EN: 0
; COMPUTE_PGM_RSRC2:USER_SGPR: 14
; COMPUTE_PGM_RSRC2:TRAP_HANDLER: 0
; COMPUTE_PGM_RSRC2:TGID_X_EN: 1
; COMPUTE_PGM_RSRC2:TGID_Y_EN: 0
; COMPUTE_PGM_RSRC2:TGID_Z_EN: 1
; COMPUTE_PGM_RSRC2:TIDIG_COMP_CNT: 2
	.section	.text._ZL38rocblas_trsm_small_left_device_sharedBILi4ELi4ELb1E19rocblas_complex_numIfES1_PKPKS1_PKPS1_Ev13rocblas_fill_18rocblas_operation_17rocblas_diagonal_iiT3_T4_lilT5_lili,"axG",@progbits,_ZL38rocblas_trsm_small_left_device_sharedBILi4ELi4ELb1E19rocblas_complex_numIfES1_PKPKS1_PKPS1_Ev13rocblas_fill_18rocblas_operation_17rocblas_diagonal_iiT3_T4_lilT5_lili,comdat
	.globl	_ZL38rocblas_trsm_small_left_device_sharedBILi4ELi4ELb1E19rocblas_complex_numIfES1_PKPKS1_PKPS1_Ev13rocblas_fill_18rocblas_operation_17rocblas_diagonal_iiT3_T4_lilT5_lili ; -- Begin function _ZL38rocblas_trsm_small_left_device_sharedBILi4ELi4ELb1E19rocblas_complex_numIfES1_PKPKS1_PKPS1_Ev13rocblas_fill_18rocblas_operation_17rocblas_diagonal_iiT3_T4_lilT5_lili
	.p2align	8
	.type	_ZL38rocblas_trsm_small_left_device_sharedBILi4ELi4ELb1E19rocblas_complex_numIfES1_PKPKS1_PKPS1_Ev13rocblas_fill_18rocblas_operation_17rocblas_diagonal_iiT3_T4_lilT5_lili,@function
_ZL38rocblas_trsm_small_left_device_sharedBILi4ELi4ELb1E19rocblas_complex_numIfES1_PKPKS1_PKPS1_Ev13rocblas_fill_18rocblas_operation_17rocblas_diagonal_iiT3_T4_lilT5_lili: ; @_ZL38rocblas_trsm_small_left_device_sharedBILi4ELi4ELb1E19rocblas_complex_numIfES1_PKPKS1_PKPS1_Ev13rocblas_fill_18rocblas_operation_17rocblas_diagonal_iiT3_T4_lilT5_lili
; %bb.0:
	s_clause 0x1
	s_load_b128 s[4:7], s[2:3], 0x40
	s_load_b128 s[8:11], s[2:3], 0x4
	s_mov_b32 s20, s15
	s_mov_b32 s21, 0
	s_load_b32 s30, s[2:3], 0x68
	s_lshl_b64 s[24:25], s[20:21], 3
	v_and_b32_e32 v7, 0x3ff, v0
	s_mov_b32 s31, exec_lo
	s_waitcnt lgkmcnt(0)
	s_add_u32 s4, s4, s24
	s_addc_u32 s5, s5, s25
	s_load_b64 s[12:13], s[2:3], 0x14
	s_load_b64 s[4:5], s[4:5], 0x0
	s_min_i32 s15, s10, 4
	s_delay_alu instid0(SALU_CYCLE_1)
	s_add_i32 s20, s15, -1
	v_cmpx_gt_i32_e64 s15, v7
	s_cbranch_execz .LBB135_35
; %bb.1:
	s_clause 0x1
	s_load_b32 s22, s[2:3], 0x30
	s_load_b128 s[16:19], s[2:3], 0x20
	s_waitcnt lgkmcnt(0)
	s_ashr_i32 s23, s22, 31
	s_cmpk_lg_i32 s8, 0x71
	s_cselect_b32 s33, -1, 0
	s_add_u32 s16, s16, s24
	s_addc_u32 s17, s17, s25
	v_cndmask_b32_e64 v8, 0, 1, s33
	s_load_b64 s[16:17], s[16:17], 0x0
	s_cmp_lt_u32 s20, 3
	s_cbranch_scc1 .LBB135_20
; %bb.2:
	v_lshlrev_b32_e32 v9, 3, v7
	s_lshl_b64 s[24:25], s[18:19], 3
	s_mul_hi_i32 s34, s22, 24
	s_waitcnt lgkmcnt(0)
	s_add_u32 s21, s16, s24
	s_addc_u32 s24, s17, s25
	v_add_co_u32 v1, s21, s21, v9
	s_delay_alu instid0(VALU_DEP_1)
	v_add_co_ci_u32_e64 v2, null, s24, 0, s21
	s_and_b32 s21, s15, -4
	s_mul_i32 s35, s22, 24
	s_lshl_b64 s[24:25], s[22:23], 5
	s_lshl_b64 s[26:27], s[22:23], 4
	s_lshl_b64 s[28:29], s[22:23], 3
	s_mov_b32 s36, 0
	s_branch .LBB135_4
.LBB135_3:                              ;   in Loop: Header=BB135_4 Depth=1
	global_load_b32 v3, v[5:6], off
	v_add_co_u32 v1, vcc_lo, v1, s24
	v_add_co_ci_u32_e32 v2, vcc_lo, s25, v2, vcc_lo
	s_add_i32 s36, s36, 4
	s_delay_alu instid0(SALU_CYCLE_1)
	s_cmp_eq_u32 s21, s36
	s_waitcnt vmcnt(0)
	ds_store_b64 v9, v[3:4] offset:96
	v_add_nc_u32_e32 v9, 0x80, v9
	s_cbranch_scc1 .LBB135_20
.LBB135_4:                              ; =>This Inner Loop Header: Depth=1
	s_and_b32 vcc_lo, exec_lo, s33
	s_cbranch_vccz .LBB135_6
; %bb.5:                                ;   in Loop: Header=BB135_4 Depth=1
	global_load_b32 v4, v[1:2], off offset:4
	s_cbranch_execz .LBB135_7
	s_branch .LBB135_8
.LBB135_6:                              ;   in Loop: Header=BB135_4 Depth=1
                                        ; implicit-def: $vgpr4
.LBB135_7:                              ;   in Loop: Header=BB135_4 Depth=1
	global_load_b32 v3, v[1:2], off offset:4
	s_waitcnt vmcnt(0)
	v_xor_b32_e32 v4, 0x80000000, v3
.LBB135_8:                              ;   in Loop: Header=BB135_4 Depth=1
	global_load_b32 v3, v[1:2], off
	v_add_co_u32 v5, vcc_lo, v1, s28
	v_add_co_ci_u32_e32 v6, vcc_lo, s29, v2, vcc_lo
	s_and_not1_b32 vcc_lo, exec_lo, s33
	s_waitcnt vmcnt(0)
	ds_store_b64 v9, v[3:4]
	s_cbranch_vccnz .LBB135_10
; %bb.9:                                ;   in Loop: Header=BB135_4 Depth=1
	global_load_b32 v4, v[5:6], off offset:4
	s_cbranch_execz .LBB135_11
	s_branch .LBB135_12
.LBB135_10:                             ;   in Loop: Header=BB135_4 Depth=1
                                        ; implicit-def: $vgpr4
.LBB135_11:                             ;   in Loop: Header=BB135_4 Depth=1
	global_load_b32 v3, v[5:6], off offset:4
	s_waitcnt vmcnt(0)
	v_xor_b32_e32 v4, 0x80000000, v3
.LBB135_12:                             ;   in Loop: Header=BB135_4 Depth=1
	global_load_b32 v3, v[5:6], off
	v_add_co_u32 v5, vcc_lo, v1, s26
	v_add_co_ci_u32_e32 v6, vcc_lo, s27, v2, vcc_lo
	s_and_not1_b32 vcc_lo, exec_lo, s33
	s_waitcnt vmcnt(0)
	ds_store_b64 v9, v[3:4] offset:32
	s_cbranch_vccnz .LBB135_14
; %bb.13:                               ;   in Loop: Header=BB135_4 Depth=1
	global_load_b32 v4, v[5:6], off offset:4
	s_cbranch_execz .LBB135_15
	s_branch .LBB135_16
.LBB135_14:                             ;   in Loop: Header=BB135_4 Depth=1
                                        ; implicit-def: $vgpr4
.LBB135_15:                             ;   in Loop: Header=BB135_4 Depth=1
	global_load_b32 v3, v[5:6], off offset:4
	s_waitcnt vmcnt(0)
	v_xor_b32_e32 v4, 0x80000000, v3
.LBB135_16:                             ;   in Loop: Header=BB135_4 Depth=1
	global_load_b32 v3, v[5:6], off
	v_add_co_u32 v5, vcc_lo, v1, s35
	v_add_co_ci_u32_e32 v6, vcc_lo, s34, v2, vcc_lo
	s_and_not1_b32 vcc_lo, exec_lo, s33
	s_waitcnt vmcnt(0)
	ds_store_b64 v9, v[3:4] offset:64
	s_cbranch_vccnz .LBB135_18
; %bb.17:                               ;   in Loop: Header=BB135_4 Depth=1
	global_load_b32 v4, v[5:6], off offset:4
	s_cbranch_execnz .LBB135_3
	s_branch .LBB135_19
.LBB135_18:                             ;   in Loop: Header=BB135_4 Depth=1
                                        ; implicit-def: $vgpr4
.LBB135_19:                             ;   in Loop: Header=BB135_4 Depth=1
	global_load_b32 v3, v[5:6], off offset:4
	s_waitcnt vmcnt(0)
	v_xor_b32_e32 v4, 0x80000000, v3
	s_branch .LBB135_3
.LBB135_20:
	s_and_b32 s24, s15, 3
	s_delay_alu instid0(SALU_CYCLE_1)
	s_cmp_eq_u32 s24, 0
	s_cbranch_scc1 .LBB135_27
; %bb.21:
	s_mul_i32 s25, s23, s21
	s_mul_hi_u32 s27, s22, s21
	s_mul_i32 s26, s22, s21
	s_add_i32 s27, s27, s25
	s_lshl_b64 s[18:19], s[18:19], 3
	s_lshl_b64 s[26:27], s[26:27], 3
	v_lshlrev_b32_e32 v1, 3, v7
	s_add_u32 s18, s26, s18
	s_addc_u32 s19, s27, s19
	s_waitcnt lgkmcnt(0)
	s_add_u32 s16, s16, s18
	s_addc_u32 s17, s17, s19
	v_add_co_u32 v2, s16, s16, v1
	s_delay_alu instid0(VALU_DEP_1) | instskip(SKIP_1) | instid1(VALU_DEP_3)
	v_add_co_ci_u32_e64 v3, null, s17, 0, s16
	v_lshl_or_b32 v5, s21, 5, v1
	v_add_co_u32 v1, vcc_lo, v2, 4
	s_delay_alu instid0(VALU_DEP_3)
	v_add_co_ci_u32_e32 v2, vcc_lo, 0, v3, vcc_lo
	s_lshl_b64 s[16:17], s[22:23], 3
	s_set_inst_prefetch_distance 0x1
	s_branch .LBB135_23
	.p2align	6
.LBB135_22:                             ;   in Loop: Header=BB135_23 Depth=1
	global_load_b32 v3, v[1:2], off offset:-4
	v_add_co_u32 v1, vcc_lo, v1, s16
	v_add_co_ci_u32_e32 v2, vcc_lo, s17, v2, vcc_lo
	s_add_i32 s24, s24, -1
	s_delay_alu instid0(SALU_CYCLE_1)
	s_cmp_lg_u32 s24, 0
	s_waitcnt vmcnt(0)
	ds_store_b64 v5, v[3:4]
	v_add_nc_u32_e32 v5, 32, v5
	s_cbranch_scc0 .LBB135_27
.LBB135_23:                             ; =>This Inner Loop Header: Depth=1
	v_cmp_ne_u32_e32 vcc_lo, 1, v8
	s_mov_b32 s18, -1
                                        ; implicit-def: $vgpr4
	s_cbranch_vccnz .LBB135_25
; %bb.24:                               ;   in Loop: Header=BB135_23 Depth=1
	global_load_b32 v4, v[1:2], off
	s_mov_b32 s18, 0
.LBB135_25:                             ;   in Loop: Header=BB135_23 Depth=1
	s_delay_alu instid0(SALU_CYCLE_1)
	s_and_not1_b32 vcc_lo, exec_lo, s18
	s_cbranch_vccnz .LBB135_22
; %bb.26:                               ;   in Loop: Header=BB135_23 Depth=1
	global_load_b32 v3, v[1:2], off
	s_waitcnt vmcnt(0)
	v_xor_b32_e32 v4, 0x80000000, v3
	s_branch .LBB135_22
.LBB135_27:
	s_set_inst_prefetch_distance 0x2
	v_mul_u32_u24_e32 v1, 5, v7
	s_cmpk_lg_i32 s9, 0x84
	s_mov_b32 s9, -1
	s_delay_alu instid0(VALU_DEP_1)
	v_lshlrev_b32_e32 v5, 3, v1
	s_cbranch_scc0 .LBB135_33
; %bb.28:
	ds_load_b64 v[1:2], v5
	s_waitcnt lgkmcnt(0)
	v_cmp_gt_f32_e32 vcc_lo, 0, v1
	v_cndmask_b32_e64 v3, v1, -v1, vcc_lo
	v_cmp_gt_f32_e32 vcc_lo, 0, v2
	v_cndmask_b32_e64 v4, v2, -v2, vcc_lo
	s_delay_alu instid0(VALU_DEP_1) | instskip(SKIP_1) | instid1(SALU_CYCLE_1)
	v_cmp_ngt_f32_e32 vcc_lo, v3, v4
                                        ; implicit-def: $vgpr3
	s_and_saveexec_b32 s9, vcc_lo
	s_xor_b32 s9, exec_lo, s9
	s_cbranch_execz .LBB135_30
; %bb.29:
	v_div_scale_f32 v3, null, v2, v2, v1
	v_div_scale_f32 v8, vcc_lo, v1, v2, v1
	s_delay_alu instid0(VALU_DEP_2) | instskip(SKIP_2) | instid1(VALU_DEP_1)
	v_rcp_f32_e32 v4, v3
	s_waitcnt_depctr 0xfff
	v_fma_f32 v6, -v3, v4, 1.0
	v_fmac_f32_e32 v4, v6, v4
	s_delay_alu instid0(VALU_DEP_1) | instskip(NEXT) | instid1(VALU_DEP_1)
	v_mul_f32_e32 v6, v8, v4
	v_fma_f32 v9, -v3, v6, v8
	s_delay_alu instid0(VALU_DEP_1) | instskip(NEXT) | instid1(VALU_DEP_1)
	v_fmac_f32_e32 v6, v9, v4
	v_fma_f32 v3, -v3, v6, v8
	s_delay_alu instid0(VALU_DEP_1) | instskip(NEXT) | instid1(VALU_DEP_1)
	v_div_fmas_f32 v3, v3, v4, v6
	v_div_fixup_f32 v3, v3, v2, v1
	s_delay_alu instid0(VALU_DEP_1) | instskip(NEXT) | instid1(VALU_DEP_1)
	v_fmac_f32_e32 v2, v1, v3
	v_div_scale_f32 v1, null, v2, v2, 1.0
	v_div_scale_f32 v8, vcc_lo, 1.0, v2, 1.0
	s_delay_alu instid0(VALU_DEP_2) | instskip(SKIP_2) | instid1(VALU_DEP_1)
	v_rcp_f32_e32 v4, v1
	s_waitcnt_depctr 0xfff
	v_fma_f32 v6, -v1, v4, 1.0
	v_fmac_f32_e32 v4, v6, v4
	s_delay_alu instid0(VALU_DEP_1) | instskip(NEXT) | instid1(VALU_DEP_1)
	v_mul_f32_e32 v6, v8, v4
	v_fma_f32 v9, -v1, v6, v8
	s_delay_alu instid0(VALU_DEP_1) | instskip(NEXT) | instid1(VALU_DEP_1)
	v_fmac_f32_e32 v6, v9, v4
	v_fma_f32 v1, -v1, v6, v8
	s_delay_alu instid0(VALU_DEP_1) | instskip(SKIP_1) | instid1(VALU_DEP_2)
	v_div_fmas_f32 v1, v1, v4, v6
	v_add_f32_e32 v4, 0, v3
	v_div_fixup_f32 v1, v1, v2, 1.0
	v_fma_f32 v2, v3, 0, -1.0
	s_delay_alu instid0(VALU_DEP_2) | instskip(NEXT) | instid1(VALU_DEP_2)
	v_mul_f32_e32 v3, v4, v1
	v_mul_f32_e32 v4, v2, v1
                                        ; implicit-def: $vgpr1_vgpr2
.LBB135_30:
	s_and_not1_saveexec_b32 s9, s9
	s_cbranch_execz .LBB135_32
; %bb.31:
	v_div_scale_f32 v3, null, v1, v1, v2
	v_div_scale_f32 v8, vcc_lo, v2, v1, v2
	s_delay_alu instid0(VALU_DEP_2) | instskip(SKIP_2) | instid1(VALU_DEP_1)
	v_rcp_f32_e32 v4, v3
	s_waitcnt_depctr 0xfff
	v_fma_f32 v6, -v3, v4, 1.0
	v_fmac_f32_e32 v4, v6, v4
	s_delay_alu instid0(VALU_DEP_1) | instskip(NEXT) | instid1(VALU_DEP_1)
	v_mul_f32_e32 v6, v8, v4
	v_fma_f32 v9, -v3, v6, v8
	s_delay_alu instid0(VALU_DEP_1) | instskip(NEXT) | instid1(VALU_DEP_1)
	v_fmac_f32_e32 v6, v9, v4
	v_fma_f32 v3, -v3, v6, v8
	s_delay_alu instid0(VALU_DEP_1) | instskip(NEXT) | instid1(VALU_DEP_1)
	v_div_fmas_f32 v3, v3, v4, v6
	v_div_fixup_f32 v4, v3, v1, v2
	s_delay_alu instid0(VALU_DEP_1) | instskip(NEXT) | instid1(VALU_DEP_1)
	v_fmac_f32_e32 v1, v2, v4
	v_div_scale_f32 v2, null, v1, v1, 1.0
	v_div_scale_f32 v8, vcc_lo, 1.0, v1, 1.0
	s_delay_alu instid0(VALU_DEP_2) | instskip(SKIP_2) | instid1(VALU_DEP_1)
	v_rcp_f32_e32 v3, v2
	s_waitcnt_depctr 0xfff
	v_fma_f32 v6, -v2, v3, 1.0
	v_fmac_f32_e32 v3, v6, v3
	s_delay_alu instid0(VALU_DEP_1) | instskip(NEXT) | instid1(VALU_DEP_1)
	v_mul_f32_e32 v6, v8, v3
	v_fma_f32 v9, -v2, v6, v8
	s_delay_alu instid0(VALU_DEP_1) | instskip(NEXT) | instid1(VALU_DEP_1)
	v_fmac_f32_e32 v6, v9, v3
	v_fma_f32 v2, -v2, v6, v8
	s_delay_alu instid0(VALU_DEP_1) | instskip(SKIP_1) | instid1(VALU_DEP_2)
	v_div_fmas_f32 v2, v2, v3, v6
	v_fma_f32 v3, v4, 0, 1.0
	v_div_fixup_f32 v1, v2, v1, 1.0
	s_delay_alu instid0(VALU_DEP_1)
	v_mul_f32_e32 v3, v3, v1
	v_mul_f32_e64 v4, -v4, v1
.LBB135_32:
	s_or_b32 exec_lo, exec_lo, s9
	s_mov_b32 s9, 0
	ds_store_b64 v5, v[3:4]
.LBB135_33:
	s_and_b32 vcc_lo, exec_lo, s9
	s_cbranch_vccz .LBB135_35
; %bb.34:
	v_dual_mov_b32 v1, 1.0 :: v_dual_mov_b32 v2, 0
	ds_store_b64 v5, v[1:2]
.LBB135_35:
	s_or_b32 exec_lo, exec_lo, s31
	s_load_b32 s9, s[2:3], 0x50
	s_lshl_b32 s2, s14, 2
	s_add_i32 s30, s30, -1
	s_sub_i32 s3, s11, s2
	s_waitcnt lgkmcnt(0)
	s_ashr_i32 s16, s9, 31
	s_cmp_ge_u32 s14, s30
	s_cselect_b32 s11, s3, 4
	s_ashr_i32 s3, s2, 31
	v_cmp_gt_i32_e32 vcc_lo, s11, v7
	s_cmp_gt_i32 s10, 0
	s_cselect_b32 s10, -1, 0
	s_delay_alu instid0(SALU_CYCLE_1) | instskip(NEXT) | instid1(SALU_CYCLE_1)
	s_and_b32 s10, vcc_lo, s10
	s_and_saveexec_b32 s11, s10
	s_cbranch_execz .LBB135_38
; %bb.36:
	v_lshlrev_b32_e32 v3, 3, v7
	s_lshl_b64 s[18:19], s[2:3], 3
	s_lshl_b64 s[22:23], s[6:7], 3
	s_delay_alu instid0(VALU_DEP_1) | instskip(NEXT) | instid1(VALU_DEP_1)
	v_add_co_u32 v4, s3, s18, v3
	v_add_co_ci_u32_e64 v1, null, s19, 0, s3
	s_add_u32 s18, s4, s22
	s_addc_u32 s19, s5, s23
	s_delay_alu instid0(VALU_DEP_2) | instskip(NEXT) | instid1(VALU_DEP_2)
	v_mul_lo_u32 v5, v4, s16
	v_mul_lo_u32 v6, v1, s9
	v_mad_u64_u32 v[1:2], null, v4, s9, s[18:19]
	v_or_b32_e32 v3, 0x80, v3
	s_mov_b32 s3, s15
	s_delay_alu instid0(VALU_DEP_2) | instskip(NEXT) | instid1(VALU_DEP_3)
	v_add3_u32 v2, v6, v2, v5
	v_add_co_u32 v1, vcc_lo, v1, 4
	s_delay_alu instid0(VALU_DEP_2)
	v_add_co_ci_u32_e32 v2, vcc_lo, 0, v2, vcc_lo
.LBB135_37:                             ; =>This Inner Loop Header: Depth=1
	global_load_b64 v[4:5], v[1:2], off offset:-4
	v_add_co_u32 v1, vcc_lo, v1, 8
	v_add_co_ci_u32_e32 v2, vcc_lo, 0, v2, vcc_lo
	s_add_i32 s3, s3, -1
	s_delay_alu instid0(SALU_CYCLE_1) | instskip(SKIP_3) | instid1(VALU_DEP_2)
	s_cmp_lg_u32 s3, 0
	s_waitcnt vmcnt(0)
	v_mul_f32_e32 v8, s13, v5
	v_mul_f32_e32 v6, s12, v5
	v_fma_f32 v5, s12, v4, -v8
	s_delay_alu instid0(VALU_DEP_2)
	v_fmac_f32_e32 v6, s13, v4
	ds_store_b64 v3, v[5:6]
	v_add_nc_u32_e32 v3, 32, v3
	s_cbranch_scc1 .LBB135_37
.LBB135_38:
	s_or_b32 exec_lo, exec_lo, s11
	s_load_b64 s[0:1], s[0:1], 0x4
	v_bfe_u32 v1, v0, 10, 10
	v_bfe_u32 v0, v0, 20, 10
	s_waitcnt vmcnt(0) lgkmcnt(0)
	s_waitcnt_vscnt null, 0x0
	; wave barrier
	s_waitcnt lgkmcnt(0)
	buffer_gl0_inv
	s_lshr_b32 s0, s0, 16
	v_mul_u32_u24_e32 v1, s1, v1
	s_mul_i32 s0, s0, s1
	s_cmpk_eq_i32 s8, 0x6f
	v_mul_u32_u24_e32 v2, s0, v7
	s_mov_b32 s0, -1
	s_delay_alu instid0(VALU_DEP_1) | instskip(NEXT) | instid1(VALU_DEP_1)
	v_add3_u32 v0, v2, v1, v0
	v_lshl_add_u32 v2, v0, 5, 0x100
	s_cbranch_scc1 .LBB135_59
; %bb.39:
	v_lshl_or_b32 v3, v7, 3, 0x80
	v_lshlrev_b32_e32 v4, 3, v7
	s_lshl_b32 s3, s15, 3
	s_mov_b32 s1, 0
	s_add_i32 s3, s3, -8
	s_mov_b32 s0, s1
	s_mov_b32 s8, s20
	s_branch .LBB135_41
.LBB135_40:                             ;   in Loop: Header=BB135_41 Depth=1
	s_cmp_lt_i32 s8, 0
	s_cselect_b32 s11, -1, 0
	s_add_i32 s0, s0, 1
	s_delay_alu instid0(SALU_CYCLE_1) | instskip(SKIP_1) | instid1(SALU_CYCLE_1)
	s_cmp_eq_u32 s0, 3
	s_cselect_b32 s12, -1, 0
	s_or_b32 s11, s11, s12
	s_delay_alu instid0(SALU_CYCLE_1)
	s_and_not1_b32 vcc_lo, exec_lo, s11
	s_cbranch_vccz .LBB135_58
.LBB135_41:                             ; =>This Loop Header: Depth=1
                                        ;     Child Loop BB135_44 Depth 2
                                        ;       Child Loop BB135_45 Depth 3
                                        ;       Child Loop BB135_47 Depth 3
                                        ;         Child Loop BB135_48 Depth 4
                                        ;       Child Loop BB135_52 Depth 3
                                        ;         Child Loop BB135_54 Depth 4
	s_getpc_b64 s[12:13]
	s_add_u32 s12, s12, __const._ZL38rocblas_trsm_small_left_device_sharedBILi4ELi4ELb1E19rocblas_complex_numIfES1_PKPKS1_PKPS1_Ev13rocblas_fill_18rocblas_operation_17rocblas_diagonal_iiT3_T4_lilT5_lili.step_sizes@rel32@lo+4
	s_addc_u32 s13, s13, __const._ZL38rocblas_trsm_small_left_device_sharedBILi4ELi4ELb1E19rocblas_complex_numIfES1_PKPKS1_PKPS1_Ev13rocblas_fill_18rocblas_operation_17rocblas_diagonal_iiT3_T4_lilT5_lili.step_sizes@rel32@hi+12
	s_lshl_b64 s[16:17], s[0:1], 2
	s_delay_alu instid0(SALU_CYCLE_1) | instskip(SKIP_4) | instid1(SALU_CYCLE_1)
	s_add_u32 s12, s16, s12
	s_addc_u32 s13, s17, s13
	s_load_b32 s11, s[12:13], 0x0
	s_waitcnt lgkmcnt(0)
	s_add_i32 s12, s11, -1
	s_cmp_lt_i32 s8, s12
	s_cbranch_scc1 .LBB135_40
; %bb.42:                               ;   in Loop: Header=BB135_41 Depth=1
	s_lshl_b32 s16, s8, 5
	s_lshl_b32 s14, s11, 5
	v_add_nc_u32_e32 v5, s16, v3
	s_max_i32 s13, s11, 1
	s_sub_i32 s14, 0, s14
	s_add_i32 s16, s3, s16
	s_mul_i32 s17, s8, 40
	s_mul_i32 s18, s11, 0xffffffd8
	s_branch .LBB135_44
.LBB135_43:                             ;   in Loop: Header=BB135_44 Depth=2
	v_add_nc_u32_e32 v5, s14, v5
	s_sub_i32 s8, s8, s11
	s_add_i32 s16, s16, s14
	s_add_i32 s17, s17, s18
	s_cmp_lt_i32 s8, s12
	s_cbranch_scc1 .LBB135_40
.LBB135_44:                             ;   Parent Loop BB135_41 Depth=1
                                        ; =>  This Loop Header: Depth=2
                                        ;       Child Loop BB135_45 Depth 3
                                        ;       Child Loop BB135_47 Depth 3
                                        ;         Child Loop BB135_48 Depth 4
                                        ;       Child Loop BB135_52 Depth 3
                                        ;         Child Loop BB135_54 Depth 4
	v_dual_mov_b32 v0, v2 :: v_dual_mov_b32 v1, v5
	s_mov_b32 s19, s13
.LBB135_45:                             ;   Parent Loop BB135_41 Depth=1
                                        ;     Parent Loop BB135_44 Depth=2
                                        ; =>    This Inner Loop Header: Depth=3
	ds_load_b64 v[8:9], v1
	v_subrev_nc_u32_e32 v1, 32, v1
	s_add_i32 s19, s19, -1
	s_delay_alu instid0(SALU_CYCLE_1)
	s_cmp_eq_u32 s19, 0
	s_waitcnt lgkmcnt(0)
	ds_store_b64 v0, v[8:9]
	v_add_nc_u32_e32 v0, 8, v0
	s_cbranch_scc0 .LBB135_45
; %bb.46:                               ;   in Loop: Header=BB135_44 Depth=2
	s_cmp_le_i32 s20, s8
	s_mov_b32 s19, s16
	s_mov_b32 s21, s20
	s_cbranch_scc1 .LBB135_50
	.p2align	6
.LBB135_47:                             ;   Parent Loop BB135_41 Depth=1
                                        ;     Parent Loop BB135_44 Depth=2
                                        ; =>    This Loop Header: Depth=3
                                        ;         Child Loop BB135_48 Depth 4
	v_lshl_or_b32 v0, s21, 5, v4
	v_mov_b32_e32 v6, v2
	s_mov_b32 s22, s19
	s_mov_b32 s23, s13
	ds_load_b64 v[0:1], v0 offset:128
	.p2align	6
.LBB135_48:                             ;   Parent Loop BB135_41 Depth=1
                                        ;     Parent Loop BB135_44 Depth=2
                                        ;       Parent Loop BB135_47 Depth=3
                                        ; =>      This Inner Loop Header: Depth=4
	v_mov_b32_e32 v8, s22
	s_add_i32 s23, s23, -1
	s_sub_i32 s22, s22, 32
	s_cmp_eq_u32 s23, 0
	ds_load_b64 v[8:9], v8
	ds_load_b64 v[10:11], v6
	s_waitcnt lgkmcnt(1)
	v_mul_f32_e32 v12, v9, v1
	v_mul_f32_e32 v9, v9, v0
	s_delay_alu instid0(VALU_DEP_2) | instskip(SKIP_1) | instid1(VALU_DEP_1)
	v_fma_f32 v12, v8, v0, -v12
	s_waitcnt lgkmcnt(0)
	v_dual_fmac_f32 v9, v8, v1 :: v_dual_sub_f32 v8, v10, v12
	s_delay_alu instid0(VALU_DEP_1)
	v_sub_f32_e32 v9, v11, v9
	ds_store_b64 v6, v[8:9]
	v_add_nc_u32_e32 v6, 8, v6
	s_cbranch_scc0 .LBB135_48
; %bb.49:                               ;   in Loop: Header=BB135_47 Depth=3
	s_add_i32 s21, s21, -1
	s_add_i32 s19, s19, -8
	s_cmp_le_i32 s21, s8
	s_cbranch_scc0 .LBB135_47
.LBB135_50:                             ;   in Loop: Header=BB135_44 Depth=2
	s_lshl_b32 s19, s8, 2
	s_mov_b32 s21, 0
	s_mov_b32 s22, s17
	s_branch .LBB135_52
.LBB135_51:                             ;   in Loop: Header=BB135_52 Depth=3
	s_mul_i32 s24, s24, 40
	s_add_i32 s21, s21, 1
	v_mov_b32_e32 v8, s24
	s_sub_i32 s22, s22, 32
	s_cmp_eq_u32 s21, s13
	ds_load_b64 v[8:9], v8
	s_waitcnt lgkmcnt(0)
	v_mul_f32_e32 v10, v9, v1
	v_mul_f32_e32 v11, v8, v1
	s_delay_alu instid0(VALU_DEP_2) | instskip(NEXT) | instid1(VALU_DEP_2)
	v_fma_f32 v10, v8, v0, -v10
	v_fmac_f32_e32 v11, v9, v0
	v_add_lshl_u32 v0, s23, v7, 3
	ds_store_b64 v6, v[10:11]
	ds_store_b64 v0, v[10:11] offset:128
	s_cbranch_scc1 .LBB135_43
.LBB135_52:                             ;   Parent Loop BB135_41 Depth=1
                                        ;     Parent Loop BB135_44 Depth=2
                                        ; =>    This Loop Header: Depth=3
                                        ;         Child Loop BB135_54 Depth 4
	v_lshl_add_u32 v6, s21, 3, v2
	s_cmp_lg_u32 s21, 0
	s_cbranch_scc0 .LBB135_56
; %bb.53:                               ;   in Loop: Header=BB135_52 Depth=3
	ds_load_b64 v[0:1], v6
	v_mov_b32_e32 v8, v2
	s_sub_i32 s24, s8, s21
	s_mov_b32 s25, 0
	s_lshl_b32 s23, s24, 2
	s_mov_b32 s26, s22
	.p2align	6
.LBB135_54:                             ;   Parent Loop BB135_41 Depth=1
                                        ;     Parent Loop BB135_44 Depth=2
                                        ;       Parent Loop BB135_52 Depth=3
                                        ; =>      This Inner Loop Header: Depth=4
	s_delay_alu instid0(SALU_CYCLE_1)
	v_mov_b32_e32 v11, s26
	s_add_i32 s25, s25, 1
	s_add_i32 s26, s26, -8
	s_cmp_ge_u32 s25, s21
	ds_load_b64 v[9:10], v8
	ds_load_b64 v[11:12], v11
	s_waitcnt lgkmcnt(0)
	v_dual_mul_f32 v13, v12, v10 :: v_dual_add_nc_u32 v8, 8, v8
	v_mul_f32_e32 v10, v11, v10
	s_delay_alu instid0(VALU_DEP_2) | instskip(NEXT) | instid1(VALU_DEP_2)
	v_fma_f32 v11, v11, v9, -v13
	v_fmac_f32_e32 v10, v12, v9
	s_delay_alu instid0(VALU_DEP_1)
	v_dual_sub_f32 v0, v0, v11 :: v_dual_sub_f32 v1, v1, v10
	ds_store_b64 v6, v[0:1]
	s_cbranch_scc0 .LBB135_54
; %bb.55:                               ;   in Loop: Header=BB135_52 Depth=3
	s_branch .LBB135_51
.LBB135_56:                             ;   in Loop: Header=BB135_52 Depth=3
                                        ; implicit-def: $vgpr0
                                        ; implicit-def: $sgpr24
                                        ; implicit-def: $sgpr23
	s_cbranch_execz .LBB135_51
; %bb.57:                               ;   in Loop: Header=BB135_52 Depth=3
	ds_load_b64 v[0:1], v2
	s_mov_b32 s23, s19
	s_mov_b32 s24, s8
	s_branch .LBB135_51
.LBB135_58:
	s_mov_b32 s0, 0
.LBB135_59:
	s_delay_alu instid0(SALU_CYCLE_1)
	s_and_b32 vcc_lo, exec_lo, s0
	s_cbranch_vccz .LBB135_80
; %bb.60:
	v_lshl_or_b32 v3, v7, 3, 0x80
	v_lshlrev_b32_e32 v4, 3, v7
	s_mov_b32 s1, 0
	s_delay_alu instid0(SALU_CYCLE_1)
	s_mov_b32 s0, s1
	s_mov_b32 s3, s1
	s_branch .LBB135_62
.LBB135_61:                             ;   in Loop: Header=BB135_62 Depth=1
	s_cmp_ge_i32 s3, s15
	s_cselect_b32 s8, -1, 0
	s_add_i32 s0, s0, 1
	s_delay_alu instid0(SALU_CYCLE_1) | instskip(SKIP_1) | instid1(SALU_CYCLE_1)
	s_cmp_eq_u32 s0, 3
	s_cselect_b32 s11, -1, 0
	s_or_b32 s8, s8, s11
	s_delay_alu instid0(SALU_CYCLE_1)
	s_and_b32 vcc_lo, exec_lo, s8
	s_cbranch_vccnz .LBB135_80
.LBB135_62:                             ; =>This Loop Header: Depth=1
                                        ;     Child Loop BB135_65 Depth 2
                                        ;       Child Loop BB135_66 Depth 3
                                        ;       Child Loop BB135_69 Depth 3
                                        ;         Child Loop BB135_70 Depth 4
                                        ;       Child Loop BB135_74 Depth 3
                                        ;         Child Loop BB135_76 Depth 4
	s_getpc_b64 s[12:13]
	s_add_u32 s12, s12, __const._ZL38rocblas_trsm_small_left_device_sharedBILi4ELi4ELb1E19rocblas_complex_numIfES1_PKPKS1_PKPS1_Ev13rocblas_fill_18rocblas_operation_17rocblas_diagonal_iiT3_T4_lilT5_lili.step_sizes@rel32@lo+4
	s_addc_u32 s13, s13, __const._ZL38rocblas_trsm_small_left_device_sharedBILi4ELi4ELb1E19rocblas_complex_numIfES1_PKPKS1_PKPS1_Ev13rocblas_fill_18rocblas_operation_17rocblas_diagonal_iiT3_T4_lilT5_lili.step_sizes@rel32@hi+12
	s_lshl_b64 s[16:17], s[0:1], 2
	s_delay_alu instid0(SALU_CYCLE_1) | instskip(SKIP_4) | instid1(SALU_CYCLE_1)
	s_add_u32 s12, s16, s12
	s_addc_u32 s13, s17, s13
	s_load_b32 s8, s[12:13], 0x0
	s_waitcnt lgkmcnt(0)
	s_add_i32 s11, s8, -1
	s_add_i32 s12, s11, s3
	s_delay_alu instid0(SALU_CYCLE_1)
	s_cmp_ge_i32 s12, s15
	s_cbranch_scc1 .LBB135_61
; %bb.63:                               ;   in Loop: Header=BB135_62 Depth=1
	v_lshl_add_u32 v5, s3, 5, v3
	s_max_i32 s12, s8, 1
	s_lshl_b32 s13, s8, 5
	s_lshl_b32 s14, s3, 3
	;; [unrolled: 1-line block ×3, first 2 shown]
	s_mul_i32 s17, s3, 40
	s_mul_i32 s18, s8, 40
	s_branch .LBB135_65
.LBB135_64:                             ;   in Loop: Header=BB135_65 Depth=2
	s_add_i32 s3, s3, s8
	v_add_nc_u32_e32 v5, s13, v5
	s_add_i32 s19, s11, s3
	s_add_i32 s14, s14, s16
	;; [unrolled: 1-line block ×3, first 2 shown]
	s_cmp_ge_i32 s19, s15
	s_cbranch_scc1 .LBB135_61
.LBB135_65:                             ;   Parent Loop BB135_62 Depth=1
                                        ; =>  This Loop Header: Depth=2
                                        ;       Child Loop BB135_66 Depth 3
                                        ;       Child Loop BB135_69 Depth 3
                                        ;         Child Loop BB135_70 Depth 4
                                        ;       Child Loop BB135_74 Depth 3
                                        ;         Child Loop BB135_76 Depth 4
	v_dual_mov_b32 v0, v2 :: v_dual_mov_b32 v1, v5
	s_mov_b32 s19, s12
.LBB135_66:                             ;   Parent Loop BB135_62 Depth=1
                                        ;     Parent Loop BB135_65 Depth=2
                                        ; =>    This Inner Loop Header: Depth=3
	ds_load_b64 v[8:9], v1
	v_add_nc_u32_e32 v1, 32, v1
	s_add_i32 s19, s19, -1
	s_delay_alu instid0(SALU_CYCLE_1)
	s_cmp_eq_u32 s19, 0
	s_waitcnt lgkmcnt(0)
	ds_store_b64 v0, v[8:9]
	v_add_nc_u32_e32 v0, 8, v0
	s_cbranch_scc0 .LBB135_66
; %bb.67:                               ;   in Loop: Header=BB135_65 Depth=2
	s_cmp_lt_i32 s3, 1
	s_cbranch_scc1 .LBB135_72
; %bb.68:                               ;   in Loop: Header=BB135_65 Depth=2
	s_mov_b32 s19, 0
	s_mov_b32 s20, s14
	.p2align	6
.LBB135_69:                             ;   Parent Loop BB135_62 Depth=1
                                        ;     Parent Loop BB135_65 Depth=2
                                        ; =>    This Loop Header: Depth=3
                                        ;         Child Loop BB135_70 Depth 4
	v_lshl_or_b32 v0, s19, 5, v4
	v_mov_b32_e32 v6, v2
	s_mov_b32 s21, s20
	s_mov_b32 s22, s12
	ds_load_b64 v[0:1], v0 offset:128
	.p2align	6
.LBB135_70:                             ;   Parent Loop BB135_62 Depth=1
                                        ;     Parent Loop BB135_65 Depth=2
                                        ;       Parent Loop BB135_69 Depth=3
                                        ; =>      This Inner Loop Header: Depth=4
	v_mov_b32_e32 v8, s21
	s_add_i32 s22, s22, -1
	s_add_i32 s21, s21, 8
	s_cmp_eq_u32 s22, 0
	ds_load_b64 v[8:9], v8
	ds_load_b64 v[10:11], v6
	s_waitcnt lgkmcnt(1)
	v_mul_f32_e32 v12, v9, v1
	v_mul_f32_e32 v9, v9, v0
	s_delay_alu instid0(VALU_DEP_2) | instskip(SKIP_1) | instid1(VALU_DEP_1)
	v_fma_f32 v12, v8, v0, -v12
	s_waitcnt lgkmcnt(0)
	v_dual_fmac_f32 v9, v8, v1 :: v_dual_sub_f32 v8, v10, v12
	s_delay_alu instid0(VALU_DEP_1)
	v_sub_f32_e32 v9, v11, v9
	ds_store_b64 v6, v[8:9]
	v_add_nc_u32_e32 v6, 8, v6
	s_cbranch_scc0 .LBB135_70
; %bb.71:                               ;   in Loop: Header=BB135_69 Depth=3
	s_add_i32 s19, s19, 1
	s_add_i32 s20, s20, 32
	s_cmp_ge_i32 s19, s3
	s_cbranch_scc0 .LBB135_69
.LBB135_72:                             ;   in Loop: Header=BB135_65 Depth=2
	s_mov_b32 s19, 0
	s_mov_b32 s20, s17
	s_branch .LBB135_74
.LBB135_73:                             ;   in Loop: Header=BB135_74 Depth=3
	s_mul_i32 s22, s21, 40
	s_add_i32 s19, s19, 1
	v_mov_b32_e32 v8, s22
	s_add_i32 s20, s20, 8
	s_cmp_eq_u32 s19, s12
	ds_load_b64 v[8:9], v8
	s_waitcnt lgkmcnt(0)
	v_mul_f32_e32 v10, v9, v1
	v_mul_f32_e32 v11, v8, v1
	s_delay_alu instid0(VALU_DEP_2) | instskip(NEXT) | instid1(VALU_DEP_2)
	v_fma_f32 v10, v8, v0, -v10
	v_fmac_f32_e32 v11, v9, v0
	v_lshl_or_b32 v0, s21, 5, v4
	ds_store_b64 v6, v[10:11]
	ds_store_b64 v0, v[10:11] offset:128
	s_cbranch_scc1 .LBB135_64
.LBB135_74:                             ;   Parent Loop BB135_62 Depth=1
                                        ;     Parent Loop BB135_65 Depth=2
                                        ; =>    This Loop Header: Depth=3
                                        ;         Child Loop BB135_76 Depth 4
	v_lshl_add_u32 v6, s19, 3, v2
	s_cmp_lg_u32 s19, 0
	s_cbranch_scc0 .LBB135_78
; %bb.75:                               ;   in Loop: Header=BB135_74 Depth=3
	ds_load_b64 v[0:1], v6
	v_mov_b32_e32 v8, v2
	s_add_i32 s21, s19, s3
	s_mov_b32 s22, 0
	s_mov_b32 s23, s20
	.p2align	6
.LBB135_76:                             ;   Parent Loop BB135_62 Depth=1
                                        ;     Parent Loop BB135_65 Depth=2
                                        ;       Parent Loop BB135_74 Depth=3
                                        ; =>      This Inner Loop Header: Depth=4
	s_delay_alu instid0(SALU_CYCLE_1)
	v_mov_b32_e32 v11, s23
	s_add_i32 s22, s22, 1
	s_add_i32 s23, s23, 32
	s_cmp_ge_u32 s22, s19
	ds_load_b64 v[9:10], v8
	ds_load_b64 v[11:12], v11
	s_waitcnt lgkmcnt(0)
	v_dual_mul_f32 v13, v12, v10 :: v_dual_add_nc_u32 v8, 8, v8
	v_mul_f32_e32 v10, v11, v10
	s_delay_alu instid0(VALU_DEP_2) | instskip(NEXT) | instid1(VALU_DEP_2)
	v_fma_f32 v11, v11, v9, -v13
	v_fmac_f32_e32 v10, v12, v9
	s_delay_alu instid0(VALU_DEP_1)
	v_dual_sub_f32 v0, v0, v11 :: v_dual_sub_f32 v1, v1, v10
	ds_store_b64 v6, v[0:1]
	s_cbranch_scc0 .LBB135_76
; %bb.77:                               ;   in Loop: Header=BB135_74 Depth=3
	s_branch .LBB135_73
.LBB135_78:                             ;   in Loop: Header=BB135_74 Depth=3
                                        ; implicit-def: $vgpr0
                                        ; implicit-def: $sgpr21
	s_cbranch_execz .LBB135_73
; %bb.79:                               ;   in Loop: Header=BB135_74 Depth=3
	ds_load_b64 v[0:1], v2
	s_mov_b32 s21, s3
	s_branch .LBB135_73
.LBB135_80:
	s_waitcnt vmcnt(0) lgkmcnt(0)
	s_waitcnt_vscnt null, 0x0
	; wave barrier
	s_waitcnt lgkmcnt(0)
	buffer_gl0_inv
	s_and_saveexec_b32 s0, s10
	s_cbranch_execz .LBB135_83
; %bb.81:
	v_mad_i64_i32 v[0:1], null, s9, v7, 0
	s_lshl_b64 s[0:1], s[6:7], 3
	s_mul_hi_i32 s3, s9, s2
	s_mul_i32 s2, s9, s2
	s_add_u32 s4, s4, s0
	s_addc_u32 s5, s5, s1
	s_lshl_b64 s[0:1], s[2:3], 3
	s_delay_alu instid0(VALU_DEP_1) | instskip(SKIP_3) | instid1(VALU_DEP_2)
	v_lshlrev_b64 v[0:1], 3, v[0:1]
	s_add_u32 s0, s4, s0
	s_addc_u32 s1, s5, s1
	v_lshl_or_b32 v2, v7, 3, 0x80
	v_add_co_u32 v0, vcc_lo, s0, v0
	s_delay_alu instid0(VALU_DEP_3)
	v_add_co_ci_u32_e32 v1, vcc_lo, s1, v1, vcc_lo
.LBB135_82:                             ; =>This Inner Loop Header: Depth=1
	ds_load_b64 v[3:4], v2
	v_add_nc_u32_e32 v2, 32, v2
	s_add_i32 s15, s15, -1
	s_delay_alu instid0(SALU_CYCLE_1)
	s_cmp_lg_u32 s15, 0
	s_waitcnt lgkmcnt(0)
	global_store_b64 v[0:1], v[3:4], off
	v_add_co_u32 v0, vcc_lo, v0, 8
	v_add_co_ci_u32_e32 v1, vcc_lo, 0, v1, vcc_lo
	s_cbranch_scc1 .LBB135_82
.LBB135_83:
	s_nop 0
	s_sendmsg sendmsg(MSG_DEALLOC_VGPRS)
	s_endpgm
	.section	.rodata,"a",@progbits
	.p2align	6, 0x0
	.amdhsa_kernel _ZL38rocblas_trsm_small_left_device_sharedBILi4ELi4ELb1E19rocblas_complex_numIfES1_PKPKS1_PKPS1_Ev13rocblas_fill_18rocblas_operation_17rocblas_diagonal_iiT3_T4_lilT5_lili
		.amdhsa_group_segment_fixed_size 384
		.amdhsa_private_segment_fixed_size 0
		.amdhsa_kernarg_size 360
		.amdhsa_user_sgpr_count 14
		.amdhsa_user_sgpr_dispatch_ptr 1
		.amdhsa_user_sgpr_queue_ptr 0
		.amdhsa_user_sgpr_kernarg_segment_ptr 1
		.amdhsa_user_sgpr_dispatch_id 0
		.amdhsa_user_sgpr_private_segment_size 0
		.amdhsa_wavefront_size32 1
		.amdhsa_uses_dynamic_stack 0
		.amdhsa_enable_private_segment 0
		.amdhsa_system_sgpr_workgroup_id_x 1
		.amdhsa_system_sgpr_workgroup_id_y 0
		.amdhsa_system_sgpr_workgroup_id_z 1
		.amdhsa_system_sgpr_workgroup_info 0
		.amdhsa_system_vgpr_workitem_id 2
		.amdhsa_next_free_vgpr 14
		.amdhsa_next_free_sgpr 37
		.amdhsa_reserve_vcc 1
		.amdhsa_float_round_mode_32 0
		.amdhsa_float_round_mode_16_64 0
		.amdhsa_float_denorm_mode_32 3
		.amdhsa_float_denorm_mode_16_64 3
		.amdhsa_dx10_clamp 1
		.amdhsa_ieee_mode 1
		.amdhsa_fp16_overflow 0
		.amdhsa_workgroup_processor_mode 1
		.amdhsa_memory_ordered 1
		.amdhsa_forward_progress 0
		.amdhsa_shared_vgpr_count 0
		.amdhsa_exception_fp_ieee_invalid_op 0
		.amdhsa_exception_fp_denorm_src 0
		.amdhsa_exception_fp_ieee_div_zero 0
		.amdhsa_exception_fp_ieee_overflow 0
		.amdhsa_exception_fp_ieee_underflow 0
		.amdhsa_exception_fp_ieee_inexact 0
		.amdhsa_exception_int_div_zero 0
	.end_amdhsa_kernel
	.section	.text._ZL38rocblas_trsm_small_left_device_sharedBILi4ELi4ELb1E19rocblas_complex_numIfES1_PKPKS1_PKPS1_Ev13rocblas_fill_18rocblas_operation_17rocblas_diagonal_iiT3_T4_lilT5_lili,"axG",@progbits,_ZL38rocblas_trsm_small_left_device_sharedBILi4ELi4ELb1E19rocblas_complex_numIfES1_PKPKS1_PKPS1_Ev13rocblas_fill_18rocblas_operation_17rocblas_diagonal_iiT3_T4_lilT5_lili,comdat
.Lfunc_end135:
	.size	_ZL38rocblas_trsm_small_left_device_sharedBILi4ELi4ELb1E19rocblas_complex_numIfES1_PKPKS1_PKPS1_Ev13rocblas_fill_18rocblas_operation_17rocblas_diagonal_iiT3_T4_lilT5_lili, .Lfunc_end135-_ZL38rocblas_trsm_small_left_device_sharedBILi4ELi4ELb1E19rocblas_complex_numIfES1_PKPKS1_PKPS1_Ev13rocblas_fill_18rocblas_operation_17rocblas_diagonal_iiT3_T4_lilT5_lili
                                        ; -- End function
	.section	.AMDGPU.csdata,"",@progbits
; Kernel info:
; codeLenInByte = 3260
; NumSgprs: 39
; NumVgprs: 14
; ScratchSize: 0
; MemoryBound: 0
; FloatMode: 240
; IeeeMode: 1
; LDSByteSize: 384 bytes/workgroup (compile time only)
; SGPRBlocks: 4
; VGPRBlocks: 1
; NumSGPRsForWavesPerEU: 39
; NumVGPRsForWavesPerEU: 14
; Occupancy: 16
; WaveLimiterHint : 0
; COMPUTE_PGM_RSRC2:SCRATCH_EN: 0
; COMPUTE_PGM_RSRC2:USER_SGPR: 14
; COMPUTE_PGM_RSRC2:TRAP_HANDLER: 0
; COMPUTE_PGM_RSRC2:TGID_X_EN: 1
; COMPUTE_PGM_RSRC2:TGID_Y_EN: 0
; COMPUTE_PGM_RSRC2:TGID_Z_EN: 1
; COMPUTE_PGM_RSRC2:TIDIG_COMP_CNT: 2
	.section	.text._ZL30rocblas_trsm_small_left_deviceILi4ELi4ELb1E19rocblas_complex_numIfES1_PKPKS1_PKPS1_Ev13rocblas_fill_18rocblas_operation_17rocblas_diagonal_iiT3_T4_lilT5_lili,"axG",@progbits,_ZL30rocblas_trsm_small_left_deviceILi4ELi4ELb1E19rocblas_complex_numIfES1_PKPKS1_PKPS1_Ev13rocblas_fill_18rocblas_operation_17rocblas_diagonal_iiT3_T4_lilT5_lili,comdat
	.globl	_ZL30rocblas_trsm_small_left_deviceILi4ELi4ELb1E19rocblas_complex_numIfES1_PKPKS1_PKPS1_Ev13rocblas_fill_18rocblas_operation_17rocblas_diagonal_iiT3_T4_lilT5_lili ; -- Begin function _ZL30rocblas_trsm_small_left_deviceILi4ELi4ELb1E19rocblas_complex_numIfES1_PKPKS1_PKPS1_Ev13rocblas_fill_18rocblas_operation_17rocblas_diagonal_iiT3_T4_lilT5_lili
	.p2align	8
	.type	_ZL30rocblas_trsm_small_left_deviceILi4ELi4ELb1E19rocblas_complex_numIfES1_PKPKS1_PKPS1_Ev13rocblas_fill_18rocblas_operation_17rocblas_diagonal_iiT3_T4_lilT5_lili,@function
_ZL30rocblas_trsm_small_left_deviceILi4ELi4ELb1E19rocblas_complex_numIfES1_PKPKS1_PKPS1_Ev13rocblas_fill_18rocblas_operation_17rocblas_diagonal_iiT3_T4_lilT5_lili: ; @_ZL30rocblas_trsm_small_left_deviceILi4ELi4ELb1E19rocblas_complex_numIfES1_PKPKS1_PKPS1_Ev13rocblas_fill_18rocblas_operation_17rocblas_diagonal_iiT3_T4_lilT5_lili
; %bb.0:
	s_clause 0x1
	s_load_b128 s[8:11], s[2:3], 0x40
	s_load_b128 s[4:7], s[2:3], 0x4
	s_mov_b32 s20, s15
	s_mov_b32 s21, 0
	s_load_b32 s30, s[2:3], 0x68
	s_lshl_b64 s[24:25], s[20:21], 3
	v_and_b32_e32 v7, 0x3ff, v0
	s_waitcnt lgkmcnt(0)
	s_add_u32 s12, s8, s24
	s_addc_u32 s13, s9, s25
	s_load_b64 s[8:9], s[2:3], 0x14
	s_load_b64 s[12:13], s[12:13], 0x0
	s_min_i32 s15, s6, 4
	s_mov_b32 s6, exec_lo
	s_add_i32 s20, s15, -1
	v_cmpx_gt_i32_e64 s15, v7
	s_cbranch_execz .LBB136_35
; %bb.1:
	s_clause 0x1
	s_load_b32 s22, s[2:3], 0x30
	s_load_b128 s[16:19], s[2:3], 0x20
	v_lshlrev_b32_e32 v9, 3, v7
	s_waitcnt lgkmcnt(0)
	s_ashr_i32 s23, s22, 31
	s_cmpk_lg_i32 s4, 0x71
	s_cselect_b32 s31, -1, 0
	s_add_u32 s16, s16, s24
	s_addc_u32 s17, s17, s25
	v_cndmask_b32_e64 v8, 0, 1, s31
	s_load_b64 s[16:17], s[16:17], 0x0
	s_cmp_lt_u32 s20, 3
	s_cbranch_scc1 .LBB136_20
; %bb.2:
	s_lshl_b64 s[24:25], s[18:19], 3
	v_mov_b32_e32 v10, v9
	s_waitcnt lgkmcnt(0)
	s_add_u32 s21, s16, s24
	s_addc_u32 s24, s17, s25
	v_add_co_u32 v1, s21, s21, v9
	s_delay_alu instid0(VALU_DEP_1)
	v_add_co_ci_u32_e64 v2, null, s24, 0, s21
	s_and_b32 s21, s15, -4
	s_mul_hi_i32 s33, s22, 24
	s_mul_i32 s34, s22, 24
	s_lshl_b64 s[24:25], s[22:23], 5
	s_lshl_b64 s[26:27], s[22:23], 4
	;; [unrolled: 1-line block ×3, first 2 shown]
	s_mov_b32 s35, 0
	s_branch .LBB136_4
.LBB136_3:                              ;   in Loop: Header=BB136_4 Depth=1
	global_load_b32 v3, v[5:6], off
	v_add_co_u32 v1, vcc_lo, v1, s24
	v_add_co_ci_u32_e32 v2, vcc_lo, s25, v2, vcc_lo
	s_add_i32 s35, s35, 4
	s_delay_alu instid0(SALU_CYCLE_1)
	s_cmp_eq_u32 s21, s35
	s_waitcnt vmcnt(0)
	ds_store_b64 v10, v[3:4] offset:96
	v_add_nc_u32_e32 v10, 0x80, v10
	s_cbranch_scc1 .LBB136_20
.LBB136_4:                              ; =>This Inner Loop Header: Depth=1
	s_and_b32 vcc_lo, exec_lo, s31
	s_cbranch_vccz .LBB136_6
; %bb.5:                                ;   in Loop: Header=BB136_4 Depth=1
	global_load_b32 v4, v[1:2], off offset:4
	s_cbranch_execz .LBB136_7
	s_branch .LBB136_8
.LBB136_6:                              ;   in Loop: Header=BB136_4 Depth=1
                                        ; implicit-def: $vgpr4
.LBB136_7:                              ;   in Loop: Header=BB136_4 Depth=1
	global_load_b32 v3, v[1:2], off offset:4
	s_waitcnt vmcnt(0)
	v_xor_b32_e32 v4, 0x80000000, v3
.LBB136_8:                              ;   in Loop: Header=BB136_4 Depth=1
	global_load_b32 v3, v[1:2], off
	v_add_co_u32 v5, vcc_lo, v1, s28
	v_add_co_ci_u32_e32 v6, vcc_lo, s29, v2, vcc_lo
	s_and_not1_b32 vcc_lo, exec_lo, s31
	s_waitcnt vmcnt(0)
	ds_store_b64 v10, v[3:4]
	s_cbranch_vccnz .LBB136_10
; %bb.9:                                ;   in Loop: Header=BB136_4 Depth=1
	global_load_b32 v4, v[5:6], off offset:4
	s_cbranch_execz .LBB136_11
	s_branch .LBB136_12
.LBB136_10:                             ;   in Loop: Header=BB136_4 Depth=1
                                        ; implicit-def: $vgpr4
.LBB136_11:                             ;   in Loop: Header=BB136_4 Depth=1
	global_load_b32 v3, v[5:6], off offset:4
	s_waitcnt vmcnt(0)
	v_xor_b32_e32 v4, 0x80000000, v3
.LBB136_12:                             ;   in Loop: Header=BB136_4 Depth=1
	global_load_b32 v3, v[5:6], off
	v_add_co_u32 v5, vcc_lo, v1, s26
	v_add_co_ci_u32_e32 v6, vcc_lo, s27, v2, vcc_lo
	s_and_not1_b32 vcc_lo, exec_lo, s31
	s_waitcnt vmcnt(0)
	ds_store_b64 v10, v[3:4] offset:32
	s_cbranch_vccnz .LBB136_14
; %bb.13:                               ;   in Loop: Header=BB136_4 Depth=1
	global_load_b32 v4, v[5:6], off offset:4
	s_cbranch_execz .LBB136_15
	s_branch .LBB136_16
.LBB136_14:                             ;   in Loop: Header=BB136_4 Depth=1
                                        ; implicit-def: $vgpr4
.LBB136_15:                             ;   in Loop: Header=BB136_4 Depth=1
	global_load_b32 v3, v[5:6], off offset:4
	s_waitcnt vmcnt(0)
	v_xor_b32_e32 v4, 0x80000000, v3
.LBB136_16:                             ;   in Loop: Header=BB136_4 Depth=1
	global_load_b32 v3, v[5:6], off
	v_add_co_u32 v5, vcc_lo, v1, s34
	v_add_co_ci_u32_e32 v6, vcc_lo, s33, v2, vcc_lo
	s_and_not1_b32 vcc_lo, exec_lo, s31
	s_waitcnt vmcnt(0)
	ds_store_b64 v10, v[3:4] offset:64
	s_cbranch_vccnz .LBB136_18
; %bb.17:                               ;   in Loop: Header=BB136_4 Depth=1
	global_load_b32 v4, v[5:6], off offset:4
	s_cbranch_execnz .LBB136_3
	s_branch .LBB136_19
.LBB136_18:                             ;   in Loop: Header=BB136_4 Depth=1
                                        ; implicit-def: $vgpr4
.LBB136_19:                             ;   in Loop: Header=BB136_4 Depth=1
	global_load_b32 v3, v[5:6], off offset:4
	s_waitcnt vmcnt(0)
	v_xor_b32_e32 v4, 0x80000000, v3
	s_branch .LBB136_3
.LBB136_20:
	s_and_b32 s24, s15, 3
	s_delay_alu instid0(SALU_CYCLE_1)
	s_cmp_eq_u32 s24, 0
	s_cbranch_scc1 .LBB136_27
; %bb.21:
	s_mul_i32 s25, s23, s21
	s_mul_hi_u32 s26, s22, s21
	s_lshl_b64 s[18:19], s[18:19], 3
	s_add_i32 s27, s26, s25
	s_mul_i32 s26, s22, s21
	v_lshl_or_b32 v5, s21, 5, v9
	s_lshl_b64 s[26:27], s[26:27], 3
	s_delay_alu instid0(SALU_CYCLE_1)
	s_add_u32 s18, s26, s18
	s_addc_u32 s19, s27, s19
	s_waitcnt lgkmcnt(0)
	s_add_u32 s16, s16, s18
	s_addc_u32 s17, s17, s19
	v_add_co_u32 v1, s16, s16, v9
	s_delay_alu instid0(VALU_DEP_1) | instskip(SKIP_1) | instid1(VALU_DEP_2)
	v_add_co_ci_u32_e64 v2, null, s17, 0, s16
	s_lshl_b64 s[16:17], s[22:23], 3
	v_add_co_u32 v1, vcc_lo, v1, 4
	s_delay_alu instid0(VALU_DEP_2)
	v_add_co_ci_u32_e32 v2, vcc_lo, 0, v2, vcc_lo
	s_set_inst_prefetch_distance 0x1
	s_branch .LBB136_23
	.p2align	6
.LBB136_22:                             ;   in Loop: Header=BB136_23 Depth=1
	global_load_b32 v3, v[1:2], off offset:-4
	v_add_co_u32 v1, vcc_lo, v1, s16
	v_add_co_ci_u32_e32 v2, vcc_lo, s17, v2, vcc_lo
	s_add_i32 s24, s24, -1
	s_delay_alu instid0(SALU_CYCLE_1)
	s_cmp_lg_u32 s24, 0
	s_waitcnt vmcnt(0)
	ds_store_b64 v5, v[3:4]
	v_add_nc_u32_e32 v5, 32, v5
	s_cbranch_scc0 .LBB136_27
.LBB136_23:                             ; =>This Inner Loop Header: Depth=1
	v_cmp_ne_u32_e32 vcc_lo, 1, v8
	s_mov_b32 s18, -1
                                        ; implicit-def: $vgpr4
	s_cbranch_vccnz .LBB136_25
; %bb.24:                               ;   in Loop: Header=BB136_23 Depth=1
	global_load_b32 v4, v[1:2], off
	s_mov_b32 s18, 0
.LBB136_25:                             ;   in Loop: Header=BB136_23 Depth=1
	s_delay_alu instid0(SALU_CYCLE_1)
	s_and_not1_b32 vcc_lo, exec_lo, s18
	s_cbranch_vccnz .LBB136_22
; %bb.26:                               ;   in Loop: Header=BB136_23 Depth=1
	global_load_b32 v3, v[1:2], off
	s_waitcnt vmcnt(0)
	v_xor_b32_e32 v4, 0x80000000, v3
	s_branch .LBB136_22
.LBB136_27:
	s_set_inst_prefetch_distance 0x2
	v_mul_u32_u24_e32 v1, 5, v7
	s_cmpk_lg_i32 s5, 0x84
	s_mov_b32 s5, -1
	s_delay_alu instid0(VALU_DEP_1)
	v_lshlrev_b32_e32 v5, 3, v1
	s_cbranch_scc0 .LBB136_33
; %bb.28:
	ds_load_b64 v[1:2], v5
	s_waitcnt lgkmcnt(0)
	v_cmp_gt_f32_e32 vcc_lo, 0, v1
	v_cndmask_b32_e64 v3, v1, -v1, vcc_lo
	v_cmp_gt_f32_e32 vcc_lo, 0, v2
	v_cndmask_b32_e64 v4, v2, -v2, vcc_lo
	s_delay_alu instid0(VALU_DEP_1) | instskip(SKIP_1) | instid1(SALU_CYCLE_1)
	v_cmp_ngt_f32_e32 vcc_lo, v3, v4
                                        ; implicit-def: $vgpr3
	s_and_saveexec_b32 s5, vcc_lo
	s_xor_b32 s5, exec_lo, s5
	s_cbranch_execz .LBB136_30
; %bb.29:
	v_div_scale_f32 v3, null, v2, v2, v1
	v_div_scale_f32 v8, vcc_lo, v1, v2, v1
	s_delay_alu instid0(VALU_DEP_2) | instskip(SKIP_2) | instid1(VALU_DEP_1)
	v_rcp_f32_e32 v4, v3
	s_waitcnt_depctr 0xfff
	v_fma_f32 v6, -v3, v4, 1.0
	v_fmac_f32_e32 v4, v6, v4
	s_delay_alu instid0(VALU_DEP_1) | instskip(NEXT) | instid1(VALU_DEP_1)
	v_mul_f32_e32 v6, v8, v4
	v_fma_f32 v9, -v3, v6, v8
	s_delay_alu instid0(VALU_DEP_1) | instskip(NEXT) | instid1(VALU_DEP_1)
	v_fmac_f32_e32 v6, v9, v4
	v_fma_f32 v3, -v3, v6, v8
	s_delay_alu instid0(VALU_DEP_1) | instskip(NEXT) | instid1(VALU_DEP_1)
	v_div_fmas_f32 v3, v3, v4, v6
	v_div_fixup_f32 v3, v3, v2, v1
	s_delay_alu instid0(VALU_DEP_1) | instskip(NEXT) | instid1(VALU_DEP_1)
	v_fmac_f32_e32 v2, v1, v3
	v_div_scale_f32 v1, null, v2, v2, 1.0
	v_div_scale_f32 v8, vcc_lo, 1.0, v2, 1.0
	s_delay_alu instid0(VALU_DEP_2) | instskip(SKIP_2) | instid1(VALU_DEP_1)
	v_rcp_f32_e32 v4, v1
	s_waitcnt_depctr 0xfff
	v_fma_f32 v6, -v1, v4, 1.0
	v_fmac_f32_e32 v4, v6, v4
	s_delay_alu instid0(VALU_DEP_1) | instskip(NEXT) | instid1(VALU_DEP_1)
	v_mul_f32_e32 v6, v8, v4
	v_fma_f32 v9, -v1, v6, v8
	s_delay_alu instid0(VALU_DEP_1) | instskip(NEXT) | instid1(VALU_DEP_1)
	v_fmac_f32_e32 v6, v9, v4
	v_fma_f32 v1, -v1, v6, v8
	s_delay_alu instid0(VALU_DEP_1) | instskip(SKIP_1) | instid1(VALU_DEP_2)
	v_div_fmas_f32 v1, v1, v4, v6
	v_add_f32_e32 v4, 0, v3
	v_div_fixup_f32 v1, v1, v2, 1.0
	v_fma_f32 v2, v3, 0, -1.0
	s_delay_alu instid0(VALU_DEP_2) | instskip(NEXT) | instid1(VALU_DEP_2)
	v_mul_f32_e32 v3, v4, v1
	v_mul_f32_e32 v4, v2, v1
                                        ; implicit-def: $vgpr1_vgpr2
.LBB136_30:
	s_and_not1_saveexec_b32 s5, s5
	s_cbranch_execz .LBB136_32
; %bb.31:
	v_div_scale_f32 v3, null, v1, v1, v2
	v_div_scale_f32 v8, vcc_lo, v2, v1, v2
	s_delay_alu instid0(VALU_DEP_2) | instskip(SKIP_2) | instid1(VALU_DEP_1)
	v_rcp_f32_e32 v4, v3
	s_waitcnt_depctr 0xfff
	v_fma_f32 v6, -v3, v4, 1.0
	v_fmac_f32_e32 v4, v6, v4
	s_delay_alu instid0(VALU_DEP_1) | instskip(NEXT) | instid1(VALU_DEP_1)
	v_mul_f32_e32 v6, v8, v4
	v_fma_f32 v9, -v3, v6, v8
	s_delay_alu instid0(VALU_DEP_1) | instskip(NEXT) | instid1(VALU_DEP_1)
	v_fmac_f32_e32 v6, v9, v4
	v_fma_f32 v3, -v3, v6, v8
	s_delay_alu instid0(VALU_DEP_1) | instskip(NEXT) | instid1(VALU_DEP_1)
	v_div_fmas_f32 v3, v3, v4, v6
	v_div_fixup_f32 v4, v3, v1, v2
	s_delay_alu instid0(VALU_DEP_1) | instskip(NEXT) | instid1(VALU_DEP_1)
	v_fmac_f32_e32 v1, v2, v4
	v_div_scale_f32 v2, null, v1, v1, 1.0
	v_div_scale_f32 v8, vcc_lo, 1.0, v1, 1.0
	s_delay_alu instid0(VALU_DEP_2) | instskip(SKIP_2) | instid1(VALU_DEP_1)
	v_rcp_f32_e32 v3, v2
	s_waitcnt_depctr 0xfff
	v_fma_f32 v6, -v2, v3, 1.0
	v_fmac_f32_e32 v3, v6, v3
	s_delay_alu instid0(VALU_DEP_1) | instskip(NEXT) | instid1(VALU_DEP_1)
	v_mul_f32_e32 v6, v8, v3
	v_fma_f32 v9, -v2, v6, v8
	s_delay_alu instid0(VALU_DEP_1) | instskip(NEXT) | instid1(VALU_DEP_1)
	v_fmac_f32_e32 v6, v9, v3
	v_fma_f32 v2, -v2, v6, v8
	s_delay_alu instid0(VALU_DEP_1) | instskip(SKIP_1) | instid1(VALU_DEP_2)
	v_div_fmas_f32 v2, v2, v3, v6
	v_fma_f32 v3, v4, 0, 1.0
	v_div_fixup_f32 v1, v2, v1, 1.0
	s_delay_alu instid0(VALU_DEP_1)
	v_mul_f32_e32 v3, v3, v1
	v_mul_f32_e64 v4, -v4, v1
.LBB136_32:
	s_or_b32 exec_lo, exec_lo, s5
	s_mov_b32 s5, 0
	ds_store_b64 v5, v[3:4]
.LBB136_33:
	s_and_b32 vcc_lo, exec_lo, s5
	s_cbranch_vccz .LBB136_35
; %bb.34:
	v_dual_mov_b32 v1, 1.0 :: v_dual_mov_b32 v2, 0
	ds_store_b64 v5, v[1:2]
.LBB136_35:
	s_or_b32 exec_lo, exec_lo, s6
	s_lshl_b32 s6, s14, 2
	s_add_i32 s30, s30, -1
	s_sub_i32 s5, s7, s6
	s_cmp_ge_u32 s14, s30
	s_waitcnt lgkmcnt(0)
	s_cselect_b32 s5, s5, 4
	; wave barrier
	buffer_gl0_inv
	v_cmp_gt_i32_e32 vcc_lo, s5, v7
	s_mov_b32 s5, -1
	s_and_saveexec_b32 s7, vcc_lo
	s_cbranch_execz .LBB136_78
; %bb.36:
	s_load_b64 s[0:1], s[0:1], 0x4
	s_load_b32 s2, s[2:3], 0x50
	v_add_nc_u32_e32 v2, s6, v7
	v_bfe_u32 v3, v0, 10, 10
	v_bfe_u32 v4, v0, 20, 10
	s_waitcnt lgkmcnt(0)
	s_lshr_b32 s0, s0, 16
	v_mad_i64_i32 v[0:1], null, s2, v2, 0
	s_mul_i32 s0, s0, s1
	v_mul_u32_u24_e32 v2, s1, v3
	v_mul_u32_u24_e32 v3, s0, v7
	s_lshl_b64 s[0:1], s[10:11], 3
	s_delay_alu instid0(SALU_CYCLE_1) | instskip(NEXT) | instid1(VALU_DEP_3)
	s_add_u32 s2, s12, s0
	v_lshlrev_b64 v[0:1], 3, v[0:1]
	s_delay_alu instid0(VALU_DEP_2) | instskip(SKIP_2) | instid1(VALU_DEP_1)
	v_add3_u32 v2, v3, v2, v4
	s_addc_u32 s3, s13, s1
	s_cmpk_eq_i32 s4, 0x6f
	v_lshl_add_u32 v4, v2, 5, 0x80
	s_delay_alu instid0(VALU_DEP_3)
	v_add_co_u32 v5, vcc_lo, s2, v0
	v_add_co_ci_u32_e32 v6, vcc_lo, s3, v1, vcc_lo
	s_cbranch_scc1 .LBB136_57
; %bb.37:
	s_add_u32 s2, s12, s0
	s_addc_u32 s3, s13, s1
	v_add_co_u32 v2, vcc_lo, s2, v0
	v_add_co_ci_u32_e32 v3, vcc_lo, s3, v1, vcc_lo
	s_lshl_b32 s14, s15, 3
	s_delay_alu instid0(VALU_DEP_2) | instskip(NEXT) | instid1(VALU_DEP_2)
	v_add_co_u32 v7, vcc_lo, v2, 4
	v_add_co_ci_u32_e32 v8, vcc_lo, 0, v3, vcc_lo
	s_mov_b32 s3, 0
	s_add_i32 s14, s14, -8
	s_mov_b32 s2, s3
	s_mov_b32 s4, s20
	s_branch .LBB136_39
.LBB136_38:                             ;   in Loop: Header=BB136_39 Depth=1
	s_cmp_lt_i32 s4, 0
	s_cselect_b32 s5, -1, 0
	s_add_i32 s2, s2, 1
	s_delay_alu instid0(SALU_CYCLE_1) | instskip(SKIP_1) | instid1(SALU_CYCLE_1)
	s_cmp_eq_u32 s2, 3
	s_cselect_b32 s6, -1, 0
	s_or_b32 s5, s5, s6
	s_delay_alu instid0(SALU_CYCLE_1)
	s_and_not1_b32 vcc_lo, exec_lo, s5
	s_cbranch_vccz .LBB136_56
.LBB136_39:                             ; =>This Loop Header: Depth=1
                                        ;     Child Loop BB136_42 Depth 2
                                        ;       Child Loop BB136_43 Depth 3
                                        ;       Child Loop BB136_45 Depth 3
                                        ;         Child Loop BB136_46 Depth 4
                                        ;       Child Loop BB136_50 Depth 3
                                        ;         Child Loop BB136_52 Depth 4
	s_getpc_b64 s[6:7]
	s_add_u32 s6, s6, __const._ZL30rocblas_trsm_small_left_deviceILi4ELi4ELb1E19rocblas_complex_numIfES1_PKPKS1_PKPS1_Ev13rocblas_fill_18rocblas_operation_17rocblas_diagonal_iiT3_T4_lilT5_lili.step_sizes@rel32@lo+4
	s_addc_u32 s7, s7, __const._ZL30rocblas_trsm_small_left_deviceILi4ELi4ELb1E19rocblas_complex_numIfES1_PKPKS1_PKPS1_Ev13rocblas_fill_18rocblas_operation_17rocblas_diagonal_iiT3_T4_lilT5_lili.step_sizes@rel32@hi+12
	s_lshl_b64 s[10:11], s[2:3], 2
	s_delay_alu instid0(SALU_CYCLE_1) | instskip(SKIP_4) | instid1(SALU_CYCLE_1)
	s_add_u32 s6, s10, s6
	s_addc_u32 s7, s11, s7
	s_load_b32 s16, s[6:7], 0x0
	s_waitcnt lgkmcnt(0)
	s_add_i32 s17, s16, -1
	s_cmp_lt_i32 s4, s17
	s_cbranch_scc1 .LBB136_38
; %bb.40:                               ;   in Loop: Header=BB136_39 Depth=1
	s_lshl_b32 s5, s4, 5
	s_lshl_b32 s6, s16, 5
	s_max_i32 s18, s16, 1
	s_add_i32 s19, s14, s5
	s_sub_i32 s21, 0, s6
	s_mul_i32 s22, s4, 40
	s_mul_i32 s23, s16, 0xffffffd8
	s_branch .LBB136_42
.LBB136_41:                             ;   in Loop: Header=BB136_42 Depth=2
	s_sub_i32 s4, s4, s16
	s_add_i32 s19, s19, s21
	s_add_i32 s22, s22, s23
	s_cmp_lt_i32 s4, s17
	s_cbranch_scc1 .LBB136_38
.LBB136_42:                             ;   Parent Loop BB136_39 Depth=1
                                        ; =>  This Loop Header: Depth=2
                                        ;       Child Loop BB136_43 Depth 3
                                        ;       Child Loop BB136_45 Depth 3
                                        ;         Child Loop BB136_46 Depth 4
                                        ;       Child Loop BB136_50 Depth 3
                                        ;         Child Loop BB136_52 Depth 4
	s_ashr_i32 s5, s4, 31
	v_mov_b32_e32 v9, v4
	s_lshl_b64 s[6:7], s[4:5], 3
	s_delay_alu instid0(SALU_CYCLE_1)
	v_add_co_u32 v2, vcc_lo, v7, s6
	v_add_co_ci_u32_e32 v3, vcc_lo, s7, v8, vcc_lo
	s_mov_b32 s6, s18
.LBB136_43:                             ;   Parent Loop BB136_39 Depth=1
                                        ;     Parent Loop BB136_42 Depth=2
                                        ; =>    This Inner Loop Header: Depth=3
	global_load_b64 v[10:11], v[2:3], off offset:-4
	v_add_co_u32 v2, vcc_lo, v2, -8
	v_add_co_ci_u32_e32 v3, vcc_lo, -1, v3, vcc_lo
	s_add_i32 s6, s6, -1
	s_delay_alu instid0(SALU_CYCLE_1) | instskip(SKIP_2) | instid1(VALU_DEP_1)
	s_cmp_eq_u32 s6, 0
	s_waitcnt vmcnt(0)
	v_mul_f32_e32 v12, s8, v11
	v_dual_mul_f32 v13, s9, v11 :: v_dual_fmac_f32 v12, s9, v10
	s_delay_alu instid0(VALU_DEP_1)
	v_fma_f32 v11, v10, s8, -v13
	ds_store_b64 v9, v[11:12]
	v_add_nc_u32_e32 v9, 8, v9
	s_cbranch_scc0 .LBB136_43
; %bb.44:                               ;   in Loop: Header=BB136_42 Depth=2
	s_cmp_le_i32 s20, s4
	s_mov_b32 s10, s19
	s_mov_b32 s6, s20
	s_cbranch_scc1 .LBB136_48
	.p2align	6
.LBB136_45:                             ;   Parent Loop BB136_39 Depth=1
                                        ;     Parent Loop BB136_42 Depth=2
                                        ; =>    This Loop Header: Depth=3
                                        ;         Child Loop BB136_46 Depth 4
	s_ashr_i32 s7, s6, 31
	v_mov_b32_e32 v9, v4
	s_lshl_b64 s[24:25], s[6:7], 3
	s_mov_b32 s7, s10
	v_add_co_u32 v2, vcc_lo, v5, s24
	v_add_co_ci_u32_e32 v3, vcc_lo, s25, v6, vcc_lo
	s_mov_b32 s11, s18
	global_load_b64 v[2:3], v[2:3], off
	.p2align	6
.LBB136_46:                             ;   Parent Loop BB136_39 Depth=1
                                        ;     Parent Loop BB136_42 Depth=2
                                        ;       Parent Loop BB136_45 Depth=3
                                        ; =>      This Inner Loop Header: Depth=4
	v_mov_b32_e32 v10, s7
	s_add_i32 s11, s11, -1
	s_sub_i32 s7, s7, 32
	s_cmp_eq_u32 s11, 0
	ds_load_b64 v[10:11], v10
	ds_load_b64 v[12:13], v9
	s_waitcnt vmcnt(0) lgkmcnt(1)
	v_mul_f32_e32 v14, v11, v3
	v_mul_f32_e32 v11, v11, v2
	s_delay_alu instid0(VALU_DEP_2) | instskip(SKIP_1) | instid1(VALU_DEP_1)
	v_fma_f32 v14, v10, v2, -v14
	s_waitcnt lgkmcnt(0)
	v_dual_fmac_f32 v11, v10, v3 :: v_dual_sub_f32 v10, v12, v14
	s_delay_alu instid0(VALU_DEP_1)
	v_sub_f32_e32 v11, v13, v11
	ds_store_b64 v9, v[10:11]
	v_add_nc_u32_e32 v9, 8, v9
	s_cbranch_scc0 .LBB136_46
; %bb.47:                               ;   in Loop: Header=BB136_45 Depth=3
	s_add_i32 s6, s6, -1
	s_add_i32 s10, s10, -8
	s_cmp_le_i32 s6, s4
	s_cbranch_scc0 .LBB136_45
.LBB136_48:                             ;   in Loop: Header=BB136_42 Depth=2
	s_mov_b32 s24, 0
	s_mov_b32 s25, s22
	s_branch .LBB136_50
.LBB136_49:                             ;   in Loop: Header=BB136_50 Depth=3
	s_mul_i32 s10, s10, 40
	s_lshl_b64 s[6:7], s[6:7], 3
	v_mov_b32_e32 v10, s10
	s_add_i32 s24, s24, 1
	s_sub_i32 s25, s25, 32
	s_cmp_eq_u32 s24, s18
	ds_load_b64 v[10:11], v10
	s_waitcnt lgkmcnt(0)
	v_mul_f32_e32 v12, v11, v3
	v_mul_f32_e32 v13, v10, v3
	s_delay_alu instid0(VALU_DEP_2) | instskip(NEXT) | instid1(VALU_DEP_2)
	v_fma_f32 v12, v10, v2, -v12
	v_fmac_f32_e32 v13, v11, v2
	v_add_co_u32 v2, vcc_lo, v5, s6
	v_add_co_ci_u32_e32 v3, vcc_lo, s7, v6, vcc_lo
	ds_store_b64 v9, v[12:13]
	global_store_b64 v[2:3], v[12:13], off
	s_cbranch_scc1 .LBB136_41
.LBB136_50:                             ;   Parent Loop BB136_39 Depth=1
                                        ;     Parent Loop BB136_42 Depth=2
                                        ; =>    This Loop Header: Depth=3
                                        ;         Child Loop BB136_52 Depth 4
	v_lshl_add_u32 v9, s24, 3, v4
	s_cmp_lg_u32 s24, 0
	s_cbranch_scc0 .LBB136_54
; %bb.51:                               ;   in Loop: Header=BB136_50 Depth=3
	ds_load_b64 v[2:3], v9
	v_mov_b32_e32 v10, v4
	s_mov_b32 s6, 0
	s_mov_b32 s7, s25
	.p2align	6
.LBB136_52:                             ;   Parent Loop BB136_39 Depth=1
                                        ;     Parent Loop BB136_42 Depth=2
                                        ;       Parent Loop BB136_50 Depth=3
                                        ; =>      This Inner Loop Header: Depth=4
	s_delay_alu instid0(SALU_CYCLE_1)
	v_mov_b32_e32 v13, s7
	s_add_i32 s6, s6, 1
	s_add_i32 s7, s7, -8
	s_cmp_ge_u32 s6, s24
	ds_load_b64 v[11:12], v10
	ds_load_b64 v[13:14], v13
	s_waitcnt lgkmcnt(0)
	v_dual_mul_f32 v15, v14, v12 :: v_dual_add_nc_u32 v10, 8, v10
	v_mul_f32_e32 v12, v13, v12
	s_delay_alu instid0(VALU_DEP_2) | instskip(NEXT) | instid1(VALU_DEP_2)
	v_fma_f32 v13, v13, v11, -v15
	v_fmac_f32_e32 v12, v14, v11
	s_delay_alu instid0(VALU_DEP_1)
	v_dual_sub_f32 v2, v2, v13 :: v_dual_sub_f32 v3, v3, v12
	ds_store_b64 v9, v[2:3]
	s_cbranch_scc0 .LBB136_52
; %bb.53:                               ;   in Loop: Header=BB136_50 Depth=3
	s_sub_i32 s10, s4, s24
	s_delay_alu instid0(SALU_CYCLE_1) | instskip(NEXT) | instid1(SALU_CYCLE_1)
	s_ashr_i32 s11, s10, 31
	s_mov_b64 s[6:7], s[10:11]
	s_branch .LBB136_49
.LBB136_54:                             ;   in Loop: Header=BB136_50 Depth=3
                                        ; implicit-def: $vgpr2
                                        ; implicit-def: $sgpr10
                                        ; implicit-def: $sgpr6_sgpr7
	s_cbranch_execz .LBB136_49
; %bb.55:                               ;   in Loop: Header=BB136_50 Depth=3
	ds_load_b64 v[2:3], v4
	s_mov_b64 s[6:7], s[4:5]
	s_mov_b32 s10, s4
	s_branch .LBB136_49
.LBB136_56:
	s_mov_b32 s5, 0
.LBB136_57:
	s_delay_alu instid0(SALU_CYCLE_1)
	s_and_b32 vcc_lo, exec_lo, s5
	s_cbranch_vccz .LBB136_78
; %bb.58:
	s_add_u32 s0, s12, s0
	s_addc_u32 s1, s13, s1
	v_add_co_u32 v0, vcc_lo, s0, v0
	v_add_co_ci_u32_e32 v1, vcc_lo, s1, v1, vcc_lo
	s_mov_b32 s1, 0
	s_delay_alu instid0(VALU_DEP_2) | instskip(NEXT) | instid1(VALU_DEP_2)
	v_add_co_u32 v7, vcc_lo, v0, 4
	v_add_co_ci_u32_e32 v8, vcc_lo, 0, v1, vcc_lo
	s_mov_b32 s2, s1
	s_mov_b32 s4, s1
	s_branch .LBB136_60
.LBB136_59:                             ;   in Loop: Header=BB136_60 Depth=1
	s_cmp_ge_i32 s2, s15
	s_cselect_b32 s0, -1, 0
	s_add_i32 s4, s4, 1
	s_delay_alu instid0(SALU_CYCLE_1) | instskip(SKIP_1) | instid1(SALU_CYCLE_1)
	s_cmp_eq_u32 s4, 3
	s_cselect_b32 s3, -1, 0
	s_or_b32 s0, s0, s3
	s_delay_alu instid0(SALU_CYCLE_1)
	s_and_b32 vcc_lo, exec_lo, s0
	s_cbranch_vccnz .LBB136_78
.LBB136_60:                             ; =>This Loop Header: Depth=1
                                        ;     Child Loop BB136_63 Depth 2
                                        ;       Child Loop BB136_64 Depth 3
                                        ;       Child Loop BB136_67 Depth 3
                                        ;         Child Loop BB136_68 Depth 4
                                        ;       Child Loop BB136_72 Depth 3
                                        ;         Child Loop BB136_74 Depth 4
	s_mov_b32 s5, s1
	s_getpc_b64 s[6:7]
	s_add_u32 s6, s6, __const._ZL30rocblas_trsm_small_left_deviceILi4ELi4ELb1E19rocblas_complex_numIfES1_PKPKS1_PKPS1_Ev13rocblas_fill_18rocblas_operation_17rocblas_diagonal_iiT3_T4_lilT5_lili.step_sizes@rel32@lo+4
	s_addc_u32 s7, s7, __const._ZL30rocblas_trsm_small_left_deviceILi4ELi4ELb1E19rocblas_complex_numIfES1_PKPKS1_PKPS1_Ev13rocblas_fill_18rocblas_operation_17rocblas_diagonal_iiT3_T4_lilT5_lili.step_sizes@rel32@hi+12
	s_lshl_b64 s[10:11], s[4:5], 2
	s_delay_alu instid0(SALU_CYCLE_1) | instskip(SKIP_4) | instid1(SALU_CYCLE_1)
	s_add_u32 s6, s10, s6
	s_addc_u32 s7, s11, s7
	s_load_b32 s6, s[6:7], 0x0
	s_waitcnt lgkmcnt(0)
	s_add_i32 s5, s6, -1
	s_add_i32 s0, s5, s2
	s_delay_alu instid0(SALU_CYCLE_1)
	s_cmp_ge_i32 s0, s15
	s_cbranch_scc1 .LBB136_59
; %bb.61:                               ;   in Loop: Header=BB136_60 Depth=1
	s_ashr_i32 s3, s2, 31
	s_ashr_i32 s7, s6, 31
	s_lshl_b64 s[10:11], s[2:3], 3
	s_max_i32 s14, s6, 1
	v_add_co_u32 v0, vcc_lo, v7, s10
	v_add_co_ci_u32_e32 v1, vcc_lo, s11, v8, vcc_lo
	s_lshl_b64 s[10:11], s[6:7], 3
	s_lshl_b32 s3, s2, 3
	s_lshl_b32 s7, s6, 3
	s_mul_i32 s16, s2, 40
	s_mul_i32 s17, s6, 40
	s_branch .LBB136_63
.LBB136_62:                             ;   in Loop: Header=BB136_63 Depth=2
	v_add_co_u32 v0, vcc_lo, v0, s10
	s_add_i32 s2, s2, s6
	v_add_co_ci_u32_e32 v1, vcc_lo, s11, v1, vcc_lo
	s_add_i32 s0, s5, s2
	s_add_i32 s3, s3, s7
	;; [unrolled: 1-line block ×3, first 2 shown]
	s_cmp_ge_i32 s0, s15
	s_cbranch_scc1 .LBB136_59
.LBB136_63:                             ;   Parent Loop BB136_60 Depth=1
                                        ; =>  This Loop Header: Depth=2
                                        ;       Child Loop BB136_64 Depth 3
                                        ;       Child Loop BB136_67 Depth 3
                                        ;         Child Loop BB136_68 Depth 4
                                        ;       Child Loop BB136_72 Depth 3
                                        ;         Child Loop BB136_74 Depth 4
	v_mov_b32_e32 v9, v4
	v_dual_mov_b32 v3, v1 :: v_dual_mov_b32 v2, v0
	s_mov_b32 s0, s14
.LBB136_64:                             ;   Parent Loop BB136_60 Depth=1
                                        ;     Parent Loop BB136_63 Depth=2
                                        ; =>    This Inner Loop Header: Depth=3
	global_load_b64 v[10:11], v[2:3], off offset:-4
	v_add_co_u32 v2, vcc_lo, v2, 8
	v_add_co_ci_u32_e32 v3, vcc_lo, 0, v3, vcc_lo
	s_add_i32 s0, s0, -1
	s_delay_alu instid0(SALU_CYCLE_1) | instskip(SKIP_2) | instid1(VALU_DEP_1)
	s_cmp_eq_u32 s0, 0
	s_waitcnt vmcnt(0)
	v_mul_f32_e32 v12, s8, v11
	v_dual_mul_f32 v13, s9, v11 :: v_dual_fmac_f32 v12, s9, v10
	s_delay_alu instid0(VALU_DEP_1)
	v_fma_f32 v11, v10, s8, -v13
	ds_store_b64 v9, v[11:12]
	v_add_nc_u32_e32 v9, 8, v9
	s_cbranch_scc0 .LBB136_64
; %bb.65:                               ;   in Loop: Header=BB136_63 Depth=2
	s_cmp_lt_i32 s2, 1
	s_cbranch_scc1 .LBB136_70
; %bb.66:                               ;   in Loop: Header=BB136_63 Depth=2
	s_mov_b32 s0, 0
	s_mov_b32 s12, s3
	.p2align	6
.LBB136_67:                             ;   Parent Loop BB136_60 Depth=1
                                        ;     Parent Loop BB136_63 Depth=2
                                        ; =>    This Loop Header: Depth=3
                                        ;         Child Loop BB136_68 Depth 4
	s_lshl_b64 s[18:19], s[0:1], 3
	v_mov_b32_e32 v9, v4
	v_add_co_u32 v2, vcc_lo, v5, s18
	v_add_co_ci_u32_e32 v3, vcc_lo, s19, v6, vcc_lo
	s_mov_b32 s13, s12
	s_mov_b32 s18, s14
	global_load_b64 v[2:3], v[2:3], off
	.p2align	6
.LBB136_68:                             ;   Parent Loop BB136_60 Depth=1
                                        ;     Parent Loop BB136_63 Depth=2
                                        ;       Parent Loop BB136_67 Depth=3
                                        ; =>      This Inner Loop Header: Depth=4
	v_mov_b32_e32 v10, s13
	s_add_i32 s18, s18, -1
	s_add_i32 s13, s13, 8
	s_cmp_eq_u32 s18, 0
	ds_load_b64 v[10:11], v10
	ds_load_b64 v[12:13], v9
	s_waitcnt vmcnt(0) lgkmcnt(1)
	v_mul_f32_e32 v14, v11, v3
	v_mul_f32_e32 v11, v11, v2
	s_delay_alu instid0(VALU_DEP_2) | instskip(SKIP_1) | instid1(VALU_DEP_1)
	v_fma_f32 v14, v10, v2, -v14
	s_waitcnt lgkmcnt(0)
	v_dual_fmac_f32 v11, v10, v3 :: v_dual_sub_f32 v10, v12, v14
	s_delay_alu instid0(VALU_DEP_1)
	v_sub_f32_e32 v11, v13, v11
	ds_store_b64 v9, v[10:11]
	v_add_nc_u32_e32 v9, 8, v9
	s_cbranch_scc0 .LBB136_68
; %bb.69:                               ;   in Loop: Header=BB136_67 Depth=3
	s_add_i32 s0, s0, 1
	s_add_i32 s12, s12, 32
	s_cmp_ge_i32 s0, s2
	s_cbranch_scc0 .LBB136_67
.LBB136_70:                             ;   in Loop: Header=BB136_63 Depth=2
	s_mov_b32 s0, 0
	s_mov_b32 s18, s16
	s_branch .LBB136_72
.LBB136_71:                             ;   in Loop: Header=BB136_72 Depth=3
	s_mul_i32 s13, s12, 40
	s_add_i32 s0, s0, 1
	v_mov_b32_e32 v10, s13
	s_ashr_i32 s13, s12, 31
	s_add_i32 s18, s18, 8
	s_lshl_b64 s[12:13], s[12:13], 3
	s_cmp_eq_u32 s0, s14
	ds_load_b64 v[10:11], v10
	s_waitcnt lgkmcnt(0)
	v_mul_f32_e32 v12, v11, v3
	v_mul_f32_e32 v13, v10, v3
	s_delay_alu instid0(VALU_DEP_2) | instskip(NEXT) | instid1(VALU_DEP_2)
	v_fma_f32 v12, v10, v2, -v12
	v_fmac_f32_e32 v13, v11, v2
	v_add_co_u32 v2, vcc_lo, v5, s12
	v_add_co_ci_u32_e32 v3, vcc_lo, s13, v6, vcc_lo
	ds_store_b64 v9, v[12:13]
	global_store_b64 v[2:3], v[12:13], off
	s_cbranch_scc1 .LBB136_62
.LBB136_72:                             ;   Parent Loop BB136_60 Depth=1
                                        ;     Parent Loop BB136_63 Depth=2
                                        ; =>    This Loop Header: Depth=3
                                        ;         Child Loop BB136_74 Depth 4
	v_lshl_add_u32 v9, s0, 3, v4
	s_cmp_lg_u32 s0, 0
	s_cbranch_scc0 .LBB136_76
; %bb.73:                               ;   in Loop: Header=BB136_72 Depth=3
	ds_load_b64 v[2:3], v9
	v_mov_b32_e32 v10, v4
	s_add_i32 s12, s0, s2
	s_mov_b32 s13, 0
	s_mov_b32 s19, s18
	.p2align	6
.LBB136_74:                             ;   Parent Loop BB136_60 Depth=1
                                        ;     Parent Loop BB136_63 Depth=2
                                        ;       Parent Loop BB136_72 Depth=3
                                        ; =>      This Inner Loop Header: Depth=4
	s_delay_alu instid0(SALU_CYCLE_1)
	v_mov_b32_e32 v13, s19
	s_add_i32 s13, s13, 1
	s_add_i32 s19, s19, 32
	s_cmp_ge_u32 s13, s0
	ds_load_b64 v[11:12], v10
	ds_load_b64 v[13:14], v13
	s_waitcnt lgkmcnt(0)
	v_dual_mul_f32 v15, v14, v12 :: v_dual_add_nc_u32 v10, 8, v10
	v_mul_f32_e32 v12, v13, v12
	s_delay_alu instid0(VALU_DEP_2) | instskip(NEXT) | instid1(VALU_DEP_2)
	v_fma_f32 v13, v13, v11, -v15
	v_fmac_f32_e32 v12, v14, v11
	s_delay_alu instid0(VALU_DEP_1)
	v_dual_sub_f32 v2, v2, v13 :: v_dual_sub_f32 v3, v3, v12
	ds_store_b64 v9, v[2:3]
	s_cbranch_scc0 .LBB136_74
; %bb.75:                               ;   in Loop: Header=BB136_72 Depth=3
	s_branch .LBB136_71
.LBB136_76:                             ;   in Loop: Header=BB136_72 Depth=3
                                        ; implicit-def: $vgpr2
                                        ; implicit-def: $sgpr12
	s_cbranch_execz .LBB136_71
; %bb.77:                               ;   in Loop: Header=BB136_72 Depth=3
	ds_load_b64 v[2:3], v4
	s_mov_b32 s12, s2
	s_branch .LBB136_71
.LBB136_78:
	s_nop 0
	s_sendmsg sendmsg(MSG_DEALLOC_VGPRS)
	s_endpgm
	.section	.rodata,"a",@progbits
	.p2align	6, 0x0
	.amdhsa_kernel _ZL30rocblas_trsm_small_left_deviceILi4ELi4ELb1E19rocblas_complex_numIfES1_PKPKS1_PKPS1_Ev13rocblas_fill_18rocblas_operation_17rocblas_diagonal_iiT3_T4_lilT5_lili
		.amdhsa_group_segment_fixed_size 256
		.amdhsa_private_segment_fixed_size 0
		.amdhsa_kernarg_size 360
		.amdhsa_user_sgpr_count 14
		.amdhsa_user_sgpr_dispatch_ptr 1
		.amdhsa_user_sgpr_queue_ptr 0
		.amdhsa_user_sgpr_kernarg_segment_ptr 1
		.amdhsa_user_sgpr_dispatch_id 0
		.amdhsa_user_sgpr_private_segment_size 0
		.amdhsa_wavefront_size32 1
		.amdhsa_uses_dynamic_stack 0
		.amdhsa_enable_private_segment 0
		.amdhsa_system_sgpr_workgroup_id_x 1
		.amdhsa_system_sgpr_workgroup_id_y 0
		.amdhsa_system_sgpr_workgroup_id_z 1
		.amdhsa_system_sgpr_workgroup_info 0
		.amdhsa_system_vgpr_workitem_id 2
		.amdhsa_next_free_vgpr 16
		.amdhsa_next_free_sgpr 36
		.amdhsa_reserve_vcc 1
		.amdhsa_float_round_mode_32 0
		.amdhsa_float_round_mode_16_64 0
		.amdhsa_float_denorm_mode_32 3
		.amdhsa_float_denorm_mode_16_64 3
		.amdhsa_dx10_clamp 1
		.amdhsa_ieee_mode 1
		.amdhsa_fp16_overflow 0
		.amdhsa_workgroup_processor_mode 1
		.amdhsa_memory_ordered 1
		.amdhsa_forward_progress 0
		.amdhsa_shared_vgpr_count 0
		.amdhsa_exception_fp_ieee_invalid_op 0
		.amdhsa_exception_fp_denorm_src 0
		.amdhsa_exception_fp_ieee_div_zero 0
		.amdhsa_exception_fp_ieee_overflow 0
		.amdhsa_exception_fp_ieee_underflow 0
		.amdhsa_exception_fp_ieee_inexact 0
		.amdhsa_exception_int_div_zero 0
	.end_amdhsa_kernel
	.section	.text._ZL30rocblas_trsm_small_left_deviceILi4ELi4ELb1E19rocblas_complex_numIfES1_PKPKS1_PKPS1_Ev13rocblas_fill_18rocblas_operation_17rocblas_diagonal_iiT3_T4_lilT5_lili,"axG",@progbits,_ZL30rocblas_trsm_small_left_deviceILi4ELi4ELb1E19rocblas_complex_numIfES1_PKPKS1_PKPS1_Ev13rocblas_fill_18rocblas_operation_17rocblas_diagonal_iiT3_T4_lilT5_lili,comdat
.Lfunc_end136:
	.size	_ZL30rocblas_trsm_small_left_deviceILi4ELi4ELb1E19rocblas_complex_numIfES1_PKPKS1_PKPS1_Ev13rocblas_fill_18rocblas_operation_17rocblas_diagonal_iiT3_T4_lilT5_lili, .Lfunc_end136-_ZL30rocblas_trsm_small_left_deviceILi4ELi4ELb1E19rocblas_complex_numIfES1_PKPKS1_PKPS1_Ev13rocblas_fill_18rocblas_operation_17rocblas_diagonal_iiT3_T4_lilT5_lili
                                        ; -- End function
	.section	.AMDGPU.csdata,"",@progbits
; Kernel info:
; codeLenInByte = 3120
; NumSgprs: 38
; NumVgprs: 16
; ScratchSize: 0
; MemoryBound: 0
; FloatMode: 240
; IeeeMode: 1
; LDSByteSize: 256 bytes/workgroup (compile time only)
; SGPRBlocks: 4
; VGPRBlocks: 1
; NumSGPRsForWavesPerEU: 38
; NumVGPRsForWavesPerEU: 16
; Occupancy: 16
; WaveLimiterHint : 1
; COMPUTE_PGM_RSRC2:SCRATCH_EN: 0
; COMPUTE_PGM_RSRC2:USER_SGPR: 14
; COMPUTE_PGM_RSRC2:TRAP_HANDLER: 0
; COMPUTE_PGM_RSRC2:TGID_X_EN: 1
; COMPUTE_PGM_RSRC2:TGID_Y_EN: 0
; COMPUTE_PGM_RSRC2:TGID_Z_EN: 1
; COMPUTE_PGM_RSRC2:TIDIG_COMP_CNT: 2
	.section	.text._ZL31rocblas_trsm_small_right_deviceI19rocblas_complex_numIfES1_PKPKS1_PKPS1_Li4EEv13rocblas_fill_18rocblas_operation_17rocblas_diagonal_iiT0_T1_lilT2_lili,"axG",@progbits,_ZL31rocblas_trsm_small_right_deviceI19rocblas_complex_numIfES1_PKPKS1_PKPS1_Li4EEv13rocblas_fill_18rocblas_operation_17rocblas_diagonal_iiT0_T1_lilT2_lili,comdat
	.globl	_ZL31rocblas_trsm_small_right_deviceI19rocblas_complex_numIfES1_PKPKS1_PKPS1_Li4EEv13rocblas_fill_18rocblas_operation_17rocblas_diagonal_iiT0_T1_lilT2_lili ; -- Begin function _ZL31rocblas_trsm_small_right_deviceI19rocblas_complex_numIfES1_PKPKS1_PKPS1_Li4EEv13rocblas_fill_18rocblas_operation_17rocblas_diagonal_iiT0_T1_lilT2_lili
	.p2align	8
	.type	_ZL31rocblas_trsm_small_right_deviceI19rocblas_complex_numIfES1_PKPKS1_PKPS1_Li4EEv13rocblas_fill_18rocblas_operation_17rocblas_diagonal_iiT0_T1_lilT2_lili,@function
_ZL31rocblas_trsm_small_right_deviceI19rocblas_complex_numIfES1_PKPKS1_PKPS1_Li4EEv13rocblas_fill_18rocblas_operation_17rocblas_diagonal_iiT0_T1_lilT2_lili: ; @_ZL31rocblas_trsm_small_right_deviceI19rocblas_complex_numIfES1_PKPKS1_PKPS1_Li4EEv13rocblas_fill_18rocblas_operation_17rocblas_diagonal_iiT0_T1_lilT2_lili
; %bb.0:
	s_clause 0x1
	s_load_b128 s[16:19], s[0:1], 0x40
	s_load_b256 s[4:11], s[0:1], 0x0
	s_mov_b32 s12, s15
	s_mov_b32 s13, 0
	s_load_b32 s15, s[0:1], 0x68
	s_lshl_b64 s[24:25], s[12:13], 3
	s_mov_b32 s31, exec_lo
	s_waitcnt lgkmcnt(0)
	s_add_u32 s2, s16, s24
	s_addc_u32 s3, s17, s25
	s_min_i32 s11, s8, 4
	s_load_b64 s[2:3], s[2:3], 0x0
	s_add_i32 s30, s11, -1
	v_cmpx_gt_i32_e64 s11, v0
	s_cbranch_execz .LBB137_29
; %bb.1:
	s_clause 0x1
	s_load_b32 s16, s[0:1], 0x30
	s_load_b128 s[20:23], s[0:1], 0x20
	s_waitcnt lgkmcnt(0)
	s_ashr_i32 s17, s16, 31
	s_cmpk_lg_i32 s5, 0x71
	s_cselect_b32 s12, -1, 0
	s_add_u32 s20, s20, s24
	s_addc_u32 s21, s21, s25
	v_cndmask_b32_e64 v7, 0, 1, s12
	s_load_b64 s[20:21], s[20:21], 0x0
	s_cmp_lt_u32 s30, 3
	s_cbranch_scc1 .LBB137_20
; %bb.2:
	v_lshlrev_b32_e32 v8, 3, v0
	s_lshl_b64 s[24:25], s[22:23], 3
	s_mul_hi_i32 s33, s16, 24
	s_waitcnt lgkmcnt(0)
	s_add_u32 s13, s20, s24
	s_addc_u32 s24, s21, s25
	v_add_co_u32 v1, s13, s13, v8
	s_delay_alu instid0(VALU_DEP_1)
	v_add_co_ci_u32_e64 v2, null, s24, 0, s13
	s_and_b32 s13, s11, -4
	s_mul_i32 s34, s16, 24
	s_lshl_b64 s[24:25], s[16:17], 5
	s_lshl_b64 s[26:27], s[16:17], 4
	;; [unrolled: 1-line block ×3, first 2 shown]
	s_mov_b32 s35, 0
	s_branch .LBB137_4
.LBB137_3:                              ;   in Loop: Header=BB137_4 Depth=1
	global_load_b32 v3, v[5:6], off
	v_add_co_u32 v1, vcc_lo, v1, s24
	v_add_co_ci_u32_e32 v2, vcc_lo, s25, v2, vcc_lo
	s_add_i32 s35, s35, 4
	s_delay_alu instid0(SALU_CYCLE_1)
	s_cmp_eq_u32 s13, s35
	s_waitcnt vmcnt(0)
	ds_store_b64 v8, v[3:4] offset:96
	v_add_nc_u32_e32 v8, 0x80, v8
	s_cbranch_scc1 .LBB137_20
.LBB137_4:                              ; =>This Inner Loop Header: Depth=1
	s_and_b32 vcc_lo, exec_lo, s12
	s_cbranch_vccz .LBB137_6
; %bb.5:                                ;   in Loop: Header=BB137_4 Depth=1
	global_load_b32 v4, v[1:2], off offset:4
	s_cbranch_execz .LBB137_7
	s_branch .LBB137_8
.LBB137_6:                              ;   in Loop: Header=BB137_4 Depth=1
                                        ; implicit-def: $vgpr4
.LBB137_7:                              ;   in Loop: Header=BB137_4 Depth=1
	global_load_b32 v3, v[1:2], off offset:4
	s_waitcnt vmcnt(0)
	v_xor_b32_e32 v4, 0x80000000, v3
.LBB137_8:                              ;   in Loop: Header=BB137_4 Depth=1
	global_load_b32 v3, v[1:2], off
	v_add_co_u32 v5, vcc_lo, v1, s28
	v_add_co_ci_u32_e32 v6, vcc_lo, s29, v2, vcc_lo
	s_and_not1_b32 vcc_lo, exec_lo, s12
	s_waitcnt vmcnt(0)
	ds_store_b64 v8, v[3:4]
	s_cbranch_vccnz .LBB137_10
; %bb.9:                                ;   in Loop: Header=BB137_4 Depth=1
	global_load_b32 v4, v[5:6], off offset:4
	s_cbranch_execz .LBB137_11
	s_branch .LBB137_12
.LBB137_10:                             ;   in Loop: Header=BB137_4 Depth=1
                                        ; implicit-def: $vgpr4
.LBB137_11:                             ;   in Loop: Header=BB137_4 Depth=1
	global_load_b32 v3, v[5:6], off offset:4
	s_waitcnt vmcnt(0)
	v_xor_b32_e32 v4, 0x80000000, v3
.LBB137_12:                             ;   in Loop: Header=BB137_4 Depth=1
	global_load_b32 v3, v[5:6], off
	v_add_co_u32 v5, vcc_lo, v1, s26
	v_add_co_ci_u32_e32 v6, vcc_lo, s27, v2, vcc_lo
	s_and_not1_b32 vcc_lo, exec_lo, s12
	s_waitcnt vmcnt(0)
	ds_store_b64 v8, v[3:4] offset:32
	s_cbranch_vccnz .LBB137_14
; %bb.13:                               ;   in Loop: Header=BB137_4 Depth=1
	global_load_b32 v4, v[5:6], off offset:4
	s_cbranch_execz .LBB137_15
	s_branch .LBB137_16
.LBB137_14:                             ;   in Loop: Header=BB137_4 Depth=1
                                        ; implicit-def: $vgpr4
.LBB137_15:                             ;   in Loop: Header=BB137_4 Depth=1
	global_load_b32 v3, v[5:6], off offset:4
	s_waitcnt vmcnt(0)
	v_xor_b32_e32 v4, 0x80000000, v3
.LBB137_16:                             ;   in Loop: Header=BB137_4 Depth=1
	global_load_b32 v3, v[5:6], off
	v_add_co_u32 v5, vcc_lo, v1, s34
	v_add_co_ci_u32_e32 v6, vcc_lo, s33, v2, vcc_lo
	s_and_not1_b32 vcc_lo, exec_lo, s12
	s_waitcnt vmcnt(0)
	ds_store_b64 v8, v[3:4] offset:64
	s_cbranch_vccnz .LBB137_18
; %bb.17:                               ;   in Loop: Header=BB137_4 Depth=1
	global_load_b32 v4, v[5:6], off offset:4
	s_cbranch_execnz .LBB137_3
	s_branch .LBB137_19
.LBB137_18:                             ;   in Loop: Header=BB137_4 Depth=1
                                        ; implicit-def: $vgpr4
.LBB137_19:                             ;   in Loop: Header=BB137_4 Depth=1
	global_load_b32 v3, v[5:6], off offset:4
	s_waitcnt vmcnt(0)
	v_xor_b32_e32 v4, 0x80000000, v3
	s_branch .LBB137_3
.LBB137_20:
	s_and_b32 s24, s11, 3
	s_delay_alu instid0(SALU_CYCLE_1)
	s_cmp_eq_u32 s24, 0
	s_cbranch_scc1 .LBB137_27
; %bb.21:
	s_mul_i32 s12, s17, s13
	s_mul_hi_u32 s25, s16, s13
	s_mul_i32 s26, s16, s13
	s_add_i32 s27, s25, s12
	s_lshl_b64 s[22:23], s[22:23], 3
	s_lshl_b64 s[26:27], s[26:27], 3
	v_lshlrev_b32_e32 v1, 3, v0
	s_add_u32 s12, s26, s22
	s_addc_u32 s22, s27, s23
	s_waitcnt lgkmcnt(0)
	s_add_u32 s12, s20, s12
	s_addc_u32 s20, s21, s22
	v_add_co_u32 v2, s12, s12, v1
	s_delay_alu instid0(VALU_DEP_1) | instskip(SKIP_1) | instid1(VALU_DEP_3)
	v_add_co_ci_u32_e64 v3, null, s20, 0, s12
	v_lshl_or_b32 v5, s13, 5, v1
	v_add_co_u32 v1, vcc_lo, v2, 4
	s_delay_alu instid0(VALU_DEP_3)
	v_add_co_ci_u32_e32 v2, vcc_lo, 0, v3, vcc_lo
	s_lshl_b64 s[12:13], s[16:17], 3
	s_set_inst_prefetch_distance 0x1
	s_branch .LBB137_23
	.p2align	6
.LBB137_22:                             ;   in Loop: Header=BB137_23 Depth=1
	global_load_b32 v3, v[1:2], off offset:-4
	v_add_co_u32 v1, vcc_lo, v1, s12
	v_add_co_ci_u32_e32 v2, vcc_lo, s13, v2, vcc_lo
	s_add_i32 s24, s24, -1
	s_delay_alu instid0(SALU_CYCLE_1)
	s_cmp_lg_u32 s24, 0
	s_waitcnt vmcnt(0)
	ds_store_b64 v5, v[3:4]
	v_add_nc_u32_e32 v5, 32, v5
	s_cbranch_scc0 .LBB137_27
.LBB137_23:                             ; =>This Inner Loop Header: Depth=1
	v_cmp_ne_u32_e32 vcc_lo, 1, v7
	s_mov_b32 s16, -1
                                        ; implicit-def: $vgpr4
	s_cbranch_vccnz .LBB137_25
; %bb.24:                               ;   in Loop: Header=BB137_23 Depth=1
	global_load_b32 v4, v[1:2], off
	s_mov_b32 s16, 0
.LBB137_25:                             ;   in Loop: Header=BB137_23 Depth=1
	s_delay_alu instid0(SALU_CYCLE_1)
	s_and_not1_b32 vcc_lo, exec_lo, s16
	s_cbranch_vccnz .LBB137_22
; %bb.26:                               ;   in Loop: Header=BB137_23 Depth=1
	global_load_b32 v3, v[1:2], off
	s_waitcnt vmcnt(0)
	v_xor_b32_e32 v4, 0x80000000, v3
	s_branch .LBB137_22
.LBB137_27:
	s_set_inst_prefetch_distance 0x2
	s_cmpk_eq_i32 s6, 0x84
	s_cbranch_scc0 .LBB137_29
; %bb.28:
	v_mul_u32_u24_e32 v2, 5, v0
	v_mov_b32_e32 v1, 1.0
	s_delay_alu instid0(VALU_DEP_2)
	v_dual_mov_b32 v2, 0 :: v_dual_lshlrev_b32 v3, 3, v2
	ds_store_b64 v3, v[1:2]
.LBB137_29:
	s_or_b32 exec_lo, exec_lo, s31
	s_lshl_b64 s[12:13], s[18:19], 3
	s_load_b32 s0, s[0:1], 0x50
	s_waitcnt lgkmcnt(0)
	s_add_u32 s1, s2, s12
	s_addc_u32 s16, s3, s13
	s_lshl_b32 s6, s14, 2
	s_add_i32 s15, s15, -1
	s_sub_i32 s6, s7, s6
	s_cmp_ge_u32 s14, s15
	s_mov_b32 s22, 0
	s_cselect_b32 s17, s6, 4
	s_ashr_i32 s15, s14, 31
	v_cmp_gt_i32_e32 vcc_lo, s17, v0
	s_lshl_b64 s[6:7], s[14:15], 5
	s_delay_alu instid0(SALU_CYCLE_1) | instskip(SKIP_3) | instid1(SALU_CYCLE_1)
	s_add_u32 s18, s1, s6
	s_addc_u32 s19, s16, s7
	s_cmp_gt_i32 s8, 0
	s_cselect_b32 s1, -1, 0
	s_and_b32 s20, vcc_lo, s1
	s_delay_alu instid0(SALU_CYCLE_1)
	s_and_saveexec_b32 s21, s20
	s_cbranch_execz .LBB137_36
; %bb.30:
	s_ashr_i32 s1, s0, 31
	s_cmp_lt_u32 s8, 4
	s_cbranch_scc1 .LBB137_33
; %bb.31:
	v_lshlrev_b32_e32 v1, 3, v0
	v_lshl_or_b32 v3, v0, 3, 0x80
	s_and_b32 s22, s8, 0x7ffffffc
	s_lshl_b64 s[16:17], s[0:1], 3
	s_mov_b32 s23, 0
	v_add_co_u32 v1, s14, s18, v1
	s_delay_alu instid0(VALU_DEP_1)
	v_add_co_ci_u32_e64 v2, null, s19, 0, s14
	s_lshl_b64 s[14:15], s[0:1], 5
.LBB137_32:                             ; =>This Inner Loop Header: Depth=1
	s_delay_alu instid0(VALU_DEP_2) | instskip(NEXT) | instid1(VALU_DEP_2)
	v_add_co_u32 v4, vcc_lo, v1, s16
	v_add_co_ci_u32_e32 v5, vcc_lo, s17, v2, vcc_lo
	global_load_b64 v[6:7], v[1:2], off
	v_add_co_u32 v8, vcc_lo, v4, s16
	v_add_co_ci_u32_e32 v9, vcc_lo, s17, v5, vcc_lo
	global_load_b64 v[4:5], v[4:5], off
	v_add_co_u32 v10, vcc_lo, v8, s16
	v_add_co_ci_u32_e32 v11, vcc_lo, s17, v9, vcc_lo
	v_add_co_u32 v1, vcc_lo, v1, s14
	s_clause 0x1
	global_load_b64 v[8:9], v[8:9], off
	global_load_b64 v[10:11], v[10:11], off
	v_add_co_ci_u32_e32 v2, vcc_lo, s15, v2, vcc_lo
	s_add_i32 s23, s23, 4
	s_delay_alu instid0(SALU_CYCLE_1)
	s_cmp_lg_u32 s22, s23
	s_waitcnt vmcnt(3)
	v_mul_f32_e32 v12, s10, v7
	s_waitcnt vmcnt(2)
	v_dual_mul_f32 v13, s9, v7 :: v_dual_mul_f32 v14, s10, v5
	v_mul_f32_e32 v7, s9, v5
	s_delay_alu instid0(VALU_DEP_3) | instskip(NEXT) | instid1(VALU_DEP_3)
	v_fma_f32 v12, s9, v6, -v12
	v_fmac_f32_e32 v13, s10, v6
	s_delay_alu instid0(VALU_DEP_4)
	v_fma_f32 v6, s9, v4, -v14
	s_waitcnt vmcnt(0)
	v_dual_fmac_f32 v7, s10, v4 :: v_dual_mul_f32 v14, s10, v11
	v_mul_f32_e32 v4, s10, v9
	v_mul_f32_e32 v5, s9, v9
	;; [unrolled: 1-line block ×3, first 2 shown]
	s_delay_alu instid0(VALU_DEP_3) | instskip(NEXT) | instid1(VALU_DEP_3)
	v_fma_f32 v4, s9, v8, -v4
	v_fmac_f32_e32 v5, s10, v8
	v_fma_f32 v8, s9, v10, -v14
	s_delay_alu instid0(VALU_DEP_4)
	v_fmac_f32_e32 v9, s10, v10
	ds_store_2addr_b64 v3, v[12:13], v[6:7] offset1:4
	ds_store_2addr_b64 v3, v[4:5], v[8:9] offset0:8 offset1:12
	v_add_nc_u32_e32 v3, 0x80, v3
	s_cbranch_scc1 .LBB137_32
.LBB137_33:
	s_and_b32 s16, s8, 3
	s_delay_alu instid0(SALU_CYCLE_1)
	s_cmp_eq_u32 s16, 0
	s_cbranch_scc1 .LBB137_36
; %bb.34:
	s_mul_hi_i32 s15, s0, s22
	s_mul_i32 s14, s0, s22
	v_lshlrev_b32_e32 v1, 3, v0
	s_lshl_b64 s[14:15], s[14:15], 3
	s_delay_alu instid0(SALU_CYCLE_1)
	s_add_u32 s14, s14, s6
	s_addc_u32 s15, s15, s7
	s_add_u32 s14, s14, s12
	s_addc_u32 s15, s15, s13
	s_add_u32 s14, s2, s14
	v_lshl_or_b32 v2, s22, 5, v1
	s_addc_u32 s15, s3, s15
	v_add_co_u32 v1, s14, s14, v1
	s_delay_alu instid0(VALU_DEP_1) | instskip(NEXT) | instid1(VALU_DEP_3)
	v_add_co_ci_u32_e64 v4, null, s15, 0, s14
	v_add_nc_u32_e32 v3, 0x80, v2
	s_delay_alu instid0(VALU_DEP_3) | instskip(NEXT) | instid1(VALU_DEP_3)
	v_add_co_u32 v1, vcc_lo, v1, 4
	v_add_co_ci_u32_e32 v2, vcc_lo, 0, v4, vcc_lo
	s_lshl_b64 s[14:15], s[0:1], 3
.LBB137_35:                             ; =>This Inner Loop Header: Depth=1
	global_load_b64 v[4:5], v[1:2], off offset:-4
	v_add_co_u32 v1, vcc_lo, v1, s14
	v_add_co_ci_u32_e32 v2, vcc_lo, s15, v2, vcc_lo
	s_add_i32 s16, s16, -1
	s_delay_alu instid0(SALU_CYCLE_1) | instskip(SKIP_2) | instid1(VALU_DEP_1)
	s_cmp_lg_u32 s16, 0
	s_waitcnt vmcnt(0)
	v_mul_f32_e32 v6, s9, v5
	v_dual_mul_f32 v7, s10, v5 :: v_dual_fmac_f32 v6, s10, v4
	s_delay_alu instid0(VALU_DEP_1)
	v_fma_f32 v5, s9, v4, -v7
	ds_store_b64 v3, v[5:6]
	v_add_nc_u32_e32 v3, 32, v3
	s_cbranch_scc1 .LBB137_35
.LBB137_36:
	s_or_b32 exec_lo, exec_lo, s21
	s_cmpk_eq_i32 s5, 0x6f
	s_waitcnt lgkmcnt(0)
	s_cselect_b32 s1, -1, 0
	s_cmpk_eq_i32 s4, 0x79
	; wave barrier
	buffer_gl0_inv
	s_cselect_b32 s9, -1, 0
	s_cmpk_lg_i32 s4, 0x79
	s_cselect_b32 s5, -1, 0
	s_and_b32 s9, s9, s1
	s_delay_alu instid0(SALU_CYCLE_1)
	s_and_not1_b32 vcc_lo, exec_lo, s9
	s_mov_b32 s9, -1
	s_cbranch_vccz .LBB137_134
; %bb.37:
	s_cmpk_lg_i32 s4, 0x7a
	s_cselect_b32 s4, -1, 0
	s_xor_b32 s1, s1, -1
	s_delay_alu instid0(SALU_CYCLE_1)
	s_or_b32 s4, s4, s1
	s_cmp_gt_i32 s8, 3
	s_cselect_b32 s1, -1, 0
	s_and_b32 vcc_lo, exec_lo, s4
	s_mov_b32 s4, -1
	s_cbranch_vccz .LBB137_105
; %bb.38:
	s_and_not1_b32 vcc_lo, exec_lo, s5
	s_cbranch_vccnz .LBB137_72
; %bb.39:
	s_and_not1_b32 vcc_lo, exec_lo, s1
	s_mov_b32 s4, 0
	s_cbranch_vccnz .LBB137_61
; %bb.40:
	v_mov_b32_e32 v1, 0
	v_lshlrev_b32_e32 v11, 3, v0
	ds_load_b64 v[9:10], v1
	ds_load_2addr_b64 v[5:8], v11 offset0:16 offset1:20
	ds_load_2addr_b64 v[1:4], v11 offset0:24 offset1:28
	s_waitcnt lgkmcnt(2)
	v_cmp_gt_f32_e32 vcc_lo, 0, v9
	v_cndmask_b32_e64 v12, v9, -v9, vcc_lo
	v_cmp_gt_f32_e32 vcc_lo, 0, v10
	v_cndmask_b32_e64 v13, v10, -v10, vcc_lo
	s_delay_alu instid0(VALU_DEP_1)
	v_cmp_ngt_f32_e32 vcc_lo, v12, v13
	s_cbranch_vccz .LBB137_42
; %bb.41:
	v_div_scale_f32 v12, null, v10, v10, v9
	v_div_scale_f32 v15, vcc_lo, v9, v10, v9
	s_delay_alu instid0(VALU_DEP_2) | instskip(SKIP_2) | instid1(VALU_DEP_1)
	v_rcp_f32_e32 v13, v12
	s_waitcnt_depctr 0xfff
	v_fma_f32 v14, -v12, v13, 1.0
	v_fmac_f32_e32 v13, v14, v13
	s_delay_alu instid0(VALU_DEP_1) | instskip(NEXT) | instid1(VALU_DEP_1)
	v_mul_f32_e32 v14, v15, v13
	v_fma_f32 v16, -v12, v14, v15
	s_delay_alu instid0(VALU_DEP_1) | instskip(NEXT) | instid1(VALU_DEP_1)
	v_fmac_f32_e32 v14, v16, v13
	v_fma_f32 v12, -v12, v14, v15
	s_delay_alu instid0(VALU_DEP_1) | instskip(NEXT) | instid1(VALU_DEP_1)
	v_div_fmas_f32 v12, v12, v13, v14
	v_div_fixup_f32 v12, v12, v10, v9
	s_delay_alu instid0(VALU_DEP_1) | instskip(NEXT) | instid1(VALU_DEP_1)
	v_fma_f32 v13, v9, v12, v10
	v_div_scale_f32 v14, null, v13, v13, 1.0
	v_div_scale_f32 v17, vcc_lo, 1.0, v13, 1.0
	s_delay_alu instid0(VALU_DEP_2) | instskip(SKIP_2) | instid1(VALU_DEP_1)
	v_rcp_f32_e32 v15, v14
	s_waitcnt_depctr 0xfff
	v_fma_f32 v16, -v14, v15, 1.0
	v_fmac_f32_e32 v15, v16, v15
	s_delay_alu instid0(VALU_DEP_1) | instskip(NEXT) | instid1(VALU_DEP_1)
	v_mul_f32_e32 v16, v17, v15
	v_fma_f32 v18, -v14, v16, v17
	s_delay_alu instid0(VALU_DEP_1) | instskip(NEXT) | instid1(VALU_DEP_1)
	v_fmac_f32_e32 v16, v18, v15
	v_fma_f32 v14, -v14, v16, v17
	s_delay_alu instid0(VALU_DEP_1) | instskip(SKIP_3) | instid1(VALU_DEP_3)
	v_div_fmas_f32 v14, v14, v15, v16
	s_waitcnt lgkmcnt(1)
	v_fma_f32 v15, v5, v12, v6
	v_fma_f32 v12, v6, v12, -v5
	v_div_fixup_f32 v14, v14, v13, 1.0
	s_delay_alu instid0(VALU_DEP_1) | instskip(NEXT) | instid1(VALU_DEP_3)
	v_mul_f32_e32 v13, v15, v14
	v_mul_f32_e32 v14, v12, v14
	s_branch .LBB137_43
.LBB137_42:
	s_mov_b32 s4, -1
                                        ; implicit-def: $vgpr14
.LBB137_43:
	v_or_b32_e32 v15, 0x80, v11
	s_and_not1_b32 vcc_lo, exec_lo, s4
	s_cbranch_vccnz .LBB137_45
; %bb.44:
	v_div_scale_f32 v11, null, v9, v9, v10
	v_div_scale_f32 v14, vcc_lo, v10, v9, v10
	s_delay_alu instid0(VALU_DEP_2) | instskip(SKIP_2) | instid1(VALU_DEP_1)
	v_rcp_f32_e32 v12, v11
	s_waitcnt_depctr 0xfff
	v_fma_f32 v13, -v11, v12, 1.0
	v_fmac_f32_e32 v12, v13, v12
	s_delay_alu instid0(VALU_DEP_1) | instskip(NEXT) | instid1(VALU_DEP_1)
	v_mul_f32_e32 v13, v14, v12
	v_fma_f32 v16, -v11, v13, v14
	s_delay_alu instid0(VALU_DEP_1) | instskip(NEXT) | instid1(VALU_DEP_1)
	v_fmac_f32_e32 v13, v16, v12
	v_fma_f32 v11, -v11, v13, v14
	s_delay_alu instid0(VALU_DEP_1) | instskip(NEXT) | instid1(VALU_DEP_1)
	v_div_fmas_f32 v11, v11, v12, v13
	v_div_fixup_f32 v11, v11, v9, v10
	s_delay_alu instid0(VALU_DEP_1) | instskip(NEXT) | instid1(VALU_DEP_1)
	v_fmac_f32_e32 v9, v10, v11
	v_div_scale_f32 v10, null, v9, v9, 1.0
	v_div_scale_f32 v14, vcc_lo, 1.0, v9, 1.0
	s_delay_alu instid0(VALU_DEP_2) | instskip(SKIP_2) | instid1(VALU_DEP_1)
	v_rcp_f32_e32 v12, v10
	s_waitcnt_depctr 0xfff
	v_fma_f32 v13, -v10, v12, 1.0
	v_fmac_f32_e32 v12, v13, v12
	s_delay_alu instid0(VALU_DEP_1) | instskip(NEXT) | instid1(VALU_DEP_1)
	v_mul_f32_e32 v13, v14, v12
	v_fma_f32 v16, -v10, v13, v14
	s_delay_alu instid0(VALU_DEP_1) | instskip(NEXT) | instid1(VALU_DEP_1)
	v_fmac_f32_e32 v13, v16, v12
	v_fma_f32 v10, -v10, v13, v14
	s_delay_alu instid0(VALU_DEP_1) | instskip(SKIP_3) | instid1(VALU_DEP_3)
	v_div_fmas_f32 v10, v10, v12, v13
	s_waitcnt lgkmcnt(1)
	v_fma_f32 v12, v6, v11, v5
	v_fma_f32 v5, -v5, v11, v6
	v_div_fixup_f32 v9, v10, v9, 1.0
	s_delay_alu instid0(VALU_DEP_1) | instskip(NEXT) | instid1(VALU_DEP_4)
	v_mul_f32_e32 v14, v5, v9
	v_mul_f32_e32 v13, v12, v9
.LBB137_45:
	s_waitcnt lgkmcnt(1)
	v_mov_b32_e32 v5, 0
	s_mov_b32 s4, 0
	ds_store_b64 v15, v[13:14]
	ds_load_2addr_b64 v[9:12], v5 offset0:1 offset1:5
	s_waitcnt lgkmcnt(0)
	v_mul_f32_e32 v6, v13, v10
	v_cmp_gt_f32_e32 vcc_lo, 0, v11
	v_mul_f32_e32 v5, v14, v10
	s_delay_alu instid0(VALU_DEP_3) | instskip(SKIP_2) | instid1(VALU_DEP_4)
	v_fmac_f32_e32 v6, v14, v9
	v_cndmask_b32_e64 v10, v11, -v11, vcc_lo
	v_cmp_gt_f32_e32 vcc_lo, 0, v12
	v_fma_f32 v5, v13, v9, -v5
	s_delay_alu instid0(VALU_DEP_4) | instskip(SKIP_1) | instid1(VALU_DEP_3)
	v_sub_f32_e32 v6, v8, v6
	v_cndmask_b32_e64 v16, v12, -v12, vcc_lo
	v_sub_f32_e32 v5, v7, v5
	s_delay_alu instid0(VALU_DEP_2)
	v_cmp_ngt_f32_e32 vcc_lo, v10, v16
	s_cbranch_vccz .LBB137_47
; %bb.46:
	v_div_scale_f32 v7, null, v12, v12, v11
	v_div_scale_f32 v10, vcc_lo, v11, v12, v11
	s_delay_alu instid0(VALU_DEP_2) | instskip(SKIP_2) | instid1(VALU_DEP_1)
	v_rcp_f32_e32 v8, v7
	s_waitcnt_depctr 0xfff
	v_fma_f32 v9, -v7, v8, 1.0
	v_fmac_f32_e32 v8, v9, v8
	s_delay_alu instid0(VALU_DEP_1) | instskip(NEXT) | instid1(VALU_DEP_1)
	v_mul_f32_e32 v9, v10, v8
	v_fma_f32 v16, -v7, v9, v10
	s_delay_alu instid0(VALU_DEP_1) | instskip(NEXT) | instid1(VALU_DEP_1)
	v_fmac_f32_e32 v9, v16, v8
	v_fma_f32 v7, -v7, v9, v10
	s_delay_alu instid0(VALU_DEP_1) | instskip(NEXT) | instid1(VALU_DEP_1)
	v_div_fmas_f32 v7, v7, v8, v9
	v_div_fixup_f32 v7, v7, v12, v11
	s_delay_alu instid0(VALU_DEP_1) | instskip(NEXT) | instid1(VALU_DEP_1)
	v_fma_f32 v8, v11, v7, v12
	v_div_scale_f32 v9, null, v8, v8, 1.0
	v_div_scale_f32 v17, vcc_lo, 1.0, v8, 1.0
	s_delay_alu instid0(VALU_DEP_2) | instskip(SKIP_2) | instid1(VALU_DEP_1)
	v_rcp_f32_e32 v10, v9
	s_waitcnt_depctr 0xfff
	v_fma_f32 v16, -v9, v10, 1.0
	v_fmac_f32_e32 v10, v16, v10
	s_delay_alu instid0(VALU_DEP_1) | instskip(NEXT) | instid1(VALU_DEP_1)
	v_mul_f32_e32 v16, v17, v10
	v_fma_f32 v18, -v9, v16, v17
	s_delay_alu instid0(VALU_DEP_1) | instskip(NEXT) | instid1(VALU_DEP_1)
	v_fmac_f32_e32 v16, v18, v10
	v_fma_f32 v9, -v9, v16, v17
	s_delay_alu instid0(VALU_DEP_1) | instskip(SKIP_2) | instid1(VALU_DEP_3)
	v_div_fmas_f32 v9, v9, v10, v16
	v_fma_f32 v10, v7, v5, v6
	v_fma_f32 v7, v7, v6, -v5
	v_div_fixup_f32 v8, v9, v8, 1.0
	s_delay_alu instid0(VALU_DEP_1) | instskip(NEXT) | instid1(VALU_DEP_3)
	v_mul_f32_e32 v9, v10, v8
	v_mul_f32_e32 v10, v7, v8
	s_branch .LBB137_48
.LBB137_47:
	s_mov_b32 s4, -1
                                        ; implicit-def: $vgpr10
.LBB137_48:
	s_delay_alu instid0(SALU_CYCLE_1)
	s_and_not1_b32 vcc_lo, exec_lo, s4
	s_cbranch_vccnz .LBB137_50
; %bb.49:
	v_div_scale_f32 v7, null, v11, v11, v12
	v_div_scale_f32 v10, vcc_lo, v12, v11, v12
	s_delay_alu instid0(VALU_DEP_2) | instskip(SKIP_2) | instid1(VALU_DEP_1)
	v_rcp_f32_e32 v8, v7
	s_waitcnt_depctr 0xfff
	v_fma_f32 v9, -v7, v8, 1.0
	v_fmac_f32_e32 v8, v9, v8
	s_delay_alu instid0(VALU_DEP_1) | instskip(NEXT) | instid1(VALU_DEP_1)
	v_mul_f32_e32 v9, v10, v8
	v_fma_f32 v16, -v7, v9, v10
	s_delay_alu instid0(VALU_DEP_1) | instskip(NEXT) | instid1(VALU_DEP_1)
	v_fmac_f32_e32 v9, v16, v8
	v_fma_f32 v7, -v7, v9, v10
	s_delay_alu instid0(VALU_DEP_1) | instskip(NEXT) | instid1(VALU_DEP_1)
	v_div_fmas_f32 v7, v7, v8, v9
	v_div_fixup_f32 v7, v7, v11, v12
	s_delay_alu instid0(VALU_DEP_1) | instskip(NEXT) | instid1(VALU_DEP_1)
	v_fmac_f32_e32 v11, v12, v7
	v_div_scale_f32 v8, null, v11, v11, 1.0
	v_div_scale_f32 v12, vcc_lo, 1.0, v11, 1.0
	s_delay_alu instid0(VALU_DEP_2) | instskip(SKIP_2) | instid1(VALU_DEP_1)
	v_rcp_f32_e32 v9, v8
	s_waitcnt_depctr 0xfff
	v_fma_f32 v10, -v8, v9, 1.0
	v_fmac_f32_e32 v9, v10, v9
	s_delay_alu instid0(VALU_DEP_1) | instskip(NEXT) | instid1(VALU_DEP_1)
	v_mul_f32_e32 v10, v12, v9
	v_fma_f32 v16, -v8, v10, v12
	s_delay_alu instid0(VALU_DEP_1) | instskip(NEXT) | instid1(VALU_DEP_1)
	v_fmac_f32_e32 v10, v16, v9
	v_fma_f32 v8, -v8, v10, v12
	s_delay_alu instid0(VALU_DEP_1) | instskip(SKIP_2) | instid1(VALU_DEP_3)
	v_div_fmas_f32 v8, v8, v9, v10
	v_fma_f32 v9, v7, v6, v5
	v_fma_f32 v5, -v7, v5, v6
	v_div_fixup_f32 v8, v8, v11, 1.0
	s_delay_alu instid0(VALU_DEP_1) | instskip(NEXT) | instid1(VALU_DEP_3)
	v_mul_f32_e32 v9, v9, v8
	v_mul_f32_e32 v10, v5, v8
.LBB137_50:
	v_mov_b32_e32 v5, 0
	s_mov_b32 s4, 0
	ds_load_2addr_b64 v[16:19], v5 offset0:2 offset1:6
	ds_load_b64 v[5:6], v5 offset:80
	ds_store_b64 v15, v[9:10] offset:32
	s_waitcnt lgkmcnt(2)
	v_mul_f32_e32 v8, v13, v17
	s_waitcnt lgkmcnt(1)
	v_cmp_gt_f32_e32 vcc_lo, 0, v5
	v_dual_mul_f32 v7, v14, v17 :: v_dual_mul_f32 v12, v9, v19
	v_mul_f32_e32 v11, v10, v19
	v_cndmask_b32_e64 v17, v5, -v5, vcc_lo
	v_cmp_gt_f32_e32 vcc_lo, 0, v6
	s_delay_alu instid0(VALU_DEP_4) | instskip(SKIP_3) | instid1(VALU_DEP_4)
	v_fma_f32 v7, v13, v16, -v7
	v_fmac_f32_e32 v8, v14, v16
	v_fma_f32 v11, v9, v18, -v11
	v_cndmask_b32_e64 v16, v6, -v6, vcc_lo
	v_dual_sub_f32 v1, v1, v7 :: v_dual_fmac_f32 v12, v10, v18
	s_delay_alu instid0(VALU_DEP_4) | instskip(NEXT) | instid1(VALU_DEP_3)
	v_sub_f32_e32 v2, v2, v8
	v_cmp_ngt_f32_e32 vcc_lo, v17, v16
	s_delay_alu instid0(VALU_DEP_2)
	v_dual_sub_f32 v7, v1, v11 :: v_dual_sub_f32 v8, v2, v12
	s_cbranch_vccz .LBB137_52
; %bb.51:
	v_div_scale_f32 v1, null, v6, v6, v5
	v_div_scale_f32 v12, vcc_lo, v5, v6, v5
	s_delay_alu instid0(VALU_DEP_2) | instskip(SKIP_2) | instid1(VALU_DEP_1)
	v_rcp_f32_e32 v2, v1
	s_waitcnt_depctr 0xfff
	v_fma_f32 v11, -v1, v2, 1.0
	v_fmac_f32_e32 v2, v11, v2
	s_delay_alu instid0(VALU_DEP_1) | instskip(NEXT) | instid1(VALU_DEP_1)
	v_mul_f32_e32 v11, v12, v2
	v_fma_f32 v16, -v1, v11, v12
	s_delay_alu instid0(VALU_DEP_1) | instskip(NEXT) | instid1(VALU_DEP_1)
	v_fmac_f32_e32 v11, v16, v2
	v_fma_f32 v1, -v1, v11, v12
	s_delay_alu instid0(VALU_DEP_1) | instskip(NEXT) | instid1(VALU_DEP_1)
	v_div_fmas_f32 v1, v1, v2, v11
	v_div_fixup_f32 v1, v1, v6, v5
	s_delay_alu instid0(VALU_DEP_1) | instskip(NEXT) | instid1(VALU_DEP_1)
	v_fma_f32 v2, v5, v1, v6
	v_div_scale_f32 v11, null, v2, v2, 1.0
	v_div_scale_f32 v17, vcc_lo, 1.0, v2, 1.0
	s_delay_alu instid0(VALU_DEP_2) | instskip(SKIP_2) | instid1(VALU_DEP_1)
	v_rcp_f32_e32 v12, v11
	s_waitcnt_depctr 0xfff
	v_fma_f32 v16, -v11, v12, 1.0
	v_fmac_f32_e32 v12, v16, v12
	s_delay_alu instid0(VALU_DEP_1) | instskip(NEXT) | instid1(VALU_DEP_1)
	v_mul_f32_e32 v16, v17, v12
	v_fma_f32 v18, -v11, v16, v17
	s_delay_alu instid0(VALU_DEP_1) | instskip(NEXT) | instid1(VALU_DEP_1)
	v_fmac_f32_e32 v16, v18, v12
	v_fma_f32 v11, -v11, v16, v17
	s_delay_alu instid0(VALU_DEP_1) | instskip(SKIP_1) | instid1(VALU_DEP_2)
	v_div_fmas_f32 v11, v11, v12, v16
	v_fma_f32 v12, v1, v7, v8
	v_div_fixup_f32 v2, v11, v2, 1.0
	v_fma_f32 v11, v1, v8, -v7
	s_delay_alu instid0(VALU_DEP_2) | instskip(NEXT) | instid1(VALU_DEP_2)
	v_mul_f32_e32 v1, v12, v2
	v_mul_f32_e32 v2, v11, v2
	s_branch .LBB137_53
.LBB137_52:
	s_mov_b32 s4, -1
                                        ; implicit-def: $vgpr2
.LBB137_53:
	s_delay_alu instid0(SALU_CYCLE_1)
	s_and_not1_b32 vcc_lo, exec_lo, s4
	s_cbranch_vccnz .LBB137_55
; %bb.54:
	v_div_scale_f32 v1, null, v5, v5, v6
	v_div_scale_f32 v12, vcc_lo, v6, v5, v6
	s_delay_alu instid0(VALU_DEP_2) | instskip(SKIP_2) | instid1(VALU_DEP_1)
	v_rcp_f32_e32 v2, v1
	s_waitcnt_depctr 0xfff
	v_fma_f32 v11, -v1, v2, 1.0
	v_fmac_f32_e32 v2, v11, v2
	s_delay_alu instid0(VALU_DEP_1) | instskip(NEXT) | instid1(VALU_DEP_1)
	v_mul_f32_e32 v11, v12, v2
	v_fma_f32 v16, -v1, v11, v12
	s_delay_alu instid0(VALU_DEP_1) | instskip(NEXT) | instid1(VALU_DEP_1)
	v_fmac_f32_e32 v11, v16, v2
	v_fma_f32 v1, -v1, v11, v12
	s_delay_alu instid0(VALU_DEP_1) | instskip(NEXT) | instid1(VALU_DEP_1)
	v_div_fmas_f32 v1, v1, v2, v11
	v_div_fixup_f32 v1, v1, v5, v6
	s_delay_alu instid0(VALU_DEP_1) | instskip(NEXT) | instid1(VALU_DEP_1)
	v_fmac_f32_e32 v5, v6, v1
	v_div_scale_f32 v2, null, v5, v5, 1.0
	v_div_scale_f32 v12, vcc_lo, 1.0, v5, 1.0
	s_delay_alu instid0(VALU_DEP_2) | instskip(SKIP_2) | instid1(VALU_DEP_1)
	v_rcp_f32_e32 v6, v2
	s_waitcnt_depctr 0xfff
	v_fma_f32 v11, -v2, v6, 1.0
	v_fmac_f32_e32 v6, v11, v6
	s_delay_alu instid0(VALU_DEP_1) | instskip(NEXT) | instid1(VALU_DEP_1)
	v_mul_f32_e32 v11, v12, v6
	v_fma_f32 v16, -v2, v11, v12
	s_delay_alu instid0(VALU_DEP_1) | instskip(NEXT) | instid1(VALU_DEP_1)
	v_fmac_f32_e32 v11, v16, v6
	v_fma_f32 v2, -v2, v11, v12
	s_delay_alu instid0(VALU_DEP_1) | instskip(SKIP_1) | instid1(VALU_DEP_2)
	v_div_fmas_f32 v2, v2, v6, v11
	v_fma_f32 v6, v1, v8, v7
	v_div_fixup_f32 v2, v2, v5, 1.0
	v_fma_f32 v5, -v1, v7, v8
	s_delay_alu instid0(VALU_DEP_2) | instskip(NEXT) | instid1(VALU_DEP_2)
	v_mul_f32_e32 v1, v6, v2
	v_mul_f32_e32 v2, v5, v2
.LBB137_55:
	v_mov_b32_e32 v5, 0
	s_mov_b32 s4, 0
	ds_load_2addr_b64 v[16:19], v5 offset0:3 offset1:7
	ds_load_2addr_b64 v[5:8], v5 offset0:11 offset1:15
	ds_store_b64 v15, v[1:2] offset:64
	s_waitcnt lgkmcnt(2)
	v_mul_f32_e32 v12, v13, v17
	v_mul_f32_e32 v11, v14, v17
	s_waitcnt lgkmcnt(1)
	v_cmp_gt_f32_e32 vcc_lo, 0, v7
	v_mul_f32_e32 v20, v2, v6
	v_mul_f32_e32 v6, v1, v6
	v_fmac_f32_e32 v12, v14, v16
	v_mul_f32_e32 v17, v10, v19
	v_mul_f32_e32 v19, v9, v19
	v_fma_f32 v11, v13, v16, -v11
	v_cndmask_b32_e64 v13, v7, -v7, vcc_lo
	v_cmp_gt_f32_e32 vcc_lo, 0, v8
	s_delay_alu instid0(VALU_DEP_4) | instskip(NEXT) | instid1(VALU_DEP_4)
	v_fmac_f32_e32 v19, v10, v18
	v_dual_sub_f32 v3, v3, v11 :: v_dual_sub_f32 v4, v4, v12
	v_fma_f32 v9, v9, v18, -v17
	v_cndmask_b32_e64 v10, v8, -v8, vcc_lo
	v_fma_f32 v11, v1, v5, -v20
	s_delay_alu instid0(VALU_DEP_3) | instskip(SKIP_1) | instid1(VALU_DEP_4)
	v_dual_sub_f32 v4, v4, v19 :: v_dual_sub_f32 v3, v3, v9
	v_fmac_f32_e32 v6, v2, v5
	v_cmp_ngt_f32_e32 vcc_lo, v13, v10
	s_delay_alu instid0(VALU_DEP_2)
	v_dual_sub_f32 v3, v3, v11 :: v_dual_sub_f32 v4, v4, v6
	s_cbranch_vccz .LBB137_57
; %bb.56:
	v_div_scale_f32 v1, null, v8, v8, v7
	v_div_scale_f32 v6, vcc_lo, v7, v8, v7
	s_delay_alu instid0(VALU_DEP_2) | instskip(SKIP_2) | instid1(VALU_DEP_1)
	v_rcp_f32_e32 v2, v1
	s_waitcnt_depctr 0xfff
	v_fma_f32 v5, -v1, v2, 1.0
	v_fmac_f32_e32 v2, v5, v2
	s_delay_alu instid0(VALU_DEP_1) | instskip(NEXT) | instid1(VALU_DEP_1)
	v_mul_f32_e32 v5, v6, v2
	v_fma_f32 v9, -v1, v5, v6
	s_delay_alu instid0(VALU_DEP_1) | instskip(NEXT) | instid1(VALU_DEP_1)
	v_fmac_f32_e32 v5, v9, v2
	v_fma_f32 v1, -v1, v5, v6
	s_delay_alu instid0(VALU_DEP_1) | instskip(NEXT) | instid1(VALU_DEP_1)
	v_div_fmas_f32 v1, v1, v2, v5
	v_div_fixup_f32 v1, v1, v8, v7
	s_delay_alu instid0(VALU_DEP_1) | instskip(NEXT) | instid1(VALU_DEP_1)
	v_fma_f32 v2, v7, v1, v8
	v_div_scale_f32 v5, null, v2, v2, 1.0
	v_div_scale_f32 v10, vcc_lo, 1.0, v2, 1.0
	s_delay_alu instid0(VALU_DEP_2) | instskip(SKIP_2) | instid1(VALU_DEP_1)
	v_rcp_f32_e32 v6, v5
	s_waitcnt_depctr 0xfff
	v_fma_f32 v9, -v5, v6, 1.0
	v_fmac_f32_e32 v6, v9, v6
	s_delay_alu instid0(VALU_DEP_1) | instskip(NEXT) | instid1(VALU_DEP_1)
	v_mul_f32_e32 v9, v10, v6
	v_fma_f32 v11, -v5, v9, v10
	s_delay_alu instid0(VALU_DEP_1) | instskip(NEXT) | instid1(VALU_DEP_1)
	v_fmac_f32_e32 v9, v11, v6
	v_fma_f32 v5, -v5, v9, v10
	s_delay_alu instid0(VALU_DEP_1) | instskip(SKIP_1) | instid1(VALU_DEP_2)
	v_div_fmas_f32 v5, v5, v6, v9
	v_fma_f32 v6, v1, v3, v4
	v_div_fixup_f32 v2, v5, v2, 1.0
	v_fma_f32 v5, v1, v4, -v3
	s_delay_alu instid0(VALU_DEP_2) | instskip(NEXT) | instid1(VALU_DEP_2)
	v_mul_f32_e32 v1, v6, v2
	v_mul_f32_e32 v2, v5, v2
	s_branch .LBB137_58
.LBB137_57:
	s_mov_b32 s4, -1
                                        ; implicit-def: $vgpr2
.LBB137_58:
	s_delay_alu instid0(SALU_CYCLE_1)
	s_and_not1_b32 vcc_lo, exec_lo, s4
	s_cbranch_vccnz .LBB137_60
; %bb.59:
	v_div_scale_f32 v1, null, v7, v7, v8
	v_div_scale_f32 v6, vcc_lo, v8, v7, v8
	s_delay_alu instid0(VALU_DEP_2) | instskip(SKIP_2) | instid1(VALU_DEP_1)
	v_rcp_f32_e32 v2, v1
	s_waitcnt_depctr 0xfff
	v_fma_f32 v5, -v1, v2, 1.0
	v_fmac_f32_e32 v2, v5, v2
	s_delay_alu instid0(VALU_DEP_1) | instskip(NEXT) | instid1(VALU_DEP_1)
	v_mul_f32_e32 v5, v6, v2
	v_fma_f32 v9, -v1, v5, v6
	s_delay_alu instid0(VALU_DEP_1) | instskip(NEXT) | instid1(VALU_DEP_1)
	v_fmac_f32_e32 v5, v9, v2
	v_fma_f32 v1, -v1, v5, v6
	s_delay_alu instid0(VALU_DEP_1) | instskip(NEXT) | instid1(VALU_DEP_1)
	v_div_fmas_f32 v1, v1, v2, v5
	v_div_fixup_f32 v1, v1, v7, v8
	s_delay_alu instid0(VALU_DEP_1) | instskip(NEXT) | instid1(VALU_DEP_1)
	v_fmac_f32_e32 v7, v8, v1
	v_div_scale_f32 v2, null, v7, v7, 1.0
	v_div_scale_f32 v8, vcc_lo, 1.0, v7, 1.0
	s_delay_alu instid0(VALU_DEP_2) | instskip(SKIP_2) | instid1(VALU_DEP_1)
	v_rcp_f32_e32 v5, v2
	s_waitcnt_depctr 0xfff
	v_fma_f32 v6, -v2, v5, 1.0
	v_fmac_f32_e32 v5, v6, v5
	s_delay_alu instid0(VALU_DEP_1) | instskip(NEXT) | instid1(VALU_DEP_1)
	v_mul_f32_e32 v6, v8, v5
	v_fma_f32 v9, -v2, v6, v8
	s_delay_alu instid0(VALU_DEP_1) | instskip(NEXT) | instid1(VALU_DEP_1)
	v_fmac_f32_e32 v6, v9, v5
	v_fma_f32 v2, -v2, v6, v8
	s_delay_alu instid0(VALU_DEP_1) | instskip(SKIP_2) | instid1(VALU_DEP_3)
	v_div_fmas_f32 v2, v2, v5, v6
	v_fma_f32 v5, v1, v4, v3
	v_fma_f32 v3, -v1, v3, v4
	v_div_fixup_f32 v2, v2, v7, 1.0
	s_delay_alu instid0(VALU_DEP_1) | instskip(NEXT) | instid1(VALU_DEP_3)
	v_mul_f32_e32 v1, v5, v2
	v_mul_f32_e32 v2, v3, v2
.LBB137_60:
	s_mov_b32 s4, 4
	ds_store_b64 v15, v[1:2] offset:96
.LBB137_61:
	s_cmp_ge_i32 s4, s11
	s_cbranch_scc1 .LBB137_71
; %bb.62:
	v_lshl_or_b32 v7, v0, 3, 0x80
	v_lshlrev_b32_e32 v8, 3, v0
	s_lshl_b32 s5, s4, 3
	s_branch .LBB137_64
.LBB137_63:                             ;   in Loop: Header=BB137_64 Depth=1
	s_add_i32 s4, s4, 1
	s_add_i32 s5, s5, 8
	s_cmp_ge_i32 s4, s11
	ds_store_b64 v9, v[5:6]
	s_cbranch_scc1 .LBB137_71
.LBB137_64:                             ; =>This Loop Header: Depth=1
                                        ;     Child Loop BB137_66 Depth 2
	s_delay_alu instid0(VALU_DEP_1)
	v_lshl_or_b32 v3, s4, 5, v8
	s_cmp_eq_u32 s4, 0
	ds_load_b64 v[1:2], v3 offset:128
	s_cbranch_scc1 .LBB137_67
; %bb.65:                               ;   in Loop: Header=BB137_64 Depth=1
	v_mov_b32_e32 v4, v7
	s_mov_b32 s9, 0
	s_mov_b32 s10, s5
	.p2align	6
.LBB137_66:                             ;   Parent Loop BB137_64 Depth=1
                                        ; =>  This Inner Loop Header: Depth=2
	s_delay_alu instid0(SALU_CYCLE_1)
	v_mov_b32_e32 v9, s10
	s_add_i32 s9, s9, 1
	s_add_i32 s10, s10, 32
	s_cmp_ge_u32 s9, s4
	ds_load_b64 v[5:6], v4
	ds_load_b64 v[9:10], v9
	s_waitcnt lgkmcnt(0)
	v_dual_mul_f32 v11, v10, v6 :: v_dual_add_nc_u32 v4, 32, v4
	v_mul_f32_e32 v6, v9, v6
	s_delay_alu instid0(VALU_DEP_2) | instskip(NEXT) | instid1(VALU_DEP_2)
	v_fma_f32 v9, v9, v5, -v11
	v_fmac_f32_e32 v6, v10, v5
	s_delay_alu instid0(VALU_DEP_1)
	v_dual_sub_f32 v1, v1, v9 :: v_dual_sub_f32 v2, v2, v6
	s_cbranch_scc0 .LBB137_66
.LBB137_67:                             ;   in Loop: Header=BB137_64 Depth=1
	s_mul_i32 s9, s4, 40
	v_add_nc_u32_e32 v9, 0x80, v3
	v_mov_b32_e32 v3, s9
	ds_load_b64 v[3:4], v3
	s_waitcnt lgkmcnt(0)
	v_cmp_gt_f32_e32 vcc_lo, 0, v3
	v_cndmask_b32_e64 v5, v3, -v3, vcc_lo
	v_cmp_gt_f32_e32 vcc_lo, 0, v4
	v_cndmask_b32_e64 v6, v4, -v4, vcc_lo
	s_delay_alu instid0(VALU_DEP_1)
	v_cmp_ngt_f32_e32 vcc_lo, v5, v6
	s_cbranch_vccz .LBB137_69
; %bb.68:                               ;   in Loop: Header=BB137_64 Depth=1
	v_div_scale_f32 v5, null, v4, v4, v3
	v_div_scale_f32 v11, vcc_lo, v3, v4, v3
	s_delay_alu instid0(VALU_DEP_2) | instskip(SKIP_2) | instid1(VALU_DEP_1)
	v_rcp_f32_e32 v6, v5
	s_waitcnt_depctr 0xfff
	v_fma_f32 v10, -v5, v6, 1.0
	v_fmac_f32_e32 v6, v10, v6
	s_delay_alu instid0(VALU_DEP_1) | instskip(NEXT) | instid1(VALU_DEP_1)
	v_mul_f32_e32 v10, v11, v6
	v_fma_f32 v12, -v5, v10, v11
	s_delay_alu instid0(VALU_DEP_1) | instskip(NEXT) | instid1(VALU_DEP_1)
	v_fmac_f32_e32 v10, v12, v6
	v_fma_f32 v5, -v5, v10, v11
	s_delay_alu instid0(VALU_DEP_1) | instskip(NEXT) | instid1(VALU_DEP_1)
	v_div_fmas_f32 v5, v5, v6, v10
	v_div_fixup_f32 v5, v5, v4, v3
	s_delay_alu instid0(VALU_DEP_1) | instskip(NEXT) | instid1(VALU_DEP_1)
	v_fma_f32 v6, v3, v5, v4
	v_div_scale_f32 v10, null, v6, v6, 1.0
	v_div_scale_f32 v13, vcc_lo, 1.0, v6, 1.0
	s_delay_alu instid0(VALU_DEP_2) | instskip(SKIP_2) | instid1(VALU_DEP_1)
	v_rcp_f32_e32 v11, v10
	s_waitcnt_depctr 0xfff
	v_fma_f32 v12, -v10, v11, 1.0
	v_fmac_f32_e32 v11, v12, v11
	s_delay_alu instid0(VALU_DEP_1) | instskip(NEXT) | instid1(VALU_DEP_1)
	v_mul_f32_e32 v12, v13, v11
	v_fma_f32 v14, -v10, v12, v13
	s_delay_alu instid0(VALU_DEP_1) | instskip(NEXT) | instid1(VALU_DEP_1)
	v_fmac_f32_e32 v12, v14, v11
	v_fma_f32 v10, -v10, v12, v13
	s_delay_alu instid0(VALU_DEP_1) | instskip(SKIP_1) | instid1(VALU_DEP_2)
	v_div_fmas_f32 v10, v10, v11, v12
	v_fma_f32 v11, v1, v5, v2
	v_div_fixup_f32 v6, v10, v6, 1.0
	v_fma_f32 v10, v2, v5, -v1
	s_delay_alu instid0(VALU_DEP_2) | instskip(NEXT) | instid1(VALU_DEP_2)
	v_mul_f32_e32 v5, v11, v6
	v_mul_f32_e32 v6, v10, v6
	s_cbranch_execnz .LBB137_63
	s_branch .LBB137_70
.LBB137_69:                             ;   in Loop: Header=BB137_64 Depth=1
                                        ; implicit-def: $vgpr5
.LBB137_70:                             ;   in Loop: Header=BB137_64 Depth=1
	v_div_scale_f32 v5, null, v3, v3, v4
	v_div_scale_f32 v11, vcc_lo, v4, v3, v4
	s_delay_alu instid0(VALU_DEP_2) | instskip(SKIP_2) | instid1(VALU_DEP_1)
	v_rcp_f32_e32 v6, v5
	s_waitcnt_depctr 0xfff
	v_fma_f32 v10, -v5, v6, 1.0
	v_fmac_f32_e32 v6, v10, v6
	s_delay_alu instid0(VALU_DEP_1) | instskip(NEXT) | instid1(VALU_DEP_1)
	v_mul_f32_e32 v10, v11, v6
	v_fma_f32 v12, -v5, v10, v11
	s_delay_alu instid0(VALU_DEP_1) | instskip(NEXT) | instid1(VALU_DEP_1)
	v_fmac_f32_e32 v10, v12, v6
	v_fma_f32 v5, -v5, v10, v11
	s_delay_alu instid0(VALU_DEP_1) | instskip(NEXT) | instid1(VALU_DEP_1)
	v_div_fmas_f32 v5, v5, v6, v10
	v_div_fixup_f32 v5, v5, v3, v4
	s_delay_alu instid0(VALU_DEP_1) | instskip(NEXT) | instid1(VALU_DEP_1)
	v_fmac_f32_e32 v3, v4, v5
	v_div_scale_f32 v4, null, v3, v3, 1.0
	v_div_scale_f32 v11, vcc_lo, 1.0, v3, 1.0
	s_delay_alu instid0(VALU_DEP_2) | instskip(SKIP_2) | instid1(VALU_DEP_1)
	v_rcp_f32_e32 v6, v4
	s_waitcnt_depctr 0xfff
	v_fma_f32 v10, -v4, v6, 1.0
	v_fmac_f32_e32 v6, v10, v6
	s_delay_alu instid0(VALU_DEP_1) | instskip(NEXT) | instid1(VALU_DEP_1)
	v_mul_f32_e32 v10, v11, v6
	v_fma_f32 v12, -v4, v10, v11
	s_delay_alu instid0(VALU_DEP_1) | instskip(NEXT) | instid1(VALU_DEP_1)
	v_fmac_f32_e32 v10, v12, v6
	v_fma_f32 v4, -v4, v10, v11
	s_delay_alu instid0(VALU_DEP_1) | instskip(SKIP_2) | instid1(VALU_DEP_3)
	v_div_fmas_f32 v4, v4, v6, v10
	v_fma_f32 v6, v2, v5, v1
	v_fma_f32 v1, -v1, v5, v2
	v_div_fixup_f32 v3, v4, v3, 1.0
	s_delay_alu instid0(VALU_DEP_1) | instskip(NEXT) | instid1(VALU_DEP_3)
	v_mul_f32_e32 v5, v6, v3
	v_mul_f32_e32 v6, v1, v3
	s_branch .LBB137_63
.LBB137_71:
	s_mov_b32 s4, 0
.LBB137_72:
	s_delay_alu instid0(SALU_CYCLE_1)
	s_and_b32 vcc_lo, exec_lo, s4
	s_cbranch_vccz .LBB137_104
; %bb.73:
	s_and_b32 vcc_lo, exec_lo, s1
	s_mov_b32 s4, s30
	s_cbranch_vccz .LBB137_95
; %bb.74:
	s_mul_i32 s15, s30, 40
	s_add_i32 s16, s11, -2
	v_dual_mov_b32 v1, s15 :: v_dual_lshlrev_b32 v4, 3, v0
	s_lshl_b32 s10, s30, 2
	s_add_i32 s14, s11, -3
	s_lshl_b32 s9, s16, 2
	ds_load_b64 v[9:10], v1
	v_or_b32_e32 v1, s10, v0
	s_lshl_b32 s4, s14, 2
	v_or_b32_e32 v2, s9, v0
	v_or_b32_e32 v3, s4, v0
	s_add_i32 s5, s11, -4
	v_lshlrev_b32_e32 v16, 3, v1
	v_lshl_or_b32 v13, s5, 5, v4
	v_lshlrev_b32_e32 v15, 3, v2
	v_lshlrev_b32_e32 v14, 3, v3
	ds_load_b64 v[11:12], v16 offset:128
	ds_load_b64 v[7:8], v15 offset:128
	;; [unrolled: 1-line block ×4, first 2 shown]
	s_mov_b32 s17, 0
	s_waitcnt lgkmcnt(4)
	v_cmp_gt_f32_e32 vcc_lo, 0, v9
	v_cndmask_b32_e64 v3, v9, -v9, vcc_lo
	v_cmp_gt_f32_e32 vcc_lo, 0, v10
	v_cndmask_b32_e64 v4, v10, -v10, vcc_lo
	s_delay_alu instid0(VALU_DEP_1)
	v_cmp_ngt_f32_e32 vcc_lo, v3, v4
	s_cbranch_vccz .LBB137_76
; %bb.75:
	v_div_scale_f32 v3, null, v10, v10, v9
	v_div_scale_f32 v18, vcc_lo, v9, v10, v9
	s_delay_alu instid0(VALU_DEP_2) | instskip(SKIP_2) | instid1(VALU_DEP_1)
	v_rcp_f32_e32 v4, v3
	s_waitcnt_depctr 0xfff
	v_fma_f32 v17, -v3, v4, 1.0
	v_fmac_f32_e32 v4, v17, v4
	s_delay_alu instid0(VALU_DEP_1) | instskip(NEXT) | instid1(VALU_DEP_1)
	v_mul_f32_e32 v17, v18, v4
	v_fma_f32 v19, -v3, v17, v18
	s_delay_alu instid0(VALU_DEP_1) | instskip(NEXT) | instid1(VALU_DEP_1)
	v_fmac_f32_e32 v17, v19, v4
	v_fma_f32 v3, -v3, v17, v18
	s_delay_alu instid0(VALU_DEP_1) | instskip(NEXT) | instid1(VALU_DEP_1)
	v_div_fmas_f32 v3, v3, v4, v17
	v_div_fixup_f32 v3, v3, v10, v9
	s_delay_alu instid0(VALU_DEP_1) | instskip(NEXT) | instid1(VALU_DEP_1)
	v_fma_f32 v4, v9, v3, v10
	v_div_scale_f32 v17, null, v4, v4, 1.0
	v_div_scale_f32 v20, vcc_lo, 1.0, v4, 1.0
	s_delay_alu instid0(VALU_DEP_2) | instskip(SKIP_2) | instid1(VALU_DEP_1)
	v_rcp_f32_e32 v18, v17
	s_waitcnt_depctr 0xfff
	v_fma_f32 v19, -v17, v18, 1.0
	v_fmac_f32_e32 v18, v19, v18
	s_delay_alu instid0(VALU_DEP_1) | instskip(NEXT) | instid1(VALU_DEP_1)
	v_mul_f32_e32 v19, v20, v18
	v_fma_f32 v21, -v17, v19, v20
	s_delay_alu instid0(VALU_DEP_1) | instskip(NEXT) | instid1(VALU_DEP_1)
	v_fmac_f32_e32 v19, v21, v18
	v_fma_f32 v17, -v17, v19, v20
	s_delay_alu instid0(VALU_DEP_1) | instskip(SKIP_2) | instid1(VALU_DEP_2)
	v_div_fmas_f32 v17, v17, v18, v19
	s_waitcnt lgkmcnt(3)
	v_fma_f32 v18, v11, v3, v12
	v_div_fixup_f32 v4, v17, v4, 1.0
	v_fma_f32 v17, v12, v3, -v11
	s_delay_alu instid0(VALU_DEP_2) | instskip(NEXT) | instid1(VALU_DEP_2)
	v_mul_f32_e32 v3, v18, v4
	v_mul_f32_e32 v4, v17, v4
	s_branch .LBB137_77
.LBB137_76:
	s_mov_b32 s17, -1
                                        ; implicit-def: $vgpr4
.LBB137_77:
	v_add_nc_u32_e32 v16, 0x80, v16
	s_and_not1_b32 vcc_lo, exec_lo, s17
	s_cbranch_vccnz .LBB137_79
; %bb.78:
	v_div_scale_f32 v3, null, v9, v9, v10
	v_div_scale_f32 v18, vcc_lo, v10, v9, v10
	s_delay_alu instid0(VALU_DEP_2) | instskip(SKIP_2) | instid1(VALU_DEP_1)
	v_rcp_f32_e32 v4, v3
	s_waitcnt_depctr 0xfff
	v_fma_f32 v17, -v3, v4, 1.0
	v_fmac_f32_e32 v4, v17, v4
	s_delay_alu instid0(VALU_DEP_1) | instskip(NEXT) | instid1(VALU_DEP_1)
	v_mul_f32_e32 v17, v18, v4
	v_fma_f32 v19, -v3, v17, v18
	s_delay_alu instid0(VALU_DEP_1) | instskip(NEXT) | instid1(VALU_DEP_1)
	v_fmac_f32_e32 v17, v19, v4
	v_fma_f32 v3, -v3, v17, v18
	s_delay_alu instid0(VALU_DEP_1) | instskip(NEXT) | instid1(VALU_DEP_1)
	v_div_fmas_f32 v3, v3, v4, v17
	v_div_fixup_f32 v3, v3, v9, v10
	s_delay_alu instid0(VALU_DEP_1) | instskip(NEXT) | instid1(VALU_DEP_1)
	v_fmac_f32_e32 v9, v10, v3
	v_div_scale_f32 v4, null, v9, v9, 1.0
	v_div_scale_f32 v18, vcc_lo, 1.0, v9, 1.0
	s_delay_alu instid0(VALU_DEP_2) | instskip(SKIP_2) | instid1(VALU_DEP_1)
	v_rcp_f32_e32 v10, v4
	s_waitcnt_depctr 0xfff
	v_fma_f32 v17, -v4, v10, 1.0
	v_fmac_f32_e32 v10, v17, v10
	s_delay_alu instid0(VALU_DEP_1) | instskip(NEXT) | instid1(VALU_DEP_1)
	v_mul_f32_e32 v17, v18, v10
	v_fma_f32 v19, -v4, v17, v18
	s_delay_alu instid0(VALU_DEP_1) | instskip(NEXT) | instid1(VALU_DEP_1)
	v_fmac_f32_e32 v17, v19, v10
	v_fma_f32 v4, -v4, v17, v18
	s_delay_alu instid0(VALU_DEP_1) | instskip(SKIP_2) | instid1(VALU_DEP_2)
	v_div_fmas_f32 v4, v4, v10, v17
	s_waitcnt lgkmcnt(3)
	v_fma_f32 v10, v12, v3, v11
	v_div_fixup_f32 v4, v4, v9, 1.0
	v_fma_f32 v9, -v11, v3, v12
	s_delay_alu instid0(VALU_DEP_2) | instskip(NEXT) | instid1(VALU_DEP_2)
	v_mul_f32_e32 v3, v10, v4
	v_mul_f32_e32 v4, v9, v4
.LBB137_79:
	s_add_i32 s16, s10, s16
	s_sub_i32 s15, s15, 40
	s_lshl_b32 s16, s16, 3
	s_delay_alu instid0(SALU_CYCLE_1)
	v_dual_mov_b32 v10, s15 :: v_dual_mov_b32 v9, s16
	s_mov_b32 s16, 0
	s_waitcnt lgkmcnt(3)
	ds_load_b64 v[11:12], v9
	ds_load_b64 v[9:10], v10
	ds_store_b64 v16, v[3:4]
	s_waitcnt lgkmcnt(2)
	v_mul_f32_e32 v17, v4, v12
	s_waitcnt lgkmcnt(1)
	v_cmp_gt_f32_e32 vcc_lo, 0, v9
	v_mul_f32_e32 v12, v3, v12
	s_delay_alu instid0(VALU_DEP_3) | instskip(SKIP_2) | instid1(VALU_DEP_3)
	v_fma_f32 v17, v3, v11, -v17
	v_cndmask_b32_e64 v18, v9, -v9, vcc_lo
	v_cmp_gt_f32_e32 vcc_lo, 0, v10
	v_dual_fmac_f32 v12, v4, v11 :: v_dual_sub_f32 v11, v7, v17
	v_cndmask_b32_e64 v19, v10, -v10, vcc_lo
	s_delay_alu instid0(VALU_DEP_2) | instskip(NEXT) | instid1(VALU_DEP_2)
	v_sub_f32_e32 v12, v8, v12
	v_cmp_ngt_f32_e32 vcc_lo, v18, v19
	s_cbranch_vccz .LBB137_81
; %bb.80:
	v_div_scale_f32 v7, null, v10, v10, v9
	v_div_scale_f32 v17, vcc_lo, v9, v10, v9
	s_delay_alu instid0(VALU_DEP_2) | instskip(SKIP_2) | instid1(VALU_DEP_1)
	v_rcp_f32_e32 v8, v7
	s_waitcnt_depctr 0xfff
	v_fma_f32 v16, -v7, v8, 1.0
	v_fmac_f32_e32 v8, v16, v8
	s_delay_alu instid0(VALU_DEP_1) | instskip(NEXT) | instid1(VALU_DEP_1)
	v_mul_f32_e32 v16, v17, v8
	v_fma_f32 v18, -v7, v16, v17
	s_delay_alu instid0(VALU_DEP_1) | instskip(NEXT) | instid1(VALU_DEP_1)
	v_fmac_f32_e32 v16, v18, v8
	v_fma_f32 v7, -v7, v16, v17
	s_delay_alu instid0(VALU_DEP_1) | instskip(NEXT) | instid1(VALU_DEP_1)
	v_div_fmas_f32 v7, v7, v8, v16
	v_div_fixup_f32 v7, v7, v10, v9
	s_delay_alu instid0(VALU_DEP_1) | instskip(NEXT) | instid1(VALU_DEP_1)
	v_fma_f32 v8, v9, v7, v10
	v_div_scale_f32 v16, null, v8, v8, 1.0
	v_div_scale_f32 v19, vcc_lo, 1.0, v8, 1.0
	s_delay_alu instid0(VALU_DEP_2) | instskip(SKIP_2) | instid1(VALU_DEP_1)
	v_rcp_f32_e32 v17, v16
	s_waitcnt_depctr 0xfff
	v_fma_f32 v18, -v16, v17, 1.0
	v_fmac_f32_e32 v17, v18, v17
	s_delay_alu instid0(VALU_DEP_1) | instskip(NEXT) | instid1(VALU_DEP_1)
	v_mul_f32_e32 v18, v19, v17
	v_fma_f32 v20, -v16, v18, v19
	s_delay_alu instid0(VALU_DEP_1) | instskip(NEXT) | instid1(VALU_DEP_1)
	v_fmac_f32_e32 v18, v20, v17
	v_fma_f32 v16, -v16, v18, v19
	s_delay_alu instid0(VALU_DEP_1) | instskip(SKIP_1) | instid1(VALU_DEP_2)
	v_div_fmas_f32 v16, v16, v17, v18
	v_fma_f32 v17, v7, v11, v12
	v_div_fixup_f32 v8, v16, v8, 1.0
	v_fma_f32 v16, v7, v12, -v11
	s_delay_alu instid0(VALU_DEP_2) | instskip(NEXT) | instid1(VALU_DEP_2)
	v_mul_f32_e32 v7, v17, v8
	v_mul_f32_e32 v8, v16, v8
	s_branch .LBB137_82
.LBB137_81:
	s_mov_b32 s16, -1
                                        ; implicit-def: $vgpr8
.LBB137_82:
	v_add_nc_u32_e32 v15, 0x80, v15
	s_and_not1_b32 vcc_lo, exec_lo, s16
	s_cbranch_vccnz .LBB137_84
; %bb.83:
	v_div_scale_f32 v7, null, v9, v9, v10
	v_div_scale_f32 v17, vcc_lo, v10, v9, v10
	s_delay_alu instid0(VALU_DEP_2) | instskip(SKIP_2) | instid1(VALU_DEP_1)
	v_rcp_f32_e32 v8, v7
	s_waitcnt_depctr 0xfff
	v_fma_f32 v16, -v7, v8, 1.0
	v_fmac_f32_e32 v8, v16, v8
	s_delay_alu instid0(VALU_DEP_1) | instskip(NEXT) | instid1(VALU_DEP_1)
	v_mul_f32_e32 v16, v17, v8
	v_fma_f32 v18, -v7, v16, v17
	s_delay_alu instid0(VALU_DEP_1) | instskip(NEXT) | instid1(VALU_DEP_1)
	v_fmac_f32_e32 v16, v18, v8
	v_fma_f32 v7, -v7, v16, v17
	s_delay_alu instid0(VALU_DEP_1) | instskip(NEXT) | instid1(VALU_DEP_1)
	v_div_fmas_f32 v7, v7, v8, v16
	v_div_fixup_f32 v7, v7, v9, v10
	s_delay_alu instid0(VALU_DEP_1) | instskip(NEXT) | instid1(VALU_DEP_1)
	v_fmac_f32_e32 v9, v10, v7
	v_div_scale_f32 v8, null, v9, v9, 1.0
	v_div_scale_f32 v17, vcc_lo, 1.0, v9, 1.0
	s_delay_alu instid0(VALU_DEP_2) | instskip(SKIP_2) | instid1(VALU_DEP_1)
	v_rcp_f32_e32 v10, v8
	s_waitcnt_depctr 0xfff
	v_fma_f32 v16, -v8, v10, 1.0
	v_fmac_f32_e32 v10, v16, v10
	s_delay_alu instid0(VALU_DEP_1) | instskip(NEXT) | instid1(VALU_DEP_1)
	v_mul_f32_e32 v16, v17, v10
	v_fma_f32 v18, -v8, v16, v17
	s_delay_alu instid0(VALU_DEP_1) | instskip(NEXT) | instid1(VALU_DEP_1)
	v_fmac_f32_e32 v16, v18, v10
	v_fma_f32 v8, -v8, v16, v17
	s_delay_alu instid0(VALU_DEP_1) | instskip(SKIP_1) | instid1(VALU_DEP_2)
	v_div_fmas_f32 v8, v8, v10, v16
	v_fma_f32 v10, v7, v12, v11
	v_div_fixup_f32 v8, v8, v9, 1.0
	v_fma_f32 v9, -v7, v11, v12
	s_delay_alu instid0(VALU_DEP_2) | instskip(NEXT) | instid1(VALU_DEP_2)
	v_mul_f32_e32 v7, v10, v8
	v_mul_f32_e32 v8, v9, v8
.LBB137_84:
	s_add_i32 s16, s10, s14
	s_add_i32 s14, s9, s14
	s_lshl_b32 s16, s16, 3
	s_lshl_b32 s17, s14, 3
	s_delay_alu instid0(SALU_CYCLE_1)
	v_dual_mov_b32 v9, s16 :: v_dual_mov_b32 v10, s17
	s_sub_i32 s14, s15, 40
	s_mov_b32 s15, 0
	v_mov_b32_e32 v18, s14
	ds_load_b64 v[11:12], v9
	ds_load_b64 v[16:17], v10
	;; [unrolled: 1-line block ×3, first 2 shown]
	ds_store_b64 v15, v[7:8]
	s_waitcnt lgkmcnt(3)
	v_mul_f32_e32 v18, v4, v12
	s_waitcnt lgkmcnt(2)
	v_mul_f32_e32 v19, v8, v17
	v_mul_f32_e32 v17, v7, v17
	s_waitcnt lgkmcnt(1)
	v_cmp_gt_f32_e32 vcc_lo, 0, v9
	v_fma_f32 v18, v3, v11, -v18
	v_mul_f32_e32 v12, v3, v12
	v_fma_f32 v19, v7, v16, -v19
	v_cndmask_b32_e64 v20, v9, -v9, vcc_lo
	v_cmp_gt_f32_e32 vcc_lo, 0, v10
	s_delay_alu instid0(VALU_DEP_4) | instskip(SKIP_2) | instid1(VALU_DEP_3)
	v_dual_sub_f32 v5, v5, v18 :: v_dual_fmac_f32 v12, v4, v11
	v_fmac_f32_e32 v17, v8, v16
	v_cndmask_b32_e64 v11, v10, -v10, vcc_lo
	v_dual_sub_f32 v5, v5, v19 :: v_dual_sub_f32 v6, v6, v12
	s_delay_alu instid0(VALU_DEP_2) | instskip(NEXT) | instid1(VALU_DEP_2)
	v_cmp_ngt_f32_e32 vcc_lo, v20, v11
	v_sub_f32_e32 v6, v6, v17
	s_cbranch_vccz .LBB137_86
; %bb.85:
	v_div_scale_f32 v11, null, v10, v10, v9
	v_div_scale_f32 v16, vcc_lo, v9, v10, v9
	s_delay_alu instid0(VALU_DEP_2) | instskip(SKIP_2) | instid1(VALU_DEP_1)
	v_rcp_f32_e32 v12, v11
	s_waitcnt_depctr 0xfff
	v_fma_f32 v15, -v11, v12, 1.0
	v_fmac_f32_e32 v12, v15, v12
	s_delay_alu instid0(VALU_DEP_1) | instskip(NEXT) | instid1(VALU_DEP_1)
	v_mul_f32_e32 v15, v16, v12
	v_fma_f32 v17, -v11, v15, v16
	s_delay_alu instid0(VALU_DEP_1) | instskip(NEXT) | instid1(VALU_DEP_1)
	v_fmac_f32_e32 v15, v17, v12
	v_fma_f32 v11, -v11, v15, v16
	s_delay_alu instid0(VALU_DEP_1) | instskip(NEXT) | instid1(VALU_DEP_1)
	v_div_fmas_f32 v11, v11, v12, v15
	v_div_fixup_f32 v11, v11, v10, v9
	s_delay_alu instid0(VALU_DEP_1) | instskip(NEXT) | instid1(VALU_DEP_1)
	v_fma_f32 v12, v9, v11, v10
	v_div_scale_f32 v15, null, v12, v12, 1.0
	v_div_scale_f32 v18, vcc_lo, 1.0, v12, 1.0
	s_delay_alu instid0(VALU_DEP_2) | instskip(SKIP_2) | instid1(VALU_DEP_1)
	v_rcp_f32_e32 v16, v15
	s_waitcnt_depctr 0xfff
	v_fma_f32 v17, -v15, v16, 1.0
	v_fmac_f32_e32 v16, v17, v16
	s_delay_alu instid0(VALU_DEP_1) | instskip(NEXT) | instid1(VALU_DEP_1)
	v_mul_f32_e32 v17, v18, v16
	v_fma_f32 v19, -v15, v17, v18
	s_delay_alu instid0(VALU_DEP_1) | instskip(NEXT) | instid1(VALU_DEP_1)
	v_fmac_f32_e32 v17, v19, v16
	v_fma_f32 v15, -v15, v17, v18
	s_delay_alu instid0(VALU_DEP_1) | instskip(SKIP_1) | instid1(VALU_DEP_2)
	v_div_fmas_f32 v15, v15, v16, v17
	v_fma_f32 v16, v11, v5, v6
	v_div_fixup_f32 v12, v15, v12, 1.0
	v_fma_f32 v15, v11, v6, -v5
	s_delay_alu instid0(VALU_DEP_2) | instskip(NEXT) | instid1(VALU_DEP_2)
	v_mul_f32_e32 v11, v16, v12
	v_mul_f32_e32 v12, v15, v12
	s_branch .LBB137_87
.LBB137_86:
	s_mov_b32 s15, -1
                                        ; implicit-def: $vgpr12
.LBB137_87:
	v_add_nc_u32_e32 v14, 0x80, v14
	s_and_not1_b32 vcc_lo, exec_lo, s15
	s_cbranch_vccnz .LBB137_89
; %bb.88:
	v_div_scale_f32 v11, null, v9, v9, v10
	v_div_scale_f32 v16, vcc_lo, v10, v9, v10
	s_delay_alu instid0(VALU_DEP_2) | instskip(SKIP_2) | instid1(VALU_DEP_1)
	v_rcp_f32_e32 v12, v11
	s_waitcnt_depctr 0xfff
	v_fma_f32 v15, -v11, v12, 1.0
	v_fmac_f32_e32 v12, v15, v12
	s_delay_alu instid0(VALU_DEP_1) | instskip(NEXT) | instid1(VALU_DEP_1)
	v_mul_f32_e32 v15, v16, v12
	v_fma_f32 v17, -v11, v15, v16
	s_delay_alu instid0(VALU_DEP_1) | instskip(NEXT) | instid1(VALU_DEP_1)
	v_fmac_f32_e32 v15, v17, v12
	v_fma_f32 v11, -v11, v15, v16
	s_delay_alu instid0(VALU_DEP_1) | instskip(NEXT) | instid1(VALU_DEP_1)
	v_div_fmas_f32 v11, v11, v12, v15
	v_div_fixup_f32 v11, v11, v9, v10
	s_delay_alu instid0(VALU_DEP_1) | instskip(NEXT) | instid1(VALU_DEP_1)
	v_fmac_f32_e32 v9, v10, v11
	v_div_scale_f32 v10, null, v9, v9, 1.0
	v_div_scale_f32 v16, vcc_lo, 1.0, v9, 1.0
	s_delay_alu instid0(VALU_DEP_2) | instskip(SKIP_2) | instid1(VALU_DEP_1)
	v_rcp_f32_e32 v12, v10
	s_waitcnt_depctr 0xfff
	v_fma_f32 v15, -v10, v12, 1.0
	v_fmac_f32_e32 v12, v15, v12
	s_delay_alu instid0(VALU_DEP_1) | instskip(NEXT) | instid1(VALU_DEP_1)
	v_mul_f32_e32 v15, v16, v12
	v_fma_f32 v17, -v10, v15, v16
	s_delay_alu instid0(VALU_DEP_1) | instskip(NEXT) | instid1(VALU_DEP_1)
	v_fmac_f32_e32 v15, v17, v12
	v_fma_f32 v10, -v10, v15, v16
	s_delay_alu instid0(VALU_DEP_1) | instskip(SKIP_2) | instid1(VALU_DEP_3)
	v_div_fmas_f32 v10, v10, v12, v15
	v_fma_f32 v12, v11, v6, v5
	v_fma_f32 v5, -v11, v5, v6
	v_div_fixup_f32 v9, v10, v9, 1.0
	s_delay_alu instid0(VALU_DEP_1) | instskip(NEXT) | instid1(VALU_DEP_3)
	v_mul_f32_e32 v11, v12, v9
	v_mul_f32_e32 v12, v5, v9
.LBB137_89:
	s_add_i32 s10, s10, s5
	s_add_i32 s9, s9, s5
	s_lshl_b32 s10, s10, 3
	s_add_i32 s4, s4, s5
	s_lshl_b32 s5, s9, 3
	s_delay_alu instid0(SALU_CYCLE_1)
	v_dual_mov_b32 v5, s10 :: v_dual_mov_b32 v6, s5
	s_lshl_b32 s4, s4, 3
	ds_load_b64 v[9:10], v5
	ds_load_b64 v[15:16], v6
	v_mov_b32_e32 v17, s4
	s_sub_i32 s4, s14, 40
	s_delay_alu instid0(SALU_CYCLE_1)
	v_mov_b32_e32 v5, s4
	s_mov_b32 s4, 0
	s_waitcnt lgkmcnt(1)
	v_mul_f32_e32 v19, v4, v10
	v_mul_f32_e32 v10, v3, v10
	s_waitcnt lgkmcnt(0)
	v_mul_f32_e32 v20, v8, v16
	v_mul_f32_e32 v16, v7, v16
	ds_load_b64 v[17:18], v17
	ds_load_b64 v[5:6], v5
	v_fma_f32 v3, v3, v9, -v19
	ds_store_b64 v14, v[11:12]
	v_fma_f32 v7, v7, v15, -v20
	v_fmac_f32_e32 v10, v4, v9
	v_fmac_f32_e32 v16, v8, v15
	s_delay_alu instid0(VALU_DEP_2) | instskip(NEXT) | instid1(VALU_DEP_1)
	v_dual_sub_f32 v1, v1, v3 :: v_dual_sub_f32 v2, v2, v10
	v_dual_sub_f32 v1, v1, v7 :: v_dual_sub_f32 v2, v2, v16
	s_waitcnt lgkmcnt(2)
	v_mul_f32_e32 v21, v12, v18
	s_waitcnt lgkmcnt(1)
	v_cmp_gt_f32_e32 vcc_lo, 0, v5
	v_mul_f32_e32 v18, v11, v18
	s_delay_alu instid0(VALU_DEP_3) | instskip(SKIP_2) | instid1(VALU_DEP_4)
	v_fma_f32 v8, v11, v17, -v21
	v_cndmask_b32_e64 v4, v5, -v5, vcc_lo
	v_cmp_gt_f32_e32 vcc_lo, 0, v6
	v_fmac_f32_e32 v18, v12, v17
	v_cndmask_b32_e64 v3, v6, -v6, vcc_lo
	s_delay_alu instid0(VALU_DEP_1) | instskip(NEXT) | instid1(VALU_DEP_3)
	v_cmp_ngt_f32_e32 vcc_lo, v4, v3
	v_dual_sub_f32 v3, v1, v8 :: v_dual_sub_f32 v4, v2, v18
	s_cbranch_vccz .LBB137_91
; %bb.90:
	v_div_scale_f32 v1, null, v6, v6, v5
	v_div_scale_f32 v8, vcc_lo, v5, v6, v5
	s_delay_alu instid0(VALU_DEP_2) | instskip(SKIP_2) | instid1(VALU_DEP_1)
	v_rcp_f32_e32 v2, v1
	s_waitcnt_depctr 0xfff
	v_fma_f32 v7, -v1, v2, 1.0
	v_fmac_f32_e32 v2, v7, v2
	s_delay_alu instid0(VALU_DEP_1) | instskip(NEXT) | instid1(VALU_DEP_1)
	v_mul_f32_e32 v7, v8, v2
	v_fma_f32 v9, -v1, v7, v8
	s_delay_alu instid0(VALU_DEP_1) | instskip(NEXT) | instid1(VALU_DEP_1)
	v_fmac_f32_e32 v7, v9, v2
	v_fma_f32 v1, -v1, v7, v8
	s_delay_alu instid0(VALU_DEP_1) | instskip(NEXT) | instid1(VALU_DEP_1)
	v_div_fmas_f32 v1, v1, v2, v7
	v_div_fixup_f32 v1, v1, v6, v5
	s_delay_alu instid0(VALU_DEP_1) | instskip(NEXT) | instid1(VALU_DEP_1)
	v_fma_f32 v2, v5, v1, v6
	v_div_scale_f32 v7, null, v2, v2, 1.0
	v_div_scale_f32 v10, vcc_lo, 1.0, v2, 1.0
	s_delay_alu instid0(VALU_DEP_2) | instskip(SKIP_2) | instid1(VALU_DEP_1)
	v_rcp_f32_e32 v8, v7
	s_waitcnt_depctr 0xfff
	v_fma_f32 v9, -v7, v8, 1.0
	v_fmac_f32_e32 v8, v9, v8
	s_delay_alu instid0(VALU_DEP_1) | instskip(NEXT) | instid1(VALU_DEP_1)
	v_mul_f32_e32 v9, v10, v8
	v_fma_f32 v11, -v7, v9, v10
	s_delay_alu instid0(VALU_DEP_1) | instskip(NEXT) | instid1(VALU_DEP_1)
	v_fmac_f32_e32 v9, v11, v8
	v_fma_f32 v7, -v7, v9, v10
	s_delay_alu instid0(VALU_DEP_1) | instskip(SKIP_1) | instid1(VALU_DEP_2)
	v_div_fmas_f32 v7, v7, v8, v9
	v_fma_f32 v8, v1, v3, v4
	v_div_fixup_f32 v2, v7, v2, 1.0
	v_fma_f32 v7, v1, v4, -v3
	s_delay_alu instid0(VALU_DEP_2) | instskip(NEXT) | instid1(VALU_DEP_2)
	v_mul_f32_e32 v1, v8, v2
	v_mul_f32_e32 v2, v7, v2
	s_branch .LBB137_92
.LBB137_91:
	s_mov_b32 s4, -1
                                        ; implicit-def: $vgpr2
.LBB137_92:
	v_add_nc_u32_e32 v7, 0x80, v13
	s_and_not1_b32 vcc_lo, exec_lo, s4
	s_cbranch_vccnz .LBB137_94
; %bb.93:
	v_div_scale_f32 v1, null, v5, v5, v6
	v_div_scale_f32 v9, vcc_lo, v6, v5, v6
	s_delay_alu instid0(VALU_DEP_2) | instskip(SKIP_2) | instid1(VALU_DEP_1)
	v_rcp_f32_e32 v2, v1
	s_waitcnt_depctr 0xfff
	v_fma_f32 v8, -v1, v2, 1.0
	v_fmac_f32_e32 v2, v8, v2
	s_delay_alu instid0(VALU_DEP_1) | instskip(NEXT) | instid1(VALU_DEP_1)
	v_mul_f32_e32 v8, v9, v2
	v_fma_f32 v10, -v1, v8, v9
	s_delay_alu instid0(VALU_DEP_1) | instskip(NEXT) | instid1(VALU_DEP_1)
	v_fmac_f32_e32 v8, v10, v2
	v_fma_f32 v1, -v1, v8, v9
	s_delay_alu instid0(VALU_DEP_1) | instskip(NEXT) | instid1(VALU_DEP_1)
	v_div_fmas_f32 v1, v1, v2, v8
	v_div_fixup_f32 v1, v1, v5, v6
	s_delay_alu instid0(VALU_DEP_1) | instskip(NEXT) | instid1(VALU_DEP_1)
	v_fmac_f32_e32 v5, v6, v1
	v_div_scale_f32 v2, null, v5, v5, 1.0
	v_div_scale_f32 v9, vcc_lo, 1.0, v5, 1.0
	s_delay_alu instid0(VALU_DEP_2) | instskip(SKIP_2) | instid1(VALU_DEP_1)
	v_rcp_f32_e32 v6, v2
	s_waitcnt_depctr 0xfff
	v_fma_f32 v8, -v2, v6, 1.0
	v_fmac_f32_e32 v6, v8, v6
	s_delay_alu instid0(VALU_DEP_1) | instskip(NEXT) | instid1(VALU_DEP_1)
	v_mul_f32_e32 v8, v9, v6
	v_fma_f32 v10, -v2, v8, v9
	s_delay_alu instid0(VALU_DEP_1) | instskip(NEXT) | instid1(VALU_DEP_1)
	v_fmac_f32_e32 v8, v10, v6
	v_fma_f32 v2, -v2, v8, v9
	s_delay_alu instid0(VALU_DEP_1) | instskip(SKIP_2) | instid1(VALU_DEP_3)
	v_div_fmas_f32 v2, v2, v6, v8
	v_fma_f32 v6, v1, v4, v3
	v_fma_f32 v3, -v1, v3, v4
	v_div_fixup_f32 v2, v2, v5, 1.0
	s_delay_alu instid0(VALU_DEP_1) | instskip(NEXT) | instid1(VALU_DEP_3)
	v_mul_f32_e32 v1, v6, v2
	v_mul_f32_e32 v2, v3, v2
.LBB137_94:
	s_add_i32 s4, s11, -5
	ds_store_b64 v7, v[1:2]
.LBB137_95:
	s_cmp_lt_i32 s4, 0
	s_cbranch_scc1 .LBB137_104
; %bb.96:
	s_lshl_b32 s5, s11, 5
	s_lshl_b32 s9, s4, 3
	v_lshl_or_b32 v1, v0, 3, s5
	v_lshlrev_b32_e32 v8, 3, v0
	s_add_i32 s5, s5, s9
	s_delay_alu instid0(SALU_CYCLE_1) | instskip(NEXT) | instid1(VALU_DEP_2)
	s_sub_i32 s5, s5, 32
	v_add_nc_u32_e32 v7, 0x60, v1
	s_branch .LBB137_98
.LBB137_97:                             ;   in Loop: Header=BB137_98 Depth=1
	s_add_i32 s9, s4, -1
	s_add_i32 s5, s5, -8
	s_cmp_lt_i32 s4, 1
	s_mov_b32 s4, s9
	ds_store_b64 v9, v[5:6]
	s_cbranch_scc1 .LBB137_104
.LBB137_98:                             ; =>This Loop Header: Depth=1
                                        ;     Child Loop BB137_99 Depth 2
	v_lshl_or_b32 v3, s4, 5, v8
	s_delay_alu instid0(VALU_DEP_2)
	v_mov_b32_e32 v4, v7
	s_cmp_le_i32 s30, s4
	s_mov_b32 s9, s5
	s_mov_b32 s10, s30
	ds_load_b64 v[1:2], v3 offset:128
	s_cbranch_scc1 .LBB137_100
	.p2align	6
.LBB137_99:                             ;   Parent Loop BB137_98 Depth=1
                                        ; =>  This Inner Loop Header: Depth=2
	v_mov_b32_e32 v9, s9
	s_add_i32 s10, s10, -1
	s_sub_i32 s9, s9, 32
	s_cmp_le_i32 s10, s4
	ds_load_b64 v[5:6], v4
	ds_load_b64 v[9:10], v9
	v_subrev_nc_u32_e32 v4, 32, v4
	s_waitcnt lgkmcnt(0)
	v_mul_f32_e32 v11, v10, v6
	v_mul_f32_e32 v6, v9, v6
	s_delay_alu instid0(VALU_DEP_2) | instskip(NEXT) | instid1(VALU_DEP_2)
	v_fma_f32 v9, v9, v5, -v11
	v_fmac_f32_e32 v6, v10, v5
	s_delay_alu instid0(VALU_DEP_1)
	v_dual_sub_f32 v1, v1, v9 :: v_dual_sub_f32 v2, v2, v6
	s_cbranch_scc0 .LBB137_99
.LBB137_100:                            ;   in Loop: Header=BB137_98 Depth=1
	s_mul_i32 s9, s4, 40
	v_add_nc_u32_e32 v9, 0x80, v3
	v_mov_b32_e32 v3, s9
	ds_load_b64 v[3:4], v3
	s_waitcnt lgkmcnt(0)
	v_cmp_gt_f32_e32 vcc_lo, 0, v3
	v_cndmask_b32_e64 v5, v3, -v3, vcc_lo
	v_cmp_gt_f32_e32 vcc_lo, 0, v4
	v_cndmask_b32_e64 v6, v4, -v4, vcc_lo
	s_delay_alu instid0(VALU_DEP_1)
	v_cmp_ngt_f32_e32 vcc_lo, v5, v6
	s_cbranch_vccz .LBB137_102
; %bb.101:                              ;   in Loop: Header=BB137_98 Depth=1
	v_div_scale_f32 v5, null, v4, v4, v3
	v_div_scale_f32 v11, vcc_lo, v3, v4, v3
	s_delay_alu instid0(VALU_DEP_2) | instskip(SKIP_2) | instid1(VALU_DEP_1)
	v_rcp_f32_e32 v6, v5
	s_waitcnt_depctr 0xfff
	v_fma_f32 v10, -v5, v6, 1.0
	v_fmac_f32_e32 v6, v10, v6
	s_delay_alu instid0(VALU_DEP_1) | instskip(NEXT) | instid1(VALU_DEP_1)
	v_mul_f32_e32 v10, v11, v6
	v_fma_f32 v12, -v5, v10, v11
	s_delay_alu instid0(VALU_DEP_1) | instskip(NEXT) | instid1(VALU_DEP_1)
	v_fmac_f32_e32 v10, v12, v6
	v_fma_f32 v5, -v5, v10, v11
	s_delay_alu instid0(VALU_DEP_1) | instskip(NEXT) | instid1(VALU_DEP_1)
	v_div_fmas_f32 v5, v5, v6, v10
	v_div_fixup_f32 v5, v5, v4, v3
	s_delay_alu instid0(VALU_DEP_1) | instskip(NEXT) | instid1(VALU_DEP_1)
	v_fma_f32 v6, v3, v5, v4
	v_div_scale_f32 v10, null, v6, v6, 1.0
	v_div_scale_f32 v13, vcc_lo, 1.0, v6, 1.0
	s_delay_alu instid0(VALU_DEP_2) | instskip(SKIP_2) | instid1(VALU_DEP_1)
	v_rcp_f32_e32 v11, v10
	s_waitcnt_depctr 0xfff
	v_fma_f32 v12, -v10, v11, 1.0
	v_fmac_f32_e32 v11, v12, v11
	s_delay_alu instid0(VALU_DEP_1) | instskip(NEXT) | instid1(VALU_DEP_1)
	v_mul_f32_e32 v12, v13, v11
	v_fma_f32 v14, -v10, v12, v13
	s_delay_alu instid0(VALU_DEP_1) | instskip(NEXT) | instid1(VALU_DEP_1)
	v_fmac_f32_e32 v12, v14, v11
	v_fma_f32 v10, -v10, v12, v13
	s_delay_alu instid0(VALU_DEP_1) | instskip(SKIP_1) | instid1(VALU_DEP_2)
	v_div_fmas_f32 v10, v10, v11, v12
	v_fma_f32 v11, v1, v5, v2
	v_div_fixup_f32 v6, v10, v6, 1.0
	v_fma_f32 v10, v2, v5, -v1
	s_delay_alu instid0(VALU_DEP_2) | instskip(NEXT) | instid1(VALU_DEP_2)
	v_mul_f32_e32 v5, v11, v6
	v_mul_f32_e32 v6, v10, v6
	s_cbranch_execnz .LBB137_97
	s_branch .LBB137_103
.LBB137_102:                            ;   in Loop: Header=BB137_98 Depth=1
                                        ; implicit-def: $vgpr5
.LBB137_103:                            ;   in Loop: Header=BB137_98 Depth=1
	v_div_scale_f32 v5, null, v3, v3, v4
	v_div_scale_f32 v11, vcc_lo, v4, v3, v4
	s_delay_alu instid0(VALU_DEP_2) | instskip(SKIP_2) | instid1(VALU_DEP_1)
	v_rcp_f32_e32 v6, v5
	s_waitcnt_depctr 0xfff
	v_fma_f32 v10, -v5, v6, 1.0
	v_fmac_f32_e32 v6, v10, v6
	s_delay_alu instid0(VALU_DEP_1) | instskip(NEXT) | instid1(VALU_DEP_1)
	v_mul_f32_e32 v10, v11, v6
	v_fma_f32 v12, -v5, v10, v11
	s_delay_alu instid0(VALU_DEP_1) | instskip(NEXT) | instid1(VALU_DEP_1)
	v_fmac_f32_e32 v10, v12, v6
	v_fma_f32 v5, -v5, v10, v11
	s_delay_alu instid0(VALU_DEP_1) | instskip(NEXT) | instid1(VALU_DEP_1)
	v_div_fmas_f32 v5, v5, v6, v10
	v_div_fixup_f32 v5, v5, v3, v4
	s_delay_alu instid0(VALU_DEP_1) | instskip(NEXT) | instid1(VALU_DEP_1)
	v_fmac_f32_e32 v3, v4, v5
	v_div_scale_f32 v4, null, v3, v3, 1.0
	v_div_scale_f32 v11, vcc_lo, 1.0, v3, 1.0
	s_delay_alu instid0(VALU_DEP_2) | instskip(SKIP_2) | instid1(VALU_DEP_1)
	v_rcp_f32_e32 v6, v4
	s_waitcnt_depctr 0xfff
	v_fma_f32 v10, -v4, v6, 1.0
	v_fmac_f32_e32 v6, v10, v6
	s_delay_alu instid0(VALU_DEP_1) | instskip(NEXT) | instid1(VALU_DEP_1)
	v_mul_f32_e32 v10, v11, v6
	v_fma_f32 v12, -v4, v10, v11
	s_delay_alu instid0(VALU_DEP_1) | instskip(NEXT) | instid1(VALU_DEP_1)
	v_fmac_f32_e32 v10, v12, v6
	v_fma_f32 v4, -v4, v10, v11
	s_delay_alu instid0(VALU_DEP_1) | instskip(SKIP_2) | instid1(VALU_DEP_3)
	v_div_fmas_f32 v4, v4, v6, v10
	v_fma_f32 v6, v2, v5, v1
	v_fma_f32 v1, -v1, v5, v2
	v_div_fixup_f32 v3, v4, v3, 1.0
	s_delay_alu instid0(VALU_DEP_1) | instskip(NEXT) | instid1(VALU_DEP_3)
	v_mul_f32_e32 v5, v6, v3
	v_mul_f32_e32 v6, v1, v3
	s_branch .LBB137_97
.LBB137_104:
	s_mov_b32 s4, 0
.LBB137_105:
	s_delay_alu instid0(SALU_CYCLE_1)
	s_and_not1_b32 vcc_lo, exec_lo, s4
	s_cbranch_vccnz .LBB137_133
; %bb.106:
	s_and_b32 vcc_lo, exec_lo, s1
	s_mov_b32 s1, s30
	s_cbranch_vccz .LBB137_124
; %bb.107:
	s_lshl_b32 s1, s11, 2
	s_mul_i32 s9, s30, 40
	s_add_i32 s5, s1, -12
	v_lshlrev_b32_e32 v3, 3, v0
	v_or_b32_e32 v4, s5, v0
	v_mov_b32_e32 v1, s9
	s_add_i32 s1, s1, -16
	s_add_i32 s4, s11, -2
	v_or_b32_e32 v5, s1, v0
	v_lshlrev_b32_e32 v14, 3, v4
	ds_load_b64 v[1:2], v1
	v_lshl_or_b32 v16, s30, 5, v3
	v_lshl_or_b32 v15, s4, 5, v3
	v_lshlrev_b32_e32 v13, 3, v5
	ds_load_b64 v[3:4], v16 offset:128
	ds_load_b64 v[11:12], v15 offset:128
	;; [unrolled: 1-line block ×4, first 2 shown]
	s_mov_b32 s10, 0
	s_waitcnt lgkmcnt(4)
	v_cmp_gt_f32_e32 vcc_lo, 0, v1
	v_cndmask_b32_e64 v7, v1, -v1, vcc_lo
	v_cmp_gt_f32_e32 vcc_lo, 0, v2
	v_cndmask_b32_e64 v8, v2, -v2, vcc_lo
	s_delay_alu instid0(VALU_DEP_1)
	v_cmp_ngt_f32_e32 vcc_lo, v7, v8
	s_cbranch_vccz .LBB137_109
; %bb.108:
	v_div_scale_f32 v7, null, v2, v2, v1
	v_div_scale_f32 v18, vcc_lo, v1, v2, v1
	s_delay_alu instid0(VALU_DEP_2) | instskip(SKIP_2) | instid1(VALU_DEP_1)
	v_rcp_f32_e32 v8, v7
	s_waitcnt_depctr 0xfff
	v_fma_f32 v17, -v7, v8, 1.0
	v_fmac_f32_e32 v8, v17, v8
	s_delay_alu instid0(VALU_DEP_1) | instskip(NEXT) | instid1(VALU_DEP_1)
	v_mul_f32_e32 v17, v18, v8
	v_fma_f32 v19, -v7, v17, v18
	s_delay_alu instid0(VALU_DEP_1) | instskip(NEXT) | instid1(VALU_DEP_1)
	v_fmac_f32_e32 v17, v19, v8
	v_fma_f32 v7, -v7, v17, v18
	s_delay_alu instid0(VALU_DEP_1) | instskip(NEXT) | instid1(VALU_DEP_1)
	v_div_fmas_f32 v7, v7, v8, v17
	v_div_fixup_f32 v7, v7, v2, v1
	s_delay_alu instid0(VALU_DEP_1) | instskip(NEXT) | instid1(VALU_DEP_1)
	v_fma_f32 v8, v1, v7, v2
	v_div_scale_f32 v17, null, v8, v8, 1.0
	v_div_scale_f32 v20, vcc_lo, 1.0, v8, 1.0
	s_delay_alu instid0(VALU_DEP_2) | instskip(SKIP_2) | instid1(VALU_DEP_1)
	v_rcp_f32_e32 v18, v17
	s_waitcnt_depctr 0xfff
	v_fma_f32 v19, -v17, v18, 1.0
	v_fmac_f32_e32 v18, v19, v18
	s_delay_alu instid0(VALU_DEP_1) | instskip(NEXT) | instid1(VALU_DEP_1)
	v_mul_f32_e32 v19, v20, v18
	v_fma_f32 v21, -v17, v19, v20
	s_delay_alu instid0(VALU_DEP_1) | instskip(NEXT) | instid1(VALU_DEP_1)
	v_fmac_f32_e32 v19, v21, v18
	v_fma_f32 v17, -v17, v19, v20
	s_delay_alu instid0(VALU_DEP_1) | instskip(SKIP_2) | instid1(VALU_DEP_2)
	v_div_fmas_f32 v17, v17, v18, v19
	s_waitcnt lgkmcnt(3)
	v_fma_f32 v18, v3, v7, v4
	v_div_fixup_f32 v8, v17, v8, 1.0
	v_fma_f32 v17, v4, v7, -v3
	s_delay_alu instid0(VALU_DEP_2) | instskip(NEXT) | instid1(VALU_DEP_2)
	v_mul_f32_e32 v7, v18, v8
	v_mul_f32_e32 v8, v17, v8
	v_add_nc_u32_e32 v16, 0x80, v16
	s_and_not1_b32 vcc_lo, exec_lo, s10
	s_cbranch_vccz .LBB137_110
	s_branch .LBB137_111
.LBB137_109:
                                        ; implicit-def: $vgpr8
	v_add_nc_u32_e32 v16, 0x80, v16
.LBB137_110:
	v_div_scale_f32 v7, null, v1, v1, v2
	v_div_scale_f32 v18, vcc_lo, v2, v1, v2
	s_delay_alu instid0(VALU_DEP_2) | instskip(SKIP_2) | instid1(VALU_DEP_1)
	v_rcp_f32_e32 v8, v7
	s_waitcnt_depctr 0xfff
	v_fma_f32 v17, -v7, v8, 1.0
	v_fmac_f32_e32 v8, v17, v8
	s_delay_alu instid0(VALU_DEP_1) | instskip(NEXT) | instid1(VALU_DEP_1)
	v_mul_f32_e32 v17, v18, v8
	v_fma_f32 v19, -v7, v17, v18
	s_delay_alu instid0(VALU_DEP_1) | instskip(NEXT) | instid1(VALU_DEP_1)
	v_fmac_f32_e32 v17, v19, v8
	v_fma_f32 v7, -v7, v17, v18
	s_delay_alu instid0(VALU_DEP_1) | instskip(NEXT) | instid1(VALU_DEP_1)
	v_div_fmas_f32 v7, v7, v8, v17
	v_div_fixup_f32 v7, v7, v1, v2
	s_delay_alu instid0(VALU_DEP_1) | instskip(NEXT) | instid1(VALU_DEP_1)
	v_fmac_f32_e32 v1, v2, v7
	v_div_scale_f32 v2, null, v1, v1, 1.0
	v_div_scale_f32 v18, vcc_lo, 1.0, v1, 1.0
	s_delay_alu instid0(VALU_DEP_2) | instskip(SKIP_2) | instid1(VALU_DEP_1)
	v_rcp_f32_e32 v8, v2
	s_waitcnt_depctr 0xfff
	v_fma_f32 v17, -v2, v8, 1.0
	v_fmac_f32_e32 v8, v17, v8
	s_delay_alu instid0(VALU_DEP_1) | instskip(NEXT) | instid1(VALU_DEP_1)
	v_mul_f32_e32 v17, v18, v8
	v_fma_f32 v19, -v2, v17, v18
	s_delay_alu instid0(VALU_DEP_1) | instskip(NEXT) | instid1(VALU_DEP_1)
	v_fmac_f32_e32 v17, v19, v8
	v_fma_f32 v2, -v2, v17, v18
	s_delay_alu instid0(VALU_DEP_1) | instskip(SKIP_2) | instid1(VALU_DEP_2)
	v_div_fmas_f32 v2, v2, v8, v17
	s_waitcnt lgkmcnt(3)
	v_fma_f32 v8, v4, v7, v3
	v_div_fixup_f32 v1, v2, v1, 1.0
	v_fma_f32 v2, -v3, v7, v4
	s_delay_alu instid0(VALU_DEP_2) | instskip(NEXT) | instid1(VALU_DEP_2)
	v_mul_f32_e32 v7, v8, v1
	v_mul_f32_e32 v8, v2, v1
.LBB137_111:
	s_sub_i32 s9, s9, 40
	s_mov_b32 s10, 0
	v_mov_b32_e32 v1, s9
	ds_store_b64 v16, v[7:8]
	s_waitcnt lgkmcnt(4)
	ds_load_2addr_b64 v[1:4], v1 offset1:1
	s_waitcnt lgkmcnt(0)
	v_cmp_gt_f32_e32 vcc_lo, 0, v1
	v_mul_f32_e32 v17, v8, v4
	v_mul_f32_e32 v4, v7, v4
	v_cndmask_b32_e64 v18, v1, -v1, vcc_lo
	v_cmp_gt_f32_e32 vcc_lo, 0, v2
	s_delay_alu instid0(VALU_DEP_4) | instskip(NEXT) | instid1(VALU_DEP_4)
	v_fma_f32 v17, v7, v3, -v17
	v_fmac_f32_e32 v4, v8, v3
	v_cndmask_b32_e64 v19, v2, -v2, vcc_lo
	s_delay_alu instid0(VALU_DEP_2) | instskip(NEXT) | instid1(VALU_DEP_2)
	v_dual_sub_f32 v3, v11, v17 :: v_dual_sub_f32 v4, v12, v4
	v_cmp_ngt_f32_e32 vcc_lo, v18, v19
	s_cbranch_vccz .LBB137_113
; %bb.112:
	v_div_scale_f32 v11, null, v2, v2, v1
	v_div_scale_f32 v17, vcc_lo, v1, v2, v1
	s_delay_alu instid0(VALU_DEP_2) | instskip(SKIP_2) | instid1(VALU_DEP_1)
	v_rcp_f32_e32 v12, v11
	s_waitcnt_depctr 0xfff
	v_fma_f32 v16, -v11, v12, 1.0
	v_fmac_f32_e32 v12, v16, v12
	s_delay_alu instid0(VALU_DEP_1) | instskip(NEXT) | instid1(VALU_DEP_1)
	v_mul_f32_e32 v16, v17, v12
	v_fma_f32 v18, -v11, v16, v17
	s_delay_alu instid0(VALU_DEP_1) | instskip(NEXT) | instid1(VALU_DEP_1)
	v_fmac_f32_e32 v16, v18, v12
	v_fma_f32 v11, -v11, v16, v17
	s_delay_alu instid0(VALU_DEP_1) | instskip(NEXT) | instid1(VALU_DEP_1)
	v_div_fmas_f32 v11, v11, v12, v16
	v_div_fixup_f32 v11, v11, v2, v1
	s_delay_alu instid0(VALU_DEP_1) | instskip(NEXT) | instid1(VALU_DEP_1)
	v_fma_f32 v12, v1, v11, v2
	v_div_scale_f32 v16, null, v12, v12, 1.0
	v_div_scale_f32 v19, vcc_lo, 1.0, v12, 1.0
	s_delay_alu instid0(VALU_DEP_2) | instskip(SKIP_2) | instid1(VALU_DEP_1)
	v_rcp_f32_e32 v17, v16
	s_waitcnt_depctr 0xfff
	v_fma_f32 v18, -v16, v17, 1.0
	v_fmac_f32_e32 v17, v18, v17
	s_delay_alu instid0(VALU_DEP_1) | instskip(NEXT) | instid1(VALU_DEP_1)
	v_mul_f32_e32 v18, v19, v17
	v_fma_f32 v20, -v16, v18, v19
	s_delay_alu instid0(VALU_DEP_1) | instskip(NEXT) | instid1(VALU_DEP_1)
	v_fmac_f32_e32 v18, v20, v17
	v_fma_f32 v16, -v16, v18, v19
	s_delay_alu instid0(VALU_DEP_1) | instskip(SKIP_1) | instid1(VALU_DEP_2)
	v_div_fmas_f32 v16, v16, v17, v18
	v_fma_f32 v17, v11, v3, v4
	v_div_fixup_f32 v12, v16, v12, 1.0
	v_fma_f32 v16, v11, v4, -v3
	s_delay_alu instid0(VALU_DEP_2) | instskip(NEXT) | instid1(VALU_DEP_2)
	v_mul_f32_e32 v11, v17, v12
	v_dual_mul_f32 v12, v16, v12 :: v_dual_add_nc_u32 v15, 0x80, v15
	s_and_not1_b32 vcc_lo, exec_lo, s10
	s_cbranch_vccz .LBB137_114
	s_branch .LBB137_115
.LBB137_113:
                                        ; implicit-def: $vgpr12
	v_add_nc_u32_e32 v15, 0x80, v15
.LBB137_114:
	v_div_scale_f32 v11, null, v1, v1, v2
	v_div_scale_f32 v17, vcc_lo, v2, v1, v2
	s_delay_alu instid0(VALU_DEP_2) | instskip(SKIP_2) | instid1(VALU_DEP_1)
	v_rcp_f32_e32 v12, v11
	s_waitcnt_depctr 0xfff
	v_fma_f32 v16, -v11, v12, 1.0
	v_fmac_f32_e32 v12, v16, v12
	s_delay_alu instid0(VALU_DEP_1) | instskip(NEXT) | instid1(VALU_DEP_1)
	v_mul_f32_e32 v16, v17, v12
	v_fma_f32 v18, -v11, v16, v17
	s_delay_alu instid0(VALU_DEP_1) | instskip(NEXT) | instid1(VALU_DEP_1)
	v_fmac_f32_e32 v16, v18, v12
	v_fma_f32 v11, -v11, v16, v17
	s_delay_alu instid0(VALU_DEP_1) | instskip(NEXT) | instid1(VALU_DEP_1)
	v_div_fmas_f32 v11, v11, v12, v16
	v_div_fixup_f32 v11, v11, v1, v2
	s_delay_alu instid0(VALU_DEP_1) | instskip(NEXT) | instid1(VALU_DEP_1)
	v_fmac_f32_e32 v1, v2, v11
	v_div_scale_f32 v2, null, v1, v1, 1.0
	v_div_scale_f32 v17, vcc_lo, 1.0, v1, 1.0
	s_delay_alu instid0(VALU_DEP_2) | instskip(SKIP_2) | instid1(VALU_DEP_1)
	v_rcp_f32_e32 v12, v2
	s_waitcnt_depctr 0xfff
	v_fma_f32 v16, -v2, v12, 1.0
	v_fmac_f32_e32 v12, v16, v12
	s_delay_alu instid0(VALU_DEP_1) | instskip(NEXT) | instid1(VALU_DEP_1)
	v_mul_f32_e32 v16, v17, v12
	v_fma_f32 v18, -v2, v16, v17
	s_delay_alu instid0(VALU_DEP_1) | instskip(NEXT) | instid1(VALU_DEP_1)
	v_fmac_f32_e32 v16, v18, v12
	v_fma_f32 v2, -v2, v16, v17
	s_delay_alu instid0(VALU_DEP_1) | instskip(SKIP_1) | instid1(VALU_DEP_2)
	v_div_fmas_f32 v2, v2, v12, v16
	v_fma_f32 v12, v11, v4, v3
	v_div_fixup_f32 v1, v2, v1, 1.0
	v_fma_f32 v2, -v11, v3, v4
	s_delay_alu instid0(VALU_DEP_2) | instskip(NEXT) | instid1(VALU_DEP_2)
	v_mul_f32_e32 v11, v12, v1
	v_mul_f32_e32 v12, v2, v1
.LBB137_115:
	s_add_i32 s5, s5, s30
	s_delay_alu instid0(SALU_CYCLE_1) | instskip(SKIP_1) | instid1(SALU_CYCLE_1)
	s_lshl_b32 s10, s5, 3
	s_sub_i32 s5, s9, 40
	v_dual_mov_b32 v1, s10 :: v_dual_mov_b32 v2, s5
	s_mov_b32 s9, 0
	ds_load_b64 v[16:17], v1
	ds_load_2addr_b64 v[1:4], v2 offset1:1
	ds_store_b64 v15, v[11:12]
	s_waitcnt lgkmcnt(1)
	v_mul_f32_e32 v19, v12, v4
	v_cmp_gt_f32_e32 vcc_lo, 0, v1
	s_delay_alu instid0(VALU_DEP_2) | instskip(SKIP_3) | instid1(VALU_DEP_3)
	v_fma_f32 v19, v11, v3, -v19
	v_mul_f32_e32 v18, v8, v17
	v_cndmask_b32_e64 v20, v1, -v1, vcc_lo
	v_cmp_gt_f32_e32 vcc_lo, 0, v2
	v_fma_f32 v18, v7, v16, -v18
	v_mul_f32_e32 v4, v11, v4
	s_delay_alu instid0(VALU_DEP_1) | instskip(NEXT) | instid1(VALU_DEP_1)
	v_dual_mul_f32 v17, v7, v17 :: v_dual_fmac_f32 v4, v12, v3
	v_fmac_f32_e32 v17, v8, v16
	v_cndmask_b32_e64 v16, v2, -v2, vcc_lo
	v_sub_f32_e32 v3, v9, v18
	s_delay_alu instid0(VALU_DEP_3) | instskip(NEXT) | instid1(VALU_DEP_3)
	v_sub_f32_e32 v9, v10, v17
	v_cmp_ngt_f32_e32 vcc_lo, v20, v16
	s_delay_alu instid0(VALU_DEP_2)
	v_dual_sub_f32 v3, v3, v19 :: v_dual_sub_f32 v4, v9, v4
	s_cbranch_vccz .LBB137_117
; %bb.116:
	v_div_scale_f32 v9, null, v2, v2, v1
	v_div_scale_f32 v16, vcc_lo, v1, v2, v1
	s_delay_alu instid0(VALU_DEP_2) | instskip(SKIP_2) | instid1(VALU_DEP_1)
	v_rcp_f32_e32 v10, v9
	s_waitcnt_depctr 0xfff
	v_fma_f32 v15, -v9, v10, 1.0
	v_fmac_f32_e32 v10, v15, v10
	s_delay_alu instid0(VALU_DEP_1) | instskip(NEXT) | instid1(VALU_DEP_1)
	v_mul_f32_e32 v15, v16, v10
	v_fma_f32 v17, -v9, v15, v16
	s_delay_alu instid0(VALU_DEP_1) | instskip(NEXT) | instid1(VALU_DEP_1)
	v_fmac_f32_e32 v15, v17, v10
	v_fma_f32 v9, -v9, v15, v16
	s_delay_alu instid0(VALU_DEP_1) | instskip(NEXT) | instid1(VALU_DEP_1)
	v_div_fmas_f32 v9, v9, v10, v15
	v_div_fixup_f32 v9, v9, v2, v1
	s_delay_alu instid0(VALU_DEP_1) | instskip(NEXT) | instid1(VALU_DEP_1)
	v_fma_f32 v10, v1, v9, v2
	v_div_scale_f32 v15, null, v10, v10, 1.0
	v_div_scale_f32 v18, vcc_lo, 1.0, v10, 1.0
	s_delay_alu instid0(VALU_DEP_2) | instskip(SKIP_2) | instid1(VALU_DEP_1)
	v_rcp_f32_e32 v16, v15
	s_waitcnt_depctr 0xfff
	v_fma_f32 v17, -v15, v16, 1.0
	v_fmac_f32_e32 v16, v17, v16
	s_delay_alu instid0(VALU_DEP_1) | instskip(NEXT) | instid1(VALU_DEP_1)
	v_mul_f32_e32 v17, v18, v16
	v_fma_f32 v19, -v15, v17, v18
	s_delay_alu instid0(VALU_DEP_1) | instskip(NEXT) | instid1(VALU_DEP_1)
	v_fmac_f32_e32 v17, v19, v16
	v_fma_f32 v15, -v15, v17, v18
	s_delay_alu instid0(VALU_DEP_1) | instskip(SKIP_1) | instid1(VALU_DEP_2)
	v_div_fmas_f32 v15, v15, v16, v17
	v_fma_f32 v16, v9, v3, v4
	v_div_fixup_f32 v10, v15, v10, 1.0
	v_fma_f32 v15, v9, v4, -v3
	s_delay_alu instid0(VALU_DEP_2) | instskip(NEXT) | instid1(VALU_DEP_2)
	v_mul_f32_e32 v9, v16, v10
	v_mul_f32_e32 v10, v15, v10
	v_add_nc_u32_e32 v14, 0x80, v14
	s_and_not1_b32 vcc_lo, exec_lo, s9
	s_cbranch_vccz .LBB137_118
	s_branch .LBB137_119
.LBB137_117:
                                        ; implicit-def: $vgpr10
	v_add_nc_u32_e32 v14, 0x80, v14
.LBB137_118:
	v_div_scale_f32 v9, null, v1, v1, v2
	v_div_scale_f32 v16, vcc_lo, v2, v1, v2
	s_delay_alu instid0(VALU_DEP_2) | instskip(SKIP_2) | instid1(VALU_DEP_1)
	v_rcp_f32_e32 v10, v9
	s_waitcnt_depctr 0xfff
	v_fma_f32 v15, -v9, v10, 1.0
	v_fmac_f32_e32 v10, v15, v10
	s_delay_alu instid0(VALU_DEP_1) | instskip(NEXT) | instid1(VALU_DEP_1)
	v_mul_f32_e32 v15, v16, v10
	v_fma_f32 v17, -v9, v15, v16
	s_delay_alu instid0(VALU_DEP_1) | instskip(NEXT) | instid1(VALU_DEP_1)
	v_fmac_f32_e32 v15, v17, v10
	v_fma_f32 v9, -v9, v15, v16
	s_delay_alu instid0(VALU_DEP_1) | instskip(NEXT) | instid1(VALU_DEP_1)
	v_div_fmas_f32 v9, v9, v10, v15
	v_div_fixup_f32 v9, v9, v1, v2
	s_delay_alu instid0(VALU_DEP_1) | instskip(NEXT) | instid1(VALU_DEP_1)
	v_fmac_f32_e32 v1, v2, v9
	v_div_scale_f32 v2, null, v1, v1, 1.0
	v_div_scale_f32 v16, vcc_lo, 1.0, v1, 1.0
	s_delay_alu instid0(VALU_DEP_2) | instskip(SKIP_2) | instid1(VALU_DEP_1)
	v_rcp_f32_e32 v10, v2
	s_waitcnt_depctr 0xfff
	v_fma_f32 v15, -v2, v10, 1.0
	v_fmac_f32_e32 v10, v15, v10
	s_delay_alu instid0(VALU_DEP_1) | instskip(NEXT) | instid1(VALU_DEP_1)
	v_mul_f32_e32 v15, v16, v10
	v_fma_f32 v17, -v2, v15, v16
	s_delay_alu instid0(VALU_DEP_1) | instskip(NEXT) | instid1(VALU_DEP_1)
	v_fmac_f32_e32 v15, v17, v10
	v_fma_f32 v2, -v2, v15, v16
	s_delay_alu instid0(VALU_DEP_1) | instskip(SKIP_1) | instid1(VALU_DEP_2)
	v_div_fmas_f32 v2, v2, v10, v15
	v_fma_f32 v10, v9, v4, v3
	v_div_fixup_f32 v1, v2, v1, 1.0
	v_fma_f32 v2, -v9, v3, v4
	s_delay_alu instid0(VALU_DEP_2) | instskip(NEXT) | instid1(VALU_DEP_2)
	v_mul_f32_e32 v9, v10, v1
	v_mul_f32_e32 v10, v2, v1
.LBB137_119:
	s_add_i32 s1, s1, s4
	s_delay_alu instid0(SALU_CYCLE_1) | instskip(NEXT) | instid1(SALU_CYCLE_1)
	s_lshl_b32 s1, s1, 3
	v_mov_b32_e32 v1, s1
	s_sub_i32 s1, s5, 40
	s_delay_alu instid0(SALU_CYCLE_1)
	v_mov_b32_e32 v2, s1
	s_mov_b32 s1, 0
	ds_load_2addr_b64 v[15:18], v1 offset1:1
	ds_load_2addr_b64 v[1:4], v2 offset1:1
	ds_store_b64 v14, v[9:10]
	s_waitcnt lgkmcnt(2)
	v_mul_f32_e32 v19, v8, v18
	s_waitcnt lgkmcnt(1)
	v_dual_mul_f32 v18, v7, v18 :: v_dual_mul_f32 v21, v10, v4
	v_mul_f32_e32 v20, v12, v16
	v_mul_f32_e32 v16, v11, v16
	v_fma_f32 v7, v7, v17, -v19
	v_cmp_gt_f32_e32 vcc_lo, 0, v1
	v_mul_f32_e32 v4, v9, v4
	s_delay_alu instid0(VALU_DEP_4) | instskip(NEXT) | instid1(VALU_DEP_4)
	v_fmac_f32_e32 v16, v12, v15
	v_sub_f32_e32 v5, v5, v7
	v_fma_f32 v11, v11, v15, -v20
	v_fmac_f32_e32 v18, v8, v17
	v_cndmask_b32_e64 v8, v1, -v1, vcc_lo
	v_cmp_gt_f32_e32 vcc_lo, 0, v2
	v_fma_f32 v12, v9, v3, -v21
	v_fmac_f32_e32 v4, v10, v3
	v_dual_sub_f32 v3, v5, v11 :: v_dual_sub_f32 v6, v6, v18
	v_cndmask_b32_e64 v7, v2, -v2, vcc_lo
	s_delay_alu instid0(VALU_DEP_2) | instskip(NEXT) | instid1(VALU_DEP_3)
	v_sub_f32_e32 v5, v3, v12
	v_sub_f32_e32 v6, v6, v16
	s_delay_alu instid0(VALU_DEP_3) | instskip(NEXT) | instid1(VALU_DEP_2)
	v_cmp_ngt_f32_e32 vcc_lo, v8, v7
	v_sub_f32_e32 v6, v6, v4
	s_cbranch_vccz .LBB137_121
; %bb.120:
	v_div_scale_f32 v3, null, v2, v2, v1
	v_div_scale_f32 v8, vcc_lo, v1, v2, v1
	s_delay_alu instid0(VALU_DEP_2) | instskip(SKIP_2) | instid1(VALU_DEP_1)
	v_rcp_f32_e32 v4, v3
	s_waitcnt_depctr 0xfff
	v_fma_f32 v7, -v3, v4, 1.0
	v_fmac_f32_e32 v4, v7, v4
	s_delay_alu instid0(VALU_DEP_1) | instskip(NEXT) | instid1(VALU_DEP_1)
	v_mul_f32_e32 v7, v8, v4
	v_fma_f32 v9, -v3, v7, v8
	s_delay_alu instid0(VALU_DEP_1) | instskip(NEXT) | instid1(VALU_DEP_1)
	v_fmac_f32_e32 v7, v9, v4
	v_fma_f32 v3, -v3, v7, v8
	s_delay_alu instid0(VALU_DEP_1) | instskip(NEXT) | instid1(VALU_DEP_1)
	v_div_fmas_f32 v3, v3, v4, v7
	v_div_fixup_f32 v3, v3, v2, v1
	s_delay_alu instid0(VALU_DEP_1) | instskip(NEXT) | instid1(VALU_DEP_1)
	v_fma_f32 v4, v1, v3, v2
	v_div_scale_f32 v7, null, v4, v4, 1.0
	v_div_scale_f32 v10, vcc_lo, 1.0, v4, 1.0
	s_delay_alu instid0(VALU_DEP_2) | instskip(SKIP_2) | instid1(VALU_DEP_1)
	v_rcp_f32_e32 v8, v7
	s_waitcnt_depctr 0xfff
	v_fma_f32 v9, -v7, v8, 1.0
	v_fmac_f32_e32 v8, v9, v8
	s_delay_alu instid0(VALU_DEP_1) | instskip(NEXT) | instid1(VALU_DEP_1)
	v_mul_f32_e32 v9, v10, v8
	v_fma_f32 v11, -v7, v9, v10
	s_delay_alu instid0(VALU_DEP_1) | instskip(NEXT) | instid1(VALU_DEP_1)
	v_fmac_f32_e32 v9, v11, v8
	v_fma_f32 v7, -v7, v9, v10
	s_delay_alu instid0(VALU_DEP_1) | instskip(SKIP_1) | instid1(VALU_DEP_2)
	v_div_fmas_f32 v7, v7, v8, v9
	v_fma_f32 v8, v3, v5, v6
	v_div_fixup_f32 v4, v7, v4, 1.0
	v_fma_f32 v7, v3, v6, -v5
	s_delay_alu instid0(VALU_DEP_2) | instskip(NEXT) | instid1(VALU_DEP_2)
	v_mul_f32_e32 v3, v8, v4
	v_dual_mul_f32 v4, v7, v4 :: v_dual_add_nc_u32 v7, 0x80, v13
	s_and_not1_b32 vcc_lo, exec_lo, s1
	s_cbranch_vccz .LBB137_122
	s_branch .LBB137_123
.LBB137_121:
                                        ; implicit-def: $vgpr4
	v_add_nc_u32_e32 v7, 0x80, v13
.LBB137_122:
	v_div_scale_f32 v3, null, v1, v1, v2
	v_div_scale_f32 v9, vcc_lo, v2, v1, v2
	s_delay_alu instid0(VALU_DEP_2) | instskip(SKIP_2) | instid1(VALU_DEP_1)
	v_rcp_f32_e32 v4, v3
	s_waitcnt_depctr 0xfff
	v_fma_f32 v8, -v3, v4, 1.0
	v_fmac_f32_e32 v4, v8, v4
	s_delay_alu instid0(VALU_DEP_1) | instskip(NEXT) | instid1(VALU_DEP_1)
	v_mul_f32_e32 v8, v9, v4
	v_fma_f32 v10, -v3, v8, v9
	s_delay_alu instid0(VALU_DEP_1) | instskip(NEXT) | instid1(VALU_DEP_1)
	v_fmac_f32_e32 v8, v10, v4
	v_fma_f32 v3, -v3, v8, v9
	s_delay_alu instid0(VALU_DEP_1) | instskip(NEXT) | instid1(VALU_DEP_1)
	v_div_fmas_f32 v3, v3, v4, v8
	v_div_fixup_f32 v3, v3, v1, v2
	s_delay_alu instid0(VALU_DEP_1) | instskip(NEXT) | instid1(VALU_DEP_1)
	v_fmac_f32_e32 v1, v2, v3
	v_div_scale_f32 v2, null, v1, v1, 1.0
	v_div_scale_f32 v9, vcc_lo, 1.0, v1, 1.0
	s_delay_alu instid0(VALU_DEP_2) | instskip(SKIP_2) | instid1(VALU_DEP_1)
	v_rcp_f32_e32 v4, v2
	s_waitcnt_depctr 0xfff
	v_fma_f32 v8, -v2, v4, 1.0
	v_fmac_f32_e32 v4, v8, v4
	s_delay_alu instid0(VALU_DEP_1) | instskip(NEXT) | instid1(VALU_DEP_1)
	v_mul_f32_e32 v8, v9, v4
	v_fma_f32 v10, -v2, v8, v9
	s_delay_alu instid0(VALU_DEP_1) | instskip(NEXT) | instid1(VALU_DEP_1)
	v_fmac_f32_e32 v8, v10, v4
	v_fma_f32 v2, -v2, v8, v9
	s_delay_alu instid0(VALU_DEP_1) | instskip(SKIP_1) | instid1(VALU_DEP_2)
	v_div_fmas_f32 v2, v2, v4, v8
	v_fma_f32 v4, v3, v6, v5
	v_div_fixup_f32 v1, v2, v1, 1.0
	v_fma_f32 v2, -v3, v5, v6
	s_delay_alu instid0(VALU_DEP_2) | instskip(NEXT) | instid1(VALU_DEP_2)
	v_mul_f32_e32 v3, v4, v1
	v_mul_f32_e32 v4, v2, v1
.LBB137_123:
	s_add_i32 s1, s11, -5
	ds_store_b64 v7, v[3:4]
.LBB137_124:
	s_cmp_lt_i32 s1, 0
	s_cbranch_scc1 .LBB137_133
; %bb.125:
	v_lshlrev_b32_e32 v7, 3, v0
	s_lshl_b32 s4, s1, 5
	s_lshl_b32 s5, s11, 3
	s_delay_alu instid0(SALU_CYCLE_1) | instskip(NEXT) | instid1(VALU_DEP_1)
	s_add_i32 s4, s4, s5
	v_lshl_or_b32 v1, s11, 5, v7
	s_add_i32 s4, s4, -8
	s_delay_alu instid0(VALU_DEP_1)
	v_add_nc_u32_e32 v8, 0x60, v1
	s_branch .LBB137_127
.LBB137_126:                            ;   in Loop: Header=BB137_127 Depth=1
	s_add_i32 s5, s1, -1
	s_sub_i32 s4, s4, 32
	s_cmp_lt_i32 s1, 1
	s_mov_b32 s1, s5
	ds_store_b64 v9, v[5:6]
	s_cbranch_scc1 .LBB137_133
.LBB137_127:                            ; =>This Loop Header: Depth=1
                                        ;     Child Loop BB137_128 Depth 2
	v_lshl_or_b32 v3, s1, 5, v7
	s_delay_alu instid0(VALU_DEP_2)
	v_mov_b32_e32 v4, v8
	s_cmp_le_i32 s30, s1
	s_mov_b32 s5, s4
	s_mov_b32 s9, s30
	ds_load_b64 v[1:2], v3 offset:128
	s_cbranch_scc1 .LBB137_129
	.p2align	6
.LBB137_128:                            ;   Parent Loop BB137_127 Depth=1
                                        ; =>  This Inner Loop Header: Depth=2
	v_mov_b32_e32 v9, s5
	s_add_i32 s9, s9, -1
	s_add_i32 s5, s5, -8
	s_cmp_le_i32 s9, s1
	ds_load_b64 v[5:6], v4
	ds_load_b64 v[9:10], v9
	v_subrev_nc_u32_e32 v4, 32, v4
	s_waitcnt lgkmcnt(0)
	v_mul_f32_e32 v11, v10, v6
	v_mul_f32_e32 v6, v9, v6
	s_delay_alu instid0(VALU_DEP_2) | instskip(NEXT) | instid1(VALU_DEP_2)
	v_fma_f32 v9, v9, v5, -v11
	v_fmac_f32_e32 v6, v10, v5
	s_delay_alu instid0(VALU_DEP_1)
	v_dual_sub_f32 v1, v1, v9 :: v_dual_sub_f32 v2, v2, v6
	s_cbranch_scc0 .LBB137_128
.LBB137_129:                            ;   in Loop: Header=BB137_127 Depth=1
	s_mul_i32 s5, s1, 40
	v_add_nc_u32_e32 v9, 0x80, v3
	v_mov_b32_e32 v3, s5
	ds_load_b64 v[3:4], v3
	s_waitcnt lgkmcnt(0)
	v_cmp_gt_f32_e32 vcc_lo, 0, v3
	v_cndmask_b32_e64 v5, v3, -v3, vcc_lo
	v_cmp_gt_f32_e32 vcc_lo, 0, v4
	v_cndmask_b32_e64 v6, v4, -v4, vcc_lo
	s_delay_alu instid0(VALU_DEP_1)
	v_cmp_ngt_f32_e32 vcc_lo, v5, v6
	s_cbranch_vccz .LBB137_131
; %bb.130:                              ;   in Loop: Header=BB137_127 Depth=1
	v_div_scale_f32 v5, null, v4, v4, v3
	v_div_scale_f32 v11, vcc_lo, v3, v4, v3
	s_delay_alu instid0(VALU_DEP_2) | instskip(SKIP_2) | instid1(VALU_DEP_1)
	v_rcp_f32_e32 v6, v5
	s_waitcnt_depctr 0xfff
	v_fma_f32 v10, -v5, v6, 1.0
	v_fmac_f32_e32 v6, v10, v6
	s_delay_alu instid0(VALU_DEP_1) | instskip(NEXT) | instid1(VALU_DEP_1)
	v_mul_f32_e32 v10, v11, v6
	v_fma_f32 v12, -v5, v10, v11
	s_delay_alu instid0(VALU_DEP_1) | instskip(NEXT) | instid1(VALU_DEP_1)
	v_fmac_f32_e32 v10, v12, v6
	v_fma_f32 v5, -v5, v10, v11
	s_delay_alu instid0(VALU_DEP_1) | instskip(NEXT) | instid1(VALU_DEP_1)
	v_div_fmas_f32 v5, v5, v6, v10
	v_div_fixup_f32 v5, v5, v4, v3
	s_delay_alu instid0(VALU_DEP_1) | instskip(NEXT) | instid1(VALU_DEP_1)
	v_fma_f32 v6, v3, v5, v4
	v_div_scale_f32 v10, null, v6, v6, 1.0
	v_div_scale_f32 v13, vcc_lo, 1.0, v6, 1.0
	s_delay_alu instid0(VALU_DEP_2) | instskip(SKIP_2) | instid1(VALU_DEP_1)
	v_rcp_f32_e32 v11, v10
	s_waitcnt_depctr 0xfff
	v_fma_f32 v12, -v10, v11, 1.0
	v_fmac_f32_e32 v11, v12, v11
	s_delay_alu instid0(VALU_DEP_1) | instskip(NEXT) | instid1(VALU_DEP_1)
	v_mul_f32_e32 v12, v13, v11
	v_fma_f32 v14, -v10, v12, v13
	s_delay_alu instid0(VALU_DEP_1) | instskip(NEXT) | instid1(VALU_DEP_1)
	v_fmac_f32_e32 v12, v14, v11
	v_fma_f32 v10, -v10, v12, v13
	s_delay_alu instid0(VALU_DEP_1) | instskip(SKIP_1) | instid1(VALU_DEP_2)
	v_div_fmas_f32 v10, v10, v11, v12
	v_fma_f32 v11, v1, v5, v2
	v_div_fixup_f32 v6, v10, v6, 1.0
	v_fma_f32 v10, v2, v5, -v1
	s_delay_alu instid0(VALU_DEP_2) | instskip(NEXT) | instid1(VALU_DEP_2)
	v_mul_f32_e32 v5, v11, v6
	v_mul_f32_e32 v6, v10, v6
	s_cbranch_execnz .LBB137_126
	s_branch .LBB137_132
.LBB137_131:                            ;   in Loop: Header=BB137_127 Depth=1
                                        ; implicit-def: $vgpr5
.LBB137_132:                            ;   in Loop: Header=BB137_127 Depth=1
	v_div_scale_f32 v5, null, v3, v3, v4
	v_div_scale_f32 v11, vcc_lo, v4, v3, v4
	s_delay_alu instid0(VALU_DEP_2) | instskip(SKIP_2) | instid1(VALU_DEP_1)
	v_rcp_f32_e32 v6, v5
	s_waitcnt_depctr 0xfff
	v_fma_f32 v10, -v5, v6, 1.0
	v_fmac_f32_e32 v6, v10, v6
	s_delay_alu instid0(VALU_DEP_1) | instskip(NEXT) | instid1(VALU_DEP_1)
	v_mul_f32_e32 v10, v11, v6
	v_fma_f32 v12, -v5, v10, v11
	s_delay_alu instid0(VALU_DEP_1) | instskip(NEXT) | instid1(VALU_DEP_1)
	v_fmac_f32_e32 v10, v12, v6
	v_fma_f32 v5, -v5, v10, v11
	s_delay_alu instid0(VALU_DEP_1) | instskip(NEXT) | instid1(VALU_DEP_1)
	v_div_fmas_f32 v5, v5, v6, v10
	v_div_fixup_f32 v5, v5, v3, v4
	s_delay_alu instid0(VALU_DEP_1) | instskip(NEXT) | instid1(VALU_DEP_1)
	v_fmac_f32_e32 v3, v4, v5
	v_div_scale_f32 v4, null, v3, v3, 1.0
	v_div_scale_f32 v11, vcc_lo, 1.0, v3, 1.0
	s_delay_alu instid0(VALU_DEP_2) | instskip(SKIP_2) | instid1(VALU_DEP_1)
	v_rcp_f32_e32 v6, v4
	s_waitcnt_depctr 0xfff
	v_fma_f32 v10, -v4, v6, 1.0
	v_fmac_f32_e32 v6, v10, v6
	s_delay_alu instid0(VALU_DEP_1) | instskip(NEXT) | instid1(VALU_DEP_1)
	v_mul_f32_e32 v10, v11, v6
	v_fma_f32 v12, -v4, v10, v11
	s_delay_alu instid0(VALU_DEP_1) | instskip(NEXT) | instid1(VALU_DEP_1)
	v_fmac_f32_e32 v10, v12, v6
	v_fma_f32 v4, -v4, v10, v11
	s_delay_alu instid0(VALU_DEP_1) | instskip(SKIP_2) | instid1(VALU_DEP_3)
	v_div_fmas_f32 v4, v4, v6, v10
	v_fma_f32 v6, v2, v5, v1
	v_fma_f32 v1, -v1, v5, v2
	v_div_fixup_f32 v3, v4, v3, 1.0
	s_delay_alu instid0(VALU_DEP_1) | instskip(NEXT) | instid1(VALU_DEP_3)
	v_mul_f32_e32 v5, v6, v3
	v_mul_f32_e32 v6, v1, v3
	s_branch .LBB137_126
.LBB137_133:
	s_mov_b32 s9, 0
.LBB137_134:
	s_delay_alu instid0(SALU_CYCLE_1)
	s_and_not1_b32 vcc_lo, exec_lo, s9
	s_cbranch_vccnz .LBB137_163
; %bb.135:
	s_cmp_lt_i32 s8, 4
	s_mov_b32 s1, 0
	s_cbranch_scc1 .LBB137_153
; %bb.136:
	v_mov_b32_e32 v1, 0
	v_lshlrev_b32_e32 v11, 3, v0
	ds_load_b64 v[9:10], v1
	ds_load_2addr_b64 v[5:8], v11 offset0:16 offset1:20
	ds_load_2addr_b64 v[1:4], v11 offset0:24 offset1:28
	s_waitcnt lgkmcnt(2)
	v_cmp_gt_f32_e32 vcc_lo, 0, v9
	v_cndmask_b32_e64 v12, v9, -v9, vcc_lo
	v_cmp_gt_f32_e32 vcc_lo, 0, v10
	v_cndmask_b32_e64 v13, v10, -v10, vcc_lo
	s_delay_alu instid0(VALU_DEP_1)
	v_cmp_ngt_f32_e32 vcc_lo, v12, v13
	s_cbranch_vccz .LBB137_138
; %bb.137:
	v_div_scale_f32 v12, null, v10, v10, v9
	v_div_scale_f32 v15, vcc_lo, v9, v10, v9
	s_delay_alu instid0(VALU_DEP_2) | instskip(SKIP_2) | instid1(VALU_DEP_1)
	v_rcp_f32_e32 v13, v12
	s_waitcnt_depctr 0xfff
	v_fma_f32 v14, -v12, v13, 1.0
	v_fmac_f32_e32 v13, v14, v13
	s_delay_alu instid0(VALU_DEP_1) | instskip(NEXT) | instid1(VALU_DEP_1)
	v_mul_f32_e32 v14, v15, v13
	v_fma_f32 v16, -v12, v14, v15
	s_delay_alu instid0(VALU_DEP_1) | instskip(NEXT) | instid1(VALU_DEP_1)
	v_fmac_f32_e32 v14, v16, v13
	v_fma_f32 v12, -v12, v14, v15
	s_delay_alu instid0(VALU_DEP_1) | instskip(NEXT) | instid1(VALU_DEP_1)
	v_div_fmas_f32 v12, v12, v13, v14
	v_div_fixup_f32 v12, v12, v10, v9
	s_delay_alu instid0(VALU_DEP_1) | instskip(NEXT) | instid1(VALU_DEP_1)
	v_fma_f32 v13, v9, v12, v10
	v_div_scale_f32 v14, null, v13, v13, 1.0
	v_div_scale_f32 v17, vcc_lo, 1.0, v13, 1.0
	s_delay_alu instid0(VALU_DEP_2) | instskip(SKIP_2) | instid1(VALU_DEP_1)
	v_rcp_f32_e32 v15, v14
	s_waitcnt_depctr 0xfff
	v_fma_f32 v16, -v14, v15, 1.0
	v_fmac_f32_e32 v15, v16, v15
	s_delay_alu instid0(VALU_DEP_1) | instskip(NEXT) | instid1(VALU_DEP_1)
	v_mul_f32_e32 v16, v17, v15
	v_fma_f32 v18, -v14, v16, v17
	s_delay_alu instid0(VALU_DEP_1) | instskip(NEXT) | instid1(VALU_DEP_1)
	v_fmac_f32_e32 v16, v18, v15
	v_fma_f32 v14, -v14, v16, v17
	s_delay_alu instid0(VALU_DEP_1) | instskip(SKIP_3) | instid1(VALU_DEP_3)
	v_div_fmas_f32 v14, v14, v15, v16
	s_waitcnt lgkmcnt(1)
	v_fma_f32 v15, v5, v12, v6
	v_fma_f32 v12, v6, v12, -v5
	v_div_fixup_f32 v14, v14, v13, 1.0
	s_delay_alu instid0(VALU_DEP_1) | instskip(NEXT) | instid1(VALU_DEP_3)
	v_mul_f32_e32 v13, v15, v14
	v_mul_f32_e32 v14, v12, v14
	v_or_b32_e32 v15, 0x80, v11
	s_and_not1_b32 vcc_lo, exec_lo, s1
	s_cbranch_vccz .LBB137_139
	s_branch .LBB137_140
.LBB137_138:
                                        ; implicit-def: $vgpr14
	v_or_b32_e32 v15, 0x80, v11
.LBB137_139:
	v_div_scale_f32 v11, null, v9, v9, v10
	v_div_scale_f32 v14, vcc_lo, v10, v9, v10
	s_delay_alu instid0(VALU_DEP_2) | instskip(SKIP_2) | instid1(VALU_DEP_1)
	v_rcp_f32_e32 v12, v11
	s_waitcnt_depctr 0xfff
	v_fma_f32 v13, -v11, v12, 1.0
	v_fmac_f32_e32 v12, v13, v12
	s_delay_alu instid0(VALU_DEP_1) | instskip(NEXT) | instid1(VALU_DEP_1)
	v_mul_f32_e32 v13, v14, v12
	v_fma_f32 v16, -v11, v13, v14
	s_delay_alu instid0(VALU_DEP_1) | instskip(NEXT) | instid1(VALU_DEP_1)
	v_fmac_f32_e32 v13, v16, v12
	v_fma_f32 v11, -v11, v13, v14
	s_delay_alu instid0(VALU_DEP_1) | instskip(NEXT) | instid1(VALU_DEP_1)
	v_div_fmas_f32 v11, v11, v12, v13
	v_div_fixup_f32 v11, v11, v9, v10
	s_delay_alu instid0(VALU_DEP_1) | instskip(NEXT) | instid1(VALU_DEP_1)
	v_fmac_f32_e32 v9, v10, v11
	v_div_scale_f32 v10, null, v9, v9, 1.0
	v_div_scale_f32 v14, vcc_lo, 1.0, v9, 1.0
	s_delay_alu instid0(VALU_DEP_2) | instskip(SKIP_2) | instid1(VALU_DEP_1)
	v_rcp_f32_e32 v12, v10
	s_waitcnt_depctr 0xfff
	v_fma_f32 v13, -v10, v12, 1.0
	v_fmac_f32_e32 v12, v13, v12
	s_delay_alu instid0(VALU_DEP_1) | instskip(NEXT) | instid1(VALU_DEP_1)
	v_mul_f32_e32 v13, v14, v12
	v_fma_f32 v16, -v10, v13, v14
	s_delay_alu instid0(VALU_DEP_1) | instskip(NEXT) | instid1(VALU_DEP_1)
	v_fmac_f32_e32 v13, v16, v12
	v_fma_f32 v10, -v10, v13, v14
	s_delay_alu instid0(VALU_DEP_1) | instskip(SKIP_3) | instid1(VALU_DEP_3)
	v_div_fmas_f32 v10, v10, v12, v13
	s_waitcnt lgkmcnt(1)
	v_fma_f32 v12, v6, v11, v5
	v_fma_f32 v5, -v5, v11, v6
	v_div_fixup_f32 v9, v10, v9, 1.0
	s_delay_alu instid0(VALU_DEP_1) | instskip(NEXT) | instid1(VALU_DEP_4)
	v_mul_f32_e32 v14, v5, v9
	v_mul_f32_e32 v13, v12, v9
.LBB137_140:
	s_waitcnt lgkmcnt(1)
	v_mov_b32_e32 v5, 0
	s_mov_b32 s1, 0
	ds_store_b64 v15, v[13:14]
	ds_load_b128 v[9:12], v5 offset:32
	s_waitcnt lgkmcnt(0)
	v_mul_f32_e32 v6, v13, v10
	v_cmp_gt_f32_e32 vcc_lo, 0, v11
	v_mul_f32_e32 v5, v14, v10
	s_delay_alu instid0(VALU_DEP_3) | instskip(SKIP_2) | instid1(VALU_DEP_4)
	v_fmac_f32_e32 v6, v14, v9
	v_cndmask_b32_e64 v10, v11, -v11, vcc_lo
	v_cmp_gt_f32_e32 vcc_lo, 0, v12
	v_fma_f32 v5, v13, v9, -v5
	s_delay_alu instid0(VALU_DEP_4) | instskip(SKIP_1) | instid1(VALU_DEP_3)
	v_sub_f32_e32 v6, v8, v6
	v_cndmask_b32_e64 v16, v12, -v12, vcc_lo
	v_sub_f32_e32 v5, v7, v5
	s_delay_alu instid0(VALU_DEP_2)
	v_cmp_ngt_f32_e32 vcc_lo, v10, v16
	s_cbranch_vccz .LBB137_142
; %bb.141:
	v_div_scale_f32 v7, null, v12, v12, v11
	v_div_scale_f32 v10, vcc_lo, v11, v12, v11
	s_delay_alu instid0(VALU_DEP_2) | instskip(SKIP_2) | instid1(VALU_DEP_1)
	v_rcp_f32_e32 v8, v7
	s_waitcnt_depctr 0xfff
	v_fma_f32 v9, -v7, v8, 1.0
	v_fmac_f32_e32 v8, v9, v8
	s_delay_alu instid0(VALU_DEP_1) | instskip(NEXT) | instid1(VALU_DEP_1)
	v_mul_f32_e32 v9, v10, v8
	v_fma_f32 v16, -v7, v9, v10
	s_delay_alu instid0(VALU_DEP_1) | instskip(NEXT) | instid1(VALU_DEP_1)
	v_fmac_f32_e32 v9, v16, v8
	v_fma_f32 v7, -v7, v9, v10
	s_delay_alu instid0(VALU_DEP_1) | instskip(NEXT) | instid1(VALU_DEP_1)
	v_div_fmas_f32 v7, v7, v8, v9
	v_div_fixup_f32 v7, v7, v12, v11
	s_delay_alu instid0(VALU_DEP_1) | instskip(NEXT) | instid1(VALU_DEP_1)
	v_fma_f32 v8, v11, v7, v12
	v_div_scale_f32 v9, null, v8, v8, 1.0
	v_div_scale_f32 v17, vcc_lo, 1.0, v8, 1.0
	s_delay_alu instid0(VALU_DEP_2) | instskip(SKIP_2) | instid1(VALU_DEP_1)
	v_rcp_f32_e32 v10, v9
	s_waitcnt_depctr 0xfff
	v_fma_f32 v16, -v9, v10, 1.0
	v_fmac_f32_e32 v10, v16, v10
	s_delay_alu instid0(VALU_DEP_1) | instskip(NEXT) | instid1(VALU_DEP_1)
	v_mul_f32_e32 v16, v17, v10
	v_fma_f32 v18, -v9, v16, v17
	s_delay_alu instid0(VALU_DEP_1) | instskip(NEXT) | instid1(VALU_DEP_1)
	v_fmac_f32_e32 v16, v18, v10
	v_fma_f32 v9, -v9, v16, v17
	s_delay_alu instid0(VALU_DEP_1) | instskip(SKIP_2) | instid1(VALU_DEP_3)
	v_div_fmas_f32 v9, v9, v10, v16
	v_fma_f32 v10, v7, v5, v6
	v_fma_f32 v7, v7, v6, -v5
	v_div_fixup_f32 v8, v9, v8, 1.0
	s_delay_alu instid0(VALU_DEP_1) | instskip(NEXT) | instid1(VALU_DEP_3)
	v_mul_f32_e32 v9, v10, v8
	v_mul_f32_e32 v10, v7, v8
	s_and_not1_b32 vcc_lo, exec_lo, s1
	s_cbranch_vccz .LBB137_143
	s_branch .LBB137_144
.LBB137_142:
                                        ; implicit-def: $vgpr10
.LBB137_143:
	v_div_scale_f32 v7, null, v11, v11, v12
	v_div_scale_f32 v10, vcc_lo, v12, v11, v12
	s_delay_alu instid0(VALU_DEP_2) | instskip(SKIP_2) | instid1(VALU_DEP_1)
	v_rcp_f32_e32 v8, v7
	s_waitcnt_depctr 0xfff
	v_fma_f32 v9, -v7, v8, 1.0
	v_fmac_f32_e32 v8, v9, v8
	s_delay_alu instid0(VALU_DEP_1) | instskip(NEXT) | instid1(VALU_DEP_1)
	v_mul_f32_e32 v9, v10, v8
	v_fma_f32 v16, -v7, v9, v10
	s_delay_alu instid0(VALU_DEP_1) | instskip(NEXT) | instid1(VALU_DEP_1)
	v_fmac_f32_e32 v9, v16, v8
	v_fma_f32 v7, -v7, v9, v10
	s_delay_alu instid0(VALU_DEP_1) | instskip(NEXT) | instid1(VALU_DEP_1)
	v_div_fmas_f32 v7, v7, v8, v9
	v_div_fixup_f32 v7, v7, v11, v12
	s_delay_alu instid0(VALU_DEP_1) | instskip(NEXT) | instid1(VALU_DEP_1)
	v_fmac_f32_e32 v11, v12, v7
	v_div_scale_f32 v8, null, v11, v11, 1.0
	v_div_scale_f32 v12, vcc_lo, 1.0, v11, 1.0
	s_delay_alu instid0(VALU_DEP_2) | instskip(SKIP_2) | instid1(VALU_DEP_1)
	v_rcp_f32_e32 v9, v8
	s_waitcnt_depctr 0xfff
	v_fma_f32 v10, -v8, v9, 1.0
	v_fmac_f32_e32 v9, v10, v9
	s_delay_alu instid0(VALU_DEP_1) | instskip(NEXT) | instid1(VALU_DEP_1)
	v_mul_f32_e32 v10, v12, v9
	v_fma_f32 v16, -v8, v10, v12
	s_delay_alu instid0(VALU_DEP_1) | instskip(NEXT) | instid1(VALU_DEP_1)
	v_fmac_f32_e32 v10, v16, v9
	v_fma_f32 v8, -v8, v10, v12
	s_delay_alu instid0(VALU_DEP_1) | instskip(SKIP_2) | instid1(VALU_DEP_3)
	v_div_fmas_f32 v8, v8, v9, v10
	v_fma_f32 v9, v7, v6, v5
	v_fma_f32 v5, -v7, v5, v6
	v_div_fixup_f32 v8, v8, v11, 1.0
	s_delay_alu instid0(VALU_DEP_1) | instskip(NEXT) | instid1(VALU_DEP_3)
	v_mul_f32_e32 v9, v9, v8
	v_mul_f32_e32 v10, v5, v8
.LBB137_144:
	v_mov_b32_e32 v5, 0
	s_mov_b32 s1, 0
	ds_load_b128 v[16:19], v5 offset:64
	ds_load_b64 v[5:6], v5 offset:80
	ds_store_b64 v15, v[9:10] offset:32
	s_waitcnt lgkmcnt(2)
	v_mul_f32_e32 v8, v13, v17
	s_waitcnt lgkmcnt(1)
	v_cmp_gt_f32_e32 vcc_lo, 0, v5
	v_dual_mul_f32 v7, v14, v17 :: v_dual_mul_f32 v12, v9, v19
	v_mul_f32_e32 v11, v10, v19
	v_cndmask_b32_e64 v17, v5, -v5, vcc_lo
	v_cmp_gt_f32_e32 vcc_lo, 0, v6
	s_delay_alu instid0(VALU_DEP_4) | instskip(SKIP_3) | instid1(VALU_DEP_4)
	v_fma_f32 v7, v13, v16, -v7
	v_fmac_f32_e32 v8, v14, v16
	v_fma_f32 v11, v9, v18, -v11
	v_cndmask_b32_e64 v16, v6, -v6, vcc_lo
	v_dual_sub_f32 v1, v1, v7 :: v_dual_fmac_f32 v12, v10, v18
	s_delay_alu instid0(VALU_DEP_4) | instskip(NEXT) | instid1(VALU_DEP_3)
	v_sub_f32_e32 v2, v2, v8
	v_cmp_ngt_f32_e32 vcc_lo, v17, v16
	s_delay_alu instid0(VALU_DEP_2)
	v_dual_sub_f32 v7, v1, v11 :: v_dual_sub_f32 v8, v2, v12
	s_cbranch_vccz .LBB137_146
; %bb.145:
	v_div_scale_f32 v1, null, v6, v6, v5
	v_div_scale_f32 v12, vcc_lo, v5, v6, v5
	s_delay_alu instid0(VALU_DEP_2) | instskip(SKIP_2) | instid1(VALU_DEP_1)
	v_rcp_f32_e32 v2, v1
	s_waitcnt_depctr 0xfff
	v_fma_f32 v11, -v1, v2, 1.0
	v_fmac_f32_e32 v2, v11, v2
	s_delay_alu instid0(VALU_DEP_1) | instskip(NEXT) | instid1(VALU_DEP_1)
	v_mul_f32_e32 v11, v12, v2
	v_fma_f32 v16, -v1, v11, v12
	s_delay_alu instid0(VALU_DEP_1) | instskip(NEXT) | instid1(VALU_DEP_1)
	v_fmac_f32_e32 v11, v16, v2
	v_fma_f32 v1, -v1, v11, v12
	s_delay_alu instid0(VALU_DEP_1) | instskip(NEXT) | instid1(VALU_DEP_1)
	v_div_fmas_f32 v1, v1, v2, v11
	v_div_fixup_f32 v1, v1, v6, v5
	s_delay_alu instid0(VALU_DEP_1) | instskip(NEXT) | instid1(VALU_DEP_1)
	v_fma_f32 v2, v5, v1, v6
	v_div_scale_f32 v11, null, v2, v2, 1.0
	v_div_scale_f32 v17, vcc_lo, 1.0, v2, 1.0
	s_delay_alu instid0(VALU_DEP_2) | instskip(SKIP_2) | instid1(VALU_DEP_1)
	v_rcp_f32_e32 v12, v11
	s_waitcnt_depctr 0xfff
	v_fma_f32 v16, -v11, v12, 1.0
	v_fmac_f32_e32 v12, v16, v12
	s_delay_alu instid0(VALU_DEP_1) | instskip(NEXT) | instid1(VALU_DEP_1)
	v_mul_f32_e32 v16, v17, v12
	v_fma_f32 v18, -v11, v16, v17
	s_delay_alu instid0(VALU_DEP_1) | instskip(NEXT) | instid1(VALU_DEP_1)
	v_fmac_f32_e32 v16, v18, v12
	v_fma_f32 v11, -v11, v16, v17
	s_delay_alu instid0(VALU_DEP_1) | instskip(SKIP_1) | instid1(VALU_DEP_2)
	v_div_fmas_f32 v11, v11, v12, v16
	v_fma_f32 v12, v1, v7, v8
	v_div_fixup_f32 v2, v11, v2, 1.0
	v_fma_f32 v11, v1, v8, -v7
	s_delay_alu instid0(VALU_DEP_2) | instskip(NEXT) | instid1(VALU_DEP_2)
	v_mul_f32_e32 v1, v12, v2
	v_mul_f32_e32 v2, v11, v2
	s_and_not1_b32 vcc_lo, exec_lo, s1
	s_cbranch_vccz .LBB137_147
	s_branch .LBB137_148
.LBB137_146:
                                        ; implicit-def: $vgpr2
.LBB137_147:
	v_div_scale_f32 v1, null, v5, v5, v6
	v_div_scale_f32 v12, vcc_lo, v6, v5, v6
	s_delay_alu instid0(VALU_DEP_2) | instskip(SKIP_2) | instid1(VALU_DEP_1)
	v_rcp_f32_e32 v2, v1
	s_waitcnt_depctr 0xfff
	v_fma_f32 v11, -v1, v2, 1.0
	v_fmac_f32_e32 v2, v11, v2
	s_delay_alu instid0(VALU_DEP_1) | instskip(NEXT) | instid1(VALU_DEP_1)
	v_mul_f32_e32 v11, v12, v2
	v_fma_f32 v16, -v1, v11, v12
	s_delay_alu instid0(VALU_DEP_1) | instskip(NEXT) | instid1(VALU_DEP_1)
	v_fmac_f32_e32 v11, v16, v2
	v_fma_f32 v1, -v1, v11, v12
	s_delay_alu instid0(VALU_DEP_1) | instskip(NEXT) | instid1(VALU_DEP_1)
	v_div_fmas_f32 v1, v1, v2, v11
	v_div_fixup_f32 v1, v1, v5, v6
	s_delay_alu instid0(VALU_DEP_1) | instskip(NEXT) | instid1(VALU_DEP_1)
	v_fmac_f32_e32 v5, v6, v1
	v_div_scale_f32 v2, null, v5, v5, 1.0
	v_div_scale_f32 v12, vcc_lo, 1.0, v5, 1.0
	s_delay_alu instid0(VALU_DEP_2) | instskip(SKIP_2) | instid1(VALU_DEP_1)
	v_rcp_f32_e32 v6, v2
	s_waitcnt_depctr 0xfff
	v_fma_f32 v11, -v2, v6, 1.0
	v_fmac_f32_e32 v6, v11, v6
	s_delay_alu instid0(VALU_DEP_1) | instskip(NEXT) | instid1(VALU_DEP_1)
	v_mul_f32_e32 v11, v12, v6
	v_fma_f32 v16, -v2, v11, v12
	s_delay_alu instid0(VALU_DEP_1) | instskip(NEXT) | instid1(VALU_DEP_1)
	v_fmac_f32_e32 v11, v16, v6
	v_fma_f32 v2, -v2, v11, v12
	s_delay_alu instid0(VALU_DEP_1) | instskip(SKIP_1) | instid1(VALU_DEP_2)
	v_div_fmas_f32 v2, v2, v6, v11
	v_fma_f32 v6, v1, v8, v7
	v_div_fixup_f32 v2, v2, v5, 1.0
	v_fma_f32 v5, -v1, v7, v8
	s_delay_alu instid0(VALU_DEP_2) | instskip(NEXT) | instid1(VALU_DEP_2)
	v_mul_f32_e32 v1, v6, v2
	v_mul_f32_e32 v2, v5, v2
.LBB137_148:
	v_mov_b32_e32 v5, 0
	s_mov_b32 s1, 0
	ds_load_b128 v[16:19], v5 offset:96
	ds_load_b128 v[5:8], v5 offset:112
	ds_store_b64 v15, v[1:2] offset:64
	s_waitcnt lgkmcnt(2)
	v_mul_f32_e32 v12, v13, v17
	v_mul_f32_e32 v11, v14, v17
	s_waitcnt lgkmcnt(1)
	v_cmp_gt_f32_e32 vcc_lo, 0, v7
	v_mul_f32_e32 v20, v2, v6
	v_mul_f32_e32 v6, v1, v6
	v_fmac_f32_e32 v12, v14, v16
	v_mul_f32_e32 v17, v10, v19
	v_mul_f32_e32 v19, v9, v19
	v_fma_f32 v11, v13, v16, -v11
	v_cndmask_b32_e64 v13, v7, -v7, vcc_lo
	v_cmp_gt_f32_e32 vcc_lo, 0, v8
	s_delay_alu instid0(VALU_DEP_4) | instskip(NEXT) | instid1(VALU_DEP_4)
	v_fmac_f32_e32 v19, v10, v18
	v_dual_sub_f32 v3, v3, v11 :: v_dual_sub_f32 v4, v4, v12
	v_fma_f32 v9, v9, v18, -v17
	v_cndmask_b32_e64 v10, v8, -v8, vcc_lo
	v_fma_f32 v11, v1, v5, -v20
	s_delay_alu instid0(VALU_DEP_3) | instskip(SKIP_1) | instid1(VALU_DEP_4)
	v_dual_sub_f32 v4, v4, v19 :: v_dual_sub_f32 v3, v3, v9
	v_fmac_f32_e32 v6, v2, v5
	v_cmp_ngt_f32_e32 vcc_lo, v13, v10
	s_delay_alu instid0(VALU_DEP_2)
	v_dual_sub_f32 v3, v3, v11 :: v_dual_sub_f32 v4, v4, v6
	s_cbranch_vccz .LBB137_150
; %bb.149:
	v_div_scale_f32 v1, null, v8, v8, v7
	v_div_scale_f32 v6, vcc_lo, v7, v8, v7
	s_delay_alu instid0(VALU_DEP_2) | instskip(SKIP_2) | instid1(VALU_DEP_1)
	v_rcp_f32_e32 v2, v1
	s_waitcnt_depctr 0xfff
	v_fma_f32 v5, -v1, v2, 1.0
	v_fmac_f32_e32 v2, v5, v2
	s_delay_alu instid0(VALU_DEP_1) | instskip(NEXT) | instid1(VALU_DEP_1)
	v_mul_f32_e32 v5, v6, v2
	v_fma_f32 v9, -v1, v5, v6
	s_delay_alu instid0(VALU_DEP_1) | instskip(NEXT) | instid1(VALU_DEP_1)
	v_fmac_f32_e32 v5, v9, v2
	v_fma_f32 v1, -v1, v5, v6
	s_delay_alu instid0(VALU_DEP_1) | instskip(NEXT) | instid1(VALU_DEP_1)
	v_div_fmas_f32 v1, v1, v2, v5
	v_div_fixup_f32 v1, v1, v8, v7
	s_delay_alu instid0(VALU_DEP_1) | instskip(NEXT) | instid1(VALU_DEP_1)
	v_fma_f32 v2, v7, v1, v8
	v_div_scale_f32 v5, null, v2, v2, 1.0
	v_div_scale_f32 v10, vcc_lo, 1.0, v2, 1.0
	s_delay_alu instid0(VALU_DEP_2) | instskip(SKIP_2) | instid1(VALU_DEP_1)
	v_rcp_f32_e32 v6, v5
	s_waitcnt_depctr 0xfff
	v_fma_f32 v9, -v5, v6, 1.0
	v_fmac_f32_e32 v6, v9, v6
	s_delay_alu instid0(VALU_DEP_1) | instskip(NEXT) | instid1(VALU_DEP_1)
	v_mul_f32_e32 v9, v10, v6
	v_fma_f32 v11, -v5, v9, v10
	s_delay_alu instid0(VALU_DEP_1) | instskip(NEXT) | instid1(VALU_DEP_1)
	v_fmac_f32_e32 v9, v11, v6
	v_fma_f32 v5, -v5, v9, v10
	s_delay_alu instid0(VALU_DEP_1) | instskip(SKIP_1) | instid1(VALU_DEP_2)
	v_div_fmas_f32 v5, v5, v6, v9
	v_fma_f32 v6, v1, v3, v4
	v_div_fixup_f32 v2, v5, v2, 1.0
	v_fma_f32 v5, v1, v4, -v3
	s_delay_alu instid0(VALU_DEP_2) | instskip(NEXT) | instid1(VALU_DEP_2)
	v_mul_f32_e32 v1, v6, v2
	v_mul_f32_e32 v2, v5, v2
	s_and_not1_b32 vcc_lo, exec_lo, s1
	s_cbranch_vccz .LBB137_151
	s_branch .LBB137_152
.LBB137_150:
                                        ; implicit-def: $vgpr2
.LBB137_151:
	v_div_scale_f32 v1, null, v7, v7, v8
	v_div_scale_f32 v6, vcc_lo, v8, v7, v8
	s_delay_alu instid0(VALU_DEP_2) | instskip(SKIP_2) | instid1(VALU_DEP_1)
	v_rcp_f32_e32 v2, v1
	s_waitcnt_depctr 0xfff
	v_fma_f32 v5, -v1, v2, 1.0
	v_fmac_f32_e32 v2, v5, v2
	s_delay_alu instid0(VALU_DEP_1) | instskip(NEXT) | instid1(VALU_DEP_1)
	v_mul_f32_e32 v5, v6, v2
	v_fma_f32 v9, -v1, v5, v6
	s_delay_alu instid0(VALU_DEP_1) | instskip(NEXT) | instid1(VALU_DEP_1)
	v_fmac_f32_e32 v5, v9, v2
	v_fma_f32 v1, -v1, v5, v6
	s_delay_alu instid0(VALU_DEP_1) | instskip(NEXT) | instid1(VALU_DEP_1)
	v_div_fmas_f32 v1, v1, v2, v5
	v_div_fixup_f32 v1, v1, v7, v8
	s_delay_alu instid0(VALU_DEP_1) | instskip(NEXT) | instid1(VALU_DEP_1)
	v_fmac_f32_e32 v7, v8, v1
	v_div_scale_f32 v2, null, v7, v7, 1.0
	v_div_scale_f32 v8, vcc_lo, 1.0, v7, 1.0
	s_delay_alu instid0(VALU_DEP_2) | instskip(SKIP_2) | instid1(VALU_DEP_1)
	v_rcp_f32_e32 v5, v2
	s_waitcnt_depctr 0xfff
	v_fma_f32 v6, -v2, v5, 1.0
	v_fmac_f32_e32 v5, v6, v5
	s_delay_alu instid0(VALU_DEP_1) | instskip(NEXT) | instid1(VALU_DEP_1)
	v_mul_f32_e32 v6, v8, v5
	v_fma_f32 v9, -v2, v6, v8
	s_delay_alu instid0(VALU_DEP_1) | instskip(NEXT) | instid1(VALU_DEP_1)
	v_fmac_f32_e32 v6, v9, v5
	v_fma_f32 v2, -v2, v6, v8
	s_delay_alu instid0(VALU_DEP_1) | instskip(SKIP_2) | instid1(VALU_DEP_3)
	v_div_fmas_f32 v2, v2, v5, v6
	v_fma_f32 v5, v1, v4, v3
	v_fma_f32 v3, -v1, v3, v4
	v_div_fixup_f32 v2, v2, v7, 1.0
	s_delay_alu instid0(VALU_DEP_1) | instskip(NEXT) | instid1(VALU_DEP_3)
	v_mul_f32_e32 v1, v5, v2
	v_mul_f32_e32 v2, v3, v2
.LBB137_152:
	s_mov_b32 s1, 4
	ds_store_b64 v15, v[1:2] offset:96
.LBB137_153:
	s_cmp_ge_i32 s1, s11
	s_cbranch_scc1 .LBB137_163
; %bb.154:
	v_lshl_or_b32 v7, v0, 3, 0x80
	v_lshlrev_b32_e32 v8, 3, v0
	s_lshl_b32 s4, s1, 5
	s_branch .LBB137_156
.LBB137_155:                            ;   in Loop: Header=BB137_156 Depth=1
	s_add_i32 s1, s1, 1
	s_add_i32 s4, s4, 32
	s_cmp_ge_i32 s1, s11
	ds_store_b64 v9, v[5:6]
	s_cbranch_scc1 .LBB137_163
.LBB137_156:                            ; =>This Loop Header: Depth=1
                                        ;     Child Loop BB137_158 Depth 2
	s_delay_alu instid0(VALU_DEP_1)
	v_lshl_or_b32 v3, s1, 5, v8
	s_cmp_eq_u32 s1, 0
	ds_load_b64 v[1:2], v3 offset:128
	s_cbranch_scc1 .LBB137_159
; %bb.157:                              ;   in Loop: Header=BB137_156 Depth=1
	v_mov_b32_e32 v4, v7
	s_mov_b32 s5, 0
	s_mov_b32 s9, s4
	.p2align	6
.LBB137_158:                            ;   Parent Loop BB137_156 Depth=1
                                        ; =>  This Inner Loop Header: Depth=2
	s_delay_alu instid0(SALU_CYCLE_1)
	v_mov_b32_e32 v9, s9
	s_add_i32 s5, s5, 1
	s_add_i32 s9, s9, 8
	s_cmp_ge_u32 s5, s1
	ds_load_b64 v[5:6], v4
	ds_load_b64 v[9:10], v9
	s_waitcnt lgkmcnt(0)
	v_dual_mul_f32 v11, v10, v6 :: v_dual_add_nc_u32 v4, 32, v4
	v_mul_f32_e32 v6, v9, v6
	s_delay_alu instid0(VALU_DEP_2) | instskip(NEXT) | instid1(VALU_DEP_2)
	v_fma_f32 v9, v9, v5, -v11
	v_fmac_f32_e32 v6, v10, v5
	s_delay_alu instid0(VALU_DEP_1)
	v_dual_sub_f32 v1, v1, v9 :: v_dual_sub_f32 v2, v2, v6
	s_cbranch_scc0 .LBB137_158
.LBB137_159:                            ;   in Loop: Header=BB137_156 Depth=1
	s_mul_i32 s5, s1, 40
	v_add_nc_u32_e32 v9, 0x80, v3
	v_mov_b32_e32 v3, s5
	ds_load_b64 v[3:4], v3
	s_waitcnt lgkmcnt(0)
	v_cmp_gt_f32_e32 vcc_lo, 0, v3
	v_cndmask_b32_e64 v5, v3, -v3, vcc_lo
	v_cmp_gt_f32_e32 vcc_lo, 0, v4
	v_cndmask_b32_e64 v6, v4, -v4, vcc_lo
	s_delay_alu instid0(VALU_DEP_1)
	v_cmp_ngt_f32_e32 vcc_lo, v5, v6
	s_cbranch_vccz .LBB137_161
; %bb.160:                              ;   in Loop: Header=BB137_156 Depth=1
	v_div_scale_f32 v5, null, v4, v4, v3
	v_div_scale_f32 v11, vcc_lo, v3, v4, v3
	s_delay_alu instid0(VALU_DEP_2) | instskip(SKIP_2) | instid1(VALU_DEP_1)
	v_rcp_f32_e32 v6, v5
	s_waitcnt_depctr 0xfff
	v_fma_f32 v10, -v5, v6, 1.0
	v_fmac_f32_e32 v6, v10, v6
	s_delay_alu instid0(VALU_DEP_1) | instskip(NEXT) | instid1(VALU_DEP_1)
	v_mul_f32_e32 v10, v11, v6
	v_fma_f32 v12, -v5, v10, v11
	s_delay_alu instid0(VALU_DEP_1) | instskip(NEXT) | instid1(VALU_DEP_1)
	v_fmac_f32_e32 v10, v12, v6
	v_fma_f32 v5, -v5, v10, v11
	s_delay_alu instid0(VALU_DEP_1) | instskip(NEXT) | instid1(VALU_DEP_1)
	v_div_fmas_f32 v5, v5, v6, v10
	v_div_fixup_f32 v5, v5, v4, v3
	s_delay_alu instid0(VALU_DEP_1) | instskip(NEXT) | instid1(VALU_DEP_1)
	v_fma_f32 v6, v3, v5, v4
	v_div_scale_f32 v10, null, v6, v6, 1.0
	v_div_scale_f32 v13, vcc_lo, 1.0, v6, 1.0
	s_delay_alu instid0(VALU_DEP_2) | instskip(SKIP_2) | instid1(VALU_DEP_1)
	v_rcp_f32_e32 v11, v10
	s_waitcnt_depctr 0xfff
	v_fma_f32 v12, -v10, v11, 1.0
	v_fmac_f32_e32 v11, v12, v11
	s_delay_alu instid0(VALU_DEP_1) | instskip(NEXT) | instid1(VALU_DEP_1)
	v_mul_f32_e32 v12, v13, v11
	v_fma_f32 v14, -v10, v12, v13
	s_delay_alu instid0(VALU_DEP_1) | instskip(NEXT) | instid1(VALU_DEP_1)
	v_fmac_f32_e32 v12, v14, v11
	v_fma_f32 v10, -v10, v12, v13
	s_delay_alu instid0(VALU_DEP_1) | instskip(SKIP_1) | instid1(VALU_DEP_2)
	v_div_fmas_f32 v10, v10, v11, v12
	v_fma_f32 v11, v1, v5, v2
	v_div_fixup_f32 v6, v10, v6, 1.0
	v_fma_f32 v10, v2, v5, -v1
	s_delay_alu instid0(VALU_DEP_2) | instskip(NEXT) | instid1(VALU_DEP_2)
	v_mul_f32_e32 v5, v11, v6
	v_mul_f32_e32 v6, v10, v6
	s_cbranch_execnz .LBB137_155
	s_branch .LBB137_162
.LBB137_161:                            ;   in Loop: Header=BB137_156 Depth=1
                                        ; implicit-def: $vgpr5
.LBB137_162:                            ;   in Loop: Header=BB137_156 Depth=1
	v_div_scale_f32 v5, null, v3, v3, v4
	v_div_scale_f32 v11, vcc_lo, v4, v3, v4
	s_delay_alu instid0(VALU_DEP_2) | instskip(SKIP_2) | instid1(VALU_DEP_1)
	v_rcp_f32_e32 v6, v5
	s_waitcnt_depctr 0xfff
	v_fma_f32 v10, -v5, v6, 1.0
	v_fmac_f32_e32 v6, v10, v6
	s_delay_alu instid0(VALU_DEP_1) | instskip(NEXT) | instid1(VALU_DEP_1)
	v_mul_f32_e32 v10, v11, v6
	v_fma_f32 v12, -v5, v10, v11
	s_delay_alu instid0(VALU_DEP_1) | instskip(NEXT) | instid1(VALU_DEP_1)
	v_fmac_f32_e32 v10, v12, v6
	v_fma_f32 v5, -v5, v10, v11
	s_delay_alu instid0(VALU_DEP_1) | instskip(NEXT) | instid1(VALU_DEP_1)
	v_div_fmas_f32 v5, v5, v6, v10
	v_div_fixup_f32 v5, v5, v3, v4
	s_delay_alu instid0(VALU_DEP_1) | instskip(NEXT) | instid1(VALU_DEP_1)
	v_fmac_f32_e32 v3, v4, v5
	v_div_scale_f32 v4, null, v3, v3, 1.0
	v_div_scale_f32 v11, vcc_lo, 1.0, v3, 1.0
	s_delay_alu instid0(VALU_DEP_2) | instskip(SKIP_2) | instid1(VALU_DEP_1)
	v_rcp_f32_e32 v6, v4
	s_waitcnt_depctr 0xfff
	v_fma_f32 v10, -v4, v6, 1.0
	v_fmac_f32_e32 v6, v10, v6
	s_delay_alu instid0(VALU_DEP_1) | instskip(NEXT) | instid1(VALU_DEP_1)
	v_mul_f32_e32 v10, v11, v6
	v_fma_f32 v12, -v4, v10, v11
	s_delay_alu instid0(VALU_DEP_1) | instskip(NEXT) | instid1(VALU_DEP_1)
	v_fmac_f32_e32 v10, v12, v6
	v_fma_f32 v4, -v4, v10, v11
	s_delay_alu instid0(VALU_DEP_1) | instskip(SKIP_2) | instid1(VALU_DEP_3)
	v_div_fmas_f32 v4, v4, v6, v10
	v_fma_f32 v6, v2, v5, v1
	v_fma_f32 v1, -v1, v5, v2
	v_div_fixup_f32 v3, v4, v3, 1.0
	s_delay_alu instid0(VALU_DEP_1) | instskip(NEXT) | instid1(VALU_DEP_3)
	v_mul_f32_e32 v5, v6, v3
	v_mul_f32_e32 v6, v1, v3
	s_branch .LBB137_155
.LBB137_163:
	s_and_saveexec_b32 s1, s20
	s_cbranch_execz .LBB137_170
; %bb.164:
	v_lshlrev_b32_e32 v3, 3, v0
	s_ashr_i32 s1, s0, 31
	s_cmp_lt_u32 s8, 4
	s_mov_b32 s9, 0
	s_cbranch_scc1 .LBB137_167
; %bb.165:
	v_add_co_u32 v1, s4, s18, v3
	s_delay_alu instid0(VALU_DEP_1)
	v_add_co_ci_u32_e64 v2, null, s19, 0, s4
	v_lshl_or_b32 v0, v0, 3, 0x80
	s_and_b32 s9, s8, 0x7ffffffc
	s_mul_hi_i32 s16, s0, 24
	s_mul_i32 s17, s0, 24
	s_lshl_b64 s[4:5], s[0:1], 5
	s_lshl_b64 s[10:11], s[0:1], 4
	;; [unrolled: 1-line block ×3, first 2 shown]
	s_mov_b32 s18, 0
	.p2align	6
.LBB137_166:                            ; =>This Inner Loop Header: Depth=1
	ds_load_2addr_b64 v[4:7], v0 offset1:4
	ds_load_2addr_b64 v[8:11], v0 offset0:8 offset1:12
	v_add_co_u32 v12, vcc_lo, v1, s14
	v_add_co_ci_u32_e32 v13, vcc_lo, s15, v2, vcc_lo
	v_add_co_u32 v14, vcc_lo, v1, s10
	v_add_co_ci_u32_e32 v15, vcc_lo, s11, v2, vcc_lo
	v_add_co_u32 v16, vcc_lo, v1, s17
	v_add_co_ci_u32_e32 v17, vcc_lo, s16, v2, vcc_lo
	v_add_nc_u32_e32 v0, 0x80, v0
	s_add_i32 s18, s18, 4
	s_delay_alu instid0(SALU_CYCLE_1)
	s_cmp_lg_u32 s9, s18
	s_waitcnt lgkmcnt(1)
	global_store_b64 v[1:2], v[4:5], off
	v_add_co_u32 v1, vcc_lo, v1, s4
	v_add_co_ci_u32_e32 v2, vcc_lo, s5, v2, vcc_lo
	global_store_b64 v[12:13], v[6:7], off
	s_waitcnt lgkmcnt(0)
	s_clause 0x1
	global_store_b64 v[14:15], v[8:9], off
	global_store_b64 v[16:17], v[10:11], off
	s_cbranch_scc1 .LBB137_166
.LBB137_167:
	s_and_b32 s4, s8, 3
	s_delay_alu instid0(SALU_CYCLE_1)
	s_cmp_eq_u32 s4, 0
	s_cbranch_scc1 .LBB137_170
; %bb.168:
	s_mul_hi_i32 s11, s0, s9
	s_mul_i32 s10, s0, s9
	v_lshl_or_b32 v2, s9, 5, v3
	s_lshl_b64 s[10:11], s[10:11], 3
	s_delay_alu instid0(SALU_CYCLE_1)
	s_add_u32 s5, s10, s6
	s_addc_u32 s6, s11, s7
	s_add_u32 s5, s5, s12
	s_addc_u32 s6, s6, s13
	;; [unrolled: 2-line block ×3, first 2 shown]
	v_add_co_u32 v0, s2, s2, v3
	s_delay_alu instid0(VALU_DEP_1)
	v_add_co_ci_u32_e64 v1, null, s3, 0, s2
	v_add_nc_u32_e32 v2, 0x80, v2
	s_lshl_b64 s[0:1], s[0:1], 3
.LBB137_169:                            ; =>This Inner Loop Header: Depth=1
	ds_load_b64 v[3:4], v2
	v_add_nc_u32_e32 v2, 32, v2
	s_add_i32 s4, s4, -1
	s_delay_alu instid0(SALU_CYCLE_1)
	s_cmp_lg_u32 s4, 0
	s_waitcnt lgkmcnt(0)
	global_store_b64 v[0:1], v[3:4], off
	v_add_co_u32 v0, vcc_lo, v0, s0
	v_add_co_ci_u32_e32 v1, vcc_lo, s1, v1, vcc_lo
	s_cbranch_scc1 .LBB137_169
.LBB137_170:
	s_nop 0
	s_sendmsg sendmsg(MSG_DEALLOC_VGPRS)
	s_endpgm
	.section	.rodata,"a",@progbits
	.p2align	6, 0x0
	.amdhsa_kernel _ZL31rocblas_trsm_small_right_deviceI19rocblas_complex_numIfES1_PKPKS1_PKPS1_Li4EEv13rocblas_fill_18rocblas_operation_17rocblas_diagonal_iiT0_T1_lilT2_lili
		.amdhsa_group_segment_fixed_size 256
		.amdhsa_private_segment_fixed_size 0
		.amdhsa_kernarg_size 360
		.amdhsa_user_sgpr_count 14
		.amdhsa_user_sgpr_dispatch_ptr 0
		.amdhsa_user_sgpr_queue_ptr 0
		.amdhsa_user_sgpr_kernarg_segment_ptr 1
		.amdhsa_user_sgpr_dispatch_id 0
		.amdhsa_user_sgpr_private_segment_size 0
		.amdhsa_wavefront_size32 1
		.amdhsa_uses_dynamic_stack 0
		.amdhsa_enable_private_segment 0
		.amdhsa_system_sgpr_workgroup_id_x 1
		.amdhsa_system_sgpr_workgroup_id_y 0
		.amdhsa_system_sgpr_workgroup_id_z 1
		.amdhsa_system_sgpr_workgroup_info 0
		.amdhsa_system_vgpr_workitem_id 0
		.amdhsa_next_free_vgpr 22
		.amdhsa_next_free_sgpr 36
		.amdhsa_reserve_vcc 1
		.amdhsa_float_round_mode_32 0
		.amdhsa_float_round_mode_16_64 0
		.amdhsa_float_denorm_mode_32 3
		.amdhsa_float_denorm_mode_16_64 3
		.amdhsa_dx10_clamp 1
		.amdhsa_ieee_mode 1
		.amdhsa_fp16_overflow 0
		.amdhsa_workgroup_processor_mode 1
		.amdhsa_memory_ordered 1
		.amdhsa_forward_progress 0
		.amdhsa_shared_vgpr_count 0
		.amdhsa_exception_fp_ieee_invalid_op 0
		.amdhsa_exception_fp_denorm_src 0
		.amdhsa_exception_fp_ieee_div_zero 0
		.amdhsa_exception_fp_ieee_overflow 0
		.amdhsa_exception_fp_ieee_underflow 0
		.amdhsa_exception_fp_ieee_inexact 0
		.amdhsa_exception_int_div_zero 0
	.end_amdhsa_kernel
	.section	.text._ZL31rocblas_trsm_small_right_deviceI19rocblas_complex_numIfES1_PKPKS1_PKPS1_Li4EEv13rocblas_fill_18rocblas_operation_17rocblas_diagonal_iiT0_T1_lilT2_lili,"axG",@progbits,_ZL31rocblas_trsm_small_right_deviceI19rocblas_complex_numIfES1_PKPKS1_PKPS1_Li4EEv13rocblas_fill_18rocblas_operation_17rocblas_diagonal_iiT0_T1_lilT2_lili,comdat
.Lfunc_end137:
	.size	_ZL31rocblas_trsm_small_right_deviceI19rocblas_complex_numIfES1_PKPKS1_PKPS1_Li4EEv13rocblas_fill_18rocblas_operation_17rocblas_diagonal_iiT0_T1_lilT2_lili, .Lfunc_end137-_ZL31rocblas_trsm_small_right_deviceI19rocblas_complex_numIfES1_PKPKS1_PKPS1_Li4EEv13rocblas_fill_18rocblas_operation_17rocblas_diagonal_iiT0_T1_lilT2_lili
                                        ; -- End function
	.section	.AMDGPU.csdata,"",@progbits
; Kernel info:
; codeLenInByte = 14668
; NumSgprs: 38
; NumVgprs: 22
; ScratchSize: 0
; MemoryBound: 0
; FloatMode: 240
; IeeeMode: 1
; LDSByteSize: 256 bytes/workgroup (compile time only)
; SGPRBlocks: 4
; VGPRBlocks: 2
; NumSGPRsForWavesPerEU: 38
; NumVGPRsForWavesPerEU: 22
; Occupancy: 16
; WaveLimiterHint : 0
; COMPUTE_PGM_RSRC2:SCRATCH_EN: 0
; COMPUTE_PGM_RSRC2:USER_SGPR: 14
; COMPUTE_PGM_RSRC2:TRAP_HANDLER: 0
; COMPUTE_PGM_RSRC2:TGID_X_EN: 1
; COMPUTE_PGM_RSRC2:TGID_Y_EN: 0
; COMPUTE_PGM_RSRC2:TGID_Z_EN: 1
; COMPUTE_PGM_RSRC2:TIDIG_COMP_CNT: 0
	.section	.text._ZL38rocblas_trsm_small_left_device_sharedBILi8ELi8ELb0E19rocblas_complex_numIfES1_PKPKS1_PKPS1_Ev13rocblas_fill_18rocblas_operation_17rocblas_diagonal_iiT3_T4_lilT5_lili,"axG",@progbits,_ZL38rocblas_trsm_small_left_device_sharedBILi8ELi8ELb0E19rocblas_complex_numIfES1_PKPKS1_PKPS1_Ev13rocblas_fill_18rocblas_operation_17rocblas_diagonal_iiT3_T4_lilT5_lili,comdat
	.globl	_ZL38rocblas_trsm_small_left_device_sharedBILi8ELi8ELb0E19rocblas_complex_numIfES1_PKPKS1_PKPS1_Ev13rocblas_fill_18rocblas_operation_17rocblas_diagonal_iiT3_T4_lilT5_lili ; -- Begin function _ZL38rocblas_trsm_small_left_device_sharedBILi8ELi8ELb0E19rocblas_complex_numIfES1_PKPKS1_PKPS1_Ev13rocblas_fill_18rocblas_operation_17rocblas_diagonal_iiT3_T4_lilT5_lili
	.p2align	8
	.type	_ZL38rocblas_trsm_small_left_device_sharedBILi8ELi8ELb0E19rocblas_complex_numIfES1_PKPKS1_PKPS1_Ev13rocblas_fill_18rocblas_operation_17rocblas_diagonal_iiT3_T4_lilT5_lili,@function
_ZL38rocblas_trsm_small_left_device_sharedBILi8ELi8ELb0E19rocblas_complex_numIfES1_PKPKS1_PKPS1_Ev13rocblas_fill_18rocblas_operation_17rocblas_diagonal_iiT3_T4_lilT5_lili: ; @_ZL38rocblas_trsm_small_left_device_sharedBILi8ELi8ELb0E19rocblas_complex_numIfES1_PKPKS1_PKPS1_Ev13rocblas_fill_18rocblas_operation_17rocblas_diagonal_iiT3_T4_lilT5_lili
; %bb.0:
	s_clause 0x1
	s_load_b128 s[8:11], s[2:3], 0x40
	s_load_b128 s[4:7], s[2:3], 0x4
	s_mov_b32 s20, s15
	s_mov_b32 s21, 0
	s_load_b32 s30, s[2:3], 0x68
	s_lshl_b64 s[24:25], s[20:21], 3
	v_and_b32_e32 v7, 0x3ff, v0
	s_mov_b32 s31, exec_lo
	s_waitcnt lgkmcnt(0)
	s_add_u32 s12, s8, s24
	s_addc_u32 s13, s9, s25
	s_load_b64 s[8:9], s[2:3], 0x14
	s_load_b64 s[12:13], s[12:13], 0x0
	s_min_i32 s20, s6, 8
	s_delay_alu instid0(SALU_CYCLE_1)
	s_add_i32 s15, s20, -1
	v_cmpx_gt_i32_e64 s20, v7
	s_cbranch_execz .LBB138_35
; %bb.1:
	s_clause 0x1
	s_load_b32 s22, s[2:3], 0x30
	s_load_b128 s[16:19], s[2:3], 0x20
	s_waitcnt lgkmcnt(0)
	s_ashr_i32 s23, s22, 31
	s_cmpk_lg_i32 s4, 0x71
	s_cselect_b32 s33, -1, 0
	s_add_u32 s16, s16, s24
	s_addc_u32 s17, s17, s25
	v_cndmask_b32_e64 v8, 0, 1, s33
	s_load_b64 s[16:17], s[16:17], 0x0
	s_cmp_lt_u32 s15, 3
	s_cbranch_scc1 .LBB138_20
; %bb.2:
	v_lshlrev_b32_e32 v9, 3, v7
	s_lshl_b64 s[24:25], s[18:19], 3
	s_mul_hi_i32 s34, s22, 24
	s_waitcnt lgkmcnt(0)
	s_add_u32 s21, s16, s24
	s_addc_u32 s24, s17, s25
	v_add_co_u32 v1, s21, s21, v9
	s_delay_alu instid0(VALU_DEP_1)
	v_add_co_ci_u32_e64 v2, null, s24, 0, s21
	s_and_b32 s21, s20, -4
	s_mul_i32 s35, s22, 24
	s_lshl_b64 s[24:25], s[22:23], 5
	s_lshl_b64 s[26:27], s[22:23], 4
	;; [unrolled: 1-line block ×3, first 2 shown]
	s_mov_b32 s36, 0
	s_branch .LBB138_4
.LBB138_3:                              ;   in Loop: Header=BB138_4 Depth=1
	global_load_b32 v3, v[5:6], off
	v_add_co_u32 v1, vcc_lo, v1, s24
	v_add_co_ci_u32_e32 v2, vcc_lo, s25, v2, vcc_lo
	s_add_i32 s36, s36, 4
	s_delay_alu instid0(SALU_CYCLE_1)
	s_cmp_eq_u32 s21, s36
	s_waitcnt vmcnt(0)
	ds_store_b64 v9, v[3:4] offset:192
	v_add_nc_u32_e32 v9, 0x100, v9
	s_cbranch_scc1 .LBB138_20
.LBB138_4:                              ; =>This Inner Loop Header: Depth=1
	s_and_b32 vcc_lo, exec_lo, s33
	s_cbranch_vccz .LBB138_6
; %bb.5:                                ;   in Loop: Header=BB138_4 Depth=1
	global_load_b32 v4, v[1:2], off offset:4
	s_cbranch_execz .LBB138_7
	s_branch .LBB138_8
.LBB138_6:                              ;   in Loop: Header=BB138_4 Depth=1
                                        ; implicit-def: $vgpr4
.LBB138_7:                              ;   in Loop: Header=BB138_4 Depth=1
	global_load_b32 v3, v[1:2], off offset:4
	s_waitcnt vmcnt(0)
	v_xor_b32_e32 v4, 0x80000000, v3
.LBB138_8:                              ;   in Loop: Header=BB138_4 Depth=1
	global_load_b32 v3, v[1:2], off
	v_add_co_u32 v5, vcc_lo, v1, s28
	v_add_co_ci_u32_e32 v6, vcc_lo, s29, v2, vcc_lo
	s_and_not1_b32 vcc_lo, exec_lo, s33
	s_waitcnt vmcnt(0)
	ds_store_b64 v9, v[3:4]
	s_cbranch_vccnz .LBB138_10
; %bb.9:                                ;   in Loop: Header=BB138_4 Depth=1
	global_load_b32 v4, v[5:6], off offset:4
	s_cbranch_execz .LBB138_11
	s_branch .LBB138_12
.LBB138_10:                             ;   in Loop: Header=BB138_4 Depth=1
                                        ; implicit-def: $vgpr4
.LBB138_11:                             ;   in Loop: Header=BB138_4 Depth=1
	global_load_b32 v3, v[5:6], off offset:4
	s_waitcnt vmcnt(0)
	v_xor_b32_e32 v4, 0x80000000, v3
.LBB138_12:                             ;   in Loop: Header=BB138_4 Depth=1
	global_load_b32 v3, v[5:6], off
	v_add_co_u32 v5, vcc_lo, v1, s26
	v_add_co_ci_u32_e32 v6, vcc_lo, s27, v2, vcc_lo
	s_and_not1_b32 vcc_lo, exec_lo, s33
	s_waitcnt vmcnt(0)
	ds_store_b64 v9, v[3:4] offset:64
	s_cbranch_vccnz .LBB138_14
; %bb.13:                               ;   in Loop: Header=BB138_4 Depth=1
	global_load_b32 v4, v[5:6], off offset:4
	s_cbranch_execz .LBB138_15
	s_branch .LBB138_16
.LBB138_14:                             ;   in Loop: Header=BB138_4 Depth=1
                                        ; implicit-def: $vgpr4
.LBB138_15:                             ;   in Loop: Header=BB138_4 Depth=1
	global_load_b32 v3, v[5:6], off offset:4
	s_waitcnt vmcnt(0)
	v_xor_b32_e32 v4, 0x80000000, v3
.LBB138_16:                             ;   in Loop: Header=BB138_4 Depth=1
	global_load_b32 v3, v[5:6], off
	v_add_co_u32 v5, vcc_lo, v1, s35
	v_add_co_ci_u32_e32 v6, vcc_lo, s34, v2, vcc_lo
	s_and_not1_b32 vcc_lo, exec_lo, s33
	s_waitcnt vmcnt(0)
	ds_store_b64 v9, v[3:4] offset:128
	s_cbranch_vccnz .LBB138_18
; %bb.17:                               ;   in Loop: Header=BB138_4 Depth=1
	global_load_b32 v4, v[5:6], off offset:4
	s_cbranch_execnz .LBB138_3
	s_branch .LBB138_19
.LBB138_18:                             ;   in Loop: Header=BB138_4 Depth=1
                                        ; implicit-def: $vgpr4
.LBB138_19:                             ;   in Loop: Header=BB138_4 Depth=1
	global_load_b32 v3, v[5:6], off offset:4
	s_waitcnt vmcnt(0)
	v_xor_b32_e32 v4, 0x80000000, v3
	s_branch .LBB138_3
.LBB138_20:
	s_and_b32 s24, s20, 3
	s_delay_alu instid0(SALU_CYCLE_1)
	s_cmp_eq_u32 s24, 0
	s_cbranch_scc1 .LBB138_27
; %bb.21:
	s_mul_i32 s25, s23, s21
	s_mul_hi_u32 s27, s22, s21
	s_mul_i32 s26, s22, s21
	s_add_i32 s27, s27, s25
	s_lshl_b64 s[18:19], s[18:19], 3
	s_lshl_b64 s[26:27], s[26:27], 3
	v_lshlrev_b32_e32 v1, 3, v7
	s_add_u32 s18, s26, s18
	s_addc_u32 s19, s27, s19
	s_waitcnt lgkmcnt(0)
	s_add_u32 s16, s16, s18
	s_addc_u32 s17, s17, s19
	v_add_co_u32 v2, s16, s16, v1
	s_delay_alu instid0(VALU_DEP_1) | instskip(SKIP_1) | instid1(VALU_DEP_3)
	v_add_co_ci_u32_e64 v3, null, s17, 0, s16
	v_lshl_or_b32 v5, s21, 6, v1
	v_add_co_u32 v1, vcc_lo, v2, 4
	s_delay_alu instid0(VALU_DEP_3)
	v_add_co_ci_u32_e32 v2, vcc_lo, 0, v3, vcc_lo
	s_lshl_b64 s[16:17], s[22:23], 3
	s_set_inst_prefetch_distance 0x1
	s_branch .LBB138_23
	.p2align	6
.LBB138_22:                             ;   in Loop: Header=BB138_23 Depth=1
	global_load_b32 v3, v[1:2], off offset:-4
	v_add_co_u32 v1, vcc_lo, v1, s16
	v_add_co_ci_u32_e32 v2, vcc_lo, s17, v2, vcc_lo
	s_add_i32 s24, s24, -1
	s_delay_alu instid0(SALU_CYCLE_1)
	s_cmp_lg_u32 s24, 0
	s_waitcnt vmcnt(0)
	ds_store_b64 v5, v[3:4]
	v_add_nc_u32_e32 v5, 64, v5
	s_cbranch_scc0 .LBB138_27
.LBB138_23:                             ; =>This Inner Loop Header: Depth=1
	v_cmp_ne_u32_e32 vcc_lo, 1, v8
	s_mov_b32 s18, -1
                                        ; implicit-def: $vgpr4
	s_cbranch_vccnz .LBB138_25
; %bb.24:                               ;   in Loop: Header=BB138_23 Depth=1
	global_load_b32 v4, v[1:2], off
	s_mov_b32 s18, 0
.LBB138_25:                             ;   in Loop: Header=BB138_23 Depth=1
	s_delay_alu instid0(SALU_CYCLE_1)
	s_and_not1_b32 vcc_lo, exec_lo, s18
	s_cbranch_vccnz .LBB138_22
; %bb.26:                               ;   in Loop: Header=BB138_23 Depth=1
	global_load_b32 v3, v[1:2], off
	s_waitcnt vmcnt(0)
	v_xor_b32_e32 v4, 0x80000000, v3
	s_branch .LBB138_22
.LBB138_27:
	s_set_inst_prefetch_distance 0x2
	v_mul_u32_u24_e32 v1, 9, v7
	s_cmpk_lg_i32 s5, 0x84
	s_mov_b32 s5, -1
	s_delay_alu instid0(VALU_DEP_1)
	v_lshlrev_b32_e32 v5, 3, v1
	s_cbranch_scc0 .LBB138_33
; %bb.28:
	ds_load_b64 v[1:2], v5
	s_waitcnt lgkmcnt(0)
	v_cmp_gt_f32_e32 vcc_lo, 0, v1
	v_cndmask_b32_e64 v3, v1, -v1, vcc_lo
	v_cmp_gt_f32_e32 vcc_lo, 0, v2
	v_cndmask_b32_e64 v4, v2, -v2, vcc_lo
	s_delay_alu instid0(VALU_DEP_1) | instskip(SKIP_1) | instid1(SALU_CYCLE_1)
	v_cmp_ngt_f32_e32 vcc_lo, v3, v4
                                        ; implicit-def: $vgpr3
	s_and_saveexec_b32 s5, vcc_lo
	s_xor_b32 s5, exec_lo, s5
	s_cbranch_execz .LBB138_30
; %bb.29:
	v_div_scale_f32 v3, null, v2, v2, v1
	v_div_scale_f32 v8, vcc_lo, v1, v2, v1
	s_delay_alu instid0(VALU_DEP_2) | instskip(SKIP_2) | instid1(VALU_DEP_1)
	v_rcp_f32_e32 v4, v3
	s_waitcnt_depctr 0xfff
	v_fma_f32 v6, -v3, v4, 1.0
	v_fmac_f32_e32 v4, v6, v4
	s_delay_alu instid0(VALU_DEP_1) | instskip(NEXT) | instid1(VALU_DEP_1)
	v_mul_f32_e32 v6, v8, v4
	v_fma_f32 v9, -v3, v6, v8
	s_delay_alu instid0(VALU_DEP_1) | instskip(NEXT) | instid1(VALU_DEP_1)
	v_fmac_f32_e32 v6, v9, v4
	v_fma_f32 v3, -v3, v6, v8
	s_delay_alu instid0(VALU_DEP_1) | instskip(NEXT) | instid1(VALU_DEP_1)
	v_div_fmas_f32 v3, v3, v4, v6
	v_div_fixup_f32 v3, v3, v2, v1
	s_delay_alu instid0(VALU_DEP_1) | instskip(NEXT) | instid1(VALU_DEP_1)
	v_fmac_f32_e32 v2, v1, v3
	v_div_scale_f32 v1, null, v2, v2, 1.0
	v_div_scale_f32 v8, vcc_lo, 1.0, v2, 1.0
	s_delay_alu instid0(VALU_DEP_2) | instskip(SKIP_2) | instid1(VALU_DEP_1)
	v_rcp_f32_e32 v4, v1
	s_waitcnt_depctr 0xfff
	v_fma_f32 v6, -v1, v4, 1.0
	v_fmac_f32_e32 v4, v6, v4
	s_delay_alu instid0(VALU_DEP_1) | instskip(NEXT) | instid1(VALU_DEP_1)
	v_mul_f32_e32 v6, v8, v4
	v_fma_f32 v9, -v1, v6, v8
	s_delay_alu instid0(VALU_DEP_1) | instskip(NEXT) | instid1(VALU_DEP_1)
	v_fmac_f32_e32 v6, v9, v4
	v_fma_f32 v1, -v1, v6, v8
	s_delay_alu instid0(VALU_DEP_1) | instskip(SKIP_1) | instid1(VALU_DEP_2)
	v_div_fmas_f32 v1, v1, v4, v6
	v_add_f32_e32 v4, 0, v3
	v_div_fixup_f32 v1, v1, v2, 1.0
	v_fma_f32 v2, v3, 0, -1.0
	s_delay_alu instid0(VALU_DEP_2) | instskip(NEXT) | instid1(VALU_DEP_2)
	v_mul_f32_e32 v3, v4, v1
	v_mul_f32_e32 v4, v2, v1
                                        ; implicit-def: $vgpr1_vgpr2
.LBB138_30:
	s_and_not1_saveexec_b32 s5, s5
	s_cbranch_execz .LBB138_32
; %bb.31:
	v_div_scale_f32 v3, null, v1, v1, v2
	v_div_scale_f32 v8, vcc_lo, v2, v1, v2
	s_delay_alu instid0(VALU_DEP_2) | instskip(SKIP_2) | instid1(VALU_DEP_1)
	v_rcp_f32_e32 v4, v3
	s_waitcnt_depctr 0xfff
	v_fma_f32 v6, -v3, v4, 1.0
	v_fmac_f32_e32 v4, v6, v4
	s_delay_alu instid0(VALU_DEP_1) | instskip(NEXT) | instid1(VALU_DEP_1)
	v_mul_f32_e32 v6, v8, v4
	v_fma_f32 v9, -v3, v6, v8
	s_delay_alu instid0(VALU_DEP_1) | instskip(NEXT) | instid1(VALU_DEP_1)
	v_fmac_f32_e32 v6, v9, v4
	v_fma_f32 v3, -v3, v6, v8
	s_delay_alu instid0(VALU_DEP_1) | instskip(NEXT) | instid1(VALU_DEP_1)
	v_div_fmas_f32 v3, v3, v4, v6
	v_div_fixup_f32 v4, v3, v1, v2
	s_delay_alu instid0(VALU_DEP_1) | instskip(NEXT) | instid1(VALU_DEP_1)
	v_fmac_f32_e32 v1, v2, v4
	v_div_scale_f32 v2, null, v1, v1, 1.0
	v_div_scale_f32 v8, vcc_lo, 1.0, v1, 1.0
	s_delay_alu instid0(VALU_DEP_2) | instskip(SKIP_2) | instid1(VALU_DEP_1)
	v_rcp_f32_e32 v3, v2
	s_waitcnt_depctr 0xfff
	v_fma_f32 v6, -v2, v3, 1.0
	v_fmac_f32_e32 v3, v6, v3
	s_delay_alu instid0(VALU_DEP_1) | instskip(NEXT) | instid1(VALU_DEP_1)
	v_mul_f32_e32 v6, v8, v3
	v_fma_f32 v9, -v2, v6, v8
	s_delay_alu instid0(VALU_DEP_1) | instskip(NEXT) | instid1(VALU_DEP_1)
	v_fmac_f32_e32 v6, v9, v3
	v_fma_f32 v2, -v2, v6, v8
	s_delay_alu instid0(VALU_DEP_1) | instskip(SKIP_1) | instid1(VALU_DEP_2)
	v_div_fmas_f32 v2, v2, v3, v6
	v_fma_f32 v3, v4, 0, 1.0
	v_div_fixup_f32 v1, v2, v1, 1.0
	s_delay_alu instid0(VALU_DEP_1)
	v_mul_f32_e32 v3, v3, v1
	v_mul_f32_e64 v4, -v4, v1
.LBB138_32:
	s_or_b32 exec_lo, exec_lo, s5
	s_mov_b32 s5, 0
	ds_store_b64 v5, v[3:4]
.LBB138_33:
	s_and_b32 vcc_lo, exec_lo, s5
	s_cbranch_vccz .LBB138_35
; %bb.34:
	v_dual_mov_b32 v1, 1.0 :: v_dual_mov_b32 v2, 0
	ds_store_b64 v5, v[1:2]
.LBB138_35:
	s_or_b32 exec_lo, exec_lo, s31
	s_load_b32 s2, s[2:3], 0x50
	s_lshl_b64 s[10:11], s[10:11], 3
	s_waitcnt lgkmcnt(0)
	s_add_u32 s3, s12, s10
	s_addc_u32 s5, s13, s11
	s_lshl_b32 s10, s14, 3
	s_add_i32 s30, s30, -1
	s_sub_i32 s7, s7, s10
	s_cmp_ge_u32 s14, s30
	s_cselect_b32 s7, s7, 8
	s_delay_alu instid0(SALU_CYCLE_1) | instskip(SKIP_2) | instid1(SALU_CYCLE_1)
	v_cmp_gt_i32_e32 vcc_lo, s7, v7
	s_mul_hi_i32 s11, s2, s10
	s_mul_i32 s10, s2, s10
	s_lshl_b64 s[10:11], s[10:11], 3
	s_delay_alu instid0(SALU_CYCLE_1) | instskip(SKIP_4) | instid1(SALU_CYCLE_1)
	s_add_u32 s3, s3, s10
	s_addc_u32 s5, s5, s11
	s_cmp_gt_i32 s6, 0
	s_mov_b32 s10, -1
	s_cselect_b32 s7, -1, 0
	s_and_b32 s7, vcc_lo, s7
	s_delay_alu instid0(SALU_CYCLE_1)
	s_and_saveexec_b32 s11, s7
	s_cbranch_execz .LBB138_44
; %bb.36:
	v_mad_i64_i32 v[1:2], null, s2, v7, 0
	s_cmp_eq_u32 s6, 1
	s_delay_alu instid0(VALU_DEP_1) | instskip(NEXT) | instid1(VALU_DEP_1)
	v_lshlrev_b64 v[1:2], 3, v[1:2]
	v_add_co_u32 v1, vcc_lo, s3, v1
	s_delay_alu instid0(VALU_DEP_2) | instskip(SKIP_3) | instid1(VALU_DEP_1)
	v_add_co_ci_u32_e32 v2, vcc_lo, s5, v2, vcc_lo
	global_load_b64 v[3:4], v[1:2], off
	s_waitcnt vmcnt(0)
	v_mul_f32_e32 v5, s8, v4
	v_dual_mul_f32 v6, s9, v4 :: v_dual_fmac_f32 v5, s9, v3
	s_delay_alu instid0(VALU_DEP_1)
	v_fma_f32 v4, s8, v3, -v6
	v_lshlrev_b32_e32 v3, 3, v7
	ds_store_b64 v3, v[4:5] offset:512
	s_cbranch_scc1 .LBB138_44
; %bb.37:
	global_load_b64 v[4:5], v[1:2], off offset:8
	v_or_b32_e32 v3, 0x200, v3
	s_cmp_eq_u32 s6, 2
	s_waitcnt vmcnt(0)
	v_mul_f32_e32 v8, s9, v5
	v_mul_f32_e32 v6, s8, v5
	s_delay_alu instid0(VALU_DEP_2) | instskip(NEXT) | instid1(VALU_DEP_2)
	v_fma_f32 v5, s8, v4, -v8
	v_fmac_f32_e32 v6, s9, v4
	ds_store_b64 v3, v[5:6] offset:64
	s_cbranch_scc1 .LBB138_44
; %bb.38:
	global_load_b64 v[4:5], v[1:2], off offset:16
	s_cmp_eq_u32 s6, 3
	s_waitcnt vmcnt(0)
	v_mul_f32_e32 v8, s9, v5
	v_mul_f32_e32 v6, s8, v5
	s_delay_alu instid0(VALU_DEP_2) | instskip(NEXT) | instid1(VALU_DEP_2)
	v_fma_f32 v5, s8, v4, -v8
	v_fmac_f32_e32 v6, s9, v4
	ds_store_b64 v3, v[5:6] offset:128
	s_cbranch_scc1 .LBB138_44
; %bb.39:
	global_load_b64 v[4:5], v[1:2], off offset:24
	;; [unrolled: 11-line block ×6, first 2 shown]
	s_waitcnt vmcnt(0)
	v_mul_f32_e32 v5, s8, v2
	s_delay_alu instid0(VALU_DEP_1) | instskip(NEXT) | instid1(VALU_DEP_1)
	v_dual_mul_f32 v4, s9, v2 :: v_dual_fmac_f32 v5, s9, v1
	v_fma_f32 v4, s8, v1, -v4
	ds_store_b64 v3, v[4:5] offset:448
.LBB138_44:
	s_or_b32 exec_lo, exec_lo, s11
	s_load_b64 s[0:1], s[0:1], 0x4
	v_bfe_u32 v1, v0, 10, 10
	v_bfe_u32 v0, v0, 20, 10
	s_waitcnt vmcnt(0) lgkmcnt(0)
	s_waitcnt_vscnt null, 0x0
	; wave barrier
	s_waitcnt lgkmcnt(0)
	buffer_gl0_inv
	s_lshr_b32 s0, s0, 16
	v_mul_u32_u24_e32 v1, s1, v1
	s_mul_i32 s0, s0, s1
	s_cmpk_eq_i32 s4, 0x6f
	v_mul_u32_u24_e32 v2, s0, v7
	s_delay_alu instid0(VALU_DEP_1) | instskip(NEXT) | instid1(VALU_DEP_1)
	v_add3_u32 v0, v2, v1, v0
	v_lshl_add_u32 v2, v0, 6, 0x400
	s_cbranch_scc1 .LBB138_66
; %bb.45:
	v_lshl_or_b32 v3, v7, 3, 0x200
	v_lshlrev_b32_e32 v4, 3, v7
	s_mov_b32 s1, 0
	s_delay_alu instid0(SALU_CYCLE_1)
	s_mov_b32 s0, s1
	s_mov_b32 s4, s1
	s_branch .LBB138_47
.LBB138_46:                             ;   in Loop: Header=BB138_47 Depth=1
	s_cmp_ge_i32 s4, s20
	s_cselect_b32 s8, -1, 0
	s_add_i32 s0, s0, 1
	s_delay_alu instid0(SALU_CYCLE_1) | instskip(SKIP_1) | instid1(SALU_CYCLE_1)
	s_cmp_eq_u32 s0, 3
	s_cselect_b32 s9, -1, 0
	s_or_b32 s8, s8, s9
	s_delay_alu instid0(SALU_CYCLE_1)
	s_and_not1_b32 vcc_lo, exec_lo, s8
	s_cbranch_vccz .LBB138_65
.LBB138_47:                             ; =>This Loop Header: Depth=1
                                        ;     Child Loop BB138_50 Depth 2
                                        ;       Child Loop BB138_51 Depth 3
                                        ;       Child Loop BB138_54 Depth 3
                                        ;         Child Loop BB138_55 Depth 4
                                        ;       Child Loop BB138_59 Depth 3
                                        ;         Child Loop BB138_61 Depth 4
	s_getpc_b64 s[8:9]
	s_add_u32 s8, s8, __const._ZL38rocblas_trsm_small_left_device_sharedBILi8ELi8ELb0E19rocblas_complex_numIfES1_PKPKS1_PKPS1_Ev13rocblas_fill_18rocblas_operation_17rocblas_diagonal_iiT3_T4_lilT5_lili.step_sizes@rel32@lo+4
	s_addc_u32 s9, s9, __const._ZL38rocblas_trsm_small_left_device_sharedBILi8ELi8ELb0E19rocblas_complex_numIfES1_PKPKS1_PKPS1_Ev13rocblas_fill_18rocblas_operation_17rocblas_diagonal_iiT3_T4_lilT5_lili.step_sizes@rel32@hi+12
	s_lshl_b64 s[10:11], s[0:1], 2
	s_delay_alu instid0(SALU_CYCLE_1) | instskip(SKIP_4) | instid1(SALU_CYCLE_1)
	s_add_u32 s8, s10, s8
	s_addc_u32 s9, s11, s9
	s_load_b32 s8, s[8:9], 0x0
	s_waitcnt lgkmcnt(0)
	s_add_i32 s9, s8, -1
	s_add_i32 s10, s9, s4
	s_delay_alu instid0(SALU_CYCLE_1)
	s_cmp_ge_i32 s10, s20
	s_cbranch_scc1 .LBB138_46
; %bb.48:                               ;   in Loop: Header=BB138_47 Depth=1
	s_lshl_b32 s10, s4, 6
	s_max_i32 s11, s8, 1
	v_add_nc_u32_e32 v5, s10, v3
	s_lshl_b32 s12, s8, 6
	s_mul_i32 s13, s4, 0x48
	s_mul_i32 s14, s8, 0x48
	s_branch .LBB138_50
.LBB138_49:                             ;   in Loop: Header=BB138_50 Depth=2
	s_add_i32 s4, s4, s8
	v_add_nc_u32_e32 v5, s12, v5
	s_add_i32 s16, s9, s4
	s_add_i32 s10, s10, s12
	s_add_i32 s13, s13, s14
	s_cmp_ge_i32 s16, s20
	s_cbranch_scc1 .LBB138_46
.LBB138_50:                             ;   Parent Loop BB138_47 Depth=1
                                        ; =>  This Loop Header: Depth=2
                                        ;       Child Loop BB138_51 Depth 3
                                        ;       Child Loop BB138_54 Depth 3
                                        ;         Child Loop BB138_55 Depth 4
                                        ;       Child Loop BB138_59 Depth 3
                                        ;         Child Loop BB138_61 Depth 4
	v_dual_mov_b32 v0, v2 :: v_dual_mov_b32 v1, v5
	s_mov_b32 s16, s11
.LBB138_51:                             ;   Parent Loop BB138_47 Depth=1
                                        ;     Parent Loop BB138_50 Depth=2
                                        ; =>    This Inner Loop Header: Depth=3
	ds_load_b64 v[8:9], v1
	v_add_nc_u32_e32 v1, 64, v1
	s_add_i32 s16, s16, -1
	s_delay_alu instid0(SALU_CYCLE_1)
	s_cmp_eq_u32 s16, 0
	s_waitcnt lgkmcnt(0)
	ds_store_b64 v0, v[8:9]
	v_add_nc_u32_e32 v0, 8, v0
	s_cbranch_scc0 .LBB138_51
; %bb.52:                               ;   in Loop: Header=BB138_50 Depth=2
	s_cmp_lt_i32 s4, 1
	s_cbranch_scc1 .LBB138_57
; %bb.53:                               ;   in Loop: Header=BB138_50 Depth=2
	s_mov_b32 s16, 0
	s_mov_b32 s17, s10
	.p2align	6
.LBB138_54:                             ;   Parent Loop BB138_47 Depth=1
                                        ;     Parent Loop BB138_50 Depth=2
                                        ; =>    This Loop Header: Depth=3
                                        ;         Child Loop BB138_55 Depth 4
	v_lshl_or_b32 v0, s16, 6, v4
	v_mov_b32_e32 v6, v2
	s_mov_b32 s18, s17
	s_mov_b32 s19, s11
	ds_load_b64 v[0:1], v0 offset:512
	.p2align	6
.LBB138_55:                             ;   Parent Loop BB138_47 Depth=1
                                        ;     Parent Loop BB138_50 Depth=2
                                        ;       Parent Loop BB138_54 Depth=3
                                        ; =>      This Inner Loop Header: Depth=4
	v_mov_b32_e32 v8, s18
	s_add_i32 s19, s19, -1
	s_add_i32 s18, s18, 64
	s_cmp_eq_u32 s19, 0
	ds_load_b64 v[8:9], v8
	ds_load_b64 v[10:11], v6
	s_waitcnt lgkmcnt(1)
	v_mul_f32_e32 v12, v9, v1
	v_mul_f32_e32 v9, v9, v0
	s_delay_alu instid0(VALU_DEP_2) | instskip(SKIP_1) | instid1(VALU_DEP_1)
	v_fma_f32 v12, v8, v0, -v12
	s_waitcnt lgkmcnt(0)
	v_dual_fmac_f32 v9, v8, v1 :: v_dual_sub_f32 v8, v10, v12
	s_delay_alu instid0(VALU_DEP_1)
	v_sub_f32_e32 v9, v11, v9
	ds_store_b64 v6, v[8:9]
	v_add_nc_u32_e32 v6, 8, v6
	s_cbranch_scc0 .LBB138_55
; %bb.56:                               ;   in Loop: Header=BB138_54 Depth=3
	s_add_i32 s16, s16, 1
	s_add_i32 s17, s17, 8
	s_cmp_ge_i32 s16, s4
	s_cbranch_scc0 .LBB138_54
.LBB138_57:                             ;   in Loop: Header=BB138_50 Depth=2
	s_lshl_b32 s16, s4, 3
	s_mov_b32 s17, 0
	s_mov_b32 s18, s13
	s_branch .LBB138_59
.LBB138_58:                             ;   in Loop: Header=BB138_59 Depth=3
	s_mulk_i32 s21, 0x48
	s_add_i32 s17, s17, 1
	v_mov_b32_e32 v8, s21
	s_add_i32 s18, s18, 64
	s_cmp_eq_u32 s17, s11
	ds_load_b64 v[8:9], v8
	s_waitcnt lgkmcnt(0)
	v_mul_f32_e32 v10, v9, v1
	v_mul_f32_e32 v11, v8, v1
	s_delay_alu instid0(VALU_DEP_2) | instskip(NEXT) | instid1(VALU_DEP_2)
	v_fma_f32 v10, v8, v0, -v10
	v_fmac_f32_e32 v11, v9, v0
	v_add_lshl_u32 v0, s19, v7, 3
	ds_store_b64 v6, v[10:11]
	ds_store_b64 v0, v[10:11] offset:512
	s_cbranch_scc1 .LBB138_49
.LBB138_59:                             ;   Parent Loop BB138_47 Depth=1
                                        ;     Parent Loop BB138_50 Depth=2
                                        ; =>    This Loop Header: Depth=3
                                        ;         Child Loop BB138_61 Depth 4
	v_lshl_add_u32 v6, s17, 3, v2
	s_cmp_lg_u32 s17, 0
	s_cbranch_scc0 .LBB138_63
; %bb.60:                               ;   in Loop: Header=BB138_59 Depth=3
	ds_load_b64 v[0:1], v6
	v_mov_b32_e32 v8, v2
	s_add_i32 s21, s17, s4
	s_mov_b32 s22, 0
	s_lshl_b32 s19, s21, 3
	s_mov_b32 s23, s18
	.p2align	6
.LBB138_61:                             ;   Parent Loop BB138_47 Depth=1
                                        ;     Parent Loop BB138_50 Depth=2
                                        ;       Parent Loop BB138_59 Depth=3
                                        ; =>      This Inner Loop Header: Depth=4
	s_delay_alu instid0(SALU_CYCLE_1)
	v_mov_b32_e32 v11, s23
	s_add_i32 s22, s22, 1
	s_add_i32 s23, s23, 8
	s_cmp_ge_u32 s22, s17
	ds_load_b64 v[9:10], v8
	ds_load_b64 v[11:12], v11
	s_waitcnt lgkmcnt(0)
	v_dual_mul_f32 v13, v12, v10 :: v_dual_add_nc_u32 v8, 8, v8
	v_mul_f32_e32 v10, v11, v10
	s_delay_alu instid0(VALU_DEP_2) | instskip(NEXT) | instid1(VALU_DEP_2)
	v_fma_f32 v11, v11, v9, -v13
	v_fmac_f32_e32 v10, v12, v9
	s_delay_alu instid0(VALU_DEP_1)
	v_dual_sub_f32 v0, v0, v11 :: v_dual_sub_f32 v1, v1, v10
	ds_store_b64 v6, v[0:1]
	s_cbranch_scc0 .LBB138_61
; %bb.62:                               ;   in Loop: Header=BB138_59 Depth=3
	s_branch .LBB138_58
.LBB138_63:                             ;   in Loop: Header=BB138_59 Depth=3
                                        ; implicit-def: $vgpr0
                                        ; implicit-def: $sgpr21
                                        ; implicit-def: $sgpr19
	s_cbranch_execz .LBB138_58
; %bb.64:                               ;   in Loop: Header=BB138_59 Depth=3
	ds_load_b64 v[0:1], v2
	s_mov_b32 s19, s16
	s_mov_b32 s21, s4
	s_branch .LBB138_58
.LBB138_65:
	s_mov_b32 s10, 0
.LBB138_66:
	s_delay_alu instid0(SALU_CYCLE_1)
	s_and_b32 vcc_lo, exec_lo, s10
	s_cbranch_vccz .LBB138_86
; %bb.67:
	v_lshl_or_b32 v3, v7, 3, 0x200
	v_lshlrev_b32_e32 v4, 3, v7
	s_lshl_b32 s0, s20, 6
	s_mov_b32 s1, 0
	s_sub_i32 s4, s0, 64
	s_mov_b32 s0, s1
	s_mov_b32 s8, s15
	s_branch .LBB138_69
.LBB138_68:                             ;   in Loop: Header=BB138_69 Depth=1
	s_cmp_lt_i32 s8, 0
	s_cselect_b32 s9, -1, 0
	s_add_i32 s0, s0, 1
	s_delay_alu instid0(SALU_CYCLE_1) | instskip(SKIP_1) | instid1(SALU_CYCLE_1)
	s_cmp_eq_u32 s0, 3
	s_cselect_b32 s10, -1, 0
	s_or_b32 s9, s9, s10
	s_delay_alu instid0(SALU_CYCLE_1)
	s_and_b32 vcc_lo, exec_lo, s9
	s_cbranch_vccnz .LBB138_86
.LBB138_69:                             ; =>This Loop Header: Depth=1
                                        ;     Child Loop BB138_72 Depth 2
                                        ;       Child Loop BB138_73 Depth 3
                                        ;       Child Loop BB138_75 Depth 3
                                        ;         Child Loop BB138_76 Depth 4
                                        ;       Child Loop BB138_80 Depth 3
                                        ;         Child Loop BB138_82 Depth 4
	s_getpc_b64 s[10:11]
	s_add_u32 s10, s10, __const._ZL38rocblas_trsm_small_left_device_sharedBILi8ELi8ELb0E19rocblas_complex_numIfES1_PKPKS1_PKPS1_Ev13rocblas_fill_18rocblas_operation_17rocblas_diagonal_iiT3_T4_lilT5_lili.step_sizes@rel32@lo+4
	s_addc_u32 s11, s11, __const._ZL38rocblas_trsm_small_left_device_sharedBILi8ELi8ELb0E19rocblas_complex_numIfES1_PKPKS1_PKPS1_Ev13rocblas_fill_18rocblas_operation_17rocblas_diagonal_iiT3_T4_lilT5_lili.step_sizes@rel32@hi+12
	s_lshl_b64 s[12:13], s[0:1], 2
	s_delay_alu instid0(SALU_CYCLE_1) | instskip(SKIP_4) | instid1(SALU_CYCLE_1)
	s_add_u32 s10, s12, s10
	s_addc_u32 s11, s13, s11
	s_load_b32 s9, s[10:11], 0x0
	s_waitcnt lgkmcnt(0)
	s_add_i32 s10, s9, -1
	s_cmp_lt_i32 s8, s10
	s_cbranch_scc1 .LBB138_68
; %bb.70:                               ;   in Loop: Header=BB138_69 Depth=1
	v_lshl_add_u32 v5, s8, 6, v3
	s_lshl_b32 s12, s9, 6
	s_lshl_b32 s13, s8, 3
	;; [unrolled: 1-line block ×3, first 2 shown]
	s_max_i32 s11, s9, 1
	s_sub_i32 s12, 0, s12
	s_add_i32 s13, s4, s13
	s_sub_i32 s14, 0, s14
	s_mul_i32 s16, s8, 0x48
	s_mul_i32 s17, s9, 0xffffffb8
	s_branch .LBB138_72
.LBB138_71:                             ;   in Loop: Header=BB138_72 Depth=2
	v_add_nc_u32_e32 v5, s12, v5
	s_sub_i32 s8, s8, s9
	s_add_i32 s13, s13, s14
	s_add_i32 s16, s16, s17
	s_cmp_lt_i32 s8, s10
	s_cbranch_scc1 .LBB138_68
.LBB138_72:                             ;   Parent Loop BB138_69 Depth=1
                                        ; =>  This Loop Header: Depth=2
                                        ;       Child Loop BB138_73 Depth 3
                                        ;       Child Loop BB138_75 Depth 3
                                        ;         Child Loop BB138_76 Depth 4
                                        ;       Child Loop BB138_80 Depth 3
                                        ;         Child Loop BB138_82 Depth 4
	v_dual_mov_b32 v0, v2 :: v_dual_mov_b32 v1, v5
	s_mov_b32 s18, s11
.LBB138_73:                             ;   Parent Loop BB138_69 Depth=1
                                        ;     Parent Loop BB138_72 Depth=2
                                        ; =>    This Inner Loop Header: Depth=3
	ds_load_b64 v[8:9], v1
	v_subrev_nc_u32_e32 v1, 64, v1
	s_add_i32 s18, s18, -1
	s_delay_alu instid0(SALU_CYCLE_1)
	s_cmp_eq_u32 s18, 0
	s_waitcnt lgkmcnt(0)
	ds_store_b64 v0, v[8:9]
	v_add_nc_u32_e32 v0, 8, v0
	s_cbranch_scc0 .LBB138_73
; %bb.74:                               ;   in Loop: Header=BB138_72 Depth=2
	s_cmp_le_i32 s15, s8
	s_mov_b32 s18, s13
	s_mov_b32 s19, s15
	s_cbranch_scc1 .LBB138_78
	.p2align	6
.LBB138_75:                             ;   Parent Loop BB138_69 Depth=1
                                        ;     Parent Loop BB138_72 Depth=2
                                        ; =>    This Loop Header: Depth=3
                                        ;         Child Loop BB138_76 Depth 4
	v_lshl_or_b32 v0, s19, 6, v4
	v_mov_b32_e32 v6, v2
	s_mov_b32 s20, s11
	s_mov_b32 s21, s18
	ds_load_b64 v[0:1], v0 offset:512
	.p2align	6
.LBB138_76:                             ;   Parent Loop BB138_69 Depth=1
                                        ;     Parent Loop BB138_72 Depth=2
                                        ;       Parent Loop BB138_75 Depth=3
                                        ; =>      This Inner Loop Header: Depth=4
	v_mov_b32_e32 v8, s21
	s_add_i32 s20, s20, -1
	s_add_i32 s21, s21, -8
	s_cmp_eq_u32 s20, 0
	ds_load_b64 v[8:9], v8
	ds_load_b64 v[10:11], v6
	s_waitcnt lgkmcnt(1)
	v_mul_f32_e32 v12, v9, v1
	v_mul_f32_e32 v9, v9, v0
	s_delay_alu instid0(VALU_DEP_2) | instskip(SKIP_1) | instid1(VALU_DEP_1)
	v_fma_f32 v12, v8, v0, -v12
	s_waitcnt lgkmcnt(0)
	v_dual_fmac_f32 v9, v8, v1 :: v_dual_sub_f32 v8, v10, v12
	s_delay_alu instid0(VALU_DEP_1)
	v_sub_f32_e32 v9, v11, v9
	ds_store_b64 v6, v[8:9]
	v_add_nc_u32_e32 v6, 8, v6
	s_cbranch_scc0 .LBB138_76
; %bb.77:                               ;   in Loop: Header=BB138_75 Depth=3
	s_add_i32 s19, s19, -1
	s_sub_i32 s18, s18, 64
	s_cmp_le_i32 s19, s8
	s_cbranch_scc0 .LBB138_75
.LBB138_78:                             ;   in Loop: Header=BB138_72 Depth=2
	s_mov_b32 s18, 0
	s_mov_b32 s19, s16
	s_branch .LBB138_80
.LBB138_79:                             ;   in Loop: Header=BB138_80 Depth=3
	s_mul_i32 s21, s20, 0x48
	s_add_i32 s18, s18, 1
	v_mov_b32_e32 v8, s21
	s_add_i32 s19, s19, -8
	s_cmp_eq_u32 s18, s11
	ds_load_b64 v[8:9], v8
	s_waitcnt lgkmcnt(0)
	v_mul_f32_e32 v10, v9, v1
	v_mul_f32_e32 v11, v8, v1
	s_delay_alu instid0(VALU_DEP_2) | instskip(NEXT) | instid1(VALU_DEP_2)
	v_fma_f32 v10, v8, v0, -v10
	v_fmac_f32_e32 v11, v9, v0
	v_lshl_or_b32 v0, s20, 6, v4
	ds_store_b64 v6, v[10:11]
	ds_store_b64 v0, v[10:11] offset:512
	s_cbranch_scc1 .LBB138_71
.LBB138_80:                             ;   Parent Loop BB138_69 Depth=1
                                        ;     Parent Loop BB138_72 Depth=2
                                        ; =>    This Loop Header: Depth=3
                                        ;         Child Loop BB138_82 Depth 4
	v_lshl_add_u32 v6, s18, 3, v2
	s_cmp_lg_u32 s18, 0
	s_cbranch_scc0 .LBB138_84
; %bb.81:                               ;   in Loop: Header=BB138_80 Depth=3
	ds_load_b64 v[0:1], v6
	v_mov_b32_e32 v8, v2
	s_sub_i32 s20, s8, s18
	s_mov_b32 s21, 0
	s_mov_b32 s22, s19
	.p2align	6
.LBB138_82:                             ;   Parent Loop BB138_69 Depth=1
                                        ;     Parent Loop BB138_72 Depth=2
                                        ;       Parent Loop BB138_80 Depth=3
                                        ; =>      This Inner Loop Header: Depth=4
	s_delay_alu instid0(SALU_CYCLE_1)
	v_mov_b32_e32 v11, s22
	s_add_i32 s21, s21, 1
	s_sub_i32 s22, s22, 64
	s_cmp_ge_u32 s21, s18
	ds_load_b64 v[9:10], v8
	ds_load_b64 v[11:12], v11
	s_waitcnt lgkmcnt(0)
	v_dual_mul_f32 v13, v12, v10 :: v_dual_add_nc_u32 v8, 8, v8
	v_mul_f32_e32 v10, v11, v10
	s_delay_alu instid0(VALU_DEP_2) | instskip(NEXT) | instid1(VALU_DEP_2)
	v_fma_f32 v11, v11, v9, -v13
	v_fmac_f32_e32 v10, v12, v9
	s_delay_alu instid0(VALU_DEP_1)
	v_dual_sub_f32 v0, v0, v11 :: v_dual_sub_f32 v1, v1, v10
	ds_store_b64 v6, v[0:1]
	s_cbranch_scc0 .LBB138_82
; %bb.83:                               ;   in Loop: Header=BB138_80 Depth=3
	s_branch .LBB138_79
.LBB138_84:                             ;   in Loop: Header=BB138_80 Depth=3
                                        ; implicit-def: $vgpr0
                                        ; implicit-def: $sgpr20
	s_cbranch_execz .LBB138_79
; %bb.85:                               ;   in Loop: Header=BB138_80 Depth=3
	ds_load_b64 v[0:1], v2
	s_mov_b32 s20, s8
	s_branch .LBB138_79
.LBB138_86:
	s_waitcnt vmcnt(0) lgkmcnt(0)
	s_waitcnt_vscnt null, 0x0
	; wave barrier
	s_waitcnt lgkmcnt(0)
	buffer_gl0_inv
	s_and_saveexec_b32 s0, s7
	s_cbranch_execz .LBB138_95
; %bb.87:
	v_lshlrev_b32_e32 v2, 3, v7
	v_mad_i64_i32 v[0:1], null, s2, v7, 0
	s_cmp_eq_u32 s6, 1
	ds_load_b64 v[3:4], v2 offset:512
	v_lshlrev_b64 v[0:1], 3, v[0:1]
	s_delay_alu instid0(VALU_DEP_1) | instskip(NEXT) | instid1(VALU_DEP_2)
	v_add_co_u32 v0, vcc_lo, s3, v0
	v_add_co_ci_u32_e32 v1, vcc_lo, s5, v1, vcc_lo
	s_waitcnt lgkmcnt(0)
	global_store_b64 v[0:1], v[3:4], off
	s_cbranch_scc1 .LBB138_95
; %bb.88:
	v_or_b32_e32 v2, 0x200, v2
	s_cmp_eq_u32 s6, 2
	ds_load_b64 v[3:4], v2 offset:64
	s_waitcnt lgkmcnt(0)
	global_store_b64 v[0:1], v[3:4], off offset:8
	s_cbranch_scc1 .LBB138_95
; %bb.89:
	ds_load_b64 v[3:4], v2 offset:128
	s_cmp_eq_u32 s6, 3
	s_waitcnt lgkmcnt(0)
	global_store_b64 v[0:1], v[3:4], off offset:16
	s_cbranch_scc1 .LBB138_95
; %bb.90:
	ds_load_b64 v[3:4], v2 offset:192
	s_cmp_eq_u32 s6, 4
	;; [unrolled: 6-line block ×5, first 2 shown]
	s_waitcnt lgkmcnt(0)
	global_store_b64 v[0:1], v[3:4], off offset:48
	s_cbranch_scc1 .LBB138_95
; %bb.94:
	ds_load_b64 v[2:3], v2 offset:448
	s_waitcnt lgkmcnt(0)
	global_store_b64 v[0:1], v[2:3], off offset:56
.LBB138_95:
	s_nop 0
	s_sendmsg sendmsg(MSG_DEALLOC_VGPRS)
	s_endpgm
	.section	.rodata,"a",@progbits
	.p2align	6, 0x0
	.amdhsa_kernel _ZL38rocblas_trsm_small_left_device_sharedBILi8ELi8ELb0E19rocblas_complex_numIfES1_PKPKS1_PKPS1_Ev13rocblas_fill_18rocblas_operation_17rocblas_diagonal_iiT3_T4_lilT5_lili
		.amdhsa_group_segment_fixed_size 1536
		.amdhsa_private_segment_fixed_size 0
		.amdhsa_kernarg_size 360
		.amdhsa_user_sgpr_count 14
		.amdhsa_user_sgpr_dispatch_ptr 1
		.amdhsa_user_sgpr_queue_ptr 0
		.amdhsa_user_sgpr_kernarg_segment_ptr 1
		.amdhsa_user_sgpr_dispatch_id 0
		.amdhsa_user_sgpr_private_segment_size 0
		.amdhsa_wavefront_size32 1
		.amdhsa_uses_dynamic_stack 0
		.amdhsa_enable_private_segment 0
		.amdhsa_system_sgpr_workgroup_id_x 1
		.amdhsa_system_sgpr_workgroup_id_y 0
		.amdhsa_system_sgpr_workgroup_id_z 1
		.amdhsa_system_sgpr_workgroup_info 0
		.amdhsa_system_vgpr_workitem_id 2
		.amdhsa_next_free_vgpr 14
		.amdhsa_next_free_sgpr 37
		.amdhsa_reserve_vcc 1
		.amdhsa_float_round_mode_32 0
		.amdhsa_float_round_mode_16_64 0
		.amdhsa_float_denorm_mode_32 3
		.amdhsa_float_denorm_mode_16_64 3
		.amdhsa_dx10_clamp 1
		.amdhsa_ieee_mode 1
		.amdhsa_fp16_overflow 0
		.amdhsa_workgroup_processor_mode 1
		.amdhsa_memory_ordered 1
		.amdhsa_forward_progress 0
		.amdhsa_shared_vgpr_count 0
		.amdhsa_exception_fp_ieee_invalid_op 0
		.amdhsa_exception_fp_denorm_src 0
		.amdhsa_exception_fp_ieee_div_zero 0
		.amdhsa_exception_fp_ieee_overflow 0
		.amdhsa_exception_fp_ieee_underflow 0
		.amdhsa_exception_fp_ieee_inexact 0
		.amdhsa_exception_int_div_zero 0
	.end_amdhsa_kernel
	.section	.text._ZL38rocblas_trsm_small_left_device_sharedBILi8ELi8ELb0E19rocblas_complex_numIfES1_PKPKS1_PKPS1_Ev13rocblas_fill_18rocblas_operation_17rocblas_diagonal_iiT3_T4_lilT5_lili,"axG",@progbits,_ZL38rocblas_trsm_small_left_device_sharedBILi8ELi8ELb0E19rocblas_complex_numIfES1_PKPKS1_PKPS1_Ev13rocblas_fill_18rocblas_operation_17rocblas_diagonal_iiT3_T4_lilT5_lili,comdat
.Lfunc_end138:
	.size	_ZL38rocblas_trsm_small_left_device_sharedBILi8ELi8ELb0E19rocblas_complex_numIfES1_PKPKS1_PKPS1_Ev13rocblas_fill_18rocblas_operation_17rocblas_diagonal_iiT3_T4_lilT5_lili, .Lfunc_end138-_ZL38rocblas_trsm_small_left_device_sharedBILi8ELi8ELb0E19rocblas_complex_numIfES1_PKPKS1_PKPS1_Ev13rocblas_fill_18rocblas_operation_17rocblas_diagonal_iiT3_T4_lilT5_lili
                                        ; -- End function
	.section	.AMDGPU.csdata,"",@progbits
; Kernel info:
; codeLenInByte = 3712
; NumSgprs: 39
; NumVgprs: 14
; ScratchSize: 0
; MemoryBound: 0
; FloatMode: 240
; IeeeMode: 1
; LDSByteSize: 1536 bytes/workgroup (compile time only)
; SGPRBlocks: 4
; VGPRBlocks: 1
; NumSGPRsForWavesPerEU: 39
; NumVGPRsForWavesPerEU: 14
; Occupancy: 16
; WaveLimiterHint : 1
; COMPUTE_PGM_RSRC2:SCRATCH_EN: 0
; COMPUTE_PGM_RSRC2:USER_SGPR: 14
; COMPUTE_PGM_RSRC2:TRAP_HANDLER: 0
; COMPUTE_PGM_RSRC2:TGID_X_EN: 1
; COMPUTE_PGM_RSRC2:TGID_Y_EN: 0
; COMPUTE_PGM_RSRC2:TGID_Z_EN: 1
; COMPUTE_PGM_RSRC2:TIDIG_COMP_CNT: 2
	.section	.text._ZL30rocblas_trsm_small_left_deviceILi8ELi8ELb0E19rocblas_complex_numIfES1_PKPKS1_PKPS1_Ev13rocblas_fill_18rocblas_operation_17rocblas_diagonal_iiT3_T4_lilT5_lili,"axG",@progbits,_ZL30rocblas_trsm_small_left_deviceILi8ELi8ELb0E19rocblas_complex_numIfES1_PKPKS1_PKPS1_Ev13rocblas_fill_18rocblas_operation_17rocblas_diagonal_iiT3_T4_lilT5_lili,comdat
	.globl	_ZL30rocblas_trsm_small_left_deviceILi8ELi8ELb0E19rocblas_complex_numIfES1_PKPKS1_PKPS1_Ev13rocblas_fill_18rocblas_operation_17rocblas_diagonal_iiT3_T4_lilT5_lili ; -- Begin function _ZL30rocblas_trsm_small_left_deviceILi8ELi8ELb0E19rocblas_complex_numIfES1_PKPKS1_PKPS1_Ev13rocblas_fill_18rocblas_operation_17rocblas_diagonal_iiT3_T4_lilT5_lili
	.p2align	8
	.type	_ZL30rocblas_trsm_small_left_deviceILi8ELi8ELb0E19rocblas_complex_numIfES1_PKPKS1_PKPS1_Ev13rocblas_fill_18rocblas_operation_17rocblas_diagonal_iiT3_T4_lilT5_lili,@function
_ZL30rocblas_trsm_small_left_deviceILi8ELi8ELb0E19rocblas_complex_numIfES1_PKPKS1_PKPS1_Ev13rocblas_fill_18rocblas_operation_17rocblas_diagonal_iiT3_T4_lilT5_lili: ; @_ZL30rocblas_trsm_small_left_deviceILi8ELi8ELb0E19rocblas_complex_numIfES1_PKPKS1_PKPS1_Ev13rocblas_fill_18rocblas_operation_17rocblas_diagonal_iiT3_T4_lilT5_lili
; %bb.0:
	s_clause 0x1
	s_load_b128 s[8:11], s[2:3], 0x40
	s_load_b128 s[4:7], s[2:3], 0x4
	s_mov_b32 s20, s15
	s_mov_b32 s21, 0
	s_load_b32 s15, s[2:3], 0x68
	s_lshl_b64 s[24:25], s[20:21], 3
	v_and_b32_e32 v7, 0x3ff, v0
	s_waitcnt lgkmcnt(0)
	s_add_u32 s12, s8, s24
	s_addc_u32 s13, s9, s25
	s_load_b64 s[8:9], s[2:3], 0x14
	s_load_b64 s[12:13], s[12:13], 0x0
	s_min_i32 s30, s6, 8
	s_mov_b32 s6, exec_lo
	s_add_i32 s20, s30, -1
	v_cmpx_gt_i32_e64 s30, v7
	s_cbranch_execz .LBB139_35
; %bb.1:
	s_clause 0x1
	s_load_b32 s22, s[2:3], 0x30
	s_load_b128 s[16:19], s[2:3], 0x20
	v_lshlrev_b32_e32 v9, 3, v7
	s_waitcnt lgkmcnt(0)
	s_ashr_i32 s23, s22, 31
	s_cmpk_lg_i32 s4, 0x71
	s_cselect_b32 s31, -1, 0
	s_add_u32 s16, s16, s24
	s_addc_u32 s17, s17, s25
	v_cndmask_b32_e64 v8, 0, 1, s31
	s_load_b64 s[16:17], s[16:17], 0x0
	s_cmp_lt_u32 s20, 3
	s_cbranch_scc1 .LBB139_20
; %bb.2:
	s_lshl_b64 s[24:25], s[18:19], 3
	v_mov_b32_e32 v10, v9
	s_waitcnt lgkmcnt(0)
	s_add_u32 s21, s16, s24
	s_addc_u32 s24, s17, s25
	v_add_co_u32 v1, s21, s21, v9
	s_delay_alu instid0(VALU_DEP_1)
	v_add_co_ci_u32_e64 v2, null, s24, 0, s21
	s_and_b32 s21, s30, -4
	s_mul_hi_i32 s33, s22, 24
	s_mul_i32 s34, s22, 24
	s_lshl_b64 s[24:25], s[22:23], 5
	s_lshl_b64 s[26:27], s[22:23], 4
	;; [unrolled: 1-line block ×3, first 2 shown]
	s_mov_b32 s35, 0
	s_branch .LBB139_4
.LBB139_3:                              ;   in Loop: Header=BB139_4 Depth=1
	global_load_b32 v3, v[5:6], off
	v_add_co_u32 v1, vcc_lo, v1, s24
	v_add_co_ci_u32_e32 v2, vcc_lo, s25, v2, vcc_lo
	s_add_i32 s35, s35, 4
	s_delay_alu instid0(SALU_CYCLE_1)
	s_cmp_eq_u32 s21, s35
	s_waitcnt vmcnt(0)
	ds_store_b64 v10, v[3:4] offset:192
	v_add_nc_u32_e32 v10, 0x100, v10
	s_cbranch_scc1 .LBB139_20
.LBB139_4:                              ; =>This Inner Loop Header: Depth=1
	s_and_b32 vcc_lo, exec_lo, s31
	s_cbranch_vccz .LBB139_6
; %bb.5:                                ;   in Loop: Header=BB139_4 Depth=1
	global_load_b32 v4, v[1:2], off offset:4
	s_cbranch_execz .LBB139_7
	s_branch .LBB139_8
.LBB139_6:                              ;   in Loop: Header=BB139_4 Depth=1
                                        ; implicit-def: $vgpr4
.LBB139_7:                              ;   in Loop: Header=BB139_4 Depth=1
	global_load_b32 v3, v[1:2], off offset:4
	s_waitcnt vmcnt(0)
	v_xor_b32_e32 v4, 0x80000000, v3
.LBB139_8:                              ;   in Loop: Header=BB139_4 Depth=1
	global_load_b32 v3, v[1:2], off
	v_add_co_u32 v5, vcc_lo, v1, s28
	v_add_co_ci_u32_e32 v6, vcc_lo, s29, v2, vcc_lo
	s_and_not1_b32 vcc_lo, exec_lo, s31
	s_waitcnt vmcnt(0)
	ds_store_b64 v10, v[3:4]
	s_cbranch_vccnz .LBB139_10
; %bb.9:                                ;   in Loop: Header=BB139_4 Depth=1
	global_load_b32 v4, v[5:6], off offset:4
	s_cbranch_execz .LBB139_11
	s_branch .LBB139_12
.LBB139_10:                             ;   in Loop: Header=BB139_4 Depth=1
                                        ; implicit-def: $vgpr4
.LBB139_11:                             ;   in Loop: Header=BB139_4 Depth=1
	global_load_b32 v3, v[5:6], off offset:4
	s_waitcnt vmcnt(0)
	v_xor_b32_e32 v4, 0x80000000, v3
.LBB139_12:                             ;   in Loop: Header=BB139_4 Depth=1
	global_load_b32 v3, v[5:6], off
	v_add_co_u32 v5, vcc_lo, v1, s26
	v_add_co_ci_u32_e32 v6, vcc_lo, s27, v2, vcc_lo
	s_and_not1_b32 vcc_lo, exec_lo, s31
	s_waitcnt vmcnt(0)
	ds_store_b64 v10, v[3:4] offset:64
	s_cbranch_vccnz .LBB139_14
; %bb.13:                               ;   in Loop: Header=BB139_4 Depth=1
	global_load_b32 v4, v[5:6], off offset:4
	s_cbranch_execz .LBB139_15
	s_branch .LBB139_16
.LBB139_14:                             ;   in Loop: Header=BB139_4 Depth=1
                                        ; implicit-def: $vgpr4
.LBB139_15:                             ;   in Loop: Header=BB139_4 Depth=1
	global_load_b32 v3, v[5:6], off offset:4
	s_waitcnt vmcnt(0)
	v_xor_b32_e32 v4, 0x80000000, v3
.LBB139_16:                             ;   in Loop: Header=BB139_4 Depth=1
	global_load_b32 v3, v[5:6], off
	v_add_co_u32 v5, vcc_lo, v1, s34
	v_add_co_ci_u32_e32 v6, vcc_lo, s33, v2, vcc_lo
	s_and_not1_b32 vcc_lo, exec_lo, s31
	s_waitcnt vmcnt(0)
	ds_store_b64 v10, v[3:4] offset:128
	s_cbranch_vccnz .LBB139_18
; %bb.17:                               ;   in Loop: Header=BB139_4 Depth=1
	global_load_b32 v4, v[5:6], off offset:4
	s_cbranch_execnz .LBB139_3
	s_branch .LBB139_19
.LBB139_18:                             ;   in Loop: Header=BB139_4 Depth=1
                                        ; implicit-def: $vgpr4
.LBB139_19:                             ;   in Loop: Header=BB139_4 Depth=1
	global_load_b32 v3, v[5:6], off offset:4
	s_waitcnt vmcnt(0)
	v_xor_b32_e32 v4, 0x80000000, v3
	s_branch .LBB139_3
.LBB139_20:
	s_and_b32 s24, s30, 3
	s_delay_alu instid0(SALU_CYCLE_1)
	s_cmp_eq_u32 s24, 0
	s_cbranch_scc1 .LBB139_27
; %bb.21:
	s_mul_i32 s25, s23, s21
	s_mul_hi_u32 s26, s22, s21
	s_lshl_b64 s[18:19], s[18:19], 3
	s_add_i32 s27, s26, s25
	s_mul_i32 s26, s22, s21
	v_lshl_or_b32 v5, s21, 6, v9
	s_lshl_b64 s[26:27], s[26:27], 3
	s_delay_alu instid0(SALU_CYCLE_1)
	s_add_u32 s18, s26, s18
	s_addc_u32 s19, s27, s19
	s_waitcnt lgkmcnt(0)
	s_add_u32 s16, s16, s18
	s_addc_u32 s17, s17, s19
	v_add_co_u32 v1, s16, s16, v9
	s_delay_alu instid0(VALU_DEP_1) | instskip(SKIP_1) | instid1(VALU_DEP_2)
	v_add_co_ci_u32_e64 v2, null, s17, 0, s16
	s_lshl_b64 s[16:17], s[22:23], 3
	v_add_co_u32 v1, vcc_lo, v1, 4
	s_delay_alu instid0(VALU_DEP_2)
	v_add_co_ci_u32_e32 v2, vcc_lo, 0, v2, vcc_lo
	s_set_inst_prefetch_distance 0x1
	s_branch .LBB139_23
	.p2align	6
.LBB139_22:                             ;   in Loop: Header=BB139_23 Depth=1
	global_load_b32 v3, v[1:2], off offset:-4
	v_add_co_u32 v1, vcc_lo, v1, s16
	v_add_co_ci_u32_e32 v2, vcc_lo, s17, v2, vcc_lo
	s_add_i32 s24, s24, -1
	s_delay_alu instid0(SALU_CYCLE_1)
	s_cmp_lg_u32 s24, 0
	s_waitcnt vmcnt(0)
	ds_store_b64 v5, v[3:4]
	v_add_nc_u32_e32 v5, 64, v5
	s_cbranch_scc0 .LBB139_27
.LBB139_23:                             ; =>This Inner Loop Header: Depth=1
	v_cmp_ne_u32_e32 vcc_lo, 1, v8
	s_mov_b32 s18, -1
                                        ; implicit-def: $vgpr4
	s_cbranch_vccnz .LBB139_25
; %bb.24:                               ;   in Loop: Header=BB139_23 Depth=1
	global_load_b32 v4, v[1:2], off
	s_mov_b32 s18, 0
.LBB139_25:                             ;   in Loop: Header=BB139_23 Depth=1
	s_delay_alu instid0(SALU_CYCLE_1)
	s_and_not1_b32 vcc_lo, exec_lo, s18
	s_cbranch_vccnz .LBB139_22
; %bb.26:                               ;   in Loop: Header=BB139_23 Depth=1
	global_load_b32 v3, v[1:2], off
	s_waitcnt vmcnt(0)
	v_xor_b32_e32 v4, 0x80000000, v3
	s_branch .LBB139_22
.LBB139_27:
	s_set_inst_prefetch_distance 0x2
	v_mul_u32_u24_e32 v1, 9, v7
	s_cmpk_lg_i32 s5, 0x84
	s_mov_b32 s5, -1
	s_delay_alu instid0(VALU_DEP_1)
	v_lshlrev_b32_e32 v5, 3, v1
	s_cbranch_scc0 .LBB139_33
; %bb.28:
	ds_load_b64 v[1:2], v5
	s_waitcnt lgkmcnt(0)
	v_cmp_gt_f32_e32 vcc_lo, 0, v1
	v_cndmask_b32_e64 v3, v1, -v1, vcc_lo
	v_cmp_gt_f32_e32 vcc_lo, 0, v2
	v_cndmask_b32_e64 v4, v2, -v2, vcc_lo
	s_delay_alu instid0(VALU_DEP_1) | instskip(SKIP_1) | instid1(SALU_CYCLE_1)
	v_cmp_ngt_f32_e32 vcc_lo, v3, v4
                                        ; implicit-def: $vgpr3
	s_and_saveexec_b32 s5, vcc_lo
	s_xor_b32 s5, exec_lo, s5
	s_cbranch_execz .LBB139_30
; %bb.29:
	v_div_scale_f32 v3, null, v2, v2, v1
	v_div_scale_f32 v8, vcc_lo, v1, v2, v1
	s_delay_alu instid0(VALU_DEP_2) | instskip(SKIP_2) | instid1(VALU_DEP_1)
	v_rcp_f32_e32 v4, v3
	s_waitcnt_depctr 0xfff
	v_fma_f32 v6, -v3, v4, 1.0
	v_fmac_f32_e32 v4, v6, v4
	s_delay_alu instid0(VALU_DEP_1) | instskip(NEXT) | instid1(VALU_DEP_1)
	v_mul_f32_e32 v6, v8, v4
	v_fma_f32 v9, -v3, v6, v8
	s_delay_alu instid0(VALU_DEP_1) | instskip(NEXT) | instid1(VALU_DEP_1)
	v_fmac_f32_e32 v6, v9, v4
	v_fma_f32 v3, -v3, v6, v8
	s_delay_alu instid0(VALU_DEP_1) | instskip(NEXT) | instid1(VALU_DEP_1)
	v_div_fmas_f32 v3, v3, v4, v6
	v_div_fixup_f32 v3, v3, v2, v1
	s_delay_alu instid0(VALU_DEP_1) | instskip(NEXT) | instid1(VALU_DEP_1)
	v_fmac_f32_e32 v2, v1, v3
	v_div_scale_f32 v1, null, v2, v2, 1.0
	v_div_scale_f32 v8, vcc_lo, 1.0, v2, 1.0
	s_delay_alu instid0(VALU_DEP_2) | instskip(SKIP_2) | instid1(VALU_DEP_1)
	v_rcp_f32_e32 v4, v1
	s_waitcnt_depctr 0xfff
	v_fma_f32 v6, -v1, v4, 1.0
	v_fmac_f32_e32 v4, v6, v4
	s_delay_alu instid0(VALU_DEP_1) | instskip(NEXT) | instid1(VALU_DEP_1)
	v_mul_f32_e32 v6, v8, v4
	v_fma_f32 v9, -v1, v6, v8
	s_delay_alu instid0(VALU_DEP_1) | instskip(NEXT) | instid1(VALU_DEP_1)
	v_fmac_f32_e32 v6, v9, v4
	v_fma_f32 v1, -v1, v6, v8
	s_delay_alu instid0(VALU_DEP_1) | instskip(SKIP_1) | instid1(VALU_DEP_2)
	v_div_fmas_f32 v1, v1, v4, v6
	v_add_f32_e32 v4, 0, v3
	v_div_fixup_f32 v1, v1, v2, 1.0
	v_fma_f32 v2, v3, 0, -1.0
	s_delay_alu instid0(VALU_DEP_2) | instskip(NEXT) | instid1(VALU_DEP_2)
	v_mul_f32_e32 v3, v4, v1
	v_mul_f32_e32 v4, v2, v1
                                        ; implicit-def: $vgpr1_vgpr2
.LBB139_30:
	s_and_not1_saveexec_b32 s5, s5
	s_cbranch_execz .LBB139_32
; %bb.31:
	v_div_scale_f32 v3, null, v1, v1, v2
	v_div_scale_f32 v8, vcc_lo, v2, v1, v2
	s_delay_alu instid0(VALU_DEP_2) | instskip(SKIP_2) | instid1(VALU_DEP_1)
	v_rcp_f32_e32 v4, v3
	s_waitcnt_depctr 0xfff
	v_fma_f32 v6, -v3, v4, 1.0
	v_fmac_f32_e32 v4, v6, v4
	s_delay_alu instid0(VALU_DEP_1) | instskip(NEXT) | instid1(VALU_DEP_1)
	v_mul_f32_e32 v6, v8, v4
	v_fma_f32 v9, -v3, v6, v8
	s_delay_alu instid0(VALU_DEP_1) | instskip(NEXT) | instid1(VALU_DEP_1)
	v_fmac_f32_e32 v6, v9, v4
	v_fma_f32 v3, -v3, v6, v8
	s_delay_alu instid0(VALU_DEP_1) | instskip(NEXT) | instid1(VALU_DEP_1)
	v_div_fmas_f32 v3, v3, v4, v6
	v_div_fixup_f32 v4, v3, v1, v2
	s_delay_alu instid0(VALU_DEP_1) | instskip(NEXT) | instid1(VALU_DEP_1)
	v_fmac_f32_e32 v1, v2, v4
	v_div_scale_f32 v2, null, v1, v1, 1.0
	v_div_scale_f32 v8, vcc_lo, 1.0, v1, 1.0
	s_delay_alu instid0(VALU_DEP_2) | instskip(SKIP_2) | instid1(VALU_DEP_1)
	v_rcp_f32_e32 v3, v2
	s_waitcnt_depctr 0xfff
	v_fma_f32 v6, -v2, v3, 1.0
	v_fmac_f32_e32 v3, v6, v3
	s_delay_alu instid0(VALU_DEP_1) | instskip(NEXT) | instid1(VALU_DEP_1)
	v_mul_f32_e32 v6, v8, v3
	v_fma_f32 v9, -v2, v6, v8
	s_delay_alu instid0(VALU_DEP_1) | instskip(NEXT) | instid1(VALU_DEP_1)
	v_fmac_f32_e32 v6, v9, v3
	v_fma_f32 v2, -v2, v6, v8
	s_delay_alu instid0(VALU_DEP_1) | instskip(SKIP_1) | instid1(VALU_DEP_2)
	v_div_fmas_f32 v2, v2, v3, v6
	v_fma_f32 v3, v4, 0, 1.0
	v_div_fixup_f32 v1, v2, v1, 1.0
	s_delay_alu instid0(VALU_DEP_1)
	v_mul_f32_e32 v3, v3, v1
	v_mul_f32_e64 v4, -v4, v1
.LBB139_32:
	s_or_b32 exec_lo, exec_lo, s5
	s_mov_b32 s5, 0
	ds_store_b64 v5, v[3:4]
.LBB139_33:
	s_and_b32 vcc_lo, exec_lo, s5
	s_cbranch_vccz .LBB139_35
; %bb.34:
	v_dual_mov_b32 v1, 1.0 :: v_dual_mov_b32 v2, 0
	ds_store_b64 v5, v[1:2]
.LBB139_35:
	s_or_b32 exec_lo, exec_lo, s6
	s_lshl_b32 s6, s14, 3
	s_add_i32 s15, s15, -1
	s_sub_i32 s5, s7, s6
	s_cmp_ge_u32 s14, s15
	s_waitcnt lgkmcnt(0)
	s_cselect_b32 s5, s5, 8
	; wave barrier
	buffer_gl0_inv
	v_cmp_gt_i32_e32 vcc_lo, s5, v7
	s_mov_b32 s5, -1
	s_and_saveexec_b32 s7, vcc_lo
	s_cbranch_execz .LBB139_78
; %bb.36:
	s_load_b64 s[0:1], s[0:1], 0x4
	s_load_b32 s2, s[2:3], 0x50
	v_add_nc_u32_e32 v2, s6, v7
	v_bfe_u32 v3, v0, 10, 10
	v_bfe_u32 v4, v0, 20, 10
	s_waitcnt lgkmcnt(0)
	s_lshr_b32 s0, s0, 16
	v_mad_i64_i32 v[0:1], null, s2, v2, 0
	s_mul_i32 s0, s0, s1
	v_mul_u32_u24_e32 v2, s1, v3
	v_mul_u32_u24_e32 v3, s0, v7
	s_lshl_b64 s[0:1], s[10:11], 3
	s_delay_alu instid0(SALU_CYCLE_1) | instskip(NEXT) | instid1(VALU_DEP_3)
	s_add_u32 s2, s12, s0
	v_lshlrev_b64 v[0:1], 3, v[0:1]
	s_delay_alu instid0(VALU_DEP_2) | instskip(SKIP_2) | instid1(VALU_DEP_1)
	v_add3_u32 v2, v3, v2, v4
	s_addc_u32 s3, s13, s1
	s_cmpk_eq_i32 s4, 0x6f
	v_lshl_add_u32 v6, v2, 6, 0x200
	s_delay_alu instid0(VALU_DEP_3)
	v_add_co_u32 v7, vcc_lo, s2, v0
	v_add_co_ci_u32_e32 v8, vcc_lo, s3, v1, vcc_lo
	s_cbranch_scc1 .LBB139_58
; %bb.37:
	s_add_u32 s2, s12, s0
	s_addc_u32 s3, s13, s1
	v_add_co_u32 v2, vcc_lo, s2, v0
	v_add_co_ci_u32_e32 v3, vcc_lo, s3, v1, vcc_lo
	s_mov_b32 s3, 0
	s_delay_alu instid0(VALU_DEP_2) | instskip(NEXT) | instid1(VALU_DEP_2)
	v_add_co_u32 v9, vcc_lo, v2, 4
	v_add_co_ci_u32_e32 v10, vcc_lo, 0, v3, vcc_lo
	s_mov_b32 s4, s3
	s_mov_b32 s6, s3
	s_branch .LBB139_39
.LBB139_38:                             ;   in Loop: Header=BB139_39 Depth=1
	s_cmp_ge_i32 s6, s30
	s_cselect_b32 s2, -1, 0
	s_add_i32 s4, s4, 1
	s_delay_alu instid0(SALU_CYCLE_1) | instskip(SKIP_1) | instid1(SALU_CYCLE_1)
	s_cmp_eq_u32 s4, 3
	s_cselect_b32 s5, -1, 0
	s_or_b32 s2, s2, s5
	s_delay_alu instid0(SALU_CYCLE_1)
	s_and_not1_b32 vcc_lo, exec_lo, s2
	s_cbranch_vccz .LBB139_57
.LBB139_39:                             ; =>This Loop Header: Depth=1
                                        ;     Child Loop BB139_42 Depth 2
                                        ;       Child Loop BB139_43 Depth 3
                                        ;       Child Loop BB139_46 Depth 3
                                        ;         Child Loop BB139_47 Depth 4
                                        ;       Child Loop BB139_51 Depth 3
                                        ;         Child Loop BB139_53 Depth 4
	s_mov_b32 s5, s3
	s_getpc_b64 s[10:11]
	s_add_u32 s10, s10, __const._ZL30rocblas_trsm_small_left_deviceILi8ELi8ELb0E19rocblas_complex_numIfES1_PKPKS1_PKPS1_Ev13rocblas_fill_18rocblas_operation_17rocblas_diagonal_iiT3_T4_lilT5_lili.step_sizes@rel32@lo+4
	s_addc_u32 s11, s11, __const._ZL30rocblas_trsm_small_left_deviceILi8ELi8ELb0E19rocblas_complex_numIfES1_PKPKS1_PKPS1_Ev13rocblas_fill_18rocblas_operation_17rocblas_diagonal_iiT3_T4_lilT5_lili.step_sizes@rel32@hi+12
	s_lshl_b64 s[14:15], s[4:5], 2
	s_delay_alu instid0(SALU_CYCLE_1) | instskip(SKIP_4) | instid1(SALU_CYCLE_1)
	s_add_u32 s10, s14, s10
	s_addc_u32 s11, s15, s11
	s_load_b32 s10, s[10:11], 0x0
	s_waitcnt lgkmcnt(0)
	s_add_i32 s5, s10, -1
	s_add_i32 s2, s5, s6
	s_delay_alu instid0(SALU_CYCLE_1)
	s_cmp_ge_i32 s2, s30
	s_cbranch_scc1 .LBB139_38
; %bb.40:                               ;   in Loop: Header=BB139_39 Depth=1
	s_ashr_i32 s7, s6, 31
	s_ashr_i32 s11, s10, 31
	s_lshl_b64 s[14:15], s[6:7], 3
	s_max_i32 s18, s10, 1
	v_add_co_u32 v2, vcc_lo, v9, s14
	v_add_co_ci_u32_e32 v3, vcc_lo, s15, v10, vcc_lo
	s_lshl_b64 s[14:15], s[10:11], 3
	s_lshl_b32 s7, s6, 6
	s_lshl_b32 s11, s10, 6
	s_mul_i32 s19, s6, 0x48
	s_mul_i32 s21, s10, 0x48
	s_branch .LBB139_42
.LBB139_41:                             ;   in Loop: Header=BB139_42 Depth=2
	v_add_co_u32 v2, vcc_lo, v2, s14
	s_add_i32 s6, s6, s10
	v_add_co_ci_u32_e32 v3, vcc_lo, s15, v3, vcc_lo
	s_add_i32 s2, s5, s6
	s_add_i32 s7, s7, s11
	;; [unrolled: 1-line block ×3, first 2 shown]
	s_cmp_ge_i32 s2, s30
	s_cbranch_scc1 .LBB139_38
.LBB139_42:                             ;   Parent Loop BB139_39 Depth=1
                                        ; =>  This Loop Header: Depth=2
                                        ;       Child Loop BB139_43 Depth 3
                                        ;       Child Loop BB139_46 Depth 3
                                        ;         Child Loop BB139_47 Depth 4
                                        ;       Child Loop BB139_51 Depth 3
                                        ;         Child Loop BB139_53 Depth 4
	v_mov_b32_e32 v11, v6
	v_dual_mov_b32 v5, v3 :: v_dual_mov_b32 v4, v2
	s_mov_b32 s2, s18
.LBB139_43:                             ;   Parent Loop BB139_39 Depth=1
                                        ;     Parent Loop BB139_42 Depth=2
                                        ; =>    This Inner Loop Header: Depth=3
	global_load_b64 v[12:13], v[4:5], off offset:-4
	v_add_co_u32 v4, vcc_lo, v4, 8
	v_add_co_ci_u32_e32 v5, vcc_lo, 0, v5, vcc_lo
	s_add_i32 s2, s2, -1
	s_delay_alu instid0(SALU_CYCLE_1) | instskip(SKIP_2) | instid1(VALU_DEP_1)
	s_cmp_eq_u32 s2, 0
	s_waitcnt vmcnt(0)
	v_mul_f32_e32 v14, s8, v13
	v_dual_mul_f32 v15, s9, v13 :: v_dual_fmac_f32 v14, s9, v12
	s_delay_alu instid0(VALU_DEP_1)
	v_fma_f32 v13, v12, s8, -v15
	ds_store_b64 v11, v[13:14]
	v_add_nc_u32_e32 v11, 8, v11
	s_cbranch_scc0 .LBB139_43
; %bb.44:                               ;   in Loop: Header=BB139_42 Depth=2
	s_cmp_lt_i32 s6, 1
	s_cbranch_scc1 .LBB139_49
; %bb.45:                               ;   in Loop: Header=BB139_42 Depth=2
	s_mov_b32 s2, 0
	s_mov_b32 s16, s7
	.p2align	6
.LBB139_46:                             ;   Parent Loop BB139_39 Depth=1
                                        ;     Parent Loop BB139_42 Depth=2
                                        ; =>    This Loop Header: Depth=3
                                        ;         Child Loop BB139_47 Depth 4
	s_lshl_b64 s[22:23], s[2:3], 3
	v_mov_b32_e32 v11, v6
	v_add_co_u32 v4, vcc_lo, v7, s22
	v_add_co_ci_u32_e32 v5, vcc_lo, s23, v8, vcc_lo
	s_mov_b32 s17, s16
	s_mov_b32 s22, s18
	global_load_b64 v[4:5], v[4:5], off
	.p2align	6
.LBB139_47:                             ;   Parent Loop BB139_39 Depth=1
                                        ;     Parent Loop BB139_42 Depth=2
                                        ;       Parent Loop BB139_46 Depth=3
                                        ; =>      This Inner Loop Header: Depth=4
	v_mov_b32_e32 v12, s17
	s_add_i32 s22, s22, -1
	s_add_i32 s17, s17, 64
	s_cmp_eq_u32 s22, 0
	ds_load_b64 v[12:13], v12
	ds_load_b64 v[14:15], v11
	s_waitcnt vmcnt(0) lgkmcnt(1)
	v_mul_f32_e32 v16, v13, v5
	v_mul_f32_e32 v13, v13, v4
	s_delay_alu instid0(VALU_DEP_2) | instskip(SKIP_1) | instid1(VALU_DEP_1)
	v_fma_f32 v16, v12, v4, -v16
	s_waitcnt lgkmcnt(0)
	v_dual_fmac_f32 v13, v12, v5 :: v_dual_sub_f32 v12, v14, v16
	s_delay_alu instid0(VALU_DEP_1)
	v_sub_f32_e32 v13, v15, v13
	ds_store_b64 v11, v[12:13]
	v_add_nc_u32_e32 v11, 8, v11
	s_cbranch_scc0 .LBB139_47
; %bb.48:                               ;   in Loop: Header=BB139_46 Depth=3
	s_add_i32 s2, s2, 1
	s_add_i32 s16, s16, 8
	s_cmp_ge_i32 s2, s6
	s_cbranch_scc0 .LBB139_46
.LBB139_49:                             ;   in Loop: Header=BB139_42 Depth=2
	s_mov_b32 s2, 0
	s_mov_b32 s22, s19
	s_branch .LBB139_51
.LBB139_50:                             ;   in Loop: Header=BB139_51 Depth=3
	s_mul_i32 s17, s16, 0x48
	s_add_i32 s2, s2, 1
	v_mov_b32_e32 v12, s17
	s_ashr_i32 s17, s16, 31
	s_add_i32 s22, s22, 64
	s_lshl_b64 s[16:17], s[16:17], 3
	s_cmp_eq_u32 s2, s18
	ds_load_b64 v[12:13], v12
	s_waitcnt lgkmcnt(0)
	v_mul_f32_e32 v14, v13, v5
	v_mul_f32_e32 v15, v12, v5
	s_delay_alu instid0(VALU_DEP_2) | instskip(NEXT) | instid1(VALU_DEP_2)
	v_fma_f32 v14, v12, v4, -v14
	v_fmac_f32_e32 v15, v13, v4
	v_add_co_u32 v4, vcc_lo, v7, s16
	v_add_co_ci_u32_e32 v5, vcc_lo, s17, v8, vcc_lo
	ds_store_b64 v11, v[14:15]
	global_store_b64 v[4:5], v[14:15], off
	s_cbranch_scc1 .LBB139_41
.LBB139_51:                             ;   Parent Loop BB139_39 Depth=1
                                        ;     Parent Loop BB139_42 Depth=2
                                        ; =>    This Loop Header: Depth=3
                                        ;         Child Loop BB139_53 Depth 4
	v_lshl_add_u32 v11, s2, 3, v6
	s_cmp_lg_u32 s2, 0
	s_cbranch_scc0 .LBB139_55
; %bb.52:                               ;   in Loop: Header=BB139_51 Depth=3
	ds_load_b64 v[4:5], v11
	v_mov_b32_e32 v12, v6
	s_add_i32 s16, s2, s6
	s_mov_b32 s17, 0
	s_mov_b32 s23, s22
	.p2align	6
.LBB139_53:                             ;   Parent Loop BB139_39 Depth=1
                                        ;     Parent Loop BB139_42 Depth=2
                                        ;       Parent Loop BB139_51 Depth=3
                                        ; =>      This Inner Loop Header: Depth=4
	s_delay_alu instid0(SALU_CYCLE_1)
	v_mov_b32_e32 v15, s23
	s_add_i32 s17, s17, 1
	s_add_i32 s23, s23, 8
	s_cmp_ge_u32 s17, s2
	ds_load_b64 v[13:14], v12
	ds_load_b64 v[15:16], v15
	s_waitcnt lgkmcnt(0)
	v_dual_mul_f32 v17, v16, v14 :: v_dual_add_nc_u32 v12, 8, v12
	v_mul_f32_e32 v14, v15, v14
	s_delay_alu instid0(VALU_DEP_2) | instskip(NEXT) | instid1(VALU_DEP_2)
	v_fma_f32 v15, v15, v13, -v17
	v_fmac_f32_e32 v14, v16, v13
	s_delay_alu instid0(VALU_DEP_1)
	v_dual_sub_f32 v4, v4, v15 :: v_dual_sub_f32 v5, v5, v14
	ds_store_b64 v11, v[4:5]
	s_cbranch_scc0 .LBB139_53
; %bb.54:                               ;   in Loop: Header=BB139_51 Depth=3
	s_branch .LBB139_50
.LBB139_55:                             ;   in Loop: Header=BB139_51 Depth=3
                                        ; implicit-def: $vgpr4
                                        ; implicit-def: $sgpr16
	s_cbranch_execz .LBB139_50
; %bb.56:                               ;   in Loop: Header=BB139_51 Depth=3
	ds_load_b64 v[4:5], v6
	s_mov_b32 s16, s6
	s_branch .LBB139_50
.LBB139_57:
	s_mov_b32 s5, 0
.LBB139_58:
	s_delay_alu instid0(SALU_CYCLE_1)
	s_and_b32 vcc_lo, exec_lo, s5
	s_cbranch_vccz .LBB139_78
; %bb.59:
	s_add_u32 s0, s12, s0
	s_addc_u32 s1, s13, s1
	v_add_co_u32 v0, vcc_lo, s0, v0
	v_add_co_ci_u32_e32 v1, vcc_lo, s1, v1, vcc_lo
	s_lshl_b32 s0, s30, 6
	s_delay_alu instid0(VALU_DEP_2) | instskip(NEXT) | instid1(VALU_DEP_2)
	v_add_co_u32 v2, vcc_lo, v0, 4
	v_add_co_ci_u32_e32 v3, vcc_lo, 0, v1, vcc_lo
	s_mov_b32 s1, 0
	s_sub_i32 s10, s0, 64
	s_mov_b32 s2, s20
	s_mov_b32 s0, s1
	s_branch .LBB139_61
.LBB139_60:                             ;   in Loop: Header=BB139_61 Depth=1
	s_cmp_lt_i32 s2, 0
	s_cselect_b32 s3, -1, 0
	s_add_i32 s0, s0, 1
	s_delay_alu instid0(SALU_CYCLE_1) | instskip(SKIP_1) | instid1(SALU_CYCLE_1)
	s_cmp_eq_u32 s0, 3
	s_cselect_b32 s4, -1, 0
	s_or_b32 s3, s3, s4
	s_delay_alu instid0(SALU_CYCLE_1)
	s_and_b32 vcc_lo, exec_lo, s3
	s_cbranch_vccnz .LBB139_78
.LBB139_61:                             ; =>This Loop Header: Depth=1
                                        ;     Child Loop BB139_64 Depth 2
                                        ;       Child Loop BB139_65 Depth 3
                                        ;       Child Loop BB139_67 Depth 3
                                        ;         Child Loop BB139_68 Depth 4
                                        ;       Child Loop BB139_72 Depth 3
                                        ;         Child Loop BB139_74 Depth 4
	s_getpc_b64 s[4:5]
	s_add_u32 s4, s4, __const._ZL30rocblas_trsm_small_left_deviceILi8ELi8ELb0E19rocblas_complex_numIfES1_PKPKS1_PKPS1_Ev13rocblas_fill_18rocblas_operation_17rocblas_diagonal_iiT3_T4_lilT5_lili.step_sizes@rel32@lo+4
	s_addc_u32 s5, s5, __const._ZL30rocblas_trsm_small_left_deviceILi8ELi8ELb0E19rocblas_complex_numIfES1_PKPKS1_PKPS1_Ev13rocblas_fill_18rocblas_operation_17rocblas_diagonal_iiT3_T4_lilT5_lili.step_sizes@rel32@hi+12
	s_lshl_b64 s[6:7], s[0:1], 2
	s_delay_alu instid0(SALU_CYCLE_1) | instskip(SKIP_4) | instid1(SALU_CYCLE_1)
	s_add_u32 s4, s6, s4
	s_addc_u32 s5, s7, s5
	s_load_b32 s11, s[4:5], 0x0
	s_waitcnt lgkmcnt(0)
	s_add_i32 s12, s11, -1
	s_cmp_lt_i32 s2, s12
	s_cbranch_scc1 .LBB139_60
; %bb.62:                               ;   in Loop: Header=BB139_61 Depth=1
	s_lshl_b32 s3, s2, 3
	s_lshl_b32 s4, s11, 3
	s_max_i32 s13, s11, 1
	s_add_i32 s14, s10, s3
	s_sub_i32 s15, 0, s4
	s_mul_i32 s16, s2, 0x48
	s_mul_i32 s17, s11, 0xffffffb8
	s_branch .LBB139_64
.LBB139_63:                             ;   in Loop: Header=BB139_64 Depth=2
	s_sub_i32 s2, s2, s11
	s_add_i32 s14, s14, s15
	s_add_i32 s16, s16, s17
	s_cmp_lt_i32 s2, s12
	s_cbranch_scc1 .LBB139_60
.LBB139_64:                             ;   Parent Loop BB139_61 Depth=1
                                        ; =>  This Loop Header: Depth=2
                                        ;       Child Loop BB139_65 Depth 3
                                        ;       Child Loop BB139_67 Depth 3
                                        ;         Child Loop BB139_68 Depth 4
                                        ;       Child Loop BB139_72 Depth 3
                                        ;         Child Loop BB139_74 Depth 4
	s_ashr_i32 s3, s2, 31
	v_mov_b32_e32 v4, v6
	s_lshl_b64 s[4:5], s[2:3], 3
	s_delay_alu instid0(SALU_CYCLE_1)
	v_add_co_u32 v0, vcc_lo, v2, s4
	v_add_co_ci_u32_e32 v1, vcc_lo, s5, v3, vcc_lo
	s_mov_b32 s4, s13
.LBB139_65:                             ;   Parent Loop BB139_61 Depth=1
                                        ;     Parent Loop BB139_64 Depth=2
                                        ; =>    This Inner Loop Header: Depth=3
	global_load_b64 v[9:10], v[0:1], off offset:-4
	v_add_co_u32 v0, vcc_lo, v0, -8
	v_add_co_ci_u32_e32 v1, vcc_lo, -1, v1, vcc_lo
	s_add_i32 s4, s4, -1
	s_delay_alu instid0(SALU_CYCLE_1) | instskip(SKIP_3) | instid1(VALU_DEP_2)
	s_cmp_eq_u32 s4, 0
	s_waitcnt vmcnt(0)
	v_mul_f32_e32 v5, s9, v10
	v_mul_f32_e32 v11, s8, v10
	v_fma_f32 v10, v9, s8, -v5
	s_delay_alu instid0(VALU_DEP_2)
	v_fmac_f32_e32 v11, s9, v9
	ds_store_b64 v4, v[10:11]
	v_add_nc_u32_e32 v4, 8, v4
	s_cbranch_scc0 .LBB139_65
; %bb.66:                               ;   in Loop: Header=BB139_64 Depth=2
	s_cmp_le_i32 s20, s2
	s_mov_b32 s6, s14
	s_mov_b32 s4, s20
	s_cbranch_scc1 .LBB139_70
	.p2align	6
.LBB139_67:                             ;   Parent Loop BB139_61 Depth=1
                                        ;     Parent Loop BB139_64 Depth=2
                                        ; =>    This Loop Header: Depth=3
                                        ;         Child Loop BB139_68 Depth 4
	s_ashr_i32 s5, s4, 31
	v_mov_b32_e32 v4, v6
	s_lshl_b64 s[18:19], s[4:5], 3
	s_mov_b32 s5, s13
	v_add_co_u32 v0, vcc_lo, v7, s18
	v_add_co_ci_u32_e32 v1, vcc_lo, s19, v8, vcc_lo
	s_mov_b32 s7, s6
	global_load_b64 v[0:1], v[0:1], off
	.p2align	6
.LBB139_68:                             ;   Parent Loop BB139_61 Depth=1
                                        ;     Parent Loop BB139_64 Depth=2
                                        ;       Parent Loop BB139_67 Depth=3
                                        ; =>      This Inner Loop Header: Depth=4
	v_mov_b32_e32 v5, s7
	s_add_i32 s5, s5, -1
	s_add_i32 s7, s7, -8
	s_cmp_eq_u32 s5, 0
	ds_load_b64 v[9:10], v5
	ds_load_b64 v[11:12], v4
	s_waitcnt vmcnt(0) lgkmcnt(1)
	v_mul_f32_e32 v5, v10, v1
	v_mul_f32_e32 v10, v10, v0
	s_delay_alu instid0(VALU_DEP_1) | instskip(SKIP_1) | instid1(VALU_DEP_1)
	v_fmac_f32_e32 v10, v9, v1
	s_waitcnt lgkmcnt(0)
	v_sub_f32_e32 v10, v12, v10
	v_fma_f32 v5, v9, v0, -v5
	s_delay_alu instid0(VALU_DEP_1)
	v_sub_f32_e32 v9, v11, v5
	ds_store_b64 v4, v[9:10]
	v_add_nc_u32_e32 v4, 8, v4
	s_cbranch_scc0 .LBB139_68
; %bb.69:                               ;   in Loop: Header=BB139_67 Depth=3
	s_add_i32 s4, s4, -1
	s_sub_i32 s6, s6, 64
	s_cmp_le_i32 s4, s2
	s_cbranch_scc0 .LBB139_67
.LBB139_70:                             ;   in Loop: Header=BB139_64 Depth=2
	s_mov_b32 s18, 0
	s_mov_b32 s19, s16
	s_branch .LBB139_72
.LBB139_71:                             ;   in Loop: Header=BB139_72 Depth=3
	s_mulk_i32 s6, 0x48
	s_lshl_b64 s[4:5], s[4:5], 3
	v_mov_b32_e32 v5, s6
	s_add_i32 s18, s18, 1
	s_add_i32 s19, s19, -8
	s_cmp_eq_u32 s18, s13
	ds_load_b64 v[9:10], v5
	s_waitcnt lgkmcnt(0)
	v_mul_f32_e32 v12, v9, v1
	v_mul_f32_e32 v5, v10, v1
	s_delay_alu instid0(VALU_DEP_2) | instskip(NEXT) | instid1(VALU_DEP_2)
	v_fmac_f32_e32 v12, v10, v0
	v_fma_f32 v11, v9, v0, -v5
	v_add_co_u32 v0, vcc_lo, v7, s4
	v_add_co_ci_u32_e32 v1, vcc_lo, s5, v8, vcc_lo
	ds_store_b64 v4, v[11:12]
	global_store_b64 v[0:1], v[11:12], off
	s_cbranch_scc1 .LBB139_63
.LBB139_72:                             ;   Parent Loop BB139_61 Depth=1
                                        ;     Parent Loop BB139_64 Depth=2
                                        ; =>    This Loop Header: Depth=3
                                        ;         Child Loop BB139_74 Depth 4
	v_lshl_add_u32 v4, s18, 3, v6
	s_cmp_lg_u32 s18, 0
	s_cbranch_scc0 .LBB139_76
; %bb.73:                               ;   in Loop: Header=BB139_72 Depth=3
	ds_load_b64 v[0:1], v4
	v_mov_b32_e32 v5, v6
	s_mov_b32 s4, 0
	s_mov_b32 s5, s19
	.p2align	6
.LBB139_74:                             ;   Parent Loop BB139_61 Depth=1
                                        ;     Parent Loop BB139_64 Depth=2
                                        ;       Parent Loop BB139_72 Depth=3
                                        ; =>      This Inner Loop Header: Depth=4
	s_delay_alu instid0(SALU_CYCLE_1)
	v_mov_b32_e32 v11, s5
	s_add_i32 s4, s4, 1
	s_sub_i32 s5, s5, 64
	s_cmp_ge_u32 s4, s18
	ds_load_b64 v[9:10], v5
	ds_load_b64 v[11:12], v11
	v_add_nc_u32_e32 v5, 8, v5
	s_waitcnt lgkmcnt(0)
	v_mul_f32_e32 v13, v12, v10
	v_mul_f32_e32 v10, v11, v10
	s_delay_alu instid0(VALU_DEP_2) | instskip(NEXT) | instid1(VALU_DEP_2)
	v_fma_f32 v11, v11, v9, -v13
	v_fmac_f32_e32 v10, v12, v9
	s_delay_alu instid0(VALU_DEP_1)
	v_dual_sub_f32 v0, v0, v11 :: v_dual_sub_f32 v1, v1, v10
	ds_store_b64 v4, v[0:1]
	s_cbranch_scc0 .LBB139_74
; %bb.75:                               ;   in Loop: Header=BB139_72 Depth=3
	s_sub_i32 s6, s2, s18
	s_delay_alu instid0(SALU_CYCLE_1) | instskip(NEXT) | instid1(SALU_CYCLE_1)
	s_ashr_i32 s7, s6, 31
	s_mov_b64 s[4:5], s[6:7]
	s_branch .LBB139_71
.LBB139_76:                             ;   in Loop: Header=BB139_72 Depth=3
                                        ; implicit-def: $vgpr0
                                        ; implicit-def: $sgpr6
                                        ; implicit-def: $sgpr4_sgpr5
	s_cbranch_execz .LBB139_71
; %bb.77:                               ;   in Loop: Header=BB139_72 Depth=3
	ds_load_b64 v[0:1], v6
	s_mov_b64 s[4:5], s[2:3]
	s_mov_b32 s6, s2
	s_branch .LBB139_71
.LBB139_78:
	s_nop 0
	s_sendmsg sendmsg(MSG_DEALLOC_VGPRS)
	s_endpgm
	.section	.rodata,"a",@progbits
	.p2align	6, 0x0
	.amdhsa_kernel _ZL30rocblas_trsm_small_left_deviceILi8ELi8ELb0E19rocblas_complex_numIfES1_PKPKS1_PKPS1_Ev13rocblas_fill_18rocblas_operation_17rocblas_diagonal_iiT3_T4_lilT5_lili
		.amdhsa_group_segment_fixed_size 1024
		.amdhsa_private_segment_fixed_size 0
		.amdhsa_kernarg_size 360
		.amdhsa_user_sgpr_count 14
		.amdhsa_user_sgpr_dispatch_ptr 1
		.amdhsa_user_sgpr_queue_ptr 0
		.amdhsa_user_sgpr_kernarg_segment_ptr 1
		.amdhsa_user_sgpr_dispatch_id 0
		.amdhsa_user_sgpr_private_segment_size 0
		.amdhsa_wavefront_size32 1
		.amdhsa_uses_dynamic_stack 0
		.amdhsa_enable_private_segment 0
		.amdhsa_system_sgpr_workgroup_id_x 1
		.amdhsa_system_sgpr_workgroup_id_y 0
		.amdhsa_system_sgpr_workgroup_id_z 1
		.amdhsa_system_sgpr_workgroup_info 0
		.amdhsa_system_vgpr_workitem_id 2
		.amdhsa_next_free_vgpr 18
		.amdhsa_next_free_sgpr 36
		.amdhsa_reserve_vcc 1
		.amdhsa_float_round_mode_32 0
		.amdhsa_float_round_mode_16_64 0
		.amdhsa_float_denorm_mode_32 3
		.amdhsa_float_denorm_mode_16_64 3
		.amdhsa_dx10_clamp 1
		.amdhsa_ieee_mode 1
		.amdhsa_fp16_overflow 0
		.amdhsa_workgroup_processor_mode 1
		.amdhsa_memory_ordered 1
		.amdhsa_forward_progress 0
		.amdhsa_shared_vgpr_count 0
		.amdhsa_exception_fp_ieee_invalid_op 0
		.amdhsa_exception_fp_denorm_src 0
		.amdhsa_exception_fp_ieee_div_zero 0
		.amdhsa_exception_fp_ieee_overflow 0
		.amdhsa_exception_fp_ieee_underflow 0
		.amdhsa_exception_fp_ieee_inexact 0
		.amdhsa_exception_int_div_zero 0
	.end_amdhsa_kernel
	.section	.text._ZL30rocblas_trsm_small_left_deviceILi8ELi8ELb0E19rocblas_complex_numIfES1_PKPKS1_PKPS1_Ev13rocblas_fill_18rocblas_operation_17rocblas_diagonal_iiT3_T4_lilT5_lili,"axG",@progbits,_ZL30rocblas_trsm_small_left_deviceILi8ELi8ELb0E19rocblas_complex_numIfES1_PKPKS1_PKPS1_Ev13rocblas_fill_18rocblas_operation_17rocblas_diagonal_iiT3_T4_lilT5_lili,comdat
.Lfunc_end139:
	.size	_ZL30rocblas_trsm_small_left_deviceILi8ELi8ELb0E19rocblas_complex_numIfES1_PKPKS1_PKPS1_Ev13rocblas_fill_18rocblas_operation_17rocblas_diagonal_iiT3_T4_lilT5_lili, .Lfunc_end139-_ZL30rocblas_trsm_small_left_deviceILi8ELi8ELb0E19rocblas_complex_numIfES1_PKPKS1_PKPS1_Ev13rocblas_fill_18rocblas_operation_17rocblas_diagonal_iiT3_T4_lilT5_lili
                                        ; -- End function
	.section	.AMDGPU.csdata,"",@progbits
; Kernel info:
; codeLenInByte = 3136
; NumSgprs: 38
; NumVgprs: 18
; ScratchSize: 0
; MemoryBound: 0
; FloatMode: 240
; IeeeMode: 1
; LDSByteSize: 1024 bytes/workgroup (compile time only)
; SGPRBlocks: 4
; VGPRBlocks: 2
; NumSGPRsForWavesPerEU: 38
; NumVGPRsForWavesPerEU: 18
; Occupancy: 16
; WaveLimiterHint : 1
; COMPUTE_PGM_RSRC2:SCRATCH_EN: 0
; COMPUTE_PGM_RSRC2:USER_SGPR: 14
; COMPUTE_PGM_RSRC2:TRAP_HANDLER: 0
; COMPUTE_PGM_RSRC2:TGID_X_EN: 1
; COMPUTE_PGM_RSRC2:TGID_Y_EN: 0
; COMPUTE_PGM_RSRC2:TGID_Z_EN: 1
; COMPUTE_PGM_RSRC2:TIDIG_COMP_CNT: 2
	.section	.text._ZL38rocblas_trsm_small_left_device_sharedBILi8ELi8ELb1E19rocblas_complex_numIfES1_PKPKS1_PKPS1_Ev13rocblas_fill_18rocblas_operation_17rocblas_diagonal_iiT3_T4_lilT5_lili,"axG",@progbits,_ZL38rocblas_trsm_small_left_device_sharedBILi8ELi8ELb1E19rocblas_complex_numIfES1_PKPKS1_PKPS1_Ev13rocblas_fill_18rocblas_operation_17rocblas_diagonal_iiT3_T4_lilT5_lili,comdat
	.globl	_ZL38rocblas_trsm_small_left_device_sharedBILi8ELi8ELb1E19rocblas_complex_numIfES1_PKPKS1_PKPS1_Ev13rocblas_fill_18rocblas_operation_17rocblas_diagonal_iiT3_T4_lilT5_lili ; -- Begin function _ZL38rocblas_trsm_small_left_device_sharedBILi8ELi8ELb1E19rocblas_complex_numIfES1_PKPKS1_PKPS1_Ev13rocblas_fill_18rocblas_operation_17rocblas_diagonal_iiT3_T4_lilT5_lili
	.p2align	8
	.type	_ZL38rocblas_trsm_small_left_device_sharedBILi8ELi8ELb1E19rocblas_complex_numIfES1_PKPKS1_PKPS1_Ev13rocblas_fill_18rocblas_operation_17rocblas_diagonal_iiT3_T4_lilT5_lili,@function
_ZL38rocblas_trsm_small_left_device_sharedBILi8ELi8ELb1E19rocblas_complex_numIfES1_PKPKS1_PKPS1_Ev13rocblas_fill_18rocblas_operation_17rocblas_diagonal_iiT3_T4_lilT5_lili: ; @_ZL38rocblas_trsm_small_left_device_sharedBILi8ELi8ELb1E19rocblas_complex_numIfES1_PKPKS1_PKPS1_Ev13rocblas_fill_18rocblas_operation_17rocblas_diagonal_iiT3_T4_lilT5_lili
; %bb.0:
	s_clause 0x1
	s_load_b128 s[8:11], s[2:3], 0x40
	s_load_b128 s[4:7], s[2:3], 0x4
	s_mov_b32 s20, s15
	s_mov_b32 s21, 0
	s_load_b32 s30, s[2:3], 0x68
	s_lshl_b64 s[24:25], s[20:21], 3
	v_and_b32_e32 v7, 0x3ff, v0
	s_mov_b32 s31, exec_lo
	s_waitcnt lgkmcnt(0)
	s_add_u32 s12, s8, s24
	s_addc_u32 s13, s9, s25
	s_load_b64 s[8:9], s[2:3], 0x14
	s_load_b64 s[12:13], s[12:13], 0x0
	s_min_i32 s15, s6, 8
	s_delay_alu instid0(SALU_CYCLE_1)
	s_add_i32 s20, s15, -1
	v_cmpx_gt_i32_e64 s15, v7
	s_cbranch_execz .LBB140_35
; %bb.1:
	s_clause 0x1
	s_load_b32 s22, s[2:3], 0x30
	s_load_b128 s[16:19], s[2:3], 0x20
	s_waitcnt lgkmcnt(0)
	s_ashr_i32 s23, s22, 31
	s_cmpk_lg_i32 s4, 0x71
	s_cselect_b32 s33, -1, 0
	s_add_u32 s16, s16, s24
	s_addc_u32 s17, s17, s25
	v_cndmask_b32_e64 v8, 0, 1, s33
	s_load_b64 s[16:17], s[16:17], 0x0
	s_cmp_lt_u32 s20, 3
	s_cbranch_scc1 .LBB140_20
; %bb.2:
	v_lshlrev_b32_e32 v9, 3, v7
	s_lshl_b64 s[24:25], s[18:19], 3
	s_mul_hi_i32 s34, s22, 24
	s_waitcnt lgkmcnt(0)
	s_add_u32 s21, s16, s24
	s_addc_u32 s24, s17, s25
	v_add_co_u32 v1, s21, s21, v9
	s_delay_alu instid0(VALU_DEP_1)
	v_add_co_ci_u32_e64 v2, null, s24, 0, s21
	s_and_b32 s21, s15, -4
	s_mul_i32 s35, s22, 24
	s_lshl_b64 s[24:25], s[22:23], 5
	s_lshl_b64 s[26:27], s[22:23], 4
	;; [unrolled: 1-line block ×3, first 2 shown]
	s_mov_b32 s36, 0
	s_branch .LBB140_4
.LBB140_3:                              ;   in Loop: Header=BB140_4 Depth=1
	global_load_b32 v3, v[5:6], off
	v_add_co_u32 v1, vcc_lo, v1, s24
	v_add_co_ci_u32_e32 v2, vcc_lo, s25, v2, vcc_lo
	s_add_i32 s36, s36, 4
	s_delay_alu instid0(SALU_CYCLE_1)
	s_cmp_eq_u32 s21, s36
	s_waitcnt vmcnt(0)
	ds_store_b64 v9, v[3:4] offset:192
	v_add_nc_u32_e32 v9, 0x100, v9
	s_cbranch_scc1 .LBB140_20
.LBB140_4:                              ; =>This Inner Loop Header: Depth=1
	s_and_b32 vcc_lo, exec_lo, s33
	s_cbranch_vccz .LBB140_6
; %bb.5:                                ;   in Loop: Header=BB140_4 Depth=1
	global_load_b32 v4, v[1:2], off offset:4
	s_cbranch_execz .LBB140_7
	s_branch .LBB140_8
.LBB140_6:                              ;   in Loop: Header=BB140_4 Depth=1
                                        ; implicit-def: $vgpr4
.LBB140_7:                              ;   in Loop: Header=BB140_4 Depth=1
	global_load_b32 v3, v[1:2], off offset:4
	s_waitcnt vmcnt(0)
	v_xor_b32_e32 v4, 0x80000000, v3
.LBB140_8:                              ;   in Loop: Header=BB140_4 Depth=1
	global_load_b32 v3, v[1:2], off
	v_add_co_u32 v5, vcc_lo, v1, s28
	v_add_co_ci_u32_e32 v6, vcc_lo, s29, v2, vcc_lo
	s_and_not1_b32 vcc_lo, exec_lo, s33
	s_waitcnt vmcnt(0)
	ds_store_b64 v9, v[3:4]
	s_cbranch_vccnz .LBB140_10
; %bb.9:                                ;   in Loop: Header=BB140_4 Depth=1
	global_load_b32 v4, v[5:6], off offset:4
	s_cbranch_execz .LBB140_11
	s_branch .LBB140_12
.LBB140_10:                             ;   in Loop: Header=BB140_4 Depth=1
                                        ; implicit-def: $vgpr4
.LBB140_11:                             ;   in Loop: Header=BB140_4 Depth=1
	global_load_b32 v3, v[5:6], off offset:4
	s_waitcnt vmcnt(0)
	v_xor_b32_e32 v4, 0x80000000, v3
.LBB140_12:                             ;   in Loop: Header=BB140_4 Depth=1
	global_load_b32 v3, v[5:6], off
	v_add_co_u32 v5, vcc_lo, v1, s26
	v_add_co_ci_u32_e32 v6, vcc_lo, s27, v2, vcc_lo
	s_and_not1_b32 vcc_lo, exec_lo, s33
	s_waitcnt vmcnt(0)
	ds_store_b64 v9, v[3:4] offset:64
	s_cbranch_vccnz .LBB140_14
; %bb.13:                               ;   in Loop: Header=BB140_4 Depth=1
	global_load_b32 v4, v[5:6], off offset:4
	s_cbranch_execz .LBB140_15
	s_branch .LBB140_16
.LBB140_14:                             ;   in Loop: Header=BB140_4 Depth=1
                                        ; implicit-def: $vgpr4
.LBB140_15:                             ;   in Loop: Header=BB140_4 Depth=1
	global_load_b32 v3, v[5:6], off offset:4
	s_waitcnt vmcnt(0)
	v_xor_b32_e32 v4, 0x80000000, v3
.LBB140_16:                             ;   in Loop: Header=BB140_4 Depth=1
	global_load_b32 v3, v[5:6], off
	v_add_co_u32 v5, vcc_lo, v1, s35
	v_add_co_ci_u32_e32 v6, vcc_lo, s34, v2, vcc_lo
	s_and_not1_b32 vcc_lo, exec_lo, s33
	s_waitcnt vmcnt(0)
	ds_store_b64 v9, v[3:4] offset:128
	s_cbranch_vccnz .LBB140_18
; %bb.17:                               ;   in Loop: Header=BB140_4 Depth=1
	global_load_b32 v4, v[5:6], off offset:4
	s_cbranch_execnz .LBB140_3
	s_branch .LBB140_19
.LBB140_18:                             ;   in Loop: Header=BB140_4 Depth=1
                                        ; implicit-def: $vgpr4
.LBB140_19:                             ;   in Loop: Header=BB140_4 Depth=1
	global_load_b32 v3, v[5:6], off offset:4
	s_waitcnt vmcnt(0)
	v_xor_b32_e32 v4, 0x80000000, v3
	s_branch .LBB140_3
.LBB140_20:
	s_and_b32 s24, s15, 3
	s_delay_alu instid0(SALU_CYCLE_1)
	s_cmp_eq_u32 s24, 0
	s_cbranch_scc1 .LBB140_27
; %bb.21:
	s_mul_i32 s25, s23, s21
	s_mul_hi_u32 s27, s22, s21
	s_mul_i32 s26, s22, s21
	s_add_i32 s27, s27, s25
	s_lshl_b64 s[18:19], s[18:19], 3
	s_lshl_b64 s[26:27], s[26:27], 3
	v_lshlrev_b32_e32 v1, 3, v7
	s_add_u32 s18, s26, s18
	s_addc_u32 s19, s27, s19
	s_waitcnt lgkmcnt(0)
	s_add_u32 s16, s16, s18
	s_addc_u32 s17, s17, s19
	v_add_co_u32 v2, s16, s16, v1
	s_delay_alu instid0(VALU_DEP_1) | instskip(SKIP_1) | instid1(VALU_DEP_3)
	v_add_co_ci_u32_e64 v3, null, s17, 0, s16
	v_lshl_or_b32 v5, s21, 6, v1
	v_add_co_u32 v1, vcc_lo, v2, 4
	s_delay_alu instid0(VALU_DEP_3)
	v_add_co_ci_u32_e32 v2, vcc_lo, 0, v3, vcc_lo
	s_lshl_b64 s[16:17], s[22:23], 3
	s_set_inst_prefetch_distance 0x1
	s_branch .LBB140_23
	.p2align	6
.LBB140_22:                             ;   in Loop: Header=BB140_23 Depth=1
	global_load_b32 v3, v[1:2], off offset:-4
	v_add_co_u32 v1, vcc_lo, v1, s16
	v_add_co_ci_u32_e32 v2, vcc_lo, s17, v2, vcc_lo
	s_add_i32 s24, s24, -1
	s_delay_alu instid0(SALU_CYCLE_1)
	s_cmp_lg_u32 s24, 0
	s_waitcnt vmcnt(0)
	ds_store_b64 v5, v[3:4]
	v_add_nc_u32_e32 v5, 64, v5
	s_cbranch_scc0 .LBB140_27
.LBB140_23:                             ; =>This Inner Loop Header: Depth=1
	v_cmp_ne_u32_e32 vcc_lo, 1, v8
	s_mov_b32 s18, -1
                                        ; implicit-def: $vgpr4
	s_cbranch_vccnz .LBB140_25
; %bb.24:                               ;   in Loop: Header=BB140_23 Depth=1
	global_load_b32 v4, v[1:2], off
	s_mov_b32 s18, 0
.LBB140_25:                             ;   in Loop: Header=BB140_23 Depth=1
	s_delay_alu instid0(SALU_CYCLE_1)
	s_and_not1_b32 vcc_lo, exec_lo, s18
	s_cbranch_vccnz .LBB140_22
; %bb.26:                               ;   in Loop: Header=BB140_23 Depth=1
	global_load_b32 v3, v[1:2], off
	s_waitcnt vmcnt(0)
	v_xor_b32_e32 v4, 0x80000000, v3
	s_branch .LBB140_22
.LBB140_27:
	s_set_inst_prefetch_distance 0x2
	v_mul_u32_u24_e32 v1, 9, v7
	s_cmpk_lg_i32 s5, 0x84
	s_mov_b32 s5, -1
	s_delay_alu instid0(VALU_DEP_1)
	v_lshlrev_b32_e32 v5, 3, v1
	s_cbranch_scc0 .LBB140_33
; %bb.28:
	ds_load_b64 v[1:2], v5
	s_waitcnt lgkmcnt(0)
	v_cmp_gt_f32_e32 vcc_lo, 0, v1
	v_cndmask_b32_e64 v3, v1, -v1, vcc_lo
	v_cmp_gt_f32_e32 vcc_lo, 0, v2
	v_cndmask_b32_e64 v4, v2, -v2, vcc_lo
	s_delay_alu instid0(VALU_DEP_1) | instskip(SKIP_1) | instid1(SALU_CYCLE_1)
	v_cmp_ngt_f32_e32 vcc_lo, v3, v4
                                        ; implicit-def: $vgpr3
	s_and_saveexec_b32 s5, vcc_lo
	s_xor_b32 s5, exec_lo, s5
	s_cbranch_execz .LBB140_30
; %bb.29:
	v_div_scale_f32 v3, null, v2, v2, v1
	v_div_scale_f32 v8, vcc_lo, v1, v2, v1
	s_delay_alu instid0(VALU_DEP_2) | instskip(SKIP_2) | instid1(VALU_DEP_1)
	v_rcp_f32_e32 v4, v3
	s_waitcnt_depctr 0xfff
	v_fma_f32 v6, -v3, v4, 1.0
	v_fmac_f32_e32 v4, v6, v4
	s_delay_alu instid0(VALU_DEP_1) | instskip(NEXT) | instid1(VALU_DEP_1)
	v_mul_f32_e32 v6, v8, v4
	v_fma_f32 v9, -v3, v6, v8
	s_delay_alu instid0(VALU_DEP_1) | instskip(NEXT) | instid1(VALU_DEP_1)
	v_fmac_f32_e32 v6, v9, v4
	v_fma_f32 v3, -v3, v6, v8
	s_delay_alu instid0(VALU_DEP_1) | instskip(NEXT) | instid1(VALU_DEP_1)
	v_div_fmas_f32 v3, v3, v4, v6
	v_div_fixup_f32 v3, v3, v2, v1
	s_delay_alu instid0(VALU_DEP_1) | instskip(NEXT) | instid1(VALU_DEP_1)
	v_fmac_f32_e32 v2, v1, v3
	v_div_scale_f32 v1, null, v2, v2, 1.0
	v_div_scale_f32 v8, vcc_lo, 1.0, v2, 1.0
	s_delay_alu instid0(VALU_DEP_2) | instskip(SKIP_2) | instid1(VALU_DEP_1)
	v_rcp_f32_e32 v4, v1
	s_waitcnt_depctr 0xfff
	v_fma_f32 v6, -v1, v4, 1.0
	v_fmac_f32_e32 v4, v6, v4
	s_delay_alu instid0(VALU_DEP_1) | instskip(NEXT) | instid1(VALU_DEP_1)
	v_mul_f32_e32 v6, v8, v4
	v_fma_f32 v9, -v1, v6, v8
	s_delay_alu instid0(VALU_DEP_1) | instskip(NEXT) | instid1(VALU_DEP_1)
	v_fmac_f32_e32 v6, v9, v4
	v_fma_f32 v1, -v1, v6, v8
	s_delay_alu instid0(VALU_DEP_1) | instskip(SKIP_1) | instid1(VALU_DEP_2)
	v_div_fmas_f32 v1, v1, v4, v6
	v_add_f32_e32 v4, 0, v3
	v_div_fixup_f32 v1, v1, v2, 1.0
	v_fma_f32 v2, v3, 0, -1.0
	s_delay_alu instid0(VALU_DEP_2) | instskip(NEXT) | instid1(VALU_DEP_2)
	v_mul_f32_e32 v3, v4, v1
	v_mul_f32_e32 v4, v2, v1
                                        ; implicit-def: $vgpr1_vgpr2
.LBB140_30:
	s_and_not1_saveexec_b32 s5, s5
	s_cbranch_execz .LBB140_32
; %bb.31:
	v_div_scale_f32 v3, null, v1, v1, v2
	v_div_scale_f32 v8, vcc_lo, v2, v1, v2
	s_delay_alu instid0(VALU_DEP_2) | instskip(SKIP_2) | instid1(VALU_DEP_1)
	v_rcp_f32_e32 v4, v3
	s_waitcnt_depctr 0xfff
	v_fma_f32 v6, -v3, v4, 1.0
	v_fmac_f32_e32 v4, v6, v4
	s_delay_alu instid0(VALU_DEP_1) | instskip(NEXT) | instid1(VALU_DEP_1)
	v_mul_f32_e32 v6, v8, v4
	v_fma_f32 v9, -v3, v6, v8
	s_delay_alu instid0(VALU_DEP_1) | instskip(NEXT) | instid1(VALU_DEP_1)
	v_fmac_f32_e32 v6, v9, v4
	v_fma_f32 v3, -v3, v6, v8
	s_delay_alu instid0(VALU_DEP_1) | instskip(NEXT) | instid1(VALU_DEP_1)
	v_div_fmas_f32 v3, v3, v4, v6
	v_div_fixup_f32 v4, v3, v1, v2
	s_delay_alu instid0(VALU_DEP_1) | instskip(NEXT) | instid1(VALU_DEP_1)
	v_fmac_f32_e32 v1, v2, v4
	v_div_scale_f32 v2, null, v1, v1, 1.0
	v_div_scale_f32 v8, vcc_lo, 1.0, v1, 1.0
	s_delay_alu instid0(VALU_DEP_2) | instskip(SKIP_2) | instid1(VALU_DEP_1)
	v_rcp_f32_e32 v3, v2
	s_waitcnt_depctr 0xfff
	v_fma_f32 v6, -v2, v3, 1.0
	v_fmac_f32_e32 v3, v6, v3
	s_delay_alu instid0(VALU_DEP_1) | instskip(NEXT) | instid1(VALU_DEP_1)
	v_mul_f32_e32 v6, v8, v3
	v_fma_f32 v9, -v2, v6, v8
	s_delay_alu instid0(VALU_DEP_1) | instskip(NEXT) | instid1(VALU_DEP_1)
	v_fmac_f32_e32 v6, v9, v3
	v_fma_f32 v2, -v2, v6, v8
	s_delay_alu instid0(VALU_DEP_1) | instskip(SKIP_1) | instid1(VALU_DEP_2)
	v_div_fmas_f32 v2, v2, v3, v6
	v_fma_f32 v3, v4, 0, 1.0
	v_div_fixup_f32 v1, v2, v1, 1.0
	s_delay_alu instid0(VALU_DEP_1)
	v_mul_f32_e32 v3, v3, v1
	v_mul_f32_e64 v4, -v4, v1
.LBB140_32:
	s_or_b32 exec_lo, exec_lo, s5
	s_mov_b32 s5, 0
	ds_store_b64 v5, v[3:4]
.LBB140_33:
	s_and_b32 vcc_lo, exec_lo, s5
	s_cbranch_vccz .LBB140_35
; %bb.34:
	v_dual_mov_b32 v1, 1.0 :: v_dual_mov_b32 v2, 0
	ds_store_b64 v5, v[1:2]
.LBB140_35:
	s_or_b32 exec_lo, exec_lo, s31
	s_load_b32 s2, s[2:3], 0x50
	s_lshl_b64 s[10:11], s[10:11], 3
	s_waitcnt lgkmcnt(0)
	s_add_u32 s3, s12, s10
	s_addc_u32 s5, s13, s11
	s_lshl_b32 s10, s14, 3
	s_add_i32 s30, s30, -1
	s_sub_i32 s7, s7, s10
	s_cmp_ge_u32 s14, s30
	s_cselect_b32 s7, s7, 8
	s_delay_alu instid0(SALU_CYCLE_1) | instskip(SKIP_2) | instid1(SALU_CYCLE_1)
	v_cmp_gt_i32_e32 vcc_lo, s7, v7
	s_mul_hi_i32 s11, s2, s10
	s_mul_i32 s10, s2, s10
	s_lshl_b64 s[10:11], s[10:11], 3
	s_delay_alu instid0(SALU_CYCLE_1) | instskip(SKIP_4) | instid1(SALU_CYCLE_1)
	s_add_u32 s3, s3, s10
	s_addc_u32 s5, s5, s11
	s_cmp_gt_i32 s6, 0
	s_mov_b32 s10, -1
	s_cselect_b32 s7, -1, 0
	s_and_b32 s7, vcc_lo, s7
	s_delay_alu instid0(SALU_CYCLE_1)
	s_and_saveexec_b32 s11, s7
	s_cbranch_execz .LBB140_44
; %bb.36:
	v_mad_i64_i32 v[1:2], null, s2, v7, 0
	s_cmp_eq_u32 s6, 1
	s_delay_alu instid0(VALU_DEP_1) | instskip(NEXT) | instid1(VALU_DEP_1)
	v_lshlrev_b64 v[1:2], 3, v[1:2]
	v_add_co_u32 v1, vcc_lo, s3, v1
	s_delay_alu instid0(VALU_DEP_2) | instskip(SKIP_3) | instid1(VALU_DEP_1)
	v_add_co_ci_u32_e32 v2, vcc_lo, s5, v2, vcc_lo
	global_load_b64 v[3:4], v[1:2], off
	s_waitcnt vmcnt(0)
	v_mul_f32_e32 v5, s8, v4
	v_dual_mul_f32 v6, s9, v4 :: v_dual_fmac_f32 v5, s9, v3
	s_delay_alu instid0(VALU_DEP_1)
	v_fma_f32 v4, s8, v3, -v6
	v_lshlrev_b32_e32 v3, 3, v7
	ds_store_b64 v3, v[4:5] offset:512
	s_cbranch_scc1 .LBB140_44
; %bb.37:
	global_load_b64 v[4:5], v[1:2], off offset:8
	v_or_b32_e32 v3, 0x200, v3
	s_cmp_eq_u32 s6, 2
	s_waitcnt vmcnt(0)
	v_mul_f32_e32 v8, s9, v5
	v_mul_f32_e32 v6, s8, v5
	s_delay_alu instid0(VALU_DEP_2) | instskip(NEXT) | instid1(VALU_DEP_2)
	v_fma_f32 v5, s8, v4, -v8
	v_fmac_f32_e32 v6, s9, v4
	ds_store_b64 v3, v[5:6] offset:64
	s_cbranch_scc1 .LBB140_44
; %bb.38:
	global_load_b64 v[4:5], v[1:2], off offset:16
	s_cmp_eq_u32 s6, 3
	s_waitcnt vmcnt(0)
	v_mul_f32_e32 v8, s9, v5
	v_mul_f32_e32 v6, s8, v5
	s_delay_alu instid0(VALU_DEP_2) | instskip(NEXT) | instid1(VALU_DEP_2)
	v_fma_f32 v5, s8, v4, -v8
	v_fmac_f32_e32 v6, s9, v4
	ds_store_b64 v3, v[5:6] offset:128
	s_cbranch_scc1 .LBB140_44
; %bb.39:
	global_load_b64 v[4:5], v[1:2], off offset:24
	;; [unrolled: 11-line block ×6, first 2 shown]
	s_waitcnt vmcnt(0)
	v_mul_f32_e32 v5, s8, v2
	s_delay_alu instid0(VALU_DEP_1) | instskip(NEXT) | instid1(VALU_DEP_1)
	v_dual_mul_f32 v4, s9, v2 :: v_dual_fmac_f32 v5, s9, v1
	v_fma_f32 v4, s8, v1, -v4
	ds_store_b64 v3, v[4:5] offset:448
.LBB140_44:
	s_or_b32 exec_lo, exec_lo, s11
	s_load_b64 s[0:1], s[0:1], 0x4
	v_bfe_u32 v1, v0, 10, 10
	v_bfe_u32 v0, v0, 20, 10
	s_waitcnt vmcnt(0) lgkmcnt(0)
	s_waitcnt_vscnt null, 0x0
	; wave barrier
	s_waitcnt lgkmcnt(0)
	buffer_gl0_inv
	s_lshr_b32 s0, s0, 16
	v_mul_u32_u24_e32 v1, s1, v1
	s_mul_i32 s0, s0, s1
	s_cmpk_eq_i32 s4, 0x6f
	v_mul_u32_u24_e32 v2, s0, v7
	s_delay_alu instid0(VALU_DEP_1) | instskip(NEXT) | instid1(VALU_DEP_1)
	v_add3_u32 v0, v2, v1, v0
	v_lshl_add_u32 v2, v0, 6, 0x400
	s_cbranch_scc1 .LBB140_65
; %bb.45:
	v_lshl_or_b32 v3, v7, 3, 0x200
	v_lshlrev_b32_e32 v4, 3, v7
	s_lshl_b32 s4, s15, 3
	s_mov_b32 s1, 0
	s_add_i32 s4, s4, -8
	s_mov_b32 s0, s1
	s_mov_b32 s8, s20
	s_branch .LBB140_47
.LBB140_46:                             ;   in Loop: Header=BB140_47 Depth=1
	s_cmp_lt_i32 s8, 0
	s_cselect_b32 s9, -1, 0
	s_add_i32 s0, s0, 1
	s_delay_alu instid0(SALU_CYCLE_1) | instskip(SKIP_1) | instid1(SALU_CYCLE_1)
	s_cmp_eq_u32 s0, 3
	s_cselect_b32 s10, -1, 0
	s_or_b32 s9, s9, s10
	s_delay_alu instid0(SALU_CYCLE_1)
	s_and_not1_b32 vcc_lo, exec_lo, s9
	s_cbranch_vccz .LBB140_64
.LBB140_47:                             ; =>This Loop Header: Depth=1
                                        ;     Child Loop BB140_50 Depth 2
                                        ;       Child Loop BB140_51 Depth 3
                                        ;       Child Loop BB140_53 Depth 3
                                        ;         Child Loop BB140_54 Depth 4
                                        ;       Child Loop BB140_58 Depth 3
                                        ;         Child Loop BB140_60 Depth 4
	s_getpc_b64 s[10:11]
	s_add_u32 s10, s10, __const._ZL38rocblas_trsm_small_left_device_sharedBILi8ELi8ELb1E19rocblas_complex_numIfES1_PKPKS1_PKPS1_Ev13rocblas_fill_18rocblas_operation_17rocblas_diagonal_iiT3_T4_lilT5_lili.step_sizes@rel32@lo+4
	s_addc_u32 s11, s11, __const._ZL38rocblas_trsm_small_left_device_sharedBILi8ELi8ELb1E19rocblas_complex_numIfES1_PKPKS1_PKPS1_Ev13rocblas_fill_18rocblas_operation_17rocblas_diagonal_iiT3_T4_lilT5_lili.step_sizes@rel32@hi+12
	s_lshl_b64 s[12:13], s[0:1], 2
	s_delay_alu instid0(SALU_CYCLE_1) | instskip(SKIP_4) | instid1(SALU_CYCLE_1)
	s_add_u32 s10, s12, s10
	s_addc_u32 s11, s13, s11
	s_load_b32 s9, s[10:11], 0x0
	s_waitcnt lgkmcnt(0)
	s_add_i32 s10, s9, -1
	s_cmp_lt_i32 s8, s10
	s_cbranch_scc1 .LBB140_46
; %bb.48:                               ;   in Loop: Header=BB140_47 Depth=1
	s_lshl_b32 s13, s8, 6
	s_lshl_b32 s12, s9, 6
	v_add_nc_u32_e32 v5, s13, v3
	s_max_i32 s11, s9, 1
	s_sub_i32 s12, 0, s12
	s_add_i32 s13, s4, s13
	s_mul_i32 s14, s8, 0x48
	s_mul_i32 s16, s9, 0xffffffb8
	s_branch .LBB140_50
.LBB140_49:                             ;   in Loop: Header=BB140_50 Depth=2
	v_add_nc_u32_e32 v5, s12, v5
	s_sub_i32 s8, s8, s9
	s_add_i32 s13, s13, s12
	s_add_i32 s14, s14, s16
	s_cmp_lt_i32 s8, s10
	s_cbranch_scc1 .LBB140_46
.LBB140_50:                             ;   Parent Loop BB140_47 Depth=1
                                        ; =>  This Loop Header: Depth=2
                                        ;       Child Loop BB140_51 Depth 3
                                        ;       Child Loop BB140_53 Depth 3
                                        ;         Child Loop BB140_54 Depth 4
                                        ;       Child Loop BB140_58 Depth 3
                                        ;         Child Loop BB140_60 Depth 4
	v_dual_mov_b32 v0, v2 :: v_dual_mov_b32 v1, v5
	s_mov_b32 s17, s11
.LBB140_51:                             ;   Parent Loop BB140_47 Depth=1
                                        ;     Parent Loop BB140_50 Depth=2
                                        ; =>    This Inner Loop Header: Depth=3
	ds_load_b64 v[8:9], v1
	v_subrev_nc_u32_e32 v1, 64, v1
	s_add_i32 s17, s17, -1
	s_delay_alu instid0(SALU_CYCLE_1)
	s_cmp_eq_u32 s17, 0
	s_waitcnt lgkmcnt(0)
	ds_store_b64 v0, v[8:9]
	v_add_nc_u32_e32 v0, 8, v0
	s_cbranch_scc0 .LBB140_51
; %bb.52:                               ;   in Loop: Header=BB140_50 Depth=2
	s_cmp_le_i32 s20, s8
	s_mov_b32 s17, s13
	s_mov_b32 s18, s20
	s_cbranch_scc1 .LBB140_56
	.p2align	6
.LBB140_53:                             ;   Parent Loop BB140_47 Depth=1
                                        ;     Parent Loop BB140_50 Depth=2
                                        ; =>    This Loop Header: Depth=3
                                        ;         Child Loop BB140_54 Depth 4
	v_lshl_or_b32 v0, s18, 6, v4
	v_mov_b32_e32 v6, v2
	s_mov_b32 s19, s17
	s_mov_b32 s21, s11
	ds_load_b64 v[0:1], v0 offset:512
	.p2align	6
.LBB140_54:                             ;   Parent Loop BB140_47 Depth=1
                                        ;     Parent Loop BB140_50 Depth=2
                                        ;       Parent Loop BB140_53 Depth=3
                                        ; =>      This Inner Loop Header: Depth=4
	v_mov_b32_e32 v8, s19
	s_add_i32 s21, s21, -1
	s_sub_i32 s19, s19, 64
	s_cmp_eq_u32 s21, 0
	ds_load_b64 v[8:9], v8
	ds_load_b64 v[10:11], v6
	s_waitcnt lgkmcnt(1)
	v_mul_f32_e32 v12, v9, v1
	v_mul_f32_e32 v9, v9, v0
	s_delay_alu instid0(VALU_DEP_2) | instskip(SKIP_1) | instid1(VALU_DEP_1)
	v_fma_f32 v12, v8, v0, -v12
	s_waitcnt lgkmcnt(0)
	v_dual_fmac_f32 v9, v8, v1 :: v_dual_sub_f32 v8, v10, v12
	s_delay_alu instid0(VALU_DEP_1)
	v_sub_f32_e32 v9, v11, v9
	ds_store_b64 v6, v[8:9]
	v_add_nc_u32_e32 v6, 8, v6
	s_cbranch_scc0 .LBB140_54
; %bb.55:                               ;   in Loop: Header=BB140_53 Depth=3
	s_add_i32 s18, s18, -1
	s_add_i32 s17, s17, -8
	s_cmp_le_i32 s18, s8
	s_cbranch_scc0 .LBB140_53
.LBB140_56:                             ;   in Loop: Header=BB140_50 Depth=2
	s_lshl_b32 s17, s8, 3
	s_mov_b32 s18, 0
	s_mov_b32 s19, s14
	s_branch .LBB140_58
.LBB140_57:                             ;   in Loop: Header=BB140_58 Depth=3
	s_mulk_i32 s22, 0x48
	s_add_i32 s18, s18, 1
	v_mov_b32_e32 v8, s22
	s_sub_i32 s19, s19, 64
	s_cmp_eq_u32 s18, s11
	ds_load_b64 v[8:9], v8
	s_waitcnt lgkmcnt(0)
	v_mul_f32_e32 v10, v9, v1
	v_mul_f32_e32 v11, v8, v1
	s_delay_alu instid0(VALU_DEP_2) | instskip(NEXT) | instid1(VALU_DEP_2)
	v_fma_f32 v10, v8, v0, -v10
	v_fmac_f32_e32 v11, v9, v0
	v_add_lshl_u32 v0, s21, v7, 3
	ds_store_b64 v6, v[10:11]
	ds_store_b64 v0, v[10:11] offset:512
	s_cbranch_scc1 .LBB140_49
.LBB140_58:                             ;   Parent Loop BB140_47 Depth=1
                                        ;     Parent Loop BB140_50 Depth=2
                                        ; =>    This Loop Header: Depth=3
                                        ;         Child Loop BB140_60 Depth 4
	v_lshl_add_u32 v6, s18, 3, v2
	s_cmp_lg_u32 s18, 0
	s_cbranch_scc0 .LBB140_62
; %bb.59:                               ;   in Loop: Header=BB140_58 Depth=3
	ds_load_b64 v[0:1], v6
	v_mov_b32_e32 v8, v2
	s_sub_i32 s22, s8, s18
	s_mov_b32 s23, 0
	s_lshl_b32 s21, s22, 3
	s_mov_b32 s24, s19
	.p2align	6
.LBB140_60:                             ;   Parent Loop BB140_47 Depth=1
                                        ;     Parent Loop BB140_50 Depth=2
                                        ;       Parent Loop BB140_58 Depth=3
                                        ; =>      This Inner Loop Header: Depth=4
	s_delay_alu instid0(SALU_CYCLE_1)
	v_mov_b32_e32 v11, s24
	s_add_i32 s23, s23, 1
	s_add_i32 s24, s24, -8
	s_cmp_ge_u32 s23, s18
	ds_load_b64 v[9:10], v8
	ds_load_b64 v[11:12], v11
	s_waitcnt lgkmcnt(0)
	v_dual_mul_f32 v13, v12, v10 :: v_dual_add_nc_u32 v8, 8, v8
	v_mul_f32_e32 v10, v11, v10
	s_delay_alu instid0(VALU_DEP_2) | instskip(NEXT) | instid1(VALU_DEP_2)
	v_fma_f32 v11, v11, v9, -v13
	v_fmac_f32_e32 v10, v12, v9
	s_delay_alu instid0(VALU_DEP_1)
	v_dual_sub_f32 v0, v0, v11 :: v_dual_sub_f32 v1, v1, v10
	ds_store_b64 v6, v[0:1]
	s_cbranch_scc0 .LBB140_60
; %bb.61:                               ;   in Loop: Header=BB140_58 Depth=3
	s_branch .LBB140_57
.LBB140_62:                             ;   in Loop: Header=BB140_58 Depth=3
                                        ; implicit-def: $vgpr0
                                        ; implicit-def: $sgpr22
                                        ; implicit-def: $sgpr21
	s_cbranch_execz .LBB140_57
; %bb.63:                               ;   in Loop: Header=BB140_58 Depth=3
	ds_load_b64 v[0:1], v2
	s_mov_b32 s21, s17
	s_mov_b32 s22, s8
	s_branch .LBB140_57
.LBB140_64:
	s_mov_b32 s10, 0
.LBB140_65:
	s_delay_alu instid0(SALU_CYCLE_1)
	s_and_b32 vcc_lo, exec_lo, s10
	s_cbranch_vccz .LBB140_86
; %bb.66:
	v_lshl_or_b32 v3, v7, 3, 0x200
	v_lshlrev_b32_e32 v4, 3, v7
	s_mov_b32 s1, 0
	s_delay_alu instid0(SALU_CYCLE_1)
	s_mov_b32 s0, s1
	s_mov_b32 s4, s1
	s_branch .LBB140_68
.LBB140_67:                             ;   in Loop: Header=BB140_68 Depth=1
	s_cmp_ge_i32 s4, s15
	s_cselect_b32 s8, -1, 0
	s_add_i32 s0, s0, 1
	s_delay_alu instid0(SALU_CYCLE_1) | instskip(SKIP_1) | instid1(SALU_CYCLE_1)
	s_cmp_eq_u32 s0, 3
	s_cselect_b32 s9, -1, 0
	s_or_b32 s8, s8, s9
	s_delay_alu instid0(SALU_CYCLE_1)
	s_and_b32 vcc_lo, exec_lo, s8
	s_cbranch_vccnz .LBB140_86
.LBB140_68:                             ; =>This Loop Header: Depth=1
                                        ;     Child Loop BB140_71 Depth 2
                                        ;       Child Loop BB140_72 Depth 3
                                        ;       Child Loop BB140_75 Depth 3
                                        ;         Child Loop BB140_76 Depth 4
                                        ;       Child Loop BB140_80 Depth 3
                                        ;         Child Loop BB140_82 Depth 4
	s_getpc_b64 s[8:9]
	s_add_u32 s8, s8, __const._ZL38rocblas_trsm_small_left_device_sharedBILi8ELi8ELb1E19rocblas_complex_numIfES1_PKPKS1_PKPS1_Ev13rocblas_fill_18rocblas_operation_17rocblas_diagonal_iiT3_T4_lilT5_lili.step_sizes@rel32@lo+4
	s_addc_u32 s9, s9, __const._ZL38rocblas_trsm_small_left_device_sharedBILi8ELi8ELb1E19rocblas_complex_numIfES1_PKPKS1_PKPS1_Ev13rocblas_fill_18rocblas_operation_17rocblas_diagonal_iiT3_T4_lilT5_lili.step_sizes@rel32@hi+12
	s_lshl_b64 s[10:11], s[0:1], 2
	s_delay_alu instid0(SALU_CYCLE_1) | instskip(SKIP_4) | instid1(SALU_CYCLE_1)
	s_add_u32 s8, s10, s8
	s_addc_u32 s9, s11, s9
	s_load_b32 s8, s[8:9], 0x0
	s_waitcnt lgkmcnt(0)
	s_add_i32 s9, s8, -1
	s_add_i32 s10, s9, s4
	s_delay_alu instid0(SALU_CYCLE_1)
	s_cmp_ge_i32 s10, s15
	s_cbranch_scc1 .LBB140_67
; %bb.69:                               ;   in Loop: Header=BB140_68 Depth=1
	v_lshl_add_u32 v5, s4, 6, v3
	s_max_i32 s10, s8, 1
	s_lshl_b32 s11, s8, 6
	s_lshl_b32 s12, s4, 3
	;; [unrolled: 1-line block ×3, first 2 shown]
	s_mul_i32 s14, s4, 0x48
	s_mul_i32 s16, s8, 0x48
	s_branch .LBB140_71
.LBB140_70:                             ;   in Loop: Header=BB140_71 Depth=2
	s_add_i32 s4, s4, s8
	v_add_nc_u32_e32 v5, s11, v5
	s_add_i32 s17, s9, s4
	s_add_i32 s12, s12, s13
	;; [unrolled: 1-line block ×3, first 2 shown]
	s_cmp_ge_i32 s17, s15
	s_cbranch_scc1 .LBB140_67
.LBB140_71:                             ;   Parent Loop BB140_68 Depth=1
                                        ; =>  This Loop Header: Depth=2
                                        ;       Child Loop BB140_72 Depth 3
                                        ;       Child Loop BB140_75 Depth 3
                                        ;         Child Loop BB140_76 Depth 4
                                        ;       Child Loop BB140_80 Depth 3
                                        ;         Child Loop BB140_82 Depth 4
	v_dual_mov_b32 v0, v2 :: v_dual_mov_b32 v1, v5
	s_mov_b32 s17, s10
.LBB140_72:                             ;   Parent Loop BB140_68 Depth=1
                                        ;     Parent Loop BB140_71 Depth=2
                                        ; =>    This Inner Loop Header: Depth=3
	ds_load_b64 v[8:9], v1
	v_add_nc_u32_e32 v1, 64, v1
	s_add_i32 s17, s17, -1
	s_delay_alu instid0(SALU_CYCLE_1)
	s_cmp_eq_u32 s17, 0
	s_waitcnt lgkmcnt(0)
	ds_store_b64 v0, v[8:9]
	v_add_nc_u32_e32 v0, 8, v0
	s_cbranch_scc0 .LBB140_72
; %bb.73:                               ;   in Loop: Header=BB140_71 Depth=2
	s_cmp_lt_i32 s4, 1
	s_cbranch_scc1 .LBB140_78
; %bb.74:                               ;   in Loop: Header=BB140_71 Depth=2
	s_mov_b32 s17, 0
	s_mov_b32 s18, s12
	.p2align	6
.LBB140_75:                             ;   Parent Loop BB140_68 Depth=1
                                        ;     Parent Loop BB140_71 Depth=2
                                        ; =>    This Loop Header: Depth=3
                                        ;         Child Loop BB140_76 Depth 4
	v_lshl_or_b32 v0, s17, 6, v4
	v_mov_b32_e32 v6, v2
	s_mov_b32 s19, s18
	s_mov_b32 s20, s10
	ds_load_b64 v[0:1], v0 offset:512
	.p2align	6
.LBB140_76:                             ;   Parent Loop BB140_68 Depth=1
                                        ;     Parent Loop BB140_71 Depth=2
                                        ;       Parent Loop BB140_75 Depth=3
                                        ; =>      This Inner Loop Header: Depth=4
	v_mov_b32_e32 v8, s19
	s_add_i32 s20, s20, -1
	s_add_i32 s19, s19, 8
	s_cmp_eq_u32 s20, 0
	ds_load_b64 v[8:9], v8
	ds_load_b64 v[10:11], v6
	s_waitcnt lgkmcnt(1)
	v_mul_f32_e32 v12, v9, v1
	v_mul_f32_e32 v9, v9, v0
	s_delay_alu instid0(VALU_DEP_2) | instskip(SKIP_1) | instid1(VALU_DEP_1)
	v_fma_f32 v12, v8, v0, -v12
	s_waitcnt lgkmcnt(0)
	v_dual_fmac_f32 v9, v8, v1 :: v_dual_sub_f32 v8, v10, v12
	s_delay_alu instid0(VALU_DEP_1)
	v_sub_f32_e32 v9, v11, v9
	ds_store_b64 v6, v[8:9]
	v_add_nc_u32_e32 v6, 8, v6
	s_cbranch_scc0 .LBB140_76
; %bb.77:                               ;   in Loop: Header=BB140_75 Depth=3
	s_add_i32 s17, s17, 1
	s_add_i32 s18, s18, 64
	s_cmp_ge_i32 s17, s4
	s_cbranch_scc0 .LBB140_75
.LBB140_78:                             ;   in Loop: Header=BB140_71 Depth=2
	s_mov_b32 s17, 0
	s_mov_b32 s18, s14
	s_branch .LBB140_80
.LBB140_79:                             ;   in Loop: Header=BB140_80 Depth=3
	s_mul_i32 s20, s19, 0x48
	s_add_i32 s17, s17, 1
	v_mov_b32_e32 v8, s20
	s_add_i32 s18, s18, 8
	s_cmp_eq_u32 s17, s10
	ds_load_b64 v[8:9], v8
	s_waitcnt lgkmcnt(0)
	v_mul_f32_e32 v10, v9, v1
	v_mul_f32_e32 v11, v8, v1
	s_delay_alu instid0(VALU_DEP_2) | instskip(NEXT) | instid1(VALU_DEP_2)
	v_fma_f32 v10, v8, v0, -v10
	v_fmac_f32_e32 v11, v9, v0
	v_lshl_or_b32 v0, s19, 6, v4
	ds_store_b64 v6, v[10:11]
	ds_store_b64 v0, v[10:11] offset:512
	s_cbranch_scc1 .LBB140_70
.LBB140_80:                             ;   Parent Loop BB140_68 Depth=1
                                        ;     Parent Loop BB140_71 Depth=2
                                        ; =>    This Loop Header: Depth=3
                                        ;         Child Loop BB140_82 Depth 4
	v_lshl_add_u32 v6, s17, 3, v2
	s_cmp_lg_u32 s17, 0
	s_cbranch_scc0 .LBB140_84
; %bb.81:                               ;   in Loop: Header=BB140_80 Depth=3
	ds_load_b64 v[0:1], v6
	v_mov_b32_e32 v8, v2
	s_add_i32 s19, s17, s4
	s_mov_b32 s20, 0
	s_mov_b32 s21, s18
	.p2align	6
.LBB140_82:                             ;   Parent Loop BB140_68 Depth=1
                                        ;     Parent Loop BB140_71 Depth=2
                                        ;       Parent Loop BB140_80 Depth=3
                                        ; =>      This Inner Loop Header: Depth=4
	s_delay_alu instid0(SALU_CYCLE_1)
	v_mov_b32_e32 v11, s21
	s_add_i32 s20, s20, 1
	s_add_i32 s21, s21, 64
	s_cmp_ge_u32 s20, s17
	ds_load_b64 v[9:10], v8
	ds_load_b64 v[11:12], v11
	s_waitcnt lgkmcnt(0)
	v_dual_mul_f32 v13, v12, v10 :: v_dual_add_nc_u32 v8, 8, v8
	v_mul_f32_e32 v10, v11, v10
	s_delay_alu instid0(VALU_DEP_2) | instskip(NEXT) | instid1(VALU_DEP_2)
	v_fma_f32 v11, v11, v9, -v13
	v_fmac_f32_e32 v10, v12, v9
	s_delay_alu instid0(VALU_DEP_1)
	v_dual_sub_f32 v0, v0, v11 :: v_dual_sub_f32 v1, v1, v10
	ds_store_b64 v6, v[0:1]
	s_cbranch_scc0 .LBB140_82
; %bb.83:                               ;   in Loop: Header=BB140_80 Depth=3
	s_branch .LBB140_79
.LBB140_84:                             ;   in Loop: Header=BB140_80 Depth=3
                                        ; implicit-def: $vgpr0
                                        ; implicit-def: $sgpr19
	s_cbranch_execz .LBB140_79
; %bb.85:                               ;   in Loop: Header=BB140_80 Depth=3
	ds_load_b64 v[0:1], v2
	s_mov_b32 s19, s4
	s_branch .LBB140_79
.LBB140_86:
	s_waitcnt vmcnt(0) lgkmcnt(0)
	s_waitcnt_vscnt null, 0x0
	; wave barrier
	s_waitcnt lgkmcnt(0)
	buffer_gl0_inv
	s_and_saveexec_b32 s0, s7
	s_cbranch_execz .LBB140_95
; %bb.87:
	v_lshlrev_b32_e32 v2, 3, v7
	v_mad_i64_i32 v[0:1], null, s2, v7, 0
	s_cmp_eq_u32 s6, 1
	ds_load_b64 v[3:4], v2 offset:512
	v_lshlrev_b64 v[0:1], 3, v[0:1]
	s_delay_alu instid0(VALU_DEP_1) | instskip(NEXT) | instid1(VALU_DEP_2)
	v_add_co_u32 v0, vcc_lo, s3, v0
	v_add_co_ci_u32_e32 v1, vcc_lo, s5, v1, vcc_lo
	s_waitcnt lgkmcnt(0)
	global_store_b64 v[0:1], v[3:4], off
	s_cbranch_scc1 .LBB140_95
; %bb.88:
	v_or_b32_e32 v2, 0x200, v2
	s_cmp_eq_u32 s6, 2
	ds_load_b64 v[3:4], v2 offset:64
	s_waitcnt lgkmcnt(0)
	global_store_b64 v[0:1], v[3:4], off offset:8
	s_cbranch_scc1 .LBB140_95
; %bb.89:
	ds_load_b64 v[3:4], v2 offset:128
	s_cmp_eq_u32 s6, 3
	s_waitcnt lgkmcnt(0)
	global_store_b64 v[0:1], v[3:4], off offset:16
	s_cbranch_scc1 .LBB140_95
; %bb.90:
	ds_load_b64 v[3:4], v2 offset:192
	s_cmp_eq_u32 s6, 4
	;; [unrolled: 6-line block ×5, first 2 shown]
	s_waitcnt lgkmcnt(0)
	global_store_b64 v[0:1], v[3:4], off offset:48
	s_cbranch_scc1 .LBB140_95
; %bb.94:
	ds_load_b64 v[2:3], v2 offset:448
	s_waitcnt lgkmcnt(0)
	global_store_b64 v[0:1], v[2:3], off offset:56
.LBB140_95:
	s_nop 0
	s_sendmsg sendmsg(MSG_DEALLOC_VGPRS)
	s_endpgm
	.section	.rodata,"a",@progbits
	.p2align	6, 0x0
	.amdhsa_kernel _ZL38rocblas_trsm_small_left_device_sharedBILi8ELi8ELb1E19rocblas_complex_numIfES1_PKPKS1_PKPS1_Ev13rocblas_fill_18rocblas_operation_17rocblas_diagonal_iiT3_T4_lilT5_lili
		.amdhsa_group_segment_fixed_size 1536
		.amdhsa_private_segment_fixed_size 0
		.amdhsa_kernarg_size 360
		.amdhsa_user_sgpr_count 14
		.amdhsa_user_sgpr_dispatch_ptr 1
		.amdhsa_user_sgpr_queue_ptr 0
		.amdhsa_user_sgpr_kernarg_segment_ptr 1
		.amdhsa_user_sgpr_dispatch_id 0
		.amdhsa_user_sgpr_private_segment_size 0
		.amdhsa_wavefront_size32 1
		.amdhsa_uses_dynamic_stack 0
		.amdhsa_enable_private_segment 0
		.amdhsa_system_sgpr_workgroup_id_x 1
		.amdhsa_system_sgpr_workgroup_id_y 0
		.amdhsa_system_sgpr_workgroup_id_z 1
		.amdhsa_system_sgpr_workgroup_info 0
		.amdhsa_system_vgpr_workitem_id 2
		.amdhsa_next_free_vgpr 14
		.amdhsa_next_free_sgpr 37
		.amdhsa_reserve_vcc 1
		.amdhsa_float_round_mode_32 0
		.amdhsa_float_round_mode_16_64 0
		.amdhsa_float_denorm_mode_32 3
		.amdhsa_float_denorm_mode_16_64 3
		.amdhsa_dx10_clamp 1
		.amdhsa_ieee_mode 1
		.amdhsa_fp16_overflow 0
		.amdhsa_workgroup_processor_mode 1
		.amdhsa_memory_ordered 1
		.amdhsa_forward_progress 0
		.amdhsa_shared_vgpr_count 0
		.amdhsa_exception_fp_ieee_invalid_op 0
		.amdhsa_exception_fp_denorm_src 0
		.amdhsa_exception_fp_ieee_div_zero 0
		.amdhsa_exception_fp_ieee_overflow 0
		.amdhsa_exception_fp_ieee_underflow 0
		.amdhsa_exception_fp_ieee_inexact 0
		.amdhsa_exception_int_div_zero 0
	.end_amdhsa_kernel
	.section	.text._ZL38rocblas_trsm_small_left_device_sharedBILi8ELi8ELb1E19rocblas_complex_numIfES1_PKPKS1_PKPS1_Ev13rocblas_fill_18rocblas_operation_17rocblas_diagonal_iiT3_T4_lilT5_lili,"axG",@progbits,_ZL38rocblas_trsm_small_left_device_sharedBILi8ELi8ELb1E19rocblas_complex_numIfES1_PKPKS1_PKPS1_Ev13rocblas_fill_18rocblas_operation_17rocblas_diagonal_iiT3_T4_lilT5_lili,comdat
.Lfunc_end140:
	.size	_ZL38rocblas_trsm_small_left_device_sharedBILi8ELi8ELb1E19rocblas_complex_numIfES1_PKPKS1_PKPS1_Ev13rocblas_fill_18rocblas_operation_17rocblas_diagonal_iiT3_T4_lilT5_lili, .Lfunc_end140-_ZL38rocblas_trsm_small_left_device_sharedBILi8ELi8ELb1E19rocblas_complex_numIfES1_PKPKS1_PKPS1_Ev13rocblas_fill_18rocblas_operation_17rocblas_diagonal_iiT3_T4_lilT5_lili
                                        ; -- End function
	.section	.AMDGPU.csdata,"",@progbits
; Kernel info:
; codeLenInByte = 3708
; NumSgprs: 39
; NumVgprs: 14
; ScratchSize: 0
; MemoryBound: 0
; FloatMode: 240
; IeeeMode: 1
; LDSByteSize: 1536 bytes/workgroup (compile time only)
; SGPRBlocks: 4
; VGPRBlocks: 1
; NumSGPRsForWavesPerEU: 39
; NumVGPRsForWavesPerEU: 14
; Occupancy: 16
; WaveLimiterHint : 1
; COMPUTE_PGM_RSRC2:SCRATCH_EN: 0
; COMPUTE_PGM_RSRC2:USER_SGPR: 14
; COMPUTE_PGM_RSRC2:TRAP_HANDLER: 0
; COMPUTE_PGM_RSRC2:TGID_X_EN: 1
; COMPUTE_PGM_RSRC2:TGID_Y_EN: 0
; COMPUTE_PGM_RSRC2:TGID_Z_EN: 1
; COMPUTE_PGM_RSRC2:TIDIG_COMP_CNT: 2
	.section	.text._ZL30rocblas_trsm_small_left_deviceILi8ELi8ELb1E19rocblas_complex_numIfES1_PKPKS1_PKPS1_Ev13rocblas_fill_18rocblas_operation_17rocblas_diagonal_iiT3_T4_lilT5_lili,"axG",@progbits,_ZL30rocblas_trsm_small_left_deviceILi8ELi8ELb1E19rocblas_complex_numIfES1_PKPKS1_PKPS1_Ev13rocblas_fill_18rocblas_operation_17rocblas_diagonal_iiT3_T4_lilT5_lili,comdat
	.globl	_ZL30rocblas_trsm_small_left_deviceILi8ELi8ELb1E19rocblas_complex_numIfES1_PKPKS1_PKPS1_Ev13rocblas_fill_18rocblas_operation_17rocblas_diagonal_iiT3_T4_lilT5_lili ; -- Begin function _ZL30rocblas_trsm_small_left_deviceILi8ELi8ELb1E19rocblas_complex_numIfES1_PKPKS1_PKPS1_Ev13rocblas_fill_18rocblas_operation_17rocblas_diagonal_iiT3_T4_lilT5_lili
	.p2align	8
	.type	_ZL30rocblas_trsm_small_left_deviceILi8ELi8ELb1E19rocblas_complex_numIfES1_PKPKS1_PKPS1_Ev13rocblas_fill_18rocblas_operation_17rocblas_diagonal_iiT3_T4_lilT5_lili,@function
_ZL30rocblas_trsm_small_left_deviceILi8ELi8ELb1E19rocblas_complex_numIfES1_PKPKS1_PKPS1_Ev13rocblas_fill_18rocblas_operation_17rocblas_diagonal_iiT3_T4_lilT5_lili: ; @_ZL30rocblas_trsm_small_left_deviceILi8ELi8ELb1E19rocblas_complex_numIfES1_PKPKS1_PKPS1_Ev13rocblas_fill_18rocblas_operation_17rocblas_diagonal_iiT3_T4_lilT5_lili
; %bb.0:
	s_clause 0x1
	s_load_b128 s[8:11], s[2:3], 0x40
	s_load_b128 s[4:7], s[2:3], 0x4
	s_mov_b32 s20, s15
	s_mov_b32 s21, 0
	s_load_b32 s30, s[2:3], 0x68
	s_lshl_b64 s[24:25], s[20:21], 3
	v_and_b32_e32 v7, 0x3ff, v0
	s_waitcnt lgkmcnt(0)
	s_add_u32 s12, s8, s24
	s_addc_u32 s13, s9, s25
	s_load_b64 s[8:9], s[2:3], 0x14
	s_load_b64 s[12:13], s[12:13], 0x0
	s_min_i32 s15, s6, 8
	s_mov_b32 s6, exec_lo
	s_add_i32 s20, s15, -1
	v_cmpx_gt_i32_e64 s15, v7
	s_cbranch_execz .LBB141_35
; %bb.1:
	s_clause 0x1
	s_load_b32 s22, s[2:3], 0x30
	s_load_b128 s[16:19], s[2:3], 0x20
	v_lshlrev_b32_e32 v9, 3, v7
	s_waitcnt lgkmcnt(0)
	s_ashr_i32 s23, s22, 31
	s_cmpk_lg_i32 s4, 0x71
	s_cselect_b32 s31, -1, 0
	s_add_u32 s16, s16, s24
	s_addc_u32 s17, s17, s25
	v_cndmask_b32_e64 v8, 0, 1, s31
	s_load_b64 s[16:17], s[16:17], 0x0
	s_cmp_lt_u32 s20, 3
	s_cbranch_scc1 .LBB141_20
; %bb.2:
	s_lshl_b64 s[24:25], s[18:19], 3
	v_mov_b32_e32 v10, v9
	s_waitcnt lgkmcnt(0)
	s_add_u32 s21, s16, s24
	s_addc_u32 s24, s17, s25
	v_add_co_u32 v1, s21, s21, v9
	s_delay_alu instid0(VALU_DEP_1)
	v_add_co_ci_u32_e64 v2, null, s24, 0, s21
	s_and_b32 s21, s15, -4
	s_mul_hi_i32 s33, s22, 24
	s_mul_i32 s34, s22, 24
	s_lshl_b64 s[24:25], s[22:23], 5
	s_lshl_b64 s[26:27], s[22:23], 4
	;; [unrolled: 1-line block ×3, first 2 shown]
	s_mov_b32 s35, 0
	s_branch .LBB141_4
.LBB141_3:                              ;   in Loop: Header=BB141_4 Depth=1
	global_load_b32 v3, v[5:6], off
	v_add_co_u32 v1, vcc_lo, v1, s24
	v_add_co_ci_u32_e32 v2, vcc_lo, s25, v2, vcc_lo
	s_add_i32 s35, s35, 4
	s_delay_alu instid0(SALU_CYCLE_1)
	s_cmp_eq_u32 s21, s35
	s_waitcnt vmcnt(0)
	ds_store_b64 v10, v[3:4] offset:192
	v_add_nc_u32_e32 v10, 0x100, v10
	s_cbranch_scc1 .LBB141_20
.LBB141_4:                              ; =>This Inner Loop Header: Depth=1
	s_and_b32 vcc_lo, exec_lo, s31
	s_cbranch_vccz .LBB141_6
; %bb.5:                                ;   in Loop: Header=BB141_4 Depth=1
	global_load_b32 v4, v[1:2], off offset:4
	s_cbranch_execz .LBB141_7
	s_branch .LBB141_8
.LBB141_6:                              ;   in Loop: Header=BB141_4 Depth=1
                                        ; implicit-def: $vgpr4
.LBB141_7:                              ;   in Loop: Header=BB141_4 Depth=1
	global_load_b32 v3, v[1:2], off offset:4
	s_waitcnt vmcnt(0)
	v_xor_b32_e32 v4, 0x80000000, v3
.LBB141_8:                              ;   in Loop: Header=BB141_4 Depth=1
	global_load_b32 v3, v[1:2], off
	v_add_co_u32 v5, vcc_lo, v1, s28
	v_add_co_ci_u32_e32 v6, vcc_lo, s29, v2, vcc_lo
	s_and_not1_b32 vcc_lo, exec_lo, s31
	s_waitcnt vmcnt(0)
	ds_store_b64 v10, v[3:4]
	s_cbranch_vccnz .LBB141_10
; %bb.9:                                ;   in Loop: Header=BB141_4 Depth=1
	global_load_b32 v4, v[5:6], off offset:4
	s_cbranch_execz .LBB141_11
	s_branch .LBB141_12
.LBB141_10:                             ;   in Loop: Header=BB141_4 Depth=1
                                        ; implicit-def: $vgpr4
.LBB141_11:                             ;   in Loop: Header=BB141_4 Depth=1
	global_load_b32 v3, v[5:6], off offset:4
	s_waitcnt vmcnt(0)
	v_xor_b32_e32 v4, 0x80000000, v3
.LBB141_12:                             ;   in Loop: Header=BB141_4 Depth=1
	global_load_b32 v3, v[5:6], off
	v_add_co_u32 v5, vcc_lo, v1, s26
	v_add_co_ci_u32_e32 v6, vcc_lo, s27, v2, vcc_lo
	s_and_not1_b32 vcc_lo, exec_lo, s31
	s_waitcnt vmcnt(0)
	ds_store_b64 v10, v[3:4] offset:64
	s_cbranch_vccnz .LBB141_14
; %bb.13:                               ;   in Loop: Header=BB141_4 Depth=1
	global_load_b32 v4, v[5:6], off offset:4
	s_cbranch_execz .LBB141_15
	s_branch .LBB141_16
.LBB141_14:                             ;   in Loop: Header=BB141_4 Depth=1
                                        ; implicit-def: $vgpr4
.LBB141_15:                             ;   in Loop: Header=BB141_4 Depth=1
	global_load_b32 v3, v[5:6], off offset:4
	s_waitcnt vmcnt(0)
	v_xor_b32_e32 v4, 0x80000000, v3
.LBB141_16:                             ;   in Loop: Header=BB141_4 Depth=1
	global_load_b32 v3, v[5:6], off
	v_add_co_u32 v5, vcc_lo, v1, s34
	v_add_co_ci_u32_e32 v6, vcc_lo, s33, v2, vcc_lo
	s_and_not1_b32 vcc_lo, exec_lo, s31
	s_waitcnt vmcnt(0)
	ds_store_b64 v10, v[3:4] offset:128
	s_cbranch_vccnz .LBB141_18
; %bb.17:                               ;   in Loop: Header=BB141_4 Depth=1
	global_load_b32 v4, v[5:6], off offset:4
	s_cbranch_execnz .LBB141_3
	s_branch .LBB141_19
.LBB141_18:                             ;   in Loop: Header=BB141_4 Depth=1
                                        ; implicit-def: $vgpr4
.LBB141_19:                             ;   in Loop: Header=BB141_4 Depth=1
	global_load_b32 v3, v[5:6], off offset:4
	s_waitcnt vmcnt(0)
	v_xor_b32_e32 v4, 0x80000000, v3
	s_branch .LBB141_3
.LBB141_20:
	s_and_b32 s24, s15, 3
	s_delay_alu instid0(SALU_CYCLE_1)
	s_cmp_eq_u32 s24, 0
	s_cbranch_scc1 .LBB141_27
; %bb.21:
	s_mul_i32 s25, s23, s21
	s_mul_hi_u32 s26, s22, s21
	s_lshl_b64 s[18:19], s[18:19], 3
	s_add_i32 s27, s26, s25
	s_mul_i32 s26, s22, s21
	v_lshl_or_b32 v5, s21, 6, v9
	s_lshl_b64 s[26:27], s[26:27], 3
	s_delay_alu instid0(SALU_CYCLE_1)
	s_add_u32 s18, s26, s18
	s_addc_u32 s19, s27, s19
	s_waitcnt lgkmcnt(0)
	s_add_u32 s16, s16, s18
	s_addc_u32 s17, s17, s19
	v_add_co_u32 v1, s16, s16, v9
	s_delay_alu instid0(VALU_DEP_1) | instskip(SKIP_1) | instid1(VALU_DEP_2)
	v_add_co_ci_u32_e64 v2, null, s17, 0, s16
	s_lshl_b64 s[16:17], s[22:23], 3
	v_add_co_u32 v1, vcc_lo, v1, 4
	s_delay_alu instid0(VALU_DEP_2)
	v_add_co_ci_u32_e32 v2, vcc_lo, 0, v2, vcc_lo
	s_set_inst_prefetch_distance 0x1
	s_branch .LBB141_23
	.p2align	6
.LBB141_22:                             ;   in Loop: Header=BB141_23 Depth=1
	global_load_b32 v3, v[1:2], off offset:-4
	v_add_co_u32 v1, vcc_lo, v1, s16
	v_add_co_ci_u32_e32 v2, vcc_lo, s17, v2, vcc_lo
	s_add_i32 s24, s24, -1
	s_delay_alu instid0(SALU_CYCLE_1)
	s_cmp_lg_u32 s24, 0
	s_waitcnt vmcnt(0)
	ds_store_b64 v5, v[3:4]
	v_add_nc_u32_e32 v5, 64, v5
	s_cbranch_scc0 .LBB141_27
.LBB141_23:                             ; =>This Inner Loop Header: Depth=1
	v_cmp_ne_u32_e32 vcc_lo, 1, v8
	s_mov_b32 s18, -1
                                        ; implicit-def: $vgpr4
	s_cbranch_vccnz .LBB141_25
; %bb.24:                               ;   in Loop: Header=BB141_23 Depth=1
	global_load_b32 v4, v[1:2], off
	s_mov_b32 s18, 0
.LBB141_25:                             ;   in Loop: Header=BB141_23 Depth=1
	s_delay_alu instid0(SALU_CYCLE_1)
	s_and_not1_b32 vcc_lo, exec_lo, s18
	s_cbranch_vccnz .LBB141_22
; %bb.26:                               ;   in Loop: Header=BB141_23 Depth=1
	global_load_b32 v3, v[1:2], off
	s_waitcnt vmcnt(0)
	v_xor_b32_e32 v4, 0x80000000, v3
	s_branch .LBB141_22
.LBB141_27:
	s_set_inst_prefetch_distance 0x2
	v_mul_u32_u24_e32 v1, 9, v7
	s_cmpk_lg_i32 s5, 0x84
	s_mov_b32 s5, -1
	s_delay_alu instid0(VALU_DEP_1)
	v_lshlrev_b32_e32 v5, 3, v1
	s_cbranch_scc0 .LBB141_33
; %bb.28:
	ds_load_b64 v[1:2], v5
	s_waitcnt lgkmcnt(0)
	v_cmp_gt_f32_e32 vcc_lo, 0, v1
	v_cndmask_b32_e64 v3, v1, -v1, vcc_lo
	v_cmp_gt_f32_e32 vcc_lo, 0, v2
	v_cndmask_b32_e64 v4, v2, -v2, vcc_lo
	s_delay_alu instid0(VALU_DEP_1) | instskip(SKIP_1) | instid1(SALU_CYCLE_1)
	v_cmp_ngt_f32_e32 vcc_lo, v3, v4
                                        ; implicit-def: $vgpr3
	s_and_saveexec_b32 s5, vcc_lo
	s_xor_b32 s5, exec_lo, s5
	s_cbranch_execz .LBB141_30
; %bb.29:
	v_div_scale_f32 v3, null, v2, v2, v1
	v_div_scale_f32 v8, vcc_lo, v1, v2, v1
	s_delay_alu instid0(VALU_DEP_2) | instskip(SKIP_2) | instid1(VALU_DEP_1)
	v_rcp_f32_e32 v4, v3
	s_waitcnt_depctr 0xfff
	v_fma_f32 v6, -v3, v4, 1.0
	v_fmac_f32_e32 v4, v6, v4
	s_delay_alu instid0(VALU_DEP_1) | instskip(NEXT) | instid1(VALU_DEP_1)
	v_mul_f32_e32 v6, v8, v4
	v_fma_f32 v9, -v3, v6, v8
	s_delay_alu instid0(VALU_DEP_1) | instskip(NEXT) | instid1(VALU_DEP_1)
	v_fmac_f32_e32 v6, v9, v4
	v_fma_f32 v3, -v3, v6, v8
	s_delay_alu instid0(VALU_DEP_1) | instskip(NEXT) | instid1(VALU_DEP_1)
	v_div_fmas_f32 v3, v3, v4, v6
	v_div_fixup_f32 v3, v3, v2, v1
	s_delay_alu instid0(VALU_DEP_1) | instskip(NEXT) | instid1(VALU_DEP_1)
	v_fmac_f32_e32 v2, v1, v3
	v_div_scale_f32 v1, null, v2, v2, 1.0
	v_div_scale_f32 v8, vcc_lo, 1.0, v2, 1.0
	s_delay_alu instid0(VALU_DEP_2) | instskip(SKIP_2) | instid1(VALU_DEP_1)
	v_rcp_f32_e32 v4, v1
	s_waitcnt_depctr 0xfff
	v_fma_f32 v6, -v1, v4, 1.0
	v_fmac_f32_e32 v4, v6, v4
	s_delay_alu instid0(VALU_DEP_1) | instskip(NEXT) | instid1(VALU_DEP_1)
	v_mul_f32_e32 v6, v8, v4
	v_fma_f32 v9, -v1, v6, v8
	s_delay_alu instid0(VALU_DEP_1) | instskip(NEXT) | instid1(VALU_DEP_1)
	v_fmac_f32_e32 v6, v9, v4
	v_fma_f32 v1, -v1, v6, v8
	s_delay_alu instid0(VALU_DEP_1) | instskip(SKIP_1) | instid1(VALU_DEP_2)
	v_div_fmas_f32 v1, v1, v4, v6
	v_add_f32_e32 v4, 0, v3
	v_div_fixup_f32 v1, v1, v2, 1.0
	v_fma_f32 v2, v3, 0, -1.0
	s_delay_alu instid0(VALU_DEP_2) | instskip(NEXT) | instid1(VALU_DEP_2)
	v_mul_f32_e32 v3, v4, v1
	v_mul_f32_e32 v4, v2, v1
                                        ; implicit-def: $vgpr1_vgpr2
.LBB141_30:
	s_and_not1_saveexec_b32 s5, s5
	s_cbranch_execz .LBB141_32
; %bb.31:
	v_div_scale_f32 v3, null, v1, v1, v2
	v_div_scale_f32 v8, vcc_lo, v2, v1, v2
	s_delay_alu instid0(VALU_DEP_2) | instskip(SKIP_2) | instid1(VALU_DEP_1)
	v_rcp_f32_e32 v4, v3
	s_waitcnt_depctr 0xfff
	v_fma_f32 v6, -v3, v4, 1.0
	v_fmac_f32_e32 v4, v6, v4
	s_delay_alu instid0(VALU_DEP_1) | instskip(NEXT) | instid1(VALU_DEP_1)
	v_mul_f32_e32 v6, v8, v4
	v_fma_f32 v9, -v3, v6, v8
	s_delay_alu instid0(VALU_DEP_1) | instskip(NEXT) | instid1(VALU_DEP_1)
	v_fmac_f32_e32 v6, v9, v4
	v_fma_f32 v3, -v3, v6, v8
	s_delay_alu instid0(VALU_DEP_1) | instskip(NEXT) | instid1(VALU_DEP_1)
	v_div_fmas_f32 v3, v3, v4, v6
	v_div_fixup_f32 v4, v3, v1, v2
	s_delay_alu instid0(VALU_DEP_1) | instskip(NEXT) | instid1(VALU_DEP_1)
	v_fmac_f32_e32 v1, v2, v4
	v_div_scale_f32 v2, null, v1, v1, 1.0
	v_div_scale_f32 v8, vcc_lo, 1.0, v1, 1.0
	s_delay_alu instid0(VALU_DEP_2) | instskip(SKIP_2) | instid1(VALU_DEP_1)
	v_rcp_f32_e32 v3, v2
	s_waitcnt_depctr 0xfff
	v_fma_f32 v6, -v2, v3, 1.0
	v_fmac_f32_e32 v3, v6, v3
	s_delay_alu instid0(VALU_DEP_1) | instskip(NEXT) | instid1(VALU_DEP_1)
	v_mul_f32_e32 v6, v8, v3
	v_fma_f32 v9, -v2, v6, v8
	s_delay_alu instid0(VALU_DEP_1) | instskip(NEXT) | instid1(VALU_DEP_1)
	v_fmac_f32_e32 v6, v9, v3
	v_fma_f32 v2, -v2, v6, v8
	s_delay_alu instid0(VALU_DEP_1) | instskip(SKIP_1) | instid1(VALU_DEP_2)
	v_div_fmas_f32 v2, v2, v3, v6
	v_fma_f32 v3, v4, 0, 1.0
	v_div_fixup_f32 v1, v2, v1, 1.0
	s_delay_alu instid0(VALU_DEP_1)
	v_mul_f32_e32 v3, v3, v1
	v_mul_f32_e64 v4, -v4, v1
.LBB141_32:
	s_or_b32 exec_lo, exec_lo, s5
	s_mov_b32 s5, 0
	ds_store_b64 v5, v[3:4]
.LBB141_33:
	s_and_b32 vcc_lo, exec_lo, s5
	s_cbranch_vccz .LBB141_35
; %bb.34:
	v_dual_mov_b32 v1, 1.0 :: v_dual_mov_b32 v2, 0
	ds_store_b64 v5, v[1:2]
.LBB141_35:
	s_or_b32 exec_lo, exec_lo, s6
	s_lshl_b32 s6, s14, 3
	s_add_i32 s30, s30, -1
	s_sub_i32 s5, s7, s6
	s_cmp_ge_u32 s14, s30
	s_waitcnt lgkmcnt(0)
	s_cselect_b32 s5, s5, 8
	; wave barrier
	buffer_gl0_inv
	v_cmp_gt_i32_e32 vcc_lo, s5, v7
	s_mov_b32 s5, -1
	s_and_saveexec_b32 s7, vcc_lo
	s_cbranch_execz .LBB141_78
; %bb.36:
	s_load_b64 s[0:1], s[0:1], 0x4
	s_load_b32 s2, s[2:3], 0x50
	v_add_nc_u32_e32 v2, s6, v7
	v_bfe_u32 v3, v0, 10, 10
	v_bfe_u32 v4, v0, 20, 10
	s_waitcnt lgkmcnt(0)
	s_lshr_b32 s0, s0, 16
	v_mad_i64_i32 v[0:1], null, s2, v2, 0
	s_mul_i32 s0, s0, s1
	v_mul_u32_u24_e32 v2, s1, v3
	v_mul_u32_u24_e32 v3, s0, v7
	s_lshl_b64 s[0:1], s[10:11], 3
	s_delay_alu instid0(SALU_CYCLE_1) | instskip(NEXT) | instid1(VALU_DEP_3)
	s_add_u32 s2, s12, s0
	v_lshlrev_b64 v[0:1], 3, v[0:1]
	s_delay_alu instid0(VALU_DEP_2) | instskip(SKIP_2) | instid1(VALU_DEP_1)
	v_add3_u32 v2, v3, v2, v4
	s_addc_u32 s3, s13, s1
	s_cmpk_eq_i32 s4, 0x6f
	v_lshl_add_u32 v4, v2, 6, 0x200
	s_delay_alu instid0(VALU_DEP_3)
	v_add_co_u32 v5, vcc_lo, s2, v0
	v_add_co_ci_u32_e32 v6, vcc_lo, s3, v1, vcc_lo
	s_cbranch_scc1 .LBB141_57
; %bb.37:
	s_add_u32 s2, s12, s0
	s_addc_u32 s3, s13, s1
	v_add_co_u32 v2, vcc_lo, s2, v0
	v_add_co_ci_u32_e32 v3, vcc_lo, s3, v1, vcc_lo
	s_lshl_b32 s14, s15, 3
	s_delay_alu instid0(VALU_DEP_2) | instskip(NEXT) | instid1(VALU_DEP_2)
	v_add_co_u32 v7, vcc_lo, v2, 4
	v_add_co_ci_u32_e32 v8, vcc_lo, 0, v3, vcc_lo
	s_mov_b32 s3, 0
	s_add_i32 s14, s14, -8
	s_mov_b32 s2, s3
	s_mov_b32 s4, s20
	s_branch .LBB141_39
.LBB141_38:                             ;   in Loop: Header=BB141_39 Depth=1
	s_cmp_lt_i32 s4, 0
	s_cselect_b32 s5, -1, 0
	s_add_i32 s2, s2, 1
	s_delay_alu instid0(SALU_CYCLE_1) | instskip(SKIP_1) | instid1(SALU_CYCLE_1)
	s_cmp_eq_u32 s2, 3
	s_cselect_b32 s6, -1, 0
	s_or_b32 s5, s5, s6
	s_delay_alu instid0(SALU_CYCLE_1)
	s_and_not1_b32 vcc_lo, exec_lo, s5
	s_cbranch_vccz .LBB141_56
.LBB141_39:                             ; =>This Loop Header: Depth=1
                                        ;     Child Loop BB141_42 Depth 2
                                        ;       Child Loop BB141_43 Depth 3
                                        ;       Child Loop BB141_45 Depth 3
                                        ;         Child Loop BB141_46 Depth 4
                                        ;       Child Loop BB141_50 Depth 3
                                        ;         Child Loop BB141_52 Depth 4
	s_getpc_b64 s[6:7]
	s_add_u32 s6, s6, __const._ZL30rocblas_trsm_small_left_deviceILi8ELi8ELb1E19rocblas_complex_numIfES1_PKPKS1_PKPS1_Ev13rocblas_fill_18rocblas_operation_17rocblas_diagonal_iiT3_T4_lilT5_lili.step_sizes@rel32@lo+4
	s_addc_u32 s7, s7, __const._ZL30rocblas_trsm_small_left_deviceILi8ELi8ELb1E19rocblas_complex_numIfES1_PKPKS1_PKPS1_Ev13rocblas_fill_18rocblas_operation_17rocblas_diagonal_iiT3_T4_lilT5_lili.step_sizes@rel32@hi+12
	s_lshl_b64 s[10:11], s[2:3], 2
	s_delay_alu instid0(SALU_CYCLE_1) | instskip(SKIP_4) | instid1(SALU_CYCLE_1)
	s_add_u32 s6, s10, s6
	s_addc_u32 s7, s11, s7
	s_load_b32 s16, s[6:7], 0x0
	s_waitcnt lgkmcnt(0)
	s_add_i32 s17, s16, -1
	s_cmp_lt_i32 s4, s17
	s_cbranch_scc1 .LBB141_38
; %bb.40:                               ;   in Loop: Header=BB141_39 Depth=1
	s_lshl_b32 s5, s4, 6
	s_lshl_b32 s6, s16, 6
	s_max_i32 s18, s16, 1
	s_add_i32 s19, s14, s5
	s_sub_i32 s21, 0, s6
	s_mul_i32 s22, s4, 0x48
	s_mul_i32 s23, s16, 0xffffffb8
	s_branch .LBB141_42
.LBB141_41:                             ;   in Loop: Header=BB141_42 Depth=2
	s_sub_i32 s4, s4, s16
	s_add_i32 s19, s19, s21
	s_add_i32 s22, s22, s23
	s_cmp_lt_i32 s4, s17
	s_cbranch_scc1 .LBB141_38
.LBB141_42:                             ;   Parent Loop BB141_39 Depth=1
                                        ; =>  This Loop Header: Depth=2
                                        ;       Child Loop BB141_43 Depth 3
                                        ;       Child Loop BB141_45 Depth 3
                                        ;         Child Loop BB141_46 Depth 4
                                        ;       Child Loop BB141_50 Depth 3
                                        ;         Child Loop BB141_52 Depth 4
	s_ashr_i32 s5, s4, 31
	v_mov_b32_e32 v9, v4
	s_lshl_b64 s[6:7], s[4:5], 3
	s_delay_alu instid0(SALU_CYCLE_1)
	v_add_co_u32 v2, vcc_lo, v7, s6
	v_add_co_ci_u32_e32 v3, vcc_lo, s7, v8, vcc_lo
	s_mov_b32 s6, s18
.LBB141_43:                             ;   Parent Loop BB141_39 Depth=1
                                        ;     Parent Loop BB141_42 Depth=2
                                        ; =>    This Inner Loop Header: Depth=3
	global_load_b64 v[10:11], v[2:3], off offset:-4
	v_add_co_u32 v2, vcc_lo, v2, -8
	v_add_co_ci_u32_e32 v3, vcc_lo, -1, v3, vcc_lo
	s_add_i32 s6, s6, -1
	s_delay_alu instid0(SALU_CYCLE_1) | instskip(SKIP_2) | instid1(VALU_DEP_1)
	s_cmp_eq_u32 s6, 0
	s_waitcnt vmcnt(0)
	v_mul_f32_e32 v12, s8, v11
	v_dual_mul_f32 v13, s9, v11 :: v_dual_fmac_f32 v12, s9, v10
	s_delay_alu instid0(VALU_DEP_1)
	v_fma_f32 v11, v10, s8, -v13
	ds_store_b64 v9, v[11:12]
	v_add_nc_u32_e32 v9, 8, v9
	s_cbranch_scc0 .LBB141_43
; %bb.44:                               ;   in Loop: Header=BB141_42 Depth=2
	s_cmp_le_i32 s20, s4
	s_mov_b32 s10, s19
	s_mov_b32 s6, s20
	s_cbranch_scc1 .LBB141_48
	.p2align	6
.LBB141_45:                             ;   Parent Loop BB141_39 Depth=1
                                        ;     Parent Loop BB141_42 Depth=2
                                        ; =>    This Loop Header: Depth=3
                                        ;         Child Loop BB141_46 Depth 4
	s_ashr_i32 s7, s6, 31
	v_mov_b32_e32 v9, v4
	s_lshl_b64 s[24:25], s[6:7], 3
	s_mov_b32 s7, s10
	v_add_co_u32 v2, vcc_lo, v5, s24
	v_add_co_ci_u32_e32 v3, vcc_lo, s25, v6, vcc_lo
	s_mov_b32 s11, s18
	global_load_b64 v[2:3], v[2:3], off
	.p2align	6
.LBB141_46:                             ;   Parent Loop BB141_39 Depth=1
                                        ;     Parent Loop BB141_42 Depth=2
                                        ;       Parent Loop BB141_45 Depth=3
                                        ; =>      This Inner Loop Header: Depth=4
	v_mov_b32_e32 v10, s7
	s_add_i32 s11, s11, -1
	s_sub_i32 s7, s7, 64
	s_cmp_eq_u32 s11, 0
	ds_load_b64 v[10:11], v10
	ds_load_b64 v[12:13], v9
	s_waitcnt vmcnt(0) lgkmcnt(1)
	v_mul_f32_e32 v14, v11, v3
	v_mul_f32_e32 v11, v11, v2
	s_delay_alu instid0(VALU_DEP_2) | instskip(SKIP_1) | instid1(VALU_DEP_1)
	v_fma_f32 v14, v10, v2, -v14
	s_waitcnt lgkmcnt(0)
	v_dual_fmac_f32 v11, v10, v3 :: v_dual_sub_f32 v10, v12, v14
	s_delay_alu instid0(VALU_DEP_1)
	v_sub_f32_e32 v11, v13, v11
	ds_store_b64 v9, v[10:11]
	v_add_nc_u32_e32 v9, 8, v9
	s_cbranch_scc0 .LBB141_46
; %bb.47:                               ;   in Loop: Header=BB141_45 Depth=3
	s_add_i32 s6, s6, -1
	s_add_i32 s10, s10, -8
	s_cmp_le_i32 s6, s4
	s_cbranch_scc0 .LBB141_45
.LBB141_48:                             ;   in Loop: Header=BB141_42 Depth=2
	s_mov_b32 s24, 0
	s_mov_b32 s25, s22
	s_branch .LBB141_50
.LBB141_49:                             ;   in Loop: Header=BB141_50 Depth=3
	s_mulk_i32 s10, 0x48
	s_lshl_b64 s[6:7], s[6:7], 3
	v_mov_b32_e32 v10, s10
	s_add_i32 s24, s24, 1
	s_sub_i32 s25, s25, 64
	s_cmp_eq_u32 s24, s18
	ds_load_b64 v[10:11], v10
	s_waitcnt lgkmcnt(0)
	v_mul_f32_e32 v12, v11, v3
	v_mul_f32_e32 v13, v10, v3
	s_delay_alu instid0(VALU_DEP_2) | instskip(NEXT) | instid1(VALU_DEP_2)
	v_fma_f32 v12, v10, v2, -v12
	v_fmac_f32_e32 v13, v11, v2
	v_add_co_u32 v2, vcc_lo, v5, s6
	v_add_co_ci_u32_e32 v3, vcc_lo, s7, v6, vcc_lo
	ds_store_b64 v9, v[12:13]
	global_store_b64 v[2:3], v[12:13], off
	s_cbranch_scc1 .LBB141_41
.LBB141_50:                             ;   Parent Loop BB141_39 Depth=1
                                        ;     Parent Loop BB141_42 Depth=2
                                        ; =>    This Loop Header: Depth=3
                                        ;         Child Loop BB141_52 Depth 4
	v_lshl_add_u32 v9, s24, 3, v4
	s_cmp_lg_u32 s24, 0
	s_cbranch_scc0 .LBB141_54
; %bb.51:                               ;   in Loop: Header=BB141_50 Depth=3
	ds_load_b64 v[2:3], v9
	v_mov_b32_e32 v10, v4
	s_mov_b32 s6, 0
	s_mov_b32 s7, s25
	.p2align	6
.LBB141_52:                             ;   Parent Loop BB141_39 Depth=1
                                        ;     Parent Loop BB141_42 Depth=2
                                        ;       Parent Loop BB141_50 Depth=3
                                        ; =>      This Inner Loop Header: Depth=4
	s_delay_alu instid0(SALU_CYCLE_1)
	v_mov_b32_e32 v13, s7
	s_add_i32 s6, s6, 1
	s_add_i32 s7, s7, -8
	s_cmp_ge_u32 s6, s24
	ds_load_b64 v[11:12], v10
	ds_load_b64 v[13:14], v13
	s_waitcnt lgkmcnt(0)
	v_dual_mul_f32 v15, v14, v12 :: v_dual_add_nc_u32 v10, 8, v10
	v_mul_f32_e32 v12, v13, v12
	s_delay_alu instid0(VALU_DEP_2) | instskip(NEXT) | instid1(VALU_DEP_2)
	v_fma_f32 v13, v13, v11, -v15
	v_fmac_f32_e32 v12, v14, v11
	s_delay_alu instid0(VALU_DEP_1)
	v_dual_sub_f32 v2, v2, v13 :: v_dual_sub_f32 v3, v3, v12
	ds_store_b64 v9, v[2:3]
	s_cbranch_scc0 .LBB141_52
; %bb.53:                               ;   in Loop: Header=BB141_50 Depth=3
	s_sub_i32 s10, s4, s24
	s_delay_alu instid0(SALU_CYCLE_1) | instskip(NEXT) | instid1(SALU_CYCLE_1)
	s_ashr_i32 s11, s10, 31
	s_mov_b64 s[6:7], s[10:11]
	s_branch .LBB141_49
.LBB141_54:                             ;   in Loop: Header=BB141_50 Depth=3
                                        ; implicit-def: $vgpr2
                                        ; implicit-def: $sgpr10
                                        ; implicit-def: $sgpr6_sgpr7
	s_cbranch_execz .LBB141_49
; %bb.55:                               ;   in Loop: Header=BB141_50 Depth=3
	ds_load_b64 v[2:3], v4
	s_mov_b64 s[6:7], s[4:5]
	s_mov_b32 s10, s4
	s_branch .LBB141_49
.LBB141_56:
	s_mov_b32 s5, 0
.LBB141_57:
	s_delay_alu instid0(SALU_CYCLE_1)
	s_and_b32 vcc_lo, exec_lo, s5
	s_cbranch_vccz .LBB141_78
; %bb.58:
	s_add_u32 s0, s12, s0
	s_addc_u32 s1, s13, s1
	v_add_co_u32 v0, vcc_lo, s0, v0
	v_add_co_ci_u32_e32 v1, vcc_lo, s1, v1, vcc_lo
	s_mov_b32 s1, 0
	s_delay_alu instid0(VALU_DEP_2) | instskip(NEXT) | instid1(VALU_DEP_2)
	v_add_co_u32 v7, vcc_lo, v0, 4
	v_add_co_ci_u32_e32 v8, vcc_lo, 0, v1, vcc_lo
	s_mov_b32 s2, s1
	s_mov_b32 s4, s1
	s_branch .LBB141_60
.LBB141_59:                             ;   in Loop: Header=BB141_60 Depth=1
	s_cmp_ge_i32 s2, s15
	s_cselect_b32 s0, -1, 0
	s_add_i32 s4, s4, 1
	s_delay_alu instid0(SALU_CYCLE_1) | instskip(SKIP_1) | instid1(SALU_CYCLE_1)
	s_cmp_eq_u32 s4, 3
	s_cselect_b32 s3, -1, 0
	s_or_b32 s0, s0, s3
	s_delay_alu instid0(SALU_CYCLE_1)
	s_and_b32 vcc_lo, exec_lo, s0
	s_cbranch_vccnz .LBB141_78
.LBB141_60:                             ; =>This Loop Header: Depth=1
                                        ;     Child Loop BB141_63 Depth 2
                                        ;       Child Loop BB141_64 Depth 3
                                        ;       Child Loop BB141_67 Depth 3
                                        ;         Child Loop BB141_68 Depth 4
                                        ;       Child Loop BB141_72 Depth 3
                                        ;         Child Loop BB141_74 Depth 4
	s_mov_b32 s5, s1
	s_getpc_b64 s[6:7]
	s_add_u32 s6, s6, __const._ZL30rocblas_trsm_small_left_deviceILi8ELi8ELb1E19rocblas_complex_numIfES1_PKPKS1_PKPS1_Ev13rocblas_fill_18rocblas_operation_17rocblas_diagonal_iiT3_T4_lilT5_lili.step_sizes@rel32@lo+4
	s_addc_u32 s7, s7, __const._ZL30rocblas_trsm_small_left_deviceILi8ELi8ELb1E19rocblas_complex_numIfES1_PKPKS1_PKPS1_Ev13rocblas_fill_18rocblas_operation_17rocblas_diagonal_iiT3_T4_lilT5_lili.step_sizes@rel32@hi+12
	s_lshl_b64 s[10:11], s[4:5], 2
	s_delay_alu instid0(SALU_CYCLE_1) | instskip(SKIP_4) | instid1(SALU_CYCLE_1)
	s_add_u32 s6, s10, s6
	s_addc_u32 s7, s11, s7
	s_load_b32 s6, s[6:7], 0x0
	s_waitcnt lgkmcnt(0)
	s_add_i32 s5, s6, -1
	s_add_i32 s0, s5, s2
	s_delay_alu instid0(SALU_CYCLE_1)
	s_cmp_ge_i32 s0, s15
	s_cbranch_scc1 .LBB141_59
; %bb.61:                               ;   in Loop: Header=BB141_60 Depth=1
	s_ashr_i32 s3, s2, 31
	s_ashr_i32 s7, s6, 31
	s_lshl_b64 s[10:11], s[2:3], 3
	s_max_i32 s14, s6, 1
	v_add_co_u32 v0, vcc_lo, v7, s10
	v_add_co_ci_u32_e32 v1, vcc_lo, s11, v8, vcc_lo
	s_lshl_b64 s[10:11], s[6:7], 3
	s_lshl_b32 s3, s2, 3
	s_lshl_b32 s7, s6, 3
	s_mul_i32 s16, s2, 0x48
	s_mul_i32 s17, s6, 0x48
	s_branch .LBB141_63
.LBB141_62:                             ;   in Loop: Header=BB141_63 Depth=2
	v_add_co_u32 v0, vcc_lo, v0, s10
	s_add_i32 s2, s2, s6
	v_add_co_ci_u32_e32 v1, vcc_lo, s11, v1, vcc_lo
	s_add_i32 s0, s5, s2
	s_add_i32 s3, s3, s7
	;; [unrolled: 1-line block ×3, first 2 shown]
	s_cmp_ge_i32 s0, s15
	s_cbranch_scc1 .LBB141_59
.LBB141_63:                             ;   Parent Loop BB141_60 Depth=1
                                        ; =>  This Loop Header: Depth=2
                                        ;       Child Loop BB141_64 Depth 3
                                        ;       Child Loop BB141_67 Depth 3
                                        ;         Child Loop BB141_68 Depth 4
                                        ;       Child Loop BB141_72 Depth 3
                                        ;         Child Loop BB141_74 Depth 4
	v_mov_b32_e32 v9, v4
	v_dual_mov_b32 v3, v1 :: v_dual_mov_b32 v2, v0
	s_mov_b32 s0, s14
.LBB141_64:                             ;   Parent Loop BB141_60 Depth=1
                                        ;     Parent Loop BB141_63 Depth=2
                                        ; =>    This Inner Loop Header: Depth=3
	global_load_b64 v[10:11], v[2:3], off offset:-4
	v_add_co_u32 v2, vcc_lo, v2, 8
	v_add_co_ci_u32_e32 v3, vcc_lo, 0, v3, vcc_lo
	s_add_i32 s0, s0, -1
	s_delay_alu instid0(SALU_CYCLE_1) | instskip(SKIP_2) | instid1(VALU_DEP_1)
	s_cmp_eq_u32 s0, 0
	s_waitcnt vmcnt(0)
	v_mul_f32_e32 v12, s8, v11
	v_dual_mul_f32 v13, s9, v11 :: v_dual_fmac_f32 v12, s9, v10
	s_delay_alu instid0(VALU_DEP_1)
	v_fma_f32 v11, v10, s8, -v13
	ds_store_b64 v9, v[11:12]
	v_add_nc_u32_e32 v9, 8, v9
	s_cbranch_scc0 .LBB141_64
; %bb.65:                               ;   in Loop: Header=BB141_63 Depth=2
	s_cmp_lt_i32 s2, 1
	s_cbranch_scc1 .LBB141_70
; %bb.66:                               ;   in Loop: Header=BB141_63 Depth=2
	s_mov_b32 s0, 0
	s_mov_b32 s12, s3
	.p2align	6
.LBB141_67:                             ;   Parent Loop BB141_60 Depth=1
                                        ;     Parent Loop BB141_63 Depth=2
                                        ; =>    This Loop Header: Depth=3
                                        ;         Child Loop BB141_68 Depth 4
	s_lshl_b64 s[18:19], s[0:1], 3
	v_mov_b32_e32 v9, v4
	v_add_co_u32 v2, vcc_lo, v5, s18
	v_add_co_ci_u32_e32 v3, vcc_lo, s19, v6, vcc_lo
	s_mov_b32 s13, s12
	s_mov_b32 s18, s14
	global_load_b64 v[2:3], v[2:3], off
	.p2align	6
.LBB141_68:                             ;   Parent Loop BB141_60 Depth=1
                                        ;     Parent Loop BB141_63 Depth=2
                                        ;       Parent Loop BB141_67 Depth=3
                                        ; =>      This Inner Loop Header: Depth=4
	v_mov_b32_e32 v10, s13
	s_add_i32 s18, s18, -1
	s_add_i32 s13, s13, 8
	s_cmp_eq_u32 s18, 0
	ds_load_b64 v[10:11], v10
	ds_load_b64 v[12:13], v9
	s_waitcnt vmcnt(0) lgkmcnt(1)
	v_mul_f32_e32 v14, v11, v3
	v_mul_f32_e32 v11, v11, v2
	s_delay_alu instid0(VALU_DEP_2) | instskip(SKIP_1) | instid1(VALU_DEP_1)
	v_fma_f32 v14, v10, v2, -v14
	s_waitcnt lgkmcnt(0)
	v_dual_fmac_f32 v11, v10, v3 :: v_dual_sub_f32 v10, v12, v14
	s_delay_alu instid0(VALU_DEP_1)
	v_sub_f32_e32 v11, v13, v11
	ds_store_b64 v9, v[10:11]
	v_add_nc_u32_e32 v9, 8, v9
	s_cbranch_scc0 .LBB141_68
; %bb.69:                               ;   in Loop: Header=BB141_67 Depth=3
	s_add_i32 s0, s0, 1
	s_add_i32 s12, s12, 64
	s_cmp_ge_i32 s0, s2
	s_cbranch_scc0 .LBB141_67
.LBB141_70:                             ;   in Loop: Header=BB141_63 Depth=2
	s_mov_b32 s0, 0
	s_mov_b32 s18, s16
	s_branch .LBB141_72
.LBB141_71:                             ;   in Loop: Header=BB141_72 Depth=3
	s_mul_i32 s13, s12, 0x48
	s_add_i32 s0, s0, 1
	v_mov_b32_e32 v10, s13
	s_ashr_i32 s13, s12, 31
	s_add_i32 s18, s18, 8
	s_lshl_b64 s[12:13], s[12:13], 3
	s_cmp_eq_u32 s0, s14
	ds_load_b64 v[10:11], v10
	s_waitcnt lgkmcnt(0)
	v_mul_f32_e32 v12, v11, v3
	v_mul_f32_e32 v13, v10, v3
	s_delay_alu instid0(VALU_DEP_2) | instskip(NEXT) | instid1(VALU_DEP_2)
	v_fma_f32 v12, v10, v2, -v12
	v_fmac_f32_e32 v13, v11, v2
	v_add_co_u32 v2, vcc_lo, v5, s12
	v_add_co_ci_u32_e32 v3, vcc_lo, s13, v6, vcc_lo
	ds_store_b64 v9, v[12:13]
	global_store_b64 v[2:3], v[12:13], off
	s_cbranch_scc1 .LBB141_62
.LBB141_72:                             ;   Parent Loop BB141_60 Depth=1
                                        ;     Parent Loop BB141_63 Depth=2
                                        ; =>    This Loop Header: Depth=3
                                        ;         Child Loop BB141_74 Depth 4
	v_lshl_add_u32 v9, s0, 3, v4
	s_cmp_lg_u32 s0, 0
	s_cbranch_scc0 .LBB141_76
; %bb.73:                               ;   in Loop: Header=BB141_72 Depth=3
	ds_load_b64 v[2:3], v9
	v_mov_b32_e32 v10, v4
	s_add_i32 s12, s0, s2
	s_mov_b32 s13, 0
	s_mov_b32 s19, s18
	.p2align	6
.LBB141_74:                             ;   Parent Loop BB141_60 Depth=1
                                        ;     Parent Loop BB141_63 Depth=2
                                        ;       Parent Loop BB141_72 Depth=3
                                        ; =>      This Inner Loop Header: Depth=4
	s_delay_alu instid0(SALU_CYCLE_1)
	v_mov_b32_e32 v13, s19
	s_add_i32 s13, s13, 1
	s_add_i32 s19, s19, 64
	s_cmp_ge_u32 s13, s0
	ds_load_b64 v[11:12], v10
	ds_load_b64 v[13:14], v13
	s_waitcnt lgkmcnt(0)
	v_dual_mul_f32 v15, v14, v12 :: v_dual_add_nc_u32 v10, 8, v10
	v_mul_f32_e32 v12, v13, v12
	s_delay_alu instid0(VALU_DEP_2) | instskip(NEXT) | instid1(VALU_DEP_2)
	v_fma_f32 v13, v13, v11, -v15
	v_fmac_f32_e32 v12, v14, v11
	s_delay_alu instid0(VALU_DEP_1)
	v_dual_sub_f32 v2, v2, v13 :: v_dual_sub_f32 v3, v3, v12
	ds_store_b64 v9, v[2:3]
	s_cbranch_scc0 .LBB141_74
; %bb.75:                               ;   in Loop: Header=BB141_72 Depth=3
	s_branch .LBB141_71
.LBB141_76:                             ;   in Loop: Header=BB141_72 Depth=3
                                        ; implicit-def: $vgpr2
                                        ; implicit-def: $sgpr12
	s_cbranch_execz .LBB141_71
; %bb.77:                               ;   in Loop: Header=BB141_72 Depth=3
	ds_load_b64 v[2:3], v4
	s_mov_b32 s12, s2
	s_branch .LBB141_71
.LBB141_78:
	s_nop 0
	s_sendmsg sendmsg(MSG_DEALLOC_VGPRS)
	s_endpgm
	.section	.rodata,"a",@progbits
	.p2align	6, 0x0
	.amdhsa_kernel _ZL30rocblas_trsm_small_left_deviceILi8ELi8ELb1E19rocblas_complex_numIfES1_PKPKS1_PKPS1_Ev13rocblas_fill_18rocblas_operation_17rocblas_diagonal_iiT3_T4_lilT5_lili
		.amdhsa_group_segment_fixed_size 1024
		.amdhsa_private_segment_fixed_size 0
		.amdhsa_kernarg_size 360
		.amdhsa_user_sgpr_count 14
		.amdhsa_user_sgpr_dispatch_ptr 1
		.amdhsa_user_sgpr_queue_ptr 0
		.amdhsa_user_sgpr_kernarg_segment_ptr 1
		.amdhsa_user_sgpr_dispatch_id 0
		.amdhsa_user_sgpr_private_segment_size 0
		.amdhsa_wavefront_size32 1
		.amdhsa_uses_dynamic_stack 0
		.amdhsa_enable_private_segment 0
		.amdhsa_system_sgpr_workgroup_id_x 1
		.amdhsa_system_sgpr_workgroup_id_y 0
		.amdhsa_system_sgpr_workgroup_id_z 1
		.amdhsa_system_sgpr_workgroup_info 0
		.amdhsa_system_vgpr_workitem_id 2
		.amdhsa_next_free_vgpr 16
		.amdhsa_next_free_sgpr 36
		.amdhsa_reserve_vcc 1
		.amdhsa_float_round_mode_32 0
		.amdhsa_float_round_mode_16_64 0
		.amdhsa_float_denorm_mode_32 3
		.amdhsa_float_denorm_mode_16_64 3
		.amdhsa_dx10_clamp 1
		.amdhsa_ieee_mode 1
		.amdhsa_fp16_overflow 0
		.amdhsa_workgroup_processor_mode 1
		.amdhsa_memory_ordered 1
		.amdhsa_forward_progress 0
		.amdhsa_shared_vgpr_count 0
		.amdhsa_exception_fp_ieee_invalid_op 0
		.amdhsa_exception_fp_denorm_src 0
		.amdhsa_exception_fp_ieee_div_zero 0
		.amdhsa_exception_fp_ieee_overflow 0
		.amdhsa_exception_fp_ieee_underflow 0
		.amdhsa_exception_fp_ieee_inexact 0
		.amdhsa_exception_int_div_zero 0
	.end_amdhsa_kernel
	.section	.text._ZL30rocblas_trsm_small_left_deviceILi8ELi8ELb1E19rocblas_complex_numIfES1_PKPKS1_PKPS1_Ev13rocblas_fill_18rocblas_operation_17rocblas_diagonal_iiT3_T4_lilT5_lili,"axG",@progbits,_ZL30rocblas_trsm_small_left_deviceILi8ELi8ELb1E19rocblas_complex_numIfES1_PKPKS1_PKPS1_Ev13rocblas_fill_18rocblas_operation_17rocblas_diagonal_iiT3_T4_lilT5_lili,comdat
.Lfunc_end141:
	.size	_ZL30rocblas_trsm_small_left_deviceILi8ELi8ELb1E19rocblas_complex_numIfES1_PKPKS1_PKPS1_Ev13rocblas_fill_18rocblas_operation_17rocblas_diagonal_iiT3_T4_lilT5_lili, .Lfunc_end141-_ZL30rocblas_trsm_small_left_deviceILi8ELi8ELb1E19rocblas_complex_numIfES1_PKPKS1_PKPS1_Ev13rocblas_fill_18rocblas_operation_17rocblas_diagonal_iiT3_T4_lilT5_lili
                                        ; -- End function
	.section	.AMDGPU.csdata,"",@progbits
; Kernel info:
; codeLenInByte = 3136
; NumSgprs: 38
; NumVgprs: 16
; ScratchSize: 0
; MemoryBound: 0
; FloatMode: 240
; IeeeMode: 1
; LDSByteSize: 1024 bytes/workgroup (compile time only)
; SGPRBlocks: 4
; VGPRBlocks: 1
; NumSGPRsForWavesPerEU: 38
; NumVGPRsForWavesPerEU: 16
; Occupancy: 16
; WaveLimiterHint : 1
; COMPUTE_PGM_RSRC2:SCRATCH_EN: 0
; COMPUTE_PGM_RSRC2:USER_SGPR: 14
; COMPUTE_PGM_RSRC2:TRAP_HANDLER: 0
; COMPUTE_PGM_RSRC2:TGID_X_EN: 1
; COMPUTE_PGM_RSRC2:TGID_Y_EN: 0
; COMPUTE_PGM_RSRC2:TGID_Z_EN: 1
; COMPUTE_PGM_RSRC2:TIDIG_COMP_CNT: 2
	.section	.text._ZL31rocblas_trsm_small_right_deviceI19rocblas_complex_numIfES1_PKPKS1_PKPS1_Li8EEv13rocblas_fill_18rocblas_operation_17rocblas_diagonal_iiT0_T1_lilT2_lili,"axG",@progbits,_ZL31rocblas_trsm_small_right_deviceI19rocblas_complex_numIfES1_PKPKS1_PKPS1_Li8EEv13rocblas_fill_18rocblas_operation_17rocblas_diagonal_iiT0_T1_lilT2_lili,comdat
	.globl	_ZL31rocblas_trsm_small_right_deviceI19rocblas_complex_numIfES1_PKPKS1_PKPS1_Li8EEv13rocblas_fill_18rocblas_operation_17rocblas_diagonal_iiT0_T1_lilT2_lili ; -- Begin function _ZL31rocblas_trsm_small_right_deviceI19rocblas_complex_numIfES1_PKPKS1_PKPS1_Li8EEv13rocblas_fill_18rocblas_operation_17rocblas_diagonal_iiT0_T1_lilT2_lili
	.p2align	8
	.type	_ZL31rocblas_trsm_small_right_deviceI19rocblas_complex_numIfES1_PKPKS1_PKPS1_Li8EEv13rocblas_fill_18rocblas_operation_17rocblas_diagonal_iiT0_T1_lilT2_lili,@function
_ZL31rocblas_trsm_small_right_deviceI19rocblas_complex_numIfES1_PKPKS1_PKPS1_Li8EEv13rocblas_fill_18rocblas_operation_17rocblas_diagonal_iiT0_T1_lilT2_lili: ; @_ZL31rocblas_trsm_small_right_deviceI19rocblas_complex_numIfES1_PKPKS1_PKPS1_Li8EEv13rocblas_fill_18rocblas_operation_17rocblas_diagonal_iiT0_T1_lilT2_lili
; %bb.0:
	s_clause 0x1
	s_load_b128 s[16:19], s[0:1], 0x40
	s_load_b256 s[4:11], s[0:1], 0x0
	s_mov_b32 s12, s15
	s_mov_b32 s13, 0
	s_load_b32 s15, s[0:1], 0x68
	s_lshl_b64 s[24:25], s[12:13], 3
	s_mov_b32 s31, exec_lo
	s_waitcnt lgkmcnt(0)
	s_add_u32 s2, s16, s24
	s_addc_u32 s3, s17, s25
	s_min_i32 s11, s8, 8
	s_load_b64 s[2:3], s[2:3], 0x0
	s_add_i32 s30, s11, -1
	v_cmpx_gt_i32_e64 s11, v0
	s_cbranch_execz .LBB142_29
; %bb.1:
	s_clause 0x1
	s_load_b32 s16, s[0:1], 0x30
	s_load_b128 s[20:23], s[0:1], 0x20
	s_waitcnt lgkmcnt(0)
	s_ashr_i32 s17, s16, 31
	s_cmpk_lg_i32 s5, 0x71
	s_cselect_b32 s12, -1, 0
	s_add_u32 s20, s20, s24
	s_addc_u32 s21, s21, s25
	v_cndmask_b32_e64 v7, 0, 1, s12
	s_load_b64 s[20:21], s[20:21], 0x0
	s_cmp_lt_u32 s30, 3
	s_cbranch_scc1 .LBB142_20
; %bb.2:
	v_lshlrev_b32_e32 v8, 3, v0
	s_lshl_b64 s[24:25], s[22:23], 3
	s_mul_hi_i32 s33, s16, 24
	s_waitcnt lgkmcnt(0)
	s_add_u32 s13, s20, s24
	s_addc_u32 s24, s21, s25
	v_add_co_u32 v1, s13, s13, v8
	s_delay_alu instid0(VALU_DEP_1)
	v_add_co_ci_u32_e64 v2, null, s24, 0, s13
	s_and_b32 s13, s11, -4
	s_mul_i32 s34, s16, 24
	s_lshl_b64 s[24:25], s[16:17], 5
	s_lshl_b64 s[26:27], s[16:17], 4
	;; [unrolled: 1-line block ×3, first 2 shown]
	s_mov_b32 s35, 0
	s_branch .LBB142_4
.LBB142_3:                              ;   in Loop: Header=BB142_4 Depth=1
	global_load_b32 v3, v[5:6], off
	v_add_co_u32 v1, vcc_lo, v1, s24
	v_add_co_ci_u32_e32 v2, vcc_lo, s25, v2, vcc_lo
	s_add_i32 s35, s35, 4
	s_delay_alu instid0(SALU_CYCLE_1)
	s_cmp_eq_u32 s13, s35
	s_waitcnt vmcnt(0)
	ds_store_b64 v8, v[3:4] offset:192
	v_add_nc_u32_e32 v8, 0x100, v8
	s_cbranch_scc1 .LBB142_20
.LBB142_4:                              ; =>This Inner Loop Header: Depth=1
	s_and_b32 vcc_lo, exec_lo, s12
	s_cbranch_vccz .LBB142_6
; %bb.5:                                ;   in Loop: Header=BB142_4 Depth=1
	global_load_b32 v4, v[1:2], off offset:4
	s_cbranch_execz .LBB142_7
	s_branch .LBB142_8
.LBB142_6:                              ;   in Loop: Header=BB142_4 Depth=1
                                        ; implicit-def: $vgpr4
.LBB142_7:                              ;   in Loop: Header=BB142_4 Depth=1
	global_load_b32 v3, v[1:2], off offset:4
	s_waitcnt vmcnt(0)
	v_xor_b32_e32 v4, 0x80000000, v3
.LBB142_8:                              ;   in Loop: Header=BB142_4 Depth=1
	global_load_b32 v3, v[1:2], off
	v_add_co_u32 v5, vcc_lo, v1, s28
	v_add_co_ci_u32_e32 v6, vcc_lo, s29, v2, vcc_lo
	s_and_not1_b32 vcc_lo, exec_lo, s12
	s_waitcnt vmcnt(0)
	ds_store_b64 v8, v[3:4]
	s_cbranch_vccnz .LBB142_10
; %bb.9:                                ;   in Loop: Header=BB142_4 Depth=1
	global_load_b32 v4, v[5:6], off offset:4
	s_cbranch_execz .LBB142_11
	s_branch .LBB142_12
.LBB142_10:                             ;   in Loop: Header=BB142_4 Depth=1
                                        ; implicit-def: $vgpr4
.LBB142_11:                             ;   in Loop: Header=BB142_4 Depth=1
	global_load_b32 v3, v[5:6], off offset:4
	s_waitcnt vmcnt(0)
	v_xor_b32_e32 v4, 0x80000000, v3
.LBB142_12:                             ;   in Loop: Header=BB142_4 Depth=1
	global_load_b32 v3, v[5:6], off
	v_add_co_u32 v5, vcc_lo, v1, s26
	v_add_co_ci_u32_e32 v6, vcc_lo, s27, v2, vcc_lo
	s_and_not1_b32 vcc_lo, exec_lo, s12
	s_waitcnt vmcnt(0)
	ds_store_b64 v8, v[3:4] offset:64
	s_cbranch_vccnz .LBB142_14
; %bb.13:                               ;   in Loop: Header=BB142_4 Depth=1
	global_load_b32 v4, v[5:6], off offset:4
	s_cbranch_execz .LBB142_15
	s_branch .LBB142_16
.LBB142_14:                             ;   in Loop: Header=BB142_4 Depth=1
                                        ; implicit-def: $vgpr4
.LBB142_15:                             ;   in Loop: Header=BB142_4 Depth=1
	global_load_b32 v3, v[5:6], off offset:4
	s_waitcnt vmcnt(0)
	v_xor_b32_e32 v4, 0x80000000, v3
.LBB142_16:                             ;   in Loop: Header=BB142_4 Depth=1
	global_load_b32 v3, v[5:6], off
	v_add_co_u32 v5, vcc_lo, v1, s34
	v_add_co_ci_u32_e32 v6, vcc_lo, s33, v2, vcc_lo
	s_and_not1_b32 vcc_lo, exec_lo, s12
	s_waitcnt vmcnt(0)
	ds_store_b64 v8, v[3:4] offset:128
	s_cbranch_vccnz .LBB142_18
; %bb.17:                               ;   in Loop: Header=BB142_4 Depth=1
	global_load_b32 v4, v[5:6], off offset:4
	s_cbranch_execnz .LBB142_3
	s_branch .LBB142_19
.LBB142_18:                             ;   in Loop: Header=BB142_4 Depth=1
                                        ; implicit-def: $vgpr4
.LBB142_19:                             ;   in Loop: Header=BB142_4 Depth=1
	global_load_b32 v3, v[5:6], off offset:4
	s_waitcnt vmcnt(0)
	v_xor_b32_e32 v4, 0x80000000, v3
	s_branch .LBB142_3
.LBB142_20:
	s_and_b32 s24, s11, 3
	s_delay_alu instid0(SALU_CYCLE_1)
	s_cmp_eq_u32 s24, 0
	s_cbranch_scc1 .LBB142_27
; %bb.21:
	s_mul_i32 s12, s17, s13
	s_mul_hi_u32 s25, s16, s13
	s_mul_i32 s26, s16, s13
	s_add_i32 s27, s25, s12
	s_lshl_b64 s[22:23], s[22:23], 3
	s_lshl_b64 s[26:27], s[26:27], 3
	v_lshlrev_b32_e32 v1, 3, v0
	s_add_u32 s12, s26, s22
	s_addc_u32 s22, s27, s23
	s_waitcnt lgkmcnt(0)
	s_add_u32 s12, s20, s12
	s_addc_u32 s20, s21, s22
	v_add_co_u32 v2, s12, s12, v1
	s_delay_alu instid0(VALU_DEP_1) | instskip(SKIP_1) | instid1(VALU_DEP_3)
	v_add_co_ci_u32_e64 v3, null, s20, 0, s12
	v_lshl_or_b32 v5, s13, 6, v1
	v_add_co_u32 v1, vcc_lo, v2, 4
	s_delay_alu instid0(VALU_DEP_3)
	v_add_co_ci_u32_e32 v2, vcc_lo, 0, v3, vcc_lo
	s_lshl_b64 s[12:13], s[16:17], 3
	s_set_inst_prefetch_distance 0x1
	s_branch .LBB142_23
	.p2align	6
.LBB142_22:                             ;   in Loop: Header=BB142_23 Depth=1
	global_load_b32 v3, v[1:2], off offset:-4
	v_add_co_u32 v1, vcc_lo, v1, s12
	v_add_co_ci_u32_e32 v2, vcc_lo, s13, v2, vcc_lo
	s_add_i32 s24, s24, -1
	s_delay_alu instid0(SALU_CYCLE_1)
	s_cmp_lg_u32 s24, 0
	s_waitcnt vmcnt(0)
	ds_store_b64 v5, v[3:4]
	v_add_nc_u32_e32 v5, 64, v5
	s_cbranch_scc0 .LBB142_27
.LBB142_23:                             ; =>This Inner Loop Header: Depth=1
	v_cmp_ne_u32_e32 vcc_lo, 1, v7
	s_mov_b32 s16, -1
                                        ; implicit-def: $vgpr4
	s_cbranch_vccnz .LBB142_25
; %bb.24:                               ;   in Loop: Header=BB142_23 Depth=1
	global_load_b32 v4, v[1:2], off
	s_mov_b32 s16, 0
.LBB142_25:                             ;   in Loop: Header=BB142_23 Depth=1
	s_delay_alu instid0(SALU_CYCLE_1)
	s_and_not1_b32 vcc_lo, exec_lo, s16
	s_cbranch_vccnz .LBB142_22
; %bb.26:                               ;   in Loop: Header=BB142_23 Depth=1
	global_load_b32 v3, v[1:2], off
	s_waitcnt vmcnt(0)
	v_xor_b32_e32 v4, 0x80000000, v3
	s_branch .LBB142_22
.LBB142_27:
	s_set_inst_prefetch_distance 0x2
	s_cmpk_eq_i32 s6, 0x84
	s_cbranch_scc0 .LBB142_29
; %bb.28:
	v_mul_u32_u24_e32 v2, 9, v0
	v_mov_b32_e32 v1, 1.0
	s_delay_alu instid0(VALU_DEP_2)
	v_dual_mov_b32 v2, 0 :: v_dual_lshlrev_b32 v3, 3, v2
	ds_store_b64 v3, v[1:2]
.LBB142_29:
	s_or_b32 exec_lo, exec_lo, s31
	s_lshl_b64 s[12:13], s[18:19], 3
	s_load_b32 s0, s[0:1], 0x50
	s_waitcnt lgkmcnt(0)
	s_add_u32 s1, s2, s12
	s_addc_u32 s16, s3, s13
	s_lshl_b32 s6, s14, 3
	s_add_i32 s15, s15, -1
	s_sub_i32 s6, s7, s6
	s_cmp_ge_u32 s14, s15
	s_mov_b32 s22, 0
	s_cselect_b32 s17, s6, 8
	s_ashr_i32 s15, s14, 31
	v_cmp_gt_i32_e32 vcc_lo, s17, v0
	s_lshl_b64 s[6:7], s[14:15], 6
	s_delay_alu instid0(SALU_CYCLE_1) | instskip(SKIP_3) | instid1(SALU_CYCLE_1)
	s_add_u32 s18, s1, s6
	s_addc_u32 s19, s16, s7
	s_cmp_gt_i32 s8, 0
	s_cselect_b32 s1, -1, 0
	s_and_b32 s20, vcc_lo, s1
	s_delay_alu instid0(SALU_CYCLE_1)
	s_and_saveexec_b32 s21, s20
	s_cbranch_execz .LBB142_36
; %bb.30:
	s_ashr_i32 s1, s0, 31
	s_cmp_lt_u32 s8, 4
	s_cbranch_scc1 .LBB142_33
; %bb.31:
	v_lshlrev_b32_e32 v1, 3, v0
	v_lshl_or_b32 v3, v0, 3, 0x200
	s_and_b32 s22, s8, 0x7ffffffc
	s_lshl_b64 s[16:17], s[0:1], 3
	s_mov_b32 s23, 0
	v_add_co_u32 v1, s14, s18, v1
	s_delay_alu instid0(VALU_DEP_1)
	v_add_co_ci_u32_e64 v2, null, s19, 0, s14
	s_lshl_b64 s[14:15], s[0:1], 5
.LBB142_32:                             ; =>This Inner Loop Header: Depth=1
	s_delay_alu instid0(VALU_DEP_2) | instskip(NEXT) | instid1(VALU_DEP_2)
	v_add_co_u32 v4, vcc_lo, v1, s16
	v_add_co_ci_u32_e32 v5, vcc_lo, s17, v2, vcc_lo
	global_load_b64 v[6:7], v[1:2], off
	v_add_co_u32 v8, vcc_lo, v4, s16
	v_add_co_ci_u32_e32 v9, vcc_lo, s17, v5, vcc_lo
	global_load_b64 v[4:5], v[4:5], off
	v_add_co_u32 v10, vcc_lo, v8, s16
	v_add_co_ci_u32_e32 v11, vcc_lo, s17, v9, vcc_lo
	v_add_co_u32 v1, vcc_lo, v1, s14
	s_clause 0x1
	global_load_b64 v[8:9], v[8:9], off
	global_load_b64 v[10:11], v[10:11], off
	v_add_co_ci_u32_e32 v2, vcc_lo, s15, v2, vcc_lo
	s_add_i32 s23, s23, 4
	s_delay_alu instid0(SALU_CYCLE_1)
	s_cmp_lg_u32 s22, s23
	s_waitcnt vmcnt(3)
	v_mul_f32_e32 v12, s10, v7
	s_waitcnt vmcnt(2)
	v_dual_mul_f32 v13, s9, v7 :: v_dual_mul_f32 v14, s10, v5
	v_mul_f32_e32 v7, s9, v5
	s_delay_alu instid0(VALU_DEP_3) | instskip(NEXT) | instid1(VALU_DEP_3)
	v_fma_f32 v12, s9, v6, -v12
	v_fmac_f32_e32 v13, s10, v6
	s_delay_alu instid0(VALU_DEP_4)
	v_fma_f32 v6, s9, v4, -v14
	s_waitcnt vmcnt(0)
	v_dual_fmac_f32 v7, s10, v4 :: v_dual_mul_f32 v14, s10, v11
	v_mul_f32_e32 v4, s10, v9
	v_mul_f32_e32 v5, s9, v9
	;; [unrolled: 1-line block ×3, first 2 shown]
	s_delay_alu instid0(VALU_DEP_3) | instskip(NEXT) | instid1(VALU_DEP_3)
	v_fma_f32 v4, s9, v8, -v4
	v_fmac_f32_e32 v5, s10, v8
	v_fma_f32 v8, s9, v10, -v14
	s_delay_alu instid0(VALU_DEP_4)
	v_fmac_f32_e32 v9, s10, v10
	ds_store_2addr_b64 v3, v[12:13], v[6:7] offset1:8
	ds_store_2addr_b64 v3, v[4:5], v[8:9] offset0:16 offset1:24
	v_add_nc_u32_e32 v3, 0x100, v3
	s_cbranch_scc1 .LBB142_32
.LBB142_33:
	s_and_b32 s16, s8, 3
	s_delay_alu instid0(SALU_CYCLE_1)
	s_cmp_eq_u32 s16, 0
	s_cbranch_scc1 .LBB142_36
; %bb.34:
	s_mul_hi_i32 s15, s0, s22
	s_mul_i32 s14, s0, s22
	v_lshlrev_b32_e32 v1, 3, v0
	s_lshl_b64 s[14:15], s[14:15], 3
	s_delay_alu instid0(SALU_CYCLE_1)
	s_add_u32 s14, s14, s6
	s_addc_u32 s15, s15, s7
	s_add_u32 s14, s14, s12
	s_addc_u32 s15, s15, s13
	s_add_u32 s14, s2, s14
	v_lshl_or_b32 v2, s22, 6, v1
	s_addc_u32 s15, s3, s15
	v_add_co_u32 v1, s14, s14, v1
	s_delay_alu instid0(VALU_DEP_1) | instskip(NEXT) | instid1(VALU_DEP_3)
	v_add_co_ci_u32_e64 v4, null, s15, 0, s14
	v_add_nc_u32_e32 v3, 0x200, v2
	s_delay_alu instid0(VALU_DEP_3) | instskip(NEXT) | instid1(VALU_DEP_3)
	v_add_co_u32 v1, vcc_lo, v1, 4
	v_add_co_ci_u32_e32 v2, vcc_lo, 0, v4, vcc_lo
	s_lshl_b64 s[14:15], s[0:1], 3
.LBB142_35:                             ; =>This Inner Loop Header: Depth=1
	global_load_b64 v[4:5], v[1:2], off offset:-4
	v_add_co_u32 v1, vcc_lo, v1, s14
	v_add_co_ci_u32_e32 v2, vcc_lo, s15, v2, vcc_lo
	s_add_i32 s16, s16, -1
	s_delay_alu instid0(SALU_CYCLE_1) | instskip(SKIP_2) | instid1(VALU_DEP_1)
	s_cmp_lg_u32 s16, 0
	s_waitcnt vmcnt(0)
	v_mul_f32_e32 v6, s9, v5
	v_dual_mul_f32 v7, s10, v5 :: v_dual_fmac_f32 v6, s10, v4
	s_delay_alu instid0(VALU_DEP_1)
	v_fma_f32 v5, s9, v4, -v7
	ds_store_b64 v3, v[5:6]
	v_add_nc_u32_e32 v3, 64, v3
	s_cbranch_scc1 .LBB142_35
.LBB142_36:
	s_or_b32 exec_lo, exec_lo, s21
	s_cmpk_eq_i32 s5, 0x6f
	s_waitcnt lgkmcnt(0)
	s_cselect_b32 s1, -1, 0
	s_cmpk_eq_i32 s4, 0x79
	; wave barrier
	buffer_gl0_inv
	s_cselect_b32 s9, -1, 0
	s_cmpk_lg_i32 s4, 0x79
	s_cselect_b32 s5, -1, 0
	s_and_b32 s9, s9, s1
	s_delay_alu instid0(SALU_CYCLE_1)
	s_and_not1_b32 vcc_lo, exec_lo, s9
	s_mov_b32 s9, -1
	s_cbranch_vccz .LBB142_144
; %bb.37:
	s_cmpk_lg_i32 s4, 0x7a
	s_cselect_b32 s4, -1, 0
	s_xor_b32 s1, s1, -1
	s_delay_alu instid0(SALU_CYCLE_1)
	s_or_b32 s4, s4, s1
	s_cmp_gt_i32 s8, 3
	s_cselect_b32 s1, -1, 0
	s_and_b32 vcc_lo, exec_lo, s4
	s_mov_b32 s4, -1
	s_cbranch_vccz .LBB142_111
; %bb.38:
	s_and_not1_b32 vcc_lo, exec_lo, s5
	s_cbranch_vccnz .LBB142_78
; %bb.39:
	s_and_not1_b32 vcc_lo, exec_lo, s1
	s_mov_b32 s9, 0
	s_cbranch_vccnz .LBB142_62
; %bb.40:
	v_lshl_or_b32 v13, v0, 3, 0x200
	s_mov_b32 s4, 0
	s_mov_b32 s5, 0
.LBB142_41:                             ; =>This Loop Header: Depth=1
                                        ;     Child Loop BB142_43 Depth 2
	s_delay_alu instid0(SALU_CYCLE_1)
	s_lshl_b32 s9, s5, 3
	s_lshl_b32 s14, s5, 6
	s_or_b32 s10, s9, 8
	v_or_b32_e32 v1, s9, v0
	s_or_b32 s9, s9, 16
	v_or_b32_e32 v2, s10, v0
	v_or_b32_e32 v5, s9, v0
	v_lshl_or_b32 v10, v0, 3, s14
	v_lshlrev_b32_e32 v3, 3, v1
	s_cmp_eq_u32 s5, 0
	v_lshlrev_b32_e32 v4, 3, v2
	v_lshlrev_b32_e32 v9, 3, v5
	ds_load_b64 v[1:2], v3 offset:512
	ds_load_b64 v[11:12], v4 offset:512
	;; [unrolled: 1-line block ×4, first 2 shown]
	s_cbranch_scc1 .LBB142_44
; %bb.42:                               ;   in Loop: Header=BB142_41 Depth=1
	v_mov_b32_e32 v14, v13
	s_mov_b32 s14, 0
	s_mov_b32 s15, s4
	s_set_inst_prefetch_distance 0x1
	.p2align	6
.LBB142_43:                             ;   Parent Loop BB142_41 Depth=1
                                        ; =>  This Inner Loop Header: Depth=2
	v_mov_b32_e32 v19, s15
	s_add_i32 s14, s14, 1
	s_add_i32 s15, s15, 64
	s_cmp_ge_u32 s14, s5
	ds_load_b64 v[23:24], v14
	ds_load_b128 v[15:18], v19
	ds_load_b128 v[19:22], v19 offset:16
	s_waitcnt lgkmcnt(1)
	v_dual_mul_f32 v25, v16, v24 :: v_dual_add_nc_u32 v14, 64, v14
	v_mul_f32_e32 v26, v15, v24
	v_mul_f32_e32 v27, v18, v24
	;; [unrolled: 1-line block ×3, first 2 shown]
	s_waitcnt lgkmcnt(0)
	v_mul_f32_e32 v28, v20, v24
	v_fma_f32 v15, v15, v23, -v25
	v_mul_f32_e32 v20, v20, v23
	v_fmac_f32_e32 v18, v17, v24
	s_delay_alu instid0(VALU_DEP_3)
	v_sub_f32_e32 v1, v1, v15
	v_dual_mul_f32 v29, v22, v24 :: v_dual_fmac_f32 v26, v16, v23
	v_fma_f32 v16, v17, v23, -v27
	v_mul_f32_e32 v22, v22, v23
	v_fma_f32 v17, v19, v23, -v28
	v_fmac_f32_e32 v20, v19, v24
	v_fma_f32 v19, v21, v23, -v29
	v_sub_f32_e32 v11, v11, v16
	v_fmac_f32_e32 v22, v21, v24
	v_sub_f32_e32 v2, v2, v26
	s_delay_alu instid0(VALU_DEP_4) | instskip(SKIP_1) | instid1(VALU_DEP_4)
	v_dual_sub_f32 v12, v12, v18 :: v_dual_sub_f32 v5, v5, v19
	v_dual_sub_f32 v7, v7, v17 :: v_dual_sub_f32 v8, v8, v20
	v_sub_f32_e32 v6, v6, v22
	s_cbranch_scc0 .LBB142_43
.LBB142_44:                             ;   in Loop: Header=BB142_41 Depth=1
	s_set_inst_prefetch_distance 0x2
	s_mul_i32 s14, s5, 0x48
	v_add_nc_u32_e32 v17, 0x200, v3
	v_dual_mov_b32 v3, s14 :: v_dual_add_nc_u32 v16, 0x200, v4
	v_add_nc_u32_e32 v15, 0x200, v9
	v_add_nc_u32_e32 v14, 0x2c0, v10
	ds_load_b64 v[3:4], v3
	s_waitcnt lgkmcnt(0)
	v_cmp_gt_f32_e32 vcc_lo, 0, v3
	v_cndmask_b32_e64 v9, v3, -v3, vcc_lo
	v_cmp_gt_f32_e32 vcc_lo, 0, v4
	v_cndmask_b32_e64 v10, v4, -v4, vcc_lo
	s_delay_alu instid0(VALU_DEP_1)
	v_cmp_ngt_f32_e32 vcc_lo, v9, v10
	s_cbranch_vccz .LBB142_46
; %bb.45:                               ;   in Loop: Header=BB142_41 Depth=1
	v_div_scale_f32 v9, null, v4, v4, v3
	v_div_scale_f32 v19, vcc_lo, v3, v4, v3
	s_delay_alu instid0(VALU_DEP_2) | instskip(SKIP_2) | instid1(VALU_DEP_1)
	v_rcp_f32_e32 v10, v9
	s_waitcnt_depctr 0xfff
	v_fma_f32 v18, -v9, v10, 1.0
	v_fmac_f32_e32 v10, v18, v10
	s_delay_alu instid0(VALU_DEP_1) | instskip(NEXT) | instid1(VALU_DEP_1)
	v_mul_f32_e32 v18, v19, v10
	v_fma_f32 v20, -v9, v18, v19
	s_delay_alu instid0(VALU_DEP_1) | instskip(NEXT) | instid1(VALU_DEP_1)
	v_fmac_f32_e32 v18, v20, v10
	v_fma_f32 v9, -v9, v18, v19
	s_delay_alu instid0(VALU_DEP_1) | instskip(NEXT) | instid1(VALU_DEP_1)
	v_div_fmas_f32 v9, v9, v10, v18
	v_div_fixup_f32 v9, v9, v4, v3
	s_delay_alu instid0(VALU_DEP_1) | instskip(NEXT) | instid1(VALU_DEP_1)
	v_fma_f32 v10, v3, v9, v4
	v_div_scale_f32 v18, null, v10, v10, 1.0
	v_div_scale_f32 v21, vcc_lo, 1.0, v10, 1.0
	s_delay_alu instid0(VALU_DEP_2) | instskip(SKIP_2) | instid1(VALU_DEP_1)
	v_rcp_f32_e32 v19, v18
	s_waitcnt_depctr 0xfff
	v_fma_f32 v20, -v18, v19, 1.0
	v_fmac_f32_e32 v19, v20, v19
	s_delay_alu instid0(VALU_DEP_1) | instskip(NEXT) | instid1(VALU_DEP_1)
	v_mul_f32_e32 v20, v21, v19
	v_fma_f32 v22, -v18, v20, v21
	s_delay_alu instid0(VALU_DEP_1) | instskip(NEXT) | instid1(VALU_DEP_1)
	v_fmac_f32_e32 v20, v22, v19
	v_fma_f32 v18, -v18, v20, v21
	s_delay_alu instid0(VALU_DEP_1) | instskip(SKIP_1) | instid1(VALU_DEP_2)
	v_div_fmas_f32 v18, v18, v19, v20
	v_fma_f32 v19, v1, v9, v2
	v_div_fixup_f32 v10, v18, v10, 1.0
	v_fma_f32 v18, v2, v9, -v1
	s_delay_alu instid0(VALU_DEP_2) | instskip(NEXT) | instid1(VALU_DEP_2)
	v_mul_f32_e32 v9, v19, v10
	v_mul_f32_e32 v10, v18, v10
	s_cbranch_execz .LBB142_47
	s_branch .LBB142_48
.LBB142_46:                             ;   in Loop: Header=BB142_41 Depth=1
                                        ; implicit-def: $vgpr10
.LBB142_47:                             ;   in Loop: Header=BB142_41 Depth=1
	v_div_scale_f32 v9, null, v3, v3, v4
	v_div_scale_f32 v19, vcc_lo, v4, v3, v4
	s_delay_alu instid0(VALU_DEP_2) | instskip(SKIP_2) | instid1(VALU_DEP_1)
	v_rcp_f32_e32 v10, v9
	s_waitcnt_depctr 0xfff
	v_fma_f32 v18, -v9, v10, 1.0
	v_fmac_f32_e32 v10, v18, v10
	s_delay_alu instid0(VALU_DEP_1) | instskip(NEXT) | instid1(VALU_DEP_1)
	v_mul_f32_e32 v18, v19, v10
	v_fma_f32 v20, -v9, v18, v19
	s_delay_alu instid0(VALU_DEP_1) | instskip(NEXT) | instid1(VALU_DEP_1)
	v_fmac_f32_e32 v18, v20, v10
	v_fma_f32 v9, -v9, v18, v19
	s_delay_alu instid0(VALU_DEP_1) | instskip(NEXT) | instid1(VALU_DEP_1)
	v_div_fmas_f32 v9, v9, v10, v18
	v_div_fixup_f32 v9, v9, v3, v4
	s_delay_alu instid0(VALU_DEP_1) | instskip(NEXT) | instid1(VALU_DEP_1)
	v_fmac_f32_e32 v3, v4, v9
	v_div_scale_f32 v4, null, v3, v3, 1.0
	v_div_scale_f32 v19, vcc_lo, 1.0, v3, 1.0
	s_delay_alu instid0(VALU_DEP_2) | instskip(SKIP_2) | instid1(VALU_DEP_1)
	v_rcp_f32_e32 v10, v4
	s_waitcnt_depctr 0xfff
	v_fma_f32 v18, -v4, v10, 1.0
	v_fmac_f32_e32 v10, v18, v10
	s_delay_alu instid0(VALU_DEP_1) | instskip(NEXT) | instid1(VALU_DEP_1)
	v_mul_f32_e32 v18, v19, v10
	v_fma_f32 v20, -v4, v18, v19
	s_delay_alu instid0(VALU_DEP_1) | instskip(NEXT) | instid1(VALU_DEP_1)
	v_fmac_f32_e32 v18, v20, v10
	v_fma_f32 v4, -v4, v18, v19
	s_delay_alu instid0(VALU_DEP_1) | instskip(SKIP_2) | instid1(VALU_DEP_3)
	v_div_fmas_f32 v4, v4, v10, v18
	v_fma_f32 v10, v2, v9, v1
	v_fma_f32 v1, -v1, v9, v2
	v_div_fixup_f32 v3, v4, v3, 1.0
	s_delay_alu instid0(VALU_DEP_1) | instskip(NEXT) | instid1(VALU_DEP_3)
	v_mul_f32_e32 v9, v10, v3
	v_mul_f32_e32 v10, v1, v3
.LBB142_48:                             ;   in Loop: Header=BB142_41 Depth=1
	v_mov_b32_e32 v1, s14
	ds_store_b64 v17, v[9:10]
	ds_load_2addr_b64 v[1:4], v1 offset0:1 offset1:9
	s_waitcnt lgkmcnt(0)
	v_mul_f32_e32 v18, v10, v2
	v_cmp_gt_f32_e32 vcc_lo, 0, v3
	v_mul_f32_e32 v2, v9, v2
	s_delay_alu instid0(VALU_DEP_3) | instskip(SKIP_2) | instid1(VALU_DEP_3)
	v_fma_f32 v18, v9, v1, -v18
	v_cndmask_b32_e64 v19, v3, -v3, vcc_lo
	v_cmp_gt_f32_e32 vcc_lo, 0, v4
	v_dual_fmac_f32 v2, v10, v1 :: v_dual_sub_f32 v1, v11, v18
	v_cndmask_b32_e64 v20, v4, -v4, vcc_lo
	s_delay_alu instid0(VALU_DEP_2) | instskip(NEXT) | instid1(VALU_DEP_2)
	v_sub_f32_e32 v2, v12, v2
	v_cmp_ngt_f32_e32 vcc_lo, v19, v20
	s_cbranch_vccz .LBB142_50
; %bb.49:                               ;   in Loop: Header=BB142_41 Depth=1
	v_div_scale_f32 v11, null, v4, v4, v3
	v_div_scale_f32 v18, vcc_lo, v3, v4, v3
	s_delay_alu instid0(VALU_DEP_2) | instskip(SKIP_2) | instid1(VALU_DEP_1)
	v_rcp_f32_e32 v12, v11
	s_waitcnt_depctr 0xfff
	v_fma_f32 v17, -v11, v12, 1.0
	v_fmac_f32_e32 v12, v17, v12
	s_delay_alu instid0(VALU_DEP_1) | instskip(NEXT) | instid1(VALU_DEP_1)
	v_mul_f32_e32 v17, v18, v12
	v_fma_f32 v19, -v11, v17, v18
	s_delay_alu instid0(VALU_DEP_1) | instskip(NEXT) | instid1(VALU_DEP_1)
	v_fmac_f32_e32 v17, v19, v12
	v_fma_f32 v11, -v11, v17, v18
	s_delay_alu instid0(VALU_DEP_1) | instskip(NEXT) | instid1(VALU_DEP_1)
	v_div_fmas_f32 v11, v11, v12, v17
	v_div_fixup_f32 v11, v11, v4, v3
	s_delay_alu instid0(VALU_DEP_1) | instskip(NEXT) | instid1(VALU_DEP_1)
	v_fma_f32 v12, v3, v11, v4
	v_div_scale_f32 v17, null, v12, v12, 1.0
	v_div_scale_f32 v20, vcc_lo, 1.0, v12, 1.0
	s_delay_alu instid0(VALU_DEP_2) | instskip(SKIP_2) | instid1(VALU_DEP_1)
	v_rcp_f32_e32 v18, v17
	s_waitcnt_depctr 0xfff
	v_fma_f32 v19, -v17, v18, 1.0
	v_fmac_f32_e32 v18, v19, v18
	s_delay_alu instid0(VALU_DEP_1) | instskip(NEXT) | instid1(VALU_DEP_1)
	v_mul_f32_e32 v19, v20, v18
	v_fma_f32 v21, -v17, v19, v20
	s_delay_alu instid0(VALU_DEP_1) | instskip(NEXT) | instid1(VALU_DEP_1)
	v_fmac_f32_e32 v19, v21, v18
	v_fma_f32 v17, -v17, v19, v20
	s_delay_alu instid0(VALU_DEP_1) | instskip(SKIP_1) | instid1(VALU_DEP_2)
	v_div_fmas_f32 v17, v17, v18, v19
	v_fma_f32 v18, v11, v1, v2
	v_div_fixup_f32 v12, v17, v12, 1.0
	v_fma_f32 v17, v11, v2, -v1
	s_delay_alu instid0(VALU_DEP_2) | instskip(NEXT) | instid1(VALU_DEP_2)
	v_mul_f32_e32 v11, v18, v12
	v_mul_f32_e32 v12, v17, v12
	s_cbranch_execz .LBB142_51
	s_branch .LBB142_52
.LBB142_50:                             ;   in Loop: Header=BB142_41 Depth=1
                                        ; implicit-def: $vgpr12
.LBB142_51:                             ;   in Loop: Header=BB142_41 Depth=1
	v_div_scale_f32 v11, null, v3, v3, v4
	v_div_scale_f32 v18, vcc_lo, v4, v3, v4
	s_delay_alu instid0(VALU_DEP_2) | instskip(SKIP_2) | instid1(VALU_DEP_1)
	v_rcp_f32_e32 v12, v11
	s_waitcnt_depctr 0xfff
	v_fma_f32 v17, -v11, v12, 1.0
	v_fmac_f32_e32 v12, v17, v12
	s_delay_alu instid0(VALU_DEP_1) | instskip(NEXT) | instid1(VALU_DEP_1)
	v_mul_f32_e32 v17, v18, v12
	v_fma_f32 v19, -v11, v17, v18
	s_delay_alu instid0(VALU_DEP_1) | instskip(NEXT) | instid1(VALU_DEP_1)
	v_fmac_f32_e32 v17, v19, v12
	v_fma_f32 v11, -v11, v17, v18
	s_delay_alu instid0(VALU_DEP_1) | instskip(NEXT) | instid1(VALU_DEP_1)
	v_div_fmas_f32 v11, v11, v12, v17
	v_div_fixup_f32 v11, v11, v3, v4
	s_delay_alu instid0(VALU_DEP_1) | instskip(NEXT) | instid1(VALU_DEP_1)
	v_fmac_f32_e32 v3, v4, v11
	v_div_scale_f32 v4, null, v3, v3, 1.0
	v_div_scale_f32 v18, vcc_lo, 1.0, v3, 1.0
	s_delay_alu instid0(VALU_DEP_2) | instskip(SKIP_2) | instid1(VALU_DEP_1)
	v_rcp_f32_e32 v12, v4
	s_waitcnt_depctr 0xfff
	v_fma_f32 v17, -v4, v12, 1.0
	v_fmac_f32_e32 v12, v17, v12
	s_delay_alu instid0(VALU_DEP_1) | instskip(NEXT) | instid1(VALU_DEP_1)
	v_mul_f32_e32 v17, v18, v12
	v_fma_f32 v19, -v4, v17, v18
	s_delay_alu instid0(VALU_DEP_1) | instskip(NEXT) | instid1(VALU_DEP_1)
	v_fmac_f32_e32 v17, v19, v12
	v_fma_f32 v4, -v4, v17, v18
	s_delay_alu instid0(VALU_DEP_1) | instskip(SKIP_2) | instid1(VALU_DEP_3)
	v_div_fmas_f32 v4, v4, v12, v17
	v_fma_f32 v12, v11, v2, v1
	v_fma_f32 v1, -v11, v1, v2
	v_div_fixup_f32 v3, v4, v3, 1.0
	s_delay_alu instid0(VALU_DEP_1) | instskip(NEXT) | instid1(VALU_DEP_3)
	v_mul_f32_e32 v11, v12, v3
	v_mul_f32_e32 v12, v1, v3
.LBB142_52:                             ;   in Loop: Header=BB142_41 Depth=1
	s_add_i32 s10, s10, s5
	v_mov_b32_e32 v1, s14
	s_lshl_b32 s10, s10, 3
	s_delay_alu instid0(SALU_CYCLE_1)
	v_mov_b32_e32 v17, s10
	ds_load_2addr_b64 v[1:4], v1 offset0:2 offset1:18
	ds_load_b64 v[17:18], v17 offset:16
	ds_store_b64 v16, v[11:12]
	s_waitcnt lgkmcnt(2)
	v_cmp_gt_f32_e32 vcc_lo, 0, v3
	s_waitcnt lgkmcnt(1)
	v_mul_f32_e32 v21, v12, v18
	v_mul_f32_e32 v18, v11, v18
	;; [unrolled: 1-line block ×4, first 2 shown]
	v_cndmask_b32_e64 v20, v3, -v3, vcc_lo
	v_cmp_gt_f32_e32 vcc_lo, 0, v4
	v_fmac_f32_e32 v18, v12, v17
	v_fma_f32 v19, v9, v1, -v19
	v_fmac_f32_e32 v2, v10, v1
	v_fma_f32 v21, v11, v17, -v21
	v_cndmask_b32_e64 v1, v4, -v4, vcc_lo
	s_delay_alu instid0(VALU_DEP_3) | instskip(NEXT) | instid1(VALU_DEP_2)
	v_dual_sub_f32 v7, v7, v19 :: v_dual_sub_f32 v2, v8, v2
	v_cmp_ngt_f32_e32 vcc_lo, v20, v1
	s_delay_alu instid0(VALU_DEP_2)
	v_dual_sub_f32 v1, v7, v21 :: v_dual_sub_f32 v2, v2, v18
	s_cbranch_vccz .LBB142_54
; %bb.53:                               ;   in Loop: Header=BB142_41 Depth=1
	v_div_scale_f32 v7, null, v4, v4, v3
	v_div_scale_f32 v17, vcc_lo, v3, v4, v3
	s_delay_alu instid0(VALU_DEP_2) | instskip(SKIP_2) | instid1(VALU_DEP_1)
	v_rcp_f32_e32 v8, v7
	s_waitcnt_depctr 0xfff
	v_fma_f32 v16, -v7, v8, 1.0
	v_fmac_f32_e32 v8, v16, v8
	s_delay_alu instid0(VALU_DEP_1) | instskip(NEXT) | instid1(VALU_DEP_1)
	v_mul_f32_e32 v16, v17, v8
	v_fma_f32 v18, -v7, v16, v17
	s_delay_alu instid0(VALU_DEP_1) | instskip(NEXT) | instid1(VALU_DEP_1)
	v_fmac_f32_e32 v16, v18, v8
	v_fma_f32 v7, -v7, v16, v17
	s_delay_alu instid0(VALU_DEP_1) | instskip(NEXT) | instid1(VALU_DEP_1)
	v_div_fmas_f32 v7, v7, v8, v16
	v_div_fixup_f32 v7, v7, v4, v3
	s_delay_alu instid0(VALU_DEP_1) | instskip(NEXT) | instid1(VALU_DEP_1)
	v_fma_f32 v8, v3, v7, v4
	v_div_scale_f32 v16, null, v8, v8, 1.0
	v_div_scale_f32 v19, vcc_lo, 1.0, v8, 1.0
	s_delay_alu instid0(VALU_DEP_2) | instskip(SKIP_2) | instid1(VALU_DEP_1)
	v_rcp_f32_e32 v17, v16
	s_waitcnt_depctr 0xfff
	v_fma_f32 v18, -v16, v17, 1.0
	v_fmac_f32_e32 v17, v18, v17
	s_delay_alu instid0(VALU_DEP_1) | instskip(NEXT) | instid1(VALU_DEP_1)
	v_mul_f32_e32 v18, v19, v17
	v_fma_f32 v20, -v16, v18, v19
	s_delay_alu instid0(VALU_DEP_1) | instskip(NEXT) | instid1(VALU_DEP_1)
	v_fmac_f32_e32 v18, v20, v17
	v_fma_f32 v16, -v16, v18, v19
	s_delay_alu instid0(VALU_DEP_1) | instskip(SKIP_1) | instid1(VALU_DEP_2)
	v_div_fmas_f32 v16, v16, v17, v18
	v_fma_f32 v17, v7, v1, v2
	v_div_fixup_f32 v8, v16, v8, 1.0
	v_fma_f32 v16, v7, v2, -v1
	s_delay_alu instid0(VALU_DEP_2) | instskip(NEXT) | instid1(VALU_DEP_2)
	v_mul_f32_e32 v7, v17, v8
	v_mul_f32_e32 v8, v16, v8
	s_cbranch_execz .LBB142_55
	s_branch .LBB142_56
.LBB142_54:                             ;   in Loop: Header=BB142_41 Depth=1
                                        ; implicit-def: $vgpr8
.LBB142_55:                             ;   in Loop: Header=BB142_41 Depth=1
	v_div_scale_f32 v7, null, v3, v3, v4
	v_div_scale_f32 v17, vcc_lo, v4, v3, v4
	s_delay_alu instid0(VALU_DEP_2) | instskip(SKIP_2) | instid1(VALU_DEP_1)
	v_rcp_f32_e32 v8, v7
	s_waitcnt_depctr 0xfff
	v_fma_f32 v16, -v7, v8, 1.0
	v_fmac_f32_e32 v8, v16, v8
	s_delay_alu instid0(VALU_DEP_1) | instskip(NEXT) | instid1(VALU_DEP_1)
	v_mul_f32_e32 v16, v17, v8
	v_fma_f32 v18, -v7, v16, v17
	s_delay_alu instid0(VALU_DEP_1) | instskip(NEXT) | instid1(VALU_DEP_1)
	v_fmac_f32_e32 v16, v18, v8
	v_fma_f32 v7, -v7, v16, v17
	s_delay_alu instid0(VALU_DEP_1) | instskip(NEXT) | instid1(VALU_DEP_1)
	v_div_fmas_f32 v7, v7, v8, v16
	v_div_fixup_f32 v7, v7, v3, v4
	s_delay_alu instid0(VALU_DEP_1) | instskip(NEXT) | instid1(VALU_DEP_1)
	v_fmac_f32_e32 v3, v4, v7
	v_div_scale_f32 v4, null, v3, v3, 1.0
	v_div_scale_f32 v17, vcc_lo, 1.0, v3, 1.0
	s_delay_alu instid0(VALU_DEP_2) | instskip(SKIP_2) | instid1(VALU_DEP_1)
	v_rcp_f32_e32 v8, v4
	s_waitcnt_depctr 0xfff
	v_fma_f32 v16, -v4, v8, 1.0
	v_fmac_f32_e32 v8, v16, v8
	s_delay_alu instid0(VALU_DEP_1) | instskip(NEXT) | instid1(VALU_DEP_1)
	v_mul_f32_e32 v16, v17, v8
	v_fma_f32 v18, -v4, v16, v17
	s_delay_alu instid0(VALU_DEP_1) | instskip(NEXT) | instid1(VALU_DEP_1)
	v_fmac_f32_e32 v16, v18, v8
	v_fma_f32 v4, -v4, v16, v17
	s_delay_alu instid0(VALU_DEP_1) | instskip(SKIP_2) | instid1(VALU_DEP_3)
	v_div_fmas_f32 v4, v4, v8, v16
	v_fma_f32 v8, v7, v2, v1
	v_fma_f32 v1, -v7, v1, v2
	v_div_fixup_f32 v3, v4, v3, 1.0
	s_delay_alu instid0(VALU_DEP_1) | instskip(NEXT) | instid1(VALU_DEP_3)
	v_mul_f32_e32 v7, v8, v3
	v_mul_f32_e32 v8, v1, v3
.LBB142_56:                             ;   in Loop: Header=BB142_41 Depth=1
	v_dual_mov_b32 v1, s14 :: v_dual_mov_b32 v16, s10
	s_add_i32 s9, s9, s5
	s_delay_alu instid0(SALU_CYCLE_1)
	s_lshl_b32 s9, s9, 3
	ds_load_2addr_b64 v[1:4], v1 offset0:3 offset1:27
	v_mov_b32_e32 v18, s9
	ds_load_b64 v[16:17], v16 offset:24
	ds_load_b64 v[18:19], v18 offset:24
	ds_store_b64 v15, v[7:8]
	s_waitcnt lgkmcnt(3)
	v_mul_f32_e32 v20, v10, v2
	v_mul_f32_e32 v2, v9, v2
	v_cmp_gt_f32_e32 vcc_lo, 0, v3
	s_waitcnt lgkmcnt(2)
	v_mul_f32_e32 v21, v12, v17
	s_waitcnt lgkmcnt(1)
	v_mul_f32_e32 v23, v8, v19
	v_mul_f32_e32 v17, v11, v17
	v_fma_f32 v9, v9, v1, -v20
	v_dual_fmac_f32 v2, v10, v1 :: v_dual_mul_f32 v1, v7, v19
	v_cndmask_b32_e64 v22, v3, -v3, vcc_lo
	v_cmp_gt_f32_e32 vcc_lo, 0, v4
	v_fma_f32 v10, v11, v16, -v21
	s_delay_alu instid0(VALU_DEP_4) | instskip(SKIP_3) | instid1(VALU_DEP_4)
	v_dual_fmac_f32 v17, v12, v16 :: v_dual_sub_f32 v2, v6, v2
	v_sub_f32_e32 v5, v5, v9
	v_cndmask_b32_e64 v6, v4, -v4, vcc_lo
	v_fma_f32 v9, v7, v18, -v23
	v_dual_fmac_f32 v1, v8, v18 :: v_dual_sub_f32 v2, v2, v17
	s_delay_alu instid0(VALU_DEP_4) | instskip(NEXT) | instid1(VALU_DEP_4)
	v_sub_f32_e32 v5, v5, v10
	v_cmp_ngt_f32_e32 vcc_lo, v22, v6
	s_delay_alu instid0(VALU_DEP_3) | instskip(NEXT) | instid1(VALU_DEP_3)
	v_sub_f32_e32 v6, v2, v1
	v_sub_f32_e32 v5, v5, v9
	s_cbranch_vccz .LBB142_58
; %bb.57:                               ;   in Loop: Header=BB142_41 Depth=1
	v_div_scale_f32 v1, null, v4, v4, v3
	v_div_scale_f32 v8, vcc_lo, v3, v4, v3
	s_delay_alu instid0(VALU_DEP_2) | instskip(SKIP_2) | instid1(VALU_DEP_1)
	v_rcp_f32_e32 v2, v1
	s_waitcnt_depctr 0xfff
	v_fma_f32 v7, -v1, v2, 1.0
	v_fmac_f32_e32 v2, v7, v2
	s_delay_alu instid0(VALU_DEP_1) | instskip(NEXT) | instid1(VALU_DEP_1)
	v_mul_f32_e32 v7, v8, v2
	v_fma_f32 v9, -v1, v7, v8
	s_delay_alu instid0(VALU_DEP_1) | instskip(NEXT) | instid1(VALU_DEP_1)
	v_fmac_f32_e32 v7, v9, v2
	v_fma_f32 v1, -v1, v7, v8
	s_delay_alu instid0(VALU_DEP_1) | instskip(NEXT) | instid1(VALU_DEP_1)
	v_div_fmas_f32 v1, v1, v2, v7
	v_div_fixup_f32 v1, v1, v4, v3
	s_delay_alu instid0(VALU_DEP_1) | instskip(NEXT) | instid1(VALU_DEP_1)
	v_fma_f32 v2, v3, v1, v4
	v_div_scale_f32 v7, null, v2, v2, 1.0
	v_div_scale_f32 v10, vcc_lo, 1.0, v2, 1.0
	s_delay_alu instid0(VALU_DEP_2) | instskip(SKIP_2) | instid1(VALU_DEP_1)
	v_rcp_f32_e32 v8, v7
	s_waitcnt_depctr 0xfff
	v_fma_f32 v9, -v7, v8, 1.0
	v_fmac_f32_e32 v8, v9, v8
	s_delay_alu instid0(VALU_DEP_1) | instskip(NEXT) | instid1(VALU_DEP_1)
	v_mul_f32_e32 v9, v10, v8
	v_fma_f32 v11, -v7, v9, v10
	s_delay_alu instid0(VALU_DEP_1) | instskip(NEXT) | instid1(VALU_DEP_1)
	v_fmac_f32_e32 v9, v11, v8
	v_fma_f32 v7, -v7, v9, v10
	s_delay_alu instid0(VALU_DEP_1) | instskip(SKIP_1) | instid1(VALU_DEP_2)
	v_div_fmas_f32 v7, v7, v8, v9
	v_fma_f32 v8, v1, v5, v6
	v_div_fixup_f32 v2, v7, v2, 1.0
	v_fma_f32 v7, v1, v6, -v5
	s_delay_alu instid0(VALU_DEP_2) | instskip(NEXT) | instid1(VALU_DEP_2)
	v_mul_f32_e32 v1, v8, v2
	v_mul_f32_e32 v2, v7, v2
	s_cbranch_execz .LBB142_59
	s_branch .LBB142_60
.LBB142_58:                             ;   in Loop: Header=BB142_41 Depth=1
                                        ; implicit-def: $vgpr2
.LBB142_59:                             ;   in Loop: Header=BB142_41 Depth=1
	v_div_scale_f32 v1, null, v3, v3, v4
	v_div_scale_f32 v8, vcc_lo, v4, v3, v4
	s_delay_alu instid0(VALU_DEP_2) | instskip(SKIP_2) | instid1(VALU_DEP_1)
	v_rcp_f32_e32 v2, v1
	s_waitcnt_depctr 0xfff
	v_fma_f32 v7, -v1, v2, 1.0
	v_fmac_f32_e32 v2, v7, v2
	s_delay_alu instid0(VALU_DEP_1) | instskip(NEXT) | instid1(VALU_DEP_1)
	v_mul_f32_e32 v7, v8, v2
	v_fma_f32 v9, -v1, v7, v8
	s_delay_alu instid0(VALU_DEP_1) | instskip(NEXT) | instid1(VALU_DEP_1)
	v_fmac_f32_e32 v7, v9, v2
	v_fma_f32 v1, -v1, v7, v8
	s_delay_alu instid0(VALU_DEP_1) | instskip(NEXT) | instid1(VALU_DEP_1)
	v_div_fmas_f32 v1, v1, v2, v7
	v_div_fixup_f32 v1, v1, v3, v4
	s_delay_alu instid0(VALU_DEP_1) | instskip(NEXT) | instid1(VALU_DEP_1)
	v_fmac_f32_e32 v3, v4, v1
	v_div_scale_f32 v2, null, v3, v3, 1.0
	v_div_scale_f32 v8, vcc_lo, 1.0, v3, 1.0
	s_delay_alu instid0(VALU_DEP_2) | instskip(SKIP_2) | instid1(VALU_DEP_1)
	v_rcp_f32_e32 v4, v2
	s_waitcnt_depctr 0xfff
	v_fma_f32 v7, -v2, v4, 1.0
	v_fmac_f32_e32 v4, v7, v4
	s_delay_alu instid0(VALU_DEP_1) | instskip(NEXT) | instid1(VALU_DEP_1)
	v_mul_f32_e32 v7, v8, v4
	v_fma_f32 v9, -v2, v7, v8
	s_delay_alu instid0(VALU_DEP_1) | instskip(NEXT) | instid1(VALU_DEP_1)
	v_fmac_f32_e32 v7, v9, v4
	v_fma_f32 v2, -v2, v7, v8
	s_delay_alu instid0(VALU_DEP_1) | instskip(SKIP_1) | instid1(VALU_DEP_2)
	v_div_fmas_f32 v2, v2, v4, v7
	v_fma_f32 v4, v1, v6, v5
	v_div_fixup_f32 v2, v2, v3, 1.0
	v_fma_f32 v3, -v1, v5, v6
	s_delay_alu instid0(VALU_DEP_2) | instskip(NEXT) | instid1(VALU_DEP_2)
	v_mul_f32_e32 v1, v4, v2
	v_mul_f32_e32 v2, v3, v2
.LBB142_60:                             ;   in Loop: Header=BB142_41 Depth=1
	s_add_i32 s9, s5, 4
	s_add_i32 s5, s5, 7
	;; [unrolled: 1-line block ×3, first 2 shown]
	s_cmp_ge_i32 s5, s11
	ds_store_b64 v14, v[1:2]
	s_cbranch_scc1 .LBB142_62
; %bb.61:                               ;   in Loop: Header=BB142_41 Depth=1
	s_mov_b32 s5, s9
	s_branch .LBB142_41
.LBB142_62:
	s_cmp_ge_i32 s9, s11
	s_cbranch_scc1 .LBB142_77
; %bb.63:
	v_lshl_or_b32 v7, v0, 3, 0x200
	v_lshlrev_b32_e32 v8, 3, v0
	s_add_i32 s4, s9, -1
	s_lshl_b32 s5, s9, 3
	s_mov_b32 s10, 0
	s_mov_b32 s14, s9
	s_branch .LBB142_65
.LBB142_64:                             ;   in Loop: Header=BB142_65 Depth=1
	v_add_nc_u16 v1, s14, 1
	s_add_i32 s9, s9, 1
	s_add_i32 s10, s10, 1
	;; [unrolled: 1-line block ×3, first 2 shown]
	s_cmp_ge_i32 s9, s11
	v_readfirstlane_b32 s14, v1
	ds_store_b64 v9, v[5:6]
	s_cbranch_scc1 .LBB142_77
.LBB142_65:                             ; =>This Loop Header: Depth=1
                                        ;     Child Loop BB142_68 Depth 2
                                        ;     Child Loop BB142_72 Depth 2
	v_lshl_or_b32 v3, s9, 6, v8
	s_cmp_eq_u32 s9, 0
	ds_load_b64 v[1:2], v3 offset:512
	s_cbranch_scc1 .LBB142_73
; %bb.66:                               ;   in Loop: Header=BB142_65 Depth=1
	s_add_i32 s15, s4, s10
	s_delay_alu instid0(SALU_CYCLE_1)
	s_cmp_lt_u32 s15, 7
	s_cbranch_scc1 .LBB142_70
; %bb.67:                               ;   in Loop: Header=BB142_65 Depth=1
	v_mov_b32_e32 v4, v7
	s_and_b32 s15, s9, -8
	s_mov_b32 s16, 0
	s_mov_b32 s17, s5
.LBB142_68:                             ;   Parent Loop BB142_65 Depth=1
                                        ; =>  This Inner Loop Header: Depth=2
	s_delay_alu instid0(SALU_CYCLE_1)
	v_mov_b32_e32 v5, s17
	ds_load_2addr_b64 v[9:12], v4 offset1:8
	ds_load_2addr_b64 v[13:16], v4 offset0:16 offset1:24
	ds_load_2addr_b64 v[17:20], v4 offset0:32 offset1:40
	ds_load_2addr_b64 v[21:24], v4 offset0:48 offset1:56
	ds_load_2addr_b64 v[25:28], v5 offset1:8
	ds_load_2addr_b64 v[29:32], v5 offset0:16 offset1:24
	ds_load_2addr_b64 v[33:36], v5 offset0:32 offset1:40
	ds_load_2addr_b64 v[37:40], v5 offset0:48 offset1:56
	v_add_nc_u32_e32 v4, 0x200, v4
	s_add_i32 s16, s16, 8
	s_addk_i32 s17, 0x200
	s_cmp_eq_u32 s15, s16
	s_waitcnt lgkmcnt(3)
	v_mul_f32_e32 v6, v25, v10
	v_dual_mul_f32 v5, v26, v10 :: v_dual_mul_f32 v10, v28, v12
	s_waitcnt lgkmcnt(2)
	v_dual_mul_f32 v12, v27, v12 :: v_dual_mul_f32 v41, v30, v14
	s_waitcnt lgkmcnt(1)
	v_dual_mul_f32 v42, v32, v16 :: v_dual_mul_f32 v43, v34, v18
	v_fma_f32 v5, v25, v9, -v5
	v_mul_f32_e32 v16, v31, v16
	v_fma_f32 v10, v27, v11, -v10
	v_mul_f32_e32 v14, v29, v14
	v_mul_f32_e32 v18, v33, v18
	v_sub_f32_e32 v1, v1, v5
	v_dual_mul_f32 v5, v35, v20 :: v_dual_fmac_f32 v6, v26, v9
	s_delay_alu instid0(VALU_DEP_4) | instskip(NEXT) | instid1(VALU_DEP_3)
	v_dual_mul_f32 v9, v36, v20 :: v_dual_fmac_f32 v14, v30, v13
	v_sub_f32_e32 v1, v1, v10
	s_delay_alu instid0(VALU_DEP_3) | instskip(SKIP_4) | instid1(VALU_DEP_4)
	v_dual_fmac_f32 v5, v36, v19 :: v_dual_sub_f32 v2, v2, v6
	v_fma_f32 v6, v29, v13, -v41
	v_fmac_f32_e32 v12, v28, v11
	v_fma_f32 v11, v31, v15, -v42
	v_fma_f32 v9, v35, v19, -v9
	v_sub_f32_e32 v1, v1, v6
	s_waitcnt lgkmcnt(0)
	v_mul_f32_e32 v6, v37, v22
	s_delay_alu instid0(VALU_DEP_2) | instskip(SKIP_2) | instid1(VALU_DEP_2)
	v_dual_sub_f32 v1, v1, v11 :: v_dual_sub_f32 v2, v2, v12
	v_fma_f32 v12, v33, v17, -v43
	v_dual_mul_f32 v10, v38, v22 :: v_dual_mul_f32 v11, v40, v24
	v_dual_fmac_f32 v6, v38, v21 :: v_dual_sub_f32 v1, v1, v12
	v_fmac_f32_e32 v16, v32, v15
	s_delay_alu instid0(VALU_DEP_3) | instskip(NEXT) | instid1(VALU_DEP_3)
	v_fma_f32 v10, v37, v21, -v10
	v_dual_mul_f32 v12, v39, v24 :: v_dual_sub_f32 v1, v1, v9
	v_fmac_f32_e32 v18, v34, v17
	s_delay_alu instid0(VALU_DEP_2) | instskip(SKIP_1) | instid1(VALU_DEP_1)
	v_dual_fmac_f32 v12, v40, v23 :: v_dual_sub_f32 v1, v1, v10
	v_sub_f32_e32 v2, v2, v14
	v_sub_f32_e32 v2, v2, v16
	s_delay_alu instid0(VALU_DEP_1) | instskip(NEXT) | instid1(VALU_DEP_1)
	v_sub_f32_e32 v2, v2, v18
	v_sub_f32_e32 v2, v2, v5
	v_fma_f32 v5, v39, v23, -v11
	s_delay_alu instid0(VALU_DEP_1) | instskip(NEXT) | instid1(VALU_DEP_1)
	v_dual_sub_f32 v2, v2, v6 :: v_dual_sub_f32 v1, v1, v5
	v_sub_f32_e32 v2, v2, v12
	s_cbranch_scc0 .LBB142_68
; %bb.69:                               ;   in Loop: Header=BB142_65 Depth=1
	s_and_b32 s16, s9, 7
	s_delay_alu instid0(SALU_CYCLE_1)
	s_cmp_eq_u32 s16, 0
	s_cbranch_scc0 .LBB142_71
	s_branch .LBB142_73
.LBB142_70:                             ;   in Loop: Header=BB142_65 Depth=1
	s_mov_b32 s15, 0
	s_and_b32 s16, s9, 7
	s_delay_alu instid0(SALU_CYCLE_1)
	s_cmp_eq_u32 s16, 0
	s_cbranch_scc1 .LBB142_73
.LBB142_71:                             ;   in Loop: Header=BB142_65 Depth=1
	s_and_b32 s16, s14, 7
	s_lshl_b32 s15, s15, 6
	.p2align	6
.LBB142_72:                             ;   Parent Loop BB142_65 Depth=1
                                        ; =>  This Inner Loop Header: Depth=2
	s_delay_alu instid0(SALU_CYCLE_1)
	s_add_i32 s17, s5, s15
	v_add_nc_u32_e32 v4, s15, v7
	v_mov_b32_e32 v6, s17
	s_add_i32 s16, s16, -1
	s_add_i32 s15, s15, 64
	s_cmp_lg_u32 s16, 0
	ds_load_b64 v[4:5], v4
	ds_load_b64 v[9:10], v6
	s_waitcnt lgkmcnt(0)
	v_mul_f32_e32 v6, v10, v5
	v_mul_f32_e32 v5, v9, v5
	s_delay_alu instid0(VALU_DEP_2) | instskip(NEXT) | instid1(VALU_DEP_2)
	v_fma_f32 v6, v9, v4, -v6
	v_fmac_f32_e32 v5, v10, v4
	s_delay_alu instid0(VALU_DEP_1)
	v_dual_sub_f32 v1, v1, v6 :: v_dual_sub_f32 v2, v2, v5
	s_cbranch_scc1 .LBB142_72
.LBB142_73:                             ;   in Loop: Header=BB142_65 Depth=1
	s_mul_i32 s15, s9, 0x48
	v_add_nc_u32_e32 v9, 0x200, v3
	v_mov_b32_e32 v3, s15
	ds_load_b64 v[3:4], v3
	s_waitcnt lgkmcnt(0)
	v_cmp_gt_f32_e32 vcc_lo, 0, v3
	v_cndmask_b32_e64 v5, v3, -v3, vcc_lo
	v_cmp_gt_f32_e32 vcc_lo, 0, v4
	v_cndmask_b32_e64 v6, v4, -v4, vcc_lo
	s_delay_alu instid0(VALU_DEP_1)
	v_cmp_ngt_f32_e32 vcc_lo, v5, v6
	s_cbranch_vccz .LBB142_75
; %bb.74:                               ;   in Loop: Header=BB142_65 Depth=1
	v_div_scale_f32 v5, null, v4, v4, v3
	v_div_scale_f32 v11, vcc_lo, v3, v4, v3
	s_delay_alu instid0(VALU_DEP_2) | instskip(SKIP_2) | instid1(VALU_DEP_1)
	v_rcp_f32_e32 v6, v5
	s_waitcnt_depctr 0xfff
	v_fma_f32 v10, -v5, v6, 1.0
	v_fmac_f32_e32 v6, v10, v6
	s_delay_alu instid0(VALU_DEP_1) | instskip(NEXT) | instid1(VALU_DEP_1)
	v_mul_f32_e32 v10, v11, v6
	v_fma_f32 v12, -v5, v10, v11
	s_delay_alu instid0(VALU_DEP_1) | instskip(NEXT) | instid1(VALU_DEP_1)
	v_fmac_f32_e32 v10, v12, v6
	v_fma_f32 v5, -v5, v10, v11
	s_delay_alu instid0(VALU_DEP_1) | instskip(NEXT) | instid1(VALU_DEP_1)
	v_div_fmas_f32 v5, v5, v6, v10
	v_div_fixup_f32 v5, v5, v4, v3
	s_delay_alu instid0(VALU_DEP_1) | instskip(NEXT) | instid1(VALU_DEP_1)
	v_fma_f32 v6, v3, v5, v4
	v_div_scale_f32 v10, null, v6, v6, 1.0
	v_div_scale_f32 v13, vcc_lo, 1.0, v6, 1.0
	s_delay_alu instid0(VALU_DEP_2) | instskip(SKIP_2) | instid1(VALU_DEP_1)
	v_rcp_f32_e32 v11, v10
	s_waitcnt_depctr 0xfff
	v_fma_f32 v12, -v10, v11, 1.0
	v_fmac_f32_e32 v11, v12, v11
	s_delay_alu instid0(VALU_DEP_1) | instskip(NEXT) | instid1(VALU_DEP_1)
	v_mul_f32_e32 v12, v13, v11
	v_fma_f32 v14, -v10, v12, v13
	s_delay_alu instid0(VALU_DEP_1) | instskip(NEXT) | instid1(VALU_DEP_1)
	v_fmac_f32_e32 v12, v14, v11
	v_fma_f32 v10, -v10, v12, v13
	s_delay_alu instid0(VALU_DEP_1) | instskip(SKIP_1) | instid1(VALU_DEP_2)
	v_div_fmas_f32 v10, v10, v11, v12
	v_fma_f32 v11, v1, v5, v2
	v_div_fixup_f32 v6, v10, v6, 1.0
	v_fma_f32 v10, v2, v5, -v1
	s_delay_alu instid0(VALU_DEP_2) | instskip(NEXT) | instid1(VALU_DEP_2)
	v_mul_f32_e32 v5, v11, v6
	v_mul_f32_e32 v6, v10, v6
	s_cbranch_execnz .LBB142_64
	s_branch .LBB142_76
.LBB142_75:                             ;   in Loop: Header=BB142_65 Depth=1
                                        ; implicit-def: $vgpr5
.LBB142_76:                             ;   in Loop: Header=BB142_65 Depth=1
	v_div_scale_f32 v5, null, v3, v3, v4
	v_div_scale_f32 v11, vcc_lo, v4, v3, v4
	s_delay_alu instid0(VALU_DEP_2) | instskip(SKIP_2) | instid1(VALU_DEP_1)
	v_rcp_f32_e32 v6, v5
	s_waitcnt_depctr 0xfff
	v_fma_f32 v10, -v5, v6, 1.0
	v_fmac_f32_e32 v6, v10, v6
	s_delay_alu instid0(VALU_DEP_1) | instskip(NEXT) | instid1(VALU_DEP_1)
	v_mul_f32_e32 v10, v11, v6
	v_fma_f32 v12, -v5, v10, v11
	s_delay_alu instid0(VALU_DEP_1) | instskip(NEXT) | instid1(VALU_DEP_1)
	v_fmac_f32_e32 v10, v12, v6
	v_fma_f32 v5, -v5, v10, v11
	s_delay_alu instid0(VALU_DEP_1) | instskip(NEXT) | instid1(VALU_DEP_1)
	v_div_fmas_f32 v5, v5, v6, v10
	v_div_fixup_f32 v5, v5, v3, v4
	s_delay_alu instid0(VALU_DEP_1) | instskip(NEXT) | instid1(VALU_DEP_1)
	v_fmac_f32_e32 v3, v4, v5
	v_div_scale_f32 v4, null, v3, v3, 1.0
	v_div_scale_f32 v11, vcc_lo, 1.0, v3, 1.0
	s_delay_alu instid0(VALU_DEP_2) | instskip(SKIP_2) | instid1(VALU_DEP_1)
	v_rcp_f32_e32 v6, v4
	s_waitcnt_depctr 0xfff
	v_fma_f32 v10, -v4, v6, 1.0
	v_fmac_f32_e32 v6, v10, v6
	s_delay_alu instid0(VALU_DEP_1) | instskip(NEXT) | instid1(VALU_DEP_1)
	v_mul_f32_e32 v10, v11, v6
	v_fma_f32 v12, -v4, v10, v11
	s_delay_alu instid0(VALU_DEP_1) | instskip(NEXT) | instid1(VALU_DEP_1)
	v_fmac_f32_e32 v10, v12, v6
	v_fma_f32 v4, -v4, v10, v11
	s_delay_alu instid0(VALU_DEP_1) | instskip(SKIP_2) | instid1(VALU_DEP_3)
	v_div_fmas_f32 v4, v4, v6, v10
	v_fma_f32 v6, v2, v5, v1
	v_fma_f32 v1, -v1, v5, v2
	v_div_fixup_f32 v3, v4, v3, 1.0
	s_delay_alu instid0(VALU_DEP_1) | instskip(NEXT) | instid1(VALU_DEP_3)
	v_mul_f32_e32 v5, v6, v3
	v_mul_f32_e32 v6, v1, v3
	s_branch .LBB142_64
.LBB142_77:
	s_mov_b32 s4, 0
.LBB142_78:
	s_delay_alu instid0(SALU_CYCLE_1)
	s_and_b32 vcc_lo, exec_lo, s4
	s_cbranch_vccz .LBB142_110
; %bb.79:
	s_and_not1_b32 vcc_lo, exec_lo, s1
	s_mov_b32 s9, s30
	s_cbranch_vccnz .LBB142_101
; %bb.80:
	v_lshlrev_b32_e32 v13, 3, v0
	s_mul_i32 s4, s11, 0x48
	s_mov_b32 s5, s30
	s_addk_i32 s4, 0xff60
	s_delay_alu instid0(VALU_DEP_1) | instskip(NEXT) | instid1(VALU_DEP_1)
	v_lshl_or_b32 v1, s11, 6, v13
	v_add_nc_u32_e32 v14, 0x180, v1
.LBB142_81:                             ; =>This Loop Header: Depth=1
                                        ;     Child Loop BB142_82 Depth 2
	s_add_i32 s17, s5, -1
	s_lshl_b32 s14, s5, 3
	s_add_i32 s16, s5, -2
	s_lshl_b32 s10, s17, 3
	v_or_b32_e32 v1, s14, v0
	s_lshl_b32 s9, s16, 3
	v_or_b32_e32 v2, s10, v0
	v_or_b32_e32 v3, s9, v0
	s_add_i32 s15, s5, -3
	v_lshlrev_b32_e32 v5, 3, v1
	v_lshl_or_b32 v12, s15, 6, v13
	v_dual_mov_b32 v15, v14 :: v_dual_lshlrev_b32 v6, 3, v2
	v_lshlrev_b32_e32 v11, 3, v3
	ds_load_b64 v[9:10], v5 offset:512
	ds_load_b64 v[7:8], v6 offset:512
	;; [unrolled: 1-line block ×4, first 2 shown]
	s_cmp_le_i32 s30, s5
	s_mov_b32 s21, s4
	s_mov_b32 s22, s30
	s_cbranch_scc1 .LBB142_83
.LBB142_82:                             ;   Parent Loop BB142_81 Depth=1
                                        ; =>  This Inner Loop Header: Depth=2
	v_mov_b32_e32 v32, s21
	ds_load_2addr_b64 v[16:19], v15 offset1:8
	v_add_nc_u32_e32 v15, 0xffffff80, v15
	s_add_i32 s22, s22, -2
	s_addk_i32 s21, 0xff80
	ds_load_2addr_b64 v[20:23], v32 offset0:10 offset1:11
	ds_load_2addr_b64 v[24:27], v32 offset0:8 offset1:9
	;; [unrolled: 1-line block ×3, first 2 shown]
	ds_load_2addr_b64 v[32:35], v32 offset1:1
	s_cmp_le_i32 s22, s5
	s_waitcnt lgkmcnt(3)
	v_mul_f32_e32 v36, v23, v19
	v_mul_f32_e32 v38, v21, v19
	;; [unrolled: 1-line block ×3, first 2 shown]
	s_waitcnt lgkmcnt(0)
	v_dual_mul_f32 v37, v22, v19 :: v_dual_mul_f32 v44, v35, v17
	v_dual_mul_f32 v39, v27, v19 :: v_dual_mul_f32 v42, v30, v17
	s_delay_alu instid0(VALU_DEP_3) | instskip(SKIP_2) | instid1(VALU_DEP_4)
	v_fmac_f32_e32 v21, v20, v19
	v_dual_mul_f32 v27, v27, v18 :: v_dual_mul_f32 v40, v25, v19
	v_mul_f32_e32 v41, v31, v17
	v_dual_mul_f32 v25, v25, v18 :: v_dual_fmac_f32 v42, v31, v16
	s_delay_alu instid0(VALU_DEP_4)
	v_dual_mul_f32 v35, v35, v16 :: v_dual_sub_f32 v8, v8, v21
	v_fmac_f32_e32 v37, v23, v18
	v_fma_f32 v22, v22, v18, -v36
	v_fma_f32 v23, v20, v18, -v38
	;; [unrolled: 1-line block ×3, first 2 shown]
	v_fmac_f32_e32 v27, v26, v19
	v_mul_f32_e32 v43, v29, v17
	v_dual_mul_f32 v29, v29, v16 :: v_dual_sub_f32 v10, v10, v37
	v_mul_f32_e32 v45, v33, v17
	v_fma_f32 v18, v24, v18, -v40
	v_fmac_f32_e32 v25, v24, v19
	v_mul_f32_e32 v33, v33, v16
	v_fma_f32 v19, v30, v16, -v41
	v_fmac_f32_e32 v29, v28, v17
	v_fma_f32 v26, v34, v16, -v44
	v_sub_f32_e32 v2, v2, v25
	v_fmac_f32_e32 v35, v34, v17
	v_fmac_f32_e32 v33, v32, v17
	v_sub_f32_e32 v7, v7, v23
	v_dual_sub_f32 v3, v3, v20 :: v_dual_sub_f32 v4, v4, v27
	v_fma_f32 v24, v28, v16, -v43
	v_sub_f32_e32 v9, v9, v22
	v_sub_f32_e32 v1, v1, v18
	;; [unrolled: 1-line block ×4, first 2 shown]
	v_fma_f32 v16, v32, v16, -v45
	v_sub_f32_e32 v9, v9, v19
	v_dual_sub_f32 v7, v7, v24 :: v_dual_sub_f32 v8, v8, v29
	v_sub_f32_e32 v3, v3, v26
	s_delay_alu instid0(VALU_DEP_4)
	v_dual_sub_f32 v1, v1, v16 :: v_dual_sub_f32 v2, v2, v33
	s_cbranch_scc0 .LBB142_82
.LBB142_83:                             ;   in Loop: Header=BB142_81 Depth=1
	s_mul_i32 s21, s5, 0x48
	s_delay_alu instid0(SALU_CYCLE_1)
	v_dual_mov_b32 v5, s21 :: v_dual_add_nc_u32 v18, 0x200, v5
	v_add_nc_u32_e32 v16, 0x200, v11
	v_add_nc_u32_e32 v15, 0x200, v12
	;; [unrolled: 1-line block ×3, first 2 shown]
	ds_load_b64 v[11:12], v5
	s_waitcnt lgkmcnt(0)
	v_cmp_gt_f32_e32 vcc_lo, 0, v11
	v_cndmask_b32_e64 v5, v11, -v11, vcc_lo
	v_cmp_gt_f32_e32 vcc_lo, 0, v12
	v_cndmask_b32_e64 v6, v12, -v12, vcc_lo
	s_delay_alu instid0(VALU_DEP_1)
	v_cmp_ngt_f32_e32 vcc_lo, v5, v6
	s_cbranch_vccz .LBB142_85
; %bb.84:                               ;   in Loop: Header=BB142_81 Depth=1
	v_div_scale_f32 v5, null, v12, v12, v11
	v_div_scale_f32 v20, vcc_lo, v11, v12, v11
	s_delay_alu instid0(VALU_DEP_2) | instskip(SKIP_2) | instid1(VALU_DEP_1)
	v_rcp_f32_e32 v6, v5
	s_waitcnt_depctr 0xfff
	v_fma_f32 v19, -v5, v6, 1.0
	v_fmac_f32_e32 v6, v19, v6
	s_delay_alu instid0(VALU_DEP_1) | instskip(NEXT) | instid1(VALU_DEP_1)
	v_mul_f32_e32 v19, v20, v6
	v_fma_f32 v21, -v5, v19, v20
	s_delay_alu instid0(VALU_DEP_1) | instskip(NEXT) | instid1(VALU_DEP_1)
	v_fmac_f32_e32 v19, v21, v6
	v_fma_f32 v5, -v5, v19, v20
	s_delay_alu instid0(VALU_DEP_1) | instskip(NEXT) | instid1(VALU_DEP_1)
	v_div_fmas_f32 v5, v5, v6, v19
	v_div_fixup_f32 v5, v5, v12, v11
	s_delay_alu instid0(VALU_DEP_1) | instskip(NEXT) | instid1(VALU_DEP_1)
	v_fma_f32 v6, v11, v5, v12
	v_div_scale_f32 v19, null, v6, v6, 1.0
	v_div_scale_f32 v22, vcc_lo, 1.0, v6, 1.0
	s_delay_alu instid0(VALU_DEP_2) | instskip(SKIP_2) | instid1(VALU_DEP_1)
	v_rcp_f32_e32 v20, v19
	s_waitcnt_depctr 0xfff
	v_fma_f32 v21, -v19, v20, 1.0
	v_fmac_f32_e32 v20, v21, v20
	s_delay_alu instid0(VALU_DEP_1) | instskip(NEXT) | instid1(VALU_DEP_1)
	v_mul_f32_e32 v21, v22, v20
	v_fma_f32 v23, -v19, v21, v22
	s_delay_alu instid0(VALU_DEP_1) | instskip(NEXT) | instid1(VALU_DEP_1)
	v_fmac_f32_e32 v21, v23, v20
	v_fma_f32 v19, -v19, v21, v22
	s_delay_alu instid0(VALU_DEP_1) | instskip(SKIP_1) | instid1(VALU_DEP_2)
	v_div_fmas_f32 v19, v19, v20, v21
	v_fma_f32 v20, v9, v5, v10
	v_div_fixup_f32 v6, v19, v6, 1.0
	v_fma_f32 v19, v10, v5, -v9
	s_delay_alu instid0(VALU_DEP_2) | instskip(NEXT) | instid1(VALU_DEP_2)
	v_mul_f32_e32 v5, v20, v6
	v_mul_f32_e32 v6, v19, v6
	s_cbranch_execz .LBB142_86
	s_branch .LBB142_87
.LBB142_85:                             ;   in Loop: Header=BB142_81 Depth=1
                                        ; implicit-def: $vgpr6
.LBB142_86:                             ;   in Loop: Header=BB142_81 Depth=1
	v_div_scale_f32 v5, null, v11, v11, v12
	v_div_scale_f32 v20, vcc_lo, v12, v11, v12
	s_delay_alu instid0(VALU_DEP_2) | instskip(SKIP_2) | instid1(VALU_DEP_1)
	v_rcp_f32_e32 v6, v5
	s_waitcnt_depctr 0xfff
	v_fma_f32 v19, -v5, v6, 1.0
	v_fmac_f32_e32 v6, v19, v6
	s_delay_alu instid0(VALU_DEP_1) | instskip(NEXT) | instid1(VALU_DEP_1)
	v_mul_f32_e32 v19, v20, v6
	v_fma_f32 v21, -v5, v19, v20
	s_delay_alu instid0(VALU_DEP_1) | instskip(NEXT) | instid1(VALU_DEP_1)
	v_fmac_f32_e32 v19, v21, v6
	v_fma_f32 v5, -v5, v19, v20
	s_delay_alu instid0(VALU_DEP_1) | instskip(NEXT) | instid1(VALU_DEP_1)
	v_div_fmas_f32 v5, v5, v6, v19
	v_div_fixup_f32 v5, v5, v11, v12
	s_delay_alu instid0(VALU_DEP_1) | instskip(NEXT) | instid1(VALU_DEP_1)
	v_fmac_f32_e32 v11, v12, v5
	v_div_scale_f32 v6, null, v11, v11, 1.0
	v_div_scale_f32 v20, vcc_lo, 1.0, v11, 1.0
	s_delay_alu instid0(VALU_DEP_2) | instskip(SKIP_2) | instid1(VALU_DEP_1)
	v_rcp_f32_e32 v12, v6
	s_waitcnt_depctr 0xfff
	v_fma_f32 v19, -v6, v12, 1.0
	v_fmac_f32_e32 v12, v19, v12
	s_delay_alu instid0(VALU_DEP_1) | instskip(NEXT) | instid1(VALU_DEP_1)
	v_mul_f32_e32 v19, v20, v12
	v_fma_f32 v21, -v6, v19, v20
	s_delay_alu instid0(VALU_DEP_1) | instskip(NEXT) | instid1(VALU_DEP_1)
	v_fmac_f32_e32 v19, v21, v12
	v_fma_f32 v6, -v6, v19, v20
	s_delay_alu instid0(VALU_DEP_1) | instskip(SKIP_2) | instid1(VALU_DEP_3)
	v_div_fmas_f32 v6, v6, v12, v19
	v_fma_f32 v12, v10, v5, v9
	v_fma_f32 v9, -v9, v5, v10
	v_div_fixup_f32 v6, v6, v11, 1.0
	s_delay_alu instid0(VALU_DEP_1) | instskip(NEXT) | instid1(VALU_DEP_3)
	v_mul_f32_e32 v5, v12, v6
	v_mul_f32_e32 v6, v9, v6
.LBB142_87:                             ;   in Loop: Header=BB142_81 Depth=1
	s_add_i32 s17, s14, s17
	s_delay_alu instid0(SALU_CYCLE_1) | instskip(SKIP_1) | instid1(SALU_CYCLE_1)
	s_lshl_b32 s22, s17, 3
	s_add_i32 s17, s21, 0xffffffb8
	v_dual_mov_b32 v9, s22 :: v_dual_mov_b32 v10, s17
	ds_load_b64 v[11:12], v9
	ds_load_b64 v[9:10], v10
	ds_store_b64 v18, v[5:6]
	s_waitcnt lgkmcnt(2)
	v_mul_f32_e32 v19, v6, v12
	s_waitcnt lgkmcnt(1)
	v_cmp_gt_f32_e32 vcc_lo, 0, v9
	s_delay_alu instid0(VALU_DEP_2) | instskip(SKIP_4) | instid1(VALU_DEP_2)
	v_fma_f32 v19, v5, v11, -v19
	v_cndmask_b32_e64 v20, v9, -v9, vcc_lo
	v_cmp_gt_f32_e32 vcc_lo, 0, v10
	v_mul_f32_e32 v12, v5, v12
	v_cndmask_b32_e64 v21, v10, -v10, vcc_lo
	v_fmac_f32_e32 v12, v6, v11
	v_sub_f32_e32 v11, v7, v19
	s_delay_alu instid0(VALU_DEP_3) | instskip(NEXT) | instid1(VALU_DEP_3)
	v_cmp_ngt_f32_e32 vcc_lo, v20, v21
	v_sub_f32_e32 v12, v8, v12
	s_cbranch_vccz .LBB142_89
; %bb.88:                               ;   in Loop: Header=BB142_81 Depth=1
	v_div_scale_f32 v7, null, v10, v10, v9
	v_div_scale_f32 v19, vcc_lo, v9, v10, v9
	s_delay_alu instid0(VALU_DEP_2) | instskip(SKIP_2) | instid1(VALU_DEP_1)
	v_rcp_f32_e32 v8, v7
	s_waitcnt_depctr 0xfff
	v_fma_f32 v18, -v7, v8, 1.0
	v_fmac_f32_e32 v8, v18, v8
	s_delay_alu instid0(VALU_DEP_1) | instskip(NEXT) | instid1(VALU_DEP_1)
	v_mul_f32_e32 v18, v19, v8
	v_fma_f32 v20, -v7, v18, v19
	s_delay_alu instid0(VALU_DEP_1) | instskip(NEXT) | instid1(VALU_DEP_1)
	v_fmac_f32_e32 v18, v20, v8
	v_fma_f32 v7, -v7, v18, v19
	s_delay_alu instid0(VALU_DEP_1) | instskip(NEXT) | instid1(VALU_DEP_1)
	v_div_fmas_f32 v7, v7, v8, v18
	v_div_fixup_f32 v7, v7, v10, v9
	s_delay_alu instid0(VALU_DEP_1) | instskip(NEXT) | instid1(VALU_DEP_1)
	v_fma_f32 v8, v9, v7, v10
	v_div_scale_f32 v18, null, v8, v8, 1.0
	v_div_scale_f32 v21, vcc_lo, 1.0, v8, 1.0
	s_delay_alu instid0(VALU_DEP_2) | instskip(SKIP_2) | instid1(VALU_DEP_1)
	v_rcp_f32_e32 v19, v18
	s_waitcnt_depctr 0xfff
	v_fma_f32 v20, -v18, v19, 1.0
	v_fmac_f32_e32 v19, v20, v19
	s_delay_alu instid0(VALU_DEP_1) | instskip(NEXT) | instid1(VALU_DEP_1)
	v_mul_f32_e32 v20, v21, v19
	v_fma_f32 v22, -v18, v20, v21
	s_delay_alu instid0(VALU_DEP_1) | instskip(NEXT) | instid1(VALU_DEP_1)
	v_fmac_f32_e32 v20, v22, v19
	v_fma_f32 v18, -v18, v20, v21
	s_delay_alu instid0(VALU_DEP_1) | instskip(SKIP_1) | instid1(VALU_DEP_2)
	v_div_fmas_f32 v18, v18, v19, v20
	v_fma_f32 v19, v7, v11, v12
	v_div_fixup_f32 v8, v18, v8, 1.0
	v_fma_f32 v18, v7, v12, -v11
	s_delay_alu instid0(VALU_DEP_2) | instskip(NEXT) | instid1(VALU_DEP_2)
	v_mul_f32_e32 v7, v19, v8
	v_mul_f32_e32 v8, v18, v8
	s_cbranch_execz .LBB142_90
	s_branch .LBB142_91
.LBB142_89:                             ;   in Loop: Header=BB142_81 Depth=1
                                        ; implicit-def: $vgpr8
.LBB142_90:                             ;   in Loop: Header=BB142_81 Depth=1
	v_div_scale_f32 v7, null, v9, v9, v10
	v_div_scale_f32 v19, vcc_lo, v10, v9, v10
	s_delay_alu instid0(VALU_DEP_2) | instskip(SKIP_2) | instid1(VALU_DEP_1)
	v_rcp_f32_e32 v8, v7
	s_waitcnt_depctr 0xfff
	v_fma_f32 v18, -v7, v8, 1.0
	v_fmac_f32_e32 v8, v18, v8
	s_delay_alu instid0(VALU_DEP_1) | instskip(NEXT) | instid1(VALU_DEP_1)
	v_mul_f32_e32 v18, v19, v8
	v_fma_f32 v20, -v7, v18, v19
	s_delay_alu instid0(VALU_DEP_1) | instskip(NEXT) | instid1(VALU_DEP_1)
	v_fmac_f32_e32 v18, v20, v8
	v_fma_f32 v7, -v7, v18, v19
	s_delay_alu instid0(VALU_DEP_1) | instskip(NEXT) | instid1(VALU_DEP_1)
	v_div_fmas_f32 v7, v7, v8, v18
	v_div_fixup_f32 v7, v7, v9, v10
	s_delay_alu instid0(VALU_DEP_1) | instskip(NEXT) | instid1(VALU_DEP_1)
	v_fmac_f32_e32 v9, v10, v7
	v_div_scale_f32 v8, null, v9, v9, 1.0
	v_div_scale_f32 v19, vcc_lo, 1.0, v9, 1.0
	s_delay_alu instid0(VALU_DEP_2) | instskip(SKIP_2) | instid1(VALU_DEP_1)
	v_rcp_f32_e32 v10, v8
	s_waitcnt_depctr 0xfff
	v_fma_f32 v18, -v8, v10, 1.0
	v_fmac_f32_e32 v10, v18, v10
	s_delay_alu instid0(VALU_DEP_1) | instskip(NEXT) | instid1(VALU_DEP_1)
	v_mul_f32_e32 v18, v19, v10
	v_fma_f32 v20, -v8, v18, v19
	s_delay_alu instid0(VALU_DEP_1) | instskip(NEXT) | instid1(VALU_DEP_1)
	v_fmac_f32_e32 v18, v20, v10
	v_fma_f32 v8, -v8, v18, v19
	s_delay_alu instid0(VALU_DEP_1) | instskip(SKIP_1) | instid1(VALU_DEP_2)
	v_div_fmas_f32 v8, v8, v10, v18
	v_fma_f32 v10, v7, v12, v11
	v_div_fixup_f32 v8, v8, v9, 1.0
	v_fma_f32 v9, -v7, v11, v12
	s_delay_alu instid0(VALU_DEP_2) | instskip(NEXT) | instid1(VALU_DEP_2)
	v_mul_f32_e32 v7, v10, v8
	v_mul_f32_e32 v8, v9, v8
.LBB142_91:                             ;   in Loop: Header=BB142_81 Depth=1
	s_add_i32 s21, s14, s16
	s_add_i32 s16, s10, s16
	s_lshl_b32 s21, s21, 3
	s_lshl_b32 s22, s16, 3
	s_delay_alu instid0(SALU_CYCLE_1) | instskip(SKIP_1) | instid1(SALU_CYCLE_1)
	v_dual_mov_b32 v9, s21 :: v_dual_mov_b32 v10, s22
	s_add_i32 s16, s17, 0xffffffb8
	v_mov_b32_e32 v20, s16
	ds_load_b64 v[11:12], v9
	ds_load_b64 v[18:19], v10
	;; [unrolled: 1-line block ×3, first 2 shown]
	ds_store_b64 v17, v[7:8]
	s_waitcnt lgkmcnt(2)
	v_dual_mul_f32 v20, v6, v12 :: v_dual_mul_f32 v21, v8, v19
	v_mul_f32_e32 v19, v7, v19
	s_waitcnt lgkmcnt(1)
	v_cmp_gt_f32_e32 vcc_lo, 0, v9
	v_mul_f32_e32 v12, v5, v12
	v_fma_f32 v20, v5, v11, -v20
	v_fma_f32 v21, v7, v18, -v21
	v_fmac_f32_e32 v19, v8, v18
	v_cndmask_b32_e64 v22, v9, -v9, vcc_lo
	v_cmp_gt_f32_e32 vcc_lo, 0, v10
	v_dual_fmac_f32 v12, v6, v11 :: v_dual_sub_f32 v3, v3, v20
	v_cndmask_b32_e64 v11, v10, -v10, vcc_lo
	s_delay_alu instid0(VALU_DEP_2) | instskip(NEXT) | instid1(VALU_DEP_2)
	v_dual_sub_f32 v4, v4, v12 :: v_dual_sub_f32 v3, v3, v21
	v_cmp_ngt_f32_e32 vcc_lo, v22, v11
	s_delay_alu instid0(VALU_DEP_2)
	v_sub_f32_e32 v4, v4, v19
	s_cbranch_vccz .LBB142_93
; %bb.92:                               ;   in Loop: Header=BB142_81 Depth=1
	v_div_scale_f32 v11, null, v10, v10, v9
	v_div_scale_f32 v18, vcc_lo, v9, v10, v9
	s_delay_alu instid0(VALU_DEP_2) | instskip(SKIP_2) | instid1(VALU_DEP_1)
	v_rcp_f32_e32 v12, v11
	s_waitcnt_depctr 0xfff
	v_fma_f32 v17, -v11, v12, 1.0
	v_fmac_f32_e32 v12, v17, v12
	s_delay_alu instid0(VALU_DEP_1) | instskip(NEXT) | instid1(VALU_DEP_1)
	v_mul_f32_e32 v17, v18, v12
	v_fma_f32 v19, -v11, v17, v18
	s_delay_alu instid0(VALU_DEP_1) | instskip(NEXT) | instid1(VALU_DEP_1)
	v_fmac_f32_e32 v17, v19, v12
	v_fma_f32 v11, -v11, v17, v18
	s_delay_alu instid0(VALU_DEP_1) | instskip(NEXT) | instid1(VALU_DEP_1)
	v_div_fmas_f32 v11, v11, v12, v17
	v_div_fixup_f32 v11, v11, v10, v9
	s_delay_alu instid0(VALU_DEP_1) | instskip(NEXT) | instid1(VALU_DEP_1)
	v_fma_f32 v12, v9, v11, v10
	v_div_scale_f32 v17, null, v12, v12, 1.0
	v_div_scale_f32 v20, vcc_lo, 1.0, v12, 1.0
	s_delay_alu instid0(VALU_DEP_2) | instskip(SKIP_2) | instid1(VALU_DEP_1)
	v_rcp_f32_e32 v18, v17
	s_waitcnt_depctr 0xfff
	v_fma_f32 v19, -v17, v18, 1.0
	v_fmac_f32_e32 v18, v19, v18
	s_delay_alu instid0(VALU_DEP_1) | instskip(NEXT) | instid1(VALU_DEP_1)
	v_mul_f32_e32 v19, v20, v18
	v_fma_f32 v21, -v17, v19, v20
	s_delay_alu instid0(VALU_DEP_1) | instskip(NEXT) | instid1(VALU_DEP_1)
	v_fmac_f32_e32 v19, v21, v18
	v_fma_f32 v17, -v17, v19, v20
	s_delay_alu instid0(VALU_DEP_1) | instskip(SKIP_1) | instid1(VALU_DEP_2)
	v_div_fmas_f32 v17, v17, v18, v19
	v_fma_f32 v18, v11, v3, v4
	v_div_fixup_f32 v12, v17, v12, 1.0
	v_fma_f32 v17, v11, v4, -v3
	s_delay_alu instid0(VALU_DEP_2) | instskip(NEXT) | instid1(VALU_DEP_2)
	v_mul_f32_e32 v11, v18, v12
	v_mul_f32_e32 v12, v17, v12
	s_cbranch_execz .LBB142_94
	s_branch .LBB142_95
.LBB142_93:                             ;   in Loop: Header=BB142_81 Depth=1
                                        ; implicit-def: $vgpr12
.LBB142_94:                             ;   in Loop: Header=BB142_81 Depth=1
	v_div_scale_f32 v11, null, v9, v9, v10
	v_div_scale_f32 v18, vcc_lo, v10, v9, v10
	s_delay_alu instid0(VALU_DEP_2) | instskip(SKIP_2) | instid1(VALU_DEP_1)
	v_rcp_f32_e32 v12, v11
	s_waitcnt_depctr 0xfff
	v_fma_f32 v17, -v11, v12, 1.0
	v_fmac_f32_e32 v12, v17, v12
	s_delay_alu instid0(VALU_DEP_1) | instskip(NEXT) | instid1(VALU_DEP_1)
	v_mul_f32_e32 v17, v18, v12
	v_fma_f32 v19, -v11, v17, v18
	s_delay_alu instid0(VALU_DEP_1) | instskip(NEXT) | instid1(VALU_DEP_1)
	v_fmac_f32_e32 v17, v19, v12
	v_fma_f32 v11, -v11, v17, v18
	s_delay_alu instid0(VALU_DEP_1) | instskip(NEXT) | instid1(VALU_DEP_1)
	v_div_fmas_f32 v11, v11, v12, v17
	v_div_fixup_f32 v11, v11, v9, v10
	s_delay_alu instid0(VALU_DEP_1) | instskip(NEXT) | instid1(VALU_DEP_1)
	v_fmac_f32_e32 v9, v10, v11
	v_div_scale_f32 v10, null, v9, v9, 1.0
	v_div_scale_f32 v18, vcc_lo, 1.0, v9, 1.0
	s_delay_alu instid0(VALU_DEP_2) | instskip(SKIP_2) | instid1(VALU_DEP_1)
	v_rcp_f32_e32 v12, v10
	s_waitcnt_depctr 0xfff
	v_fma_f32 v17, -v10, v12, 1.0
	v_fmac_f32_e32 v12, v17, v12
	s_delay_alu instid0(VALU_DEP_1) | instskip(NEXT) | instid1(VALU_DEP_1)
	v_mul_f32_e32 v17, v18, v12
	v_fma_f32 v19, -v10, v17, v18
	s_delay_alu instid0(VALU_DEP_1) | instskip(NEXT) | instid1(VALU_DEP_1)
	v_fmac_f32_e32 v17, v19, v12
	v_fma_f32 v10, -v10, v17, v18
	s_delay_alu instid0(VALU_DEP_1) | instskip(SKIP_2) | instid1(VALU_DEP_3)
	v_div_fmas_f32 v10, v10, v12, v17
	v_fma_f32 v12, v11, v4, v3
	v_fma_f32 v3, -v11, v3, v4
	v_div_fixup_f32 v9, v10, v9, 1.0
	s_delay_alu instid0(VALU_DEP_1) | instskip(NEXT) | instid1(VALU_DEP_3)
	v_mul_f32_e32 v11, v12, v9
	v_mul_f32_e32 v12, v3, v9
.LBB142_95:                             ;   in Loop: Header=BB142_81 Depth=1
	s_add_i32 s14, s14, s15
	s_add_i32 s10, s10, s15
	s_lshl_b32 s14, s14, 3
	s_lshl_b32 s10, s10, 3
	s_delay_alu instid0(SALU_CYCLE_1) | instskip(SKIP_1) | instid1(SALU_CYCLE_1)
	v_dual_mov_b32 v3, s14 :: v_dual_mov_b32 v4, s10
	s_add_i32 s9, s9, s15
	s_lshl_b32 s9, s9, 3
	ds_load_b64 v[9:10], v3
	ds_load_b64 v[17:18], v4
	v_mov_b32_e32 v19, s9
	s_add_i32 s9, s16, 0xffffffb8
	s_delay_alu instid0(SALU_CYCLE_1)
	v_mov_b32_e32 v3, s9
	s_waitcnt lgkmcnt(1)
	v_mul_f32_e32 v21, v6, v10
	v_mul_f32_e32 v10, v5, v10
	s_waitcnt lgkmcnt(0)
	v_mul_f32_e32 v22, v8, v18
	ds_load_b64 v[19:20], v19
	ds_load_b64 v[3:4], v3
	v_mul_f32_e32 v18, v7, v18
	ds_store_b64 v16, v[11:12]
	v_fma_f32 v7, v7, v17, -v22
	s_waitcnt lgkmcnt(2)
	v_mul_f32_e32 v23, v12, v20
	v_mul_f32_e32 v20, v11, v20
	v_fma_f32 v5, v5, v9, -v21
	s_waitcnt lgkmcnt(1)
	v_cmp_gt_f32_e32 vcc_lo, 0, v3
	s_delay_alu instid0(VALU_DEP_2) | instskip(SKIP_3) | instid1(VALU_DEP_4)
	v_dual_fmac_f32 v20, v12, v19 :: v_dual_sub_f32 v1, v1, v5
	v_fmac_f32_e32 v10, v6, v9
	v_cndmask_b32_e64 v6, v3, -v3, vcc_lo
	v_cmp_gt_f32_e32 vcc_lo, 0, v4
	v_dual_sub_f32 v1, v1, v7 :: v_dual_fmac_f32 v18, v8, v17
	s_delay_alu instid0(VALU_DEP_4) | instskip(SKIP_2) | instid1(VALU_DEP_2)
	v_sub_f32_e32 v2, v2, v10
	v_cndmask_b32_e64 v5, v4, -v4, vcc_lo
	v_fma_f32 v8, v11, v19, -v23
	v_cmp_ngt_f32_e32 vcc_lo, v6, v5
	s_delay_alu instid0(VALU_DEP_2) | instskip(NEXT) | instid1(VALU_DEP_1)
	v_dual_sub_f32 v5, v1, v8 :: v_dual_sub_f32 v2, v2, v18
	v_sub_f32_e32 v6, v2, v20
	s_cbranch_vccz .LBB142_97
; %bb.96:                               ;   in Loop: Header=BB142_81 Depth=1
	v_div_scale_f32 v1, null, v4, v4, v3
	v_div_scale_f32 v8, vcc_lo, v3, v4, v3
	s_delay_alu instid0(VALU_DEP_2) | instskip(SKIP_2) | instid1(VALU_DEP_1)
	v_rcp_f32_e32 v2, v1
	s_waitcnt_depctr 0xfff
	v_fma_f32 v7, -v1, v2, 1.0
	v_fmac_f32_e32 v2, v7, v2
	s_delay_alu instid0(VALU_DEP_1) | instskip(NEXT) | instid1(VALU_DEP_1)
	v_mul_f32_e32 v7, v8, v2
	v_fma_f32 v9, -v1, v7, v8
	s_delay_alu instid0(VALU_DEP_1) | instskip(NEXT) | instid1(VALU_DEP_1)
	v_fmac_f32_e32 v7, v9, v2
	v_fma_f32 v1, -v1, v7, v8
	s_delay_alu instid0(VALU_DEP_1) | instskip(NEXT) | instid1(VALU_DEP_1)
	v_div_fmas_f32 v1, v1, v2, v7
	v_div_fixup_f32 v1, v1, v4, v3
	s_delay_alu instid0(VALU_DEP_1) | instskip(NEXT) | instid1(VALU_DEP_1)
	v_fma_f32 v2, v3, v1, v4
	v_div_scale_f32 v7, null, v2, v2, 1.0
	v_div_scale_f32 v10, vcc_lo, 1.0, v2, 1.0
	s_delay_alu instid0(VALU_DEP_2) | instskip(SKIP_2) | instid1(VALU_DEP_1)
	v_rcp_f32_e32 v8, v7
	s_waitcnt_depctr 0xfff
	v_fma_f32 v9, -v7, v8, 1.0
	v_fmac_f32_e32 v8, v9, v8
	s_delay_alu instid0(VALU_DEP_1) | instskip(NEXT) | instid1(VALU_DEP_1)
	v_mul_f32_e32 v9, v10, v8
	v_fma_f32 v11, -v7, v9, v10
	s_delay_alu instid0(VALU_DEP_1) | instskip(NEXT) | instid1(VALU_DEP_1)
	v_fmac_f32_e32 v9, v11, v8
	v_fma_f32 v7, -v7, v9, v10
	s_delay_alu instid0(VALU_DEP_1) | instskip(SKIP_1) | instid1(VALU_DEP_2)
	v_div_fmas_f32 v7, v7, v8, v9
	v_fma_f32 v8, v1, v5, v6
	v_div_fixup_f32 v2, v7, v2, 1.0
	v_fma_f32 v7, v1, v6, -v5
	s_delay_alu instid0(VALU_DEP_2) | instskip(NEXT) | instid1(VALU_DEP_2)
	v_mul_f32_e32 v1, v8, v2
	v_mul_f32_e32 v2, v7, v2
	s_cbranch_execz .LBB142_98
	s_branch .LBB142_99
.LBB142_97:                             ;   in Loop: Header=BB142_81 Depth=1
                                        ; implicit-def: $vgpr2
.LBB142_98:                             ;   in Loop: Header=BB142_81 Depth=1
	v_div_scale_f32 v1, null, v3, v3, v4
	v_div_scale_f32 v8, vcc_lo, v4, v3, v4
	s_delay_alu instid0(VALU_DEP_2) | instskip(SKIP_2) | instid1(VALU_DEP_1)
	v_rcp_f32_e32 v2, v1
	s_waitcnt_depctr 0xfff
	v_fma_f32 v7, -v1, v2, 1.0
	v_fmac_f32_e32 v2, v7, v2
	s_delay_alu instid0(VALU_DEP_1) | instskip(NEXT) | instid1(VALU_DEP_1)
	v_mul_f32_e32 v7, v8, v2
	v_fma_f32 v9, -v1, v7, v8
	s_delay_alu instid0(VALU_DEP_1) | instskip(NEXT) | instid1(VALU_DEP_1)
	v_fmac_f32_e32 v7, v9, v2
	v_fma_f32 v1, -v1, v7, v8
	s_delay_alu instid0(VALU_DEP_1) | instskip(NEXT) | instid1(VALU_DEP_1)
	v_div_fmas_f32 v1, v1, v2, v7
	v_div_fixup_f32 v1, v1, v3, v4
	s_delay_alu instid0(VALU_DEP_1) | instskip(NEXT) | instid1(VALU_DEP_1)
	v_fmac_f32_e32 v3, v4, v1
	v_div_scale_f32 v2, null, v3, v3, 1.0
	v_div_scale_f32 v8, vcc_lo, 1.0, v3, 1.0
	s_delay_alu instid0(VALU_DEP_2) | instskip(SKIP_2) | instid1(VALU_DEP_1)
	v_rcp_f32_e32 v4, v2
	s_waitcnt_depctr 0xfff
	v_fma_f32 v7, -v2, v4, 1.0
	v_fmac_f32_e32 v4, v7, v4
	s_delay_alu instid0(VALU_DEP_1) | instskip(NEXT) | instid1(VALU_DEP_1)
	v_mul_f32_e32 v7, v8, v4
	v_fma_f32 v9, -v2, v7, v8
	s_delay_alu instid0(VALU_DEP_1) | instskip(NEXT) | instid1(VALU_DEP_1)
	v_fmac_f32_e32 v7, v9, v4
	v_fma_f32 v2, -v2, v7, v8
	s_delay_alu instid0(VALU_DEP_1) | instskip(SKIP_1) | instid1(VALU_DEP_2)
	v_div_fmas_f32 v2, v2, v4, v7
	v_fma_f32 v4, v1, v6, v5
	v_div_fixup_f32 v2, v2, v3, 1.0
	v_fma_f32 v3, -v1, v5, v6
	s_delay_alu instid0(VALU_DEP_2) | instskip(NEXT) | instid1(VALU_DEP_2)
	v_mul_f32_e32 v1, v4, v2
	v_mul_f32_e32 v2, v3, v2
.LBB142_99:                             ;   in Loop: Header=BB142_81 Depth=1
	s_add_i32 s9, s5, -4
	s_sub_i32 s4, s4, 32
	s_cmp_lt_i32 s5, 7
	ds_store_b64 v15, v[1:2]
	s_cbranch_scc1 .LBB142_101
; %bb.100:                              ;   in Loop: Header=BB142_81 Depth=1
	s_mov_b32 s5, s9
	s_branch .LBB142_81
.LBB142_101:
	s_cmp_lt_i32 s9, 0
	s_cbranch_scc1 .LBB142_110
; %bb.102:
	s_lshl_b32 s4, s11, 6
	s_lshl_b32 s5, s9, 3
	v_lshl_or_b32 v1, v0, 3, s4
	v_lshlrev_b32_e32 v8, 3, v0
	s_add_i32 s4, s4, s5
	s_delay_alu instid0(SALU_CYCLE_1) | instskip(NEXT) | instid1(VALU_DEP_2)
	s_sub_i32 s4, s4, 64
	v_add_nc_u32_e32 v7, 0x1c0, v1
	s_branch .LBB142_104
.LBB142_103:                            ;   in Loop: Header=BB142_104 Depth=1
	s_add_i32 s5, s9, -1
	s_add_i32 s4, s4, -8
	s_cmp_lt_i32 s9, 1
	s_mov_b32 s9, s5
	ds_store_b64 v9, v[5:6]
	s_cbranch_scc1 .LBB142_110
.LBB142_104:                            ; =>This Loop Header: Depth=1
                                        ;     Child Loop BB142_105 Depth 2
	v_lshl_or_b32 v3, s9, 6, v8
	s_delay_alu instid0(VALU_DEP_2)
	v_mov_b32_e32 v4, v7
	s_cmp_le_i32 s30, s9
	s_mov_b32 s5, s4
	s_mov_b32 s10, s30
	ds_load_b64 v[1:2], v3 offset:512
	s_cbranch_scc1 .LBB142_106
	.p2align	6
.LBB142_105:                            ;   Parent Loop BB142_104 Depth=1
                                        ; =>  This Inner Loop Header: Depth=2
	v_mov_b32_e32 v9, s5
	s_add_i32 s10, s10, -1
	s_sub_i32 s5, s5, 64
	s_cmp_le_i32 s10, s9
	ds_load_b64 v[5:6], v4
	ds_load_b64 v[9:10], v9
	v_subrev_nc_u32_e32 v4, 64, v4
	s_waitcnt lgkmcnt(0)
	v_mul_f32_e32 v11, v10, v6
	v_mul_f32_e32 v6, v9, v6
	s_delay_alu instid0(VALU_DEP_2) | instskip(NEXT) | instid1(VALU_DEP_2)
	v_fma_f32 v9, v9, v5, -v11
	v_fmac_f32_e32 v6, v10, v5
	s_delay_alu instid0(VALU_DEP_1)
	v_dual_sub_f32 v1, v1, v9 :: v_dual_sub_f32 v2, v2, v6
	s_cbranch_scc0 .LBB142_105
.LBB142_106:                            ;   in Loop: Header=BB142_104 Depth=1
	s_mul_i32 s5, s9, 0x48
	v_add_nc_u32_e32 v9, 0x200, v3
	v_mov_b32_e32 v3, s5
	ds_load_b64 v[3:4], v3
	s_waitcnt lgkmcnt(0)
	v_cmp_gt_f32_e32 vcc_lo, 0, v3
	v_cndmask_b32_e64 v5, v3, -v3, vcc_lo
	v_cmp_gt_f32_e32 vcc_lo, 0, v4
	v_cndmask_b32_e64 v6, v4, -v4, vcc_lo
	s_delay_alu instid0(VALU_DEP_1)
	v_cmp_ngt_f32_e32 vcc_lo, v5, v6
	s_cbranch_vccz .LBB142_108
; %bb.107:                              ;   in Loop: Header=BB142_104 Depth=1
	v_div_scale_f32 v5, null, v4, v4, v3
	v_div_scale_f32 v11, vcc_lo, v3, v4, v3
	s_delay_alu instid0(VALU_DEP_2) | instskip(SKIP_2) | instid1(VALU_DEP_1)
	v_rcp_f32_e32 v6, v5
	s_waitcnt_depctr 0xfff
	v_fma_f32 v10, -v5, v6, 1.0
	v_fmac_f32_e32 v6, v10, v6
	s_delay_alu instid0(VALU_DEP_1) | instskip(NEXT) | instid1(VALU_DEP_1)
	v_mul_f32_e32 v10, v11, v6
	v_fma_f32 v12, -v5, v10, v11
	s_delay_alu instid0(VALU_DEP_1) | instskip(NEXT) | instid1(VALU_DEP_1)
	v_fmac_f32_e32 v10, v12, v6
	v_fma_f32 v5, -v5, v10, v11
	s_delay_alu instid0(VALU_DEP_1) | instskip(NEXT) | instid1(VALU_DEP_1)
	v_div_fmas_f32 v5, v5, v6, v10
	v_div_fixup_f32 v5, v5, v4, v3
	s_delay_alu instid0(VALU_DEP_1) | instskip(NEXT) | instid1(VALU_DEP_1)
	v_fma_f32 v6, v3, v5, v4
	v_div_scale_f32 v10, null, v6, v6, 1.0
	v_div_scale_f32 v13, vcc_lo, 1.0, v6, 1.0
	s_delay_alu instid0(VALU_DEP_2) | instskip(SKIP_2) | instid1(VALU_DEP_1)
	v_rcp_f32_e32 v11, v10
	s_waitcnt_depctr 0xfff
	v_fma_f32 v12, -v10, v11, 1.0
	v_fmac_f32_e32 v11, v12, v11
	s_delay_alu instid0(VALU_DEP_1) | instskip(NEXT) | instid1(VALU_DEP_1)
	v_mul_f32_e32 v12, v13, v11
	v_fma_f32 v14, -v10, v12, v13
	s_delay_alu instid0(VALU_DEP_1) | instskip(NEXT) | instid1(VALU_DEP_1)
	v_fmac_f32_e32 v12, v14, v11
	v_fma_f32 v10, -v10, v12, v13
	s_delay_alu instid0(VALU_DEP_1) | instskip(SKIP_1) | instid1(VALU_DEP_2)
	v_div_fmas_f32 v10, v10, v11, v12
	v_fma_f32 v11, v1, v5, v2
	v_div_fixup_f32 v6, v10, v6, 1.0
	v_fma_f32 v10, v2, v5, -v1
	s_delay_alu instid0(VALU_DEP_2) | instskip(NEXT) | instid1(VALU_DEP_2)
	v_mul_f32_e32 v5, v11, v6
	v_mul_f32_e32 v6, v10, v6
	s_cbranch_execnz .LBB142_103
	s_branch .LBB142_109
.LBB142_108:                            ;   in Loop: Header=BB142_104 Depth=1
                                        ; implicit-def: $vgpr5
.LBB142_109:                            ;   in Loop: Header=BB142_104 Depth=1
	v_div_scale_f32 v5, null, v3, v3, v4
	v_div_scale_f32 v11, vcc_lo, v4, v3, v4
	s_delay_alu instid0(VALU_DEP_2) | instskip(SKIP_2) | instid1(VALU_DEP_1)
	v_rcp_f32_e32 v6, v5
	s_waitcnt_depctr 0xfff
	v_fma_f32 v10, -v5, v6, 1.0
	v_fmac_f32_e32 v6, v10, v6
	s_delay_alu instid0(VALU_DEP_1) | instskip(NEXT) | instid1(VALU_DEP_1)
	v_mul_f32_e32 v10, v11, v6
	v_fma_f32 v12, -v5, v10, v11
	s_delay_alu instid0(VALU_DEP_1) | instskip(NEXT) | instid1(VALU_DEP_1)
	v_fmac_f32_e32 v10, v12, v6
	v_fma_f32 v5, -v5, v10, v11
	s_delay_alu instid0(VALU_DEP_1) | instskip(NEXT) | instid1(VALU_DEP_1)
	v_div_fmas_f32 v5, v5, v6, v10
	v_div_fixup_f32 v5, v5, v3, v4
	s_delay_alu instid0(VALU_DEP_1) | instskip(NEXT) | instid1(VALU_DEP_1)
	v_fmac_f32_e32 v3, v4, v5
	v_div_scale_f32 v4, null, v3, v3, 1.0
	v_div_scale_f32 v11, vcc_lo, 1.0, v3, 1.0
	s_delay_alu instid0(VALU_DEP_2) | instskip(SKIP_2) | instid1(VALU_DEP_1)
	v_rcp_f32_e32 v6, v4
	s_waitcnt_depctr 0xfff
	v_fma_f32 v10, -v4, v6, 1.0
	v_fmac_f32_e32 v6, v10, v6
	s_delay_alu instid0(VALU_DEP_1) | instskip(NEXT) | instid1(VALU_DEP_1)
	v_mul_f32_e32 v10, v11, v6
	v_fma_f32 v12, -v4, v10, v11
	s_delay_alu instid0(VALU_DEP_1) | instskip(NEXT) | instid1(VALU_DEP_1)
	v_fmac_f32_e32 v10, v12, v6
	v_fma_f32 v4, -v4, v10, v11
	s_delay_alu instid0(VALU_DEP_1) | instskip(SKIP_2) | instid1(VALU_DEP_3)
	v_div_fmas_f32 v4, v4, v6, v10
	v_fma_f32 v6, v2, v5, v1
	v_fma_f32 v1, -v1, v5, v2
	v_div_fixup_f32 v3, v4, v3, 1.0
	s_delay_alu instid0(VALU_DEP_1) | instskip(NEXT) | instid1(VALU_DEP_3)
	v_mul_f32_e32 v5, v6, v3
	v_mul_f32_e32 v6, v1, v3
	s_branch .LBB142_103
.LBB142_110:
	s_mov_b32 s4, 0
.LBB142_111:
	s_delay_alu instid0(SALU_CYCLE_1)
	s_and_not1_b32 vcc_lo, exec_lo, s4
	s_cbranch_vccnz .LBB142_143
; %bb.112:
	s_and_not1_b32 vcc_lo, exec_lo, s1
	s_mov_b32 s5, s30
	s_cbranch_vccnz .LBB142_134
; %bb.113:
	v_lshlrev_b32_e32 v13, 3, v0
	s_mul_i32 s1, s11, 0x48
	s_mov_b32 s4, s30
	s_addk_i32 s1, 0xfef0
	s_delay_alu instid0(VALU_DEP_1) | instskip(NEXT) | instid1(VALU_DEP_1)
	v_lshl_or_b32 v1, s11, 6, v13
	v_add_nc_u32_e32 v14, 0x180, v1
.LBB142_114:                            ; =>This Loop Header: Depth=1
                                        ;     Child Loop BB142_115 Depth 2
	s_lshl_b32 s5, s4, 3
	s_add_i32 s9, s4, -1
	v_or_b32_e32 v1, s5, v0
	s_add_i32 s10, s5, -16
	s_sub_i32 s5, s5, 24
	v_or_b32_e32 v2, s10, v0
	v_or_b32_e32 v5, s5, v0
	v_lshlrev_b32_e32 v3, 3, v1
	v_lshl_or_b32 v4, s9, 6, v13
	v_mov_b32_e32 v15, v14
	v_lshlrev_b32_e32 v9, 3, v2
	v_lshlrev_b32_e32 v10, 3, v5
	ds_load_b64 v[1:2], v3 offset:512
	ds_load_b64 v[11:12], v4 offset:512
	;; [unrolled: 1-line block ×4, first 2 shown]
	s_cmp_le_i32 s30, s4
	s_mov_b32 s14, s1
	s_mov_b32 s15, s30
	s_cbranch_scc1 .LBB142_116
.LBB142_115:                            ;   Parent Loop BB142_114 Depth=1
                                        ; =>  This Inner Loop Header: Depth=2
	v_mov_b32_e32 v32, s14
	ds_load_2addr_b64 v[16:19], v15 offset1:8
	v_add_nc_u32_e32 v15, 0xffffff80, v15
	s_add_i32 s15, s15, -2
	s_add_i32 s14, s14, -16
	ds_load_2addr_b64 v[20:23], v32 offset0:24 offset1:25
	ds_load_2addr_b64 v[24:27], v32 offset0:16 offset1:17
	;; [unrolled: 1-line block ×3, first 2 shown]
	ds_load_2addr_b64 v[32:35], v32 offset1:1
	s_cmp_le_i32 s15, s4
	s_waitcnt lgkmcnt(3)
	v_dual_mul_f32 v37, v22, v19 :: v_dual_mul_f32 v42, v20, v17
	s_waitcnt lgkmcnt(2)
	v_dual_mul_f32 v38, v27, v19 :: v_dual_mul_f32 v43, v25, v17
	;; [unrolled: 2-line block ×4, first 2 shown]
	v_dual_mul_f32 v36, v23, v19 :: v_dual_mul_f32 v41, v21, v17
	s_delay_alu instid0(VALU_DEP_3) | instskip(SKIP_1) | instid1(VALU_DEP_4)
	v_fmac_f32_e32 v27, v26, v19
	v_mul_f32_e32 v35, v35, v18
	v_fmac_f32_e32 v25, v24, v17
	v_dual_mul_f32 v39, v31, v19 :: v_dual_fmac_f32 v42, v21, v16
	s_delay_alu instid0(VALU_DEP_4) | instskip(SKIP_2) | instid1(VALU_DEP_4)
	v_dual_sub_f32 v12, v12, v27 :: v_dual_fmac_f32 v37, v23, v18
	v_fma_f32 v22, v22, v18, -v36
	v_fma_f32 v23, v26, v18, -v38
	;; [unrolled: 1-line block ×3, first 2 shown]
	s_delay_alu instid0(VALU_DEP_4) | instskip(SKIP_4) | instid1(VALU_DEP_4)
	v_dual_sub_f32 v12, v12, v25 :: v_dual_mul_f32 v31, v31, v18
	v_sub_f32_e32 v2, v2, v37
	v_fma_f32 v18, v34, v18, -v40
	v_fmac_f32_e32 v35, v34, v19
	v_mul_f32_e32 v45, v33, v17
	v_dual_mul_f32 v33, v33, v16 :: v_dual_sub_f32 v2, v2, v42
	v_fmac_f32_e32 v31, v30, v19
	v_mul_f32_e32 v29, v29, v16
	v_fma_f32 v19, v20, v16, -v41
	v_fma_f32 v20, v24, v16, -v43
	;; [unrolled: 1-line block ×3, first 2 shown]
	v_sub_f32_e32 v8, v8, v31
	v_fmac_f32_e32 v29, v28, v17
	v_fmac_f32_e32 v33, v32, v17
	v_sub_f32_e32 v11, v11, v23
	v_sub_f32_e32 v7, v7, v26
	v_dual_sub_f32 v5, v5, v18 :: v_dual_sub_f32 v6, v6, v35
	v_fma_f32 v16, v32, v16, -v45
	v_sub_f32_e32 v1, v1, v22
	v_sub_f32_e32 v11, v11, v20
	;; [unrolled: 1-line block ×4, first 2 shown]
	s_delay_alu instid0(VALU_DEP_4)
	v_dual_sub_f32 v8, v8, v29 :: v_dual_sub_f32 v1, v1, v19
	v_sub_f32_e32 v5, v5, v16
	s_cbranch_scc0 .LBB142_115
.LBB142_116:                            ;   in Loop: Header=BB142_114 Depth=1
	s_mul_i32 s14, s4, 0x48
	s_delay_alu instid0(SALU_CYCLE_1)
	v_dual_mov_b32 v3, s14 :: v_dual_add_nc_u32 v18, 0x200, v3
	v_add_nc_u32_e32 v17, 0x200, v4
	v_add_nc_u32_e32 v16, 0x200, v9
	;; [unrolled: 1-line block ×3, first 2 shown]
	ds_load_b64 v[3:4], v3
	s_waitcnt lgkmcnt(0)
	v_cmp_gt_f32_e32 vcc_lo, 0, v3
	v_cndmask_b32_e64 v9, v3, -v3, vcc_lo
	v_cmp_gt_f32_e32 vcc_lo, 0, v4
	v_cndmask_b32_e64 v10, v4, -v4, vcc_lo
	s_delay_alu instid0(VALU_DEP_1)
	v_cmp_ngt_f32_e32 vcc_lo, v9, v10
	s_cbranch_vccz .LBB142_118
; %bb.117:                              ;   in Loop: Header=BB142_114 Depth=1
	v_div_scale_f32 v9, null, v4, v4, v3
	v_div_scale_f32 v20, vcc_lo, v3, v4, v3
	s_delay_alu instid0(VALU_DEP_2) | instskip(SKIP_2) | instid1(VALU_DEP_1)
	v_rcp_f32_e32 v10, v9
	s_waitcnt_depctr 0xfff
	v_fma_f32 v19, -v9, v10, 1.0
	v_fmac_f32_e32 v10, v19, v10
	s_delay_alu instid0(VALU_DEP_1) | instskip(NEXT) | instid1(VALU_DEP_1)
	v_mul_f32_e32 v19, v20, v10
	v_fma_f32 v21, -v9, v19, v20
	s_delay_alu instid0(VALU_DEP_1) | instskip(NEXT) | instid1(VALU_DEP_1)
	v_fmac_f32_e32 v19, v21, v10
	v_fma_f32 v9, -v9, v19, v20
	s_delay_alu instid0(VALU_DEP_1) | instskip(NEXT) | instid1(VALU_DEP_1)
	v_div_fmas_f32 v9, v9, v10, v19
	v_div_fixup_f32 v9, v9, v4, v3
	s_delay_alu instid0(VALU_DEP_1) | instskip(NEXT) | instid1(VALU_DEP_1)
	v_fma_f32 v10, v3, v9, v4
	v_div_scale_f32 v19, null, v10, v10, 1.0
	v_div_scale_f32 v22, vcc_lo, 1.0, v10, 1.0
	s_delay_alu instid0(VALU_DEP_2) | instskip(SKIP_2) | instid1(VALU_DEP_1)
	v_rcp_f32_e32 v20, v19
	s_waitcnt_depctr 0xfff
	v_fma_f32 v21, -v19, v20, 1.0
	v_fmac_f32_e32 v20, v21, v20
	s_delay_alu instid0(VALU_DEP_1) | instskip(NEXT) | instid1(VALU_DEP_1)
	v_mul_f32_e32 v21, v22, v20
	v_fma_f32 v23, -v19, v21, v22
	s_delay_alu instid0(VALU_DEP_1) | instskip(NEXT) | instid1(VALU_DEP_1)
	v_fmac_f32_e32 v21, v23, v20
	v_fma_f32 v19, -v19, v21, v22
	s_delay_alu instid0(VALU_DEP_1) | instskip(SKIP_1) | instid1(VALU_DEP_2)
	v_div_fmas_f32 v19, v19, v20, v21
	v_fma_f32 v20, v1, v9, v2
	v_div_fixup_f32 v10, v19, v10, 1.0
	v_fma_f32 v19, v2, v9, -v1
	s_delay_alu instid0(VALU_DEP_2) | instskip(NEXT) | instid1(VALU_DEP_2)
	v_mul_f32_e32 v9, v20, v10
	v_mul_f32_e32 v10, v19, v10
	s_cbranch_execz .LBB142_119
	s_branch .LBB142_120
.LBB142_118:                            ;   in Loop: Header=BB142_114 Depth=1
                                        ; implicit-def: $vgpr10
.LBB142_119:                            ;   in Loop: Header=BB142_114 Depth=1
	v_div_scale_f32 v9, null, v3, v3, v4
	v_div_scale_f32 v20, vcc_lo, v4, v3, v4
	s_delay_alu instid0(VALU_DEP_2) | instskip(SKIP_2) | instid1(VALU_DEP_1)
	v_rcp_f32_e32 v10, v9
	s_waitcnt_depctr 0xfff
	v_fma_f32 v19, -v9, v10, 1.0
	v_fmac_f32_e32 v10, v19, v10
	s_delay_alu instid0(VALU_DEP_1) | instskip(NEXT) | instid1(VALU_DEP_1)
	v_mul_f32_e32 v19, v20, v10
	v_fma_f32 v21, -v9, v19, v20
	s_delay_alu instid0(VALU_DEP_1) | instskip(NEXT) | instid1(VALU_DEP_1)
	v_fmac_f32_e32 v19, v21, v10
	v_fma_f32 v9, -v9, v19, v20
	s_delay_alu instid0(VALU_DEP_1) | instskip(NEXT) | instid1(VALU_DEP_1)
	v_div_fmas_f32 v9, v9, v10, v19
	v_div_fixup_f32 v9, v9, v3, v4
	s_delay_alu instid0(VALU_DEP_1) | instskip(NEXT) | instid1(VALU_DEP_1)
	v_fmac_f32_e32 v3, v4, v9
	v_div_scale_f32 v4, null, v3, v3, 1.0
	v_div_scale_f32 v20, vcc_lo, 1.0, v3, 1.0
	s_delay_alu instid0(VALU_DEP_2) | instskip(SKIP_2) | instid1(VALU_DEP_1)
	v_rcp_f32_e32 v10, v4
	s_waitcnt_depctr 0xfff
	v_fma_f32 v19, -v4, v10, 1.0
	v_fmac_f32_e32 v10, v19, v10
	s_delay_alu instid0(VALU_DEP_1) | instskip(NEXT) | instid1(VALU_DEP_1)
	v_mul_f32_e32 v19, v20, v10
	v_fma_f32 v21, -v4, v19, v20
	s_delay_alu instid0(VALU_DEP_1) | instskip(NEXT) | instid1(VALU_DEP_1)
	v_fmac_f32_e32 v19, v21, v10
	v_fma_f32 v4, -v4, v19, v20
	s_delay_alu instid0(VALU_DEP_1) | instskip(SKIP_2) | instid1(VALU_DEP_3)
	v_div_fmas_f32 v4, v4, v10, v19
	v_fma_f32 v10, v2, v9, v1
	v_fma_f32 v1, -v1, v9, v2
	v_div_fixup_f32 v3, v4, v3, 1.0
	s_delay_alu instid0(VALU_DEP_1) | instskip(NEXT) | instid1(VALU_DEP_3)
	v_mul_f32_e32 v9, v10, v3
	v_mul_f32_e32 v10, v1, v3
.LBB142_120:                            ;   in Loop: Header=BB142_114 Depth=1
	s_addk_i32 s14, 0xffb8
	ds_store_b64 v18, v[9:10]
	v_mov_b32_e32 v1, s14
	ds_load_2addr_b64 v[1:4], v1 offset1:1
	s_waitcnt lgkmcnt(0)
	v_cmp_gt_f32_e32 vcc_lo, 0, v1
	v_mul_f32_e32 v19, v10, v4
	v_mul_f32_e32 v4, v9, v4
	v_cndmask_b32_e64 v20, v1, -v1, vcc_lo
	v_cmp_gt_f32_e32 vcc_lo, 0, v2
	s_delay_alu instid0(VALU_DEP_4) | instskip(NEXT) | instid1(VALU_DEP_4)
	v_fma_f32 v19, v9, v3, -v19
	v_fmac_f32_e32 v4, v10, v3
	v_cndmask_b32_e64 v21, v2, -v2, vcc_lo
	s_delay_alu instid0(VALU_DEP_2) | instskip(NEXT) | instid1(VALU_DEP_2)
	v_dual_sub_f32 v3, v11, v19 :: v_dual_sub_f32 v4, v12, v4
	v_cmp_ngt_f32_e32 vcc_lo, v20, v21
	s_cbranch_vccz .LBB142_122
; %bb.121:                              ;   in Loop: Header=BB142_114 Depth=1
	v_div_scale_f32 v11, null, v2, v2, v1
	v_div_scale_f32 v19, vcc_lo, v1, v2, v1
	s_delay_alu instid0(VALU_DEP_2) | instskip(SKIP_2) | instid1(VALU_DEP_1)
	v_rcp_f32_e32 v12, v11
	s_waitcnt_depctr 0xfff
	v_fma_f32 v18, -v11, v12, 1.0
	v_fmac_f32_e32 v12, v18, v12
	s_delay_alu instid0(VALU_DEP_1) | instskip(NEXT) | instid1(VALU_DEP_1)
	v_mul_f32_e32 v18, v19, v12
	v_fma_f32 v20, -v11, v18, v19
	s_delay_alu instid0(VALU_DEP_1) | instskip(NEXT) | instid1(VALU_DEP_1)
	v_fmac_f32_e32 v18, v20, v12
	v_fma_f32 v11, -v11, v18, v19
	s_delay_alu instid0(VALU_DEP_1) | instskip(NEXT) | instid1(VALU_DEP_1)
	v_div_fmas_f32 v11, v11, v12, v18
	v_div_fixup_f32 v11, v11, v2, v1
	s_delay_alu instid0(VALU_DEP_1) | instskip(NEXT) | instid1(VALU_DEP_1)
	v_fma_f32 v12, v1, v11, v2
	v_div_scale_f32 v18, null, v12, v12, 1.0
	v_div_scale_f32 v21, vcc_lo, 1.0, v12, 1.0
	s_delay_alu instid0(VALU_DEP_2) | instskip(SKIP_2) | instid1(VALU_DEP_1)
	v_rcp_f32_e32 v19, v18
	s_waitcnt_depctr 0xfff
	v_fma_f32 v20, -v18, v19, 1.0
	v_fmac_f32_e32 v19, v20, v19
	s_delay_alu instid0(VALU_DEP_1) | instskip(NEXT) | instid1(VALU_DEP_1)
	v_mul_f32_e32 v20, v21, v19
	v_fma_f32 v22, -v18, v20, v21
	s_delay_alu instid0(VALU_DEP_1) | instskip(NEXT) | instid1(VALU_DEP_1)
	v_fmac_f32_e32 v20, v22, v19
	v_fma_f32 v18, -v18, v20, v21
	s_delay_alu instid0(VALU_DEP_1) | instskip(SKIP_1) | instid1(VALU_DEP_2)
	v_div_fmas_f32 v18, v18, v19, v20
	v_fma_f32 v19, v11, v3, v4
	v_div_fixup_f32 v12, v18, v12, 1.0
	v_fma_f32 v18, v11, v4, -v3
	s_delay_alu instid0(VALU_DEP_2) | instskip(NEXT) | instid1(VALU_DEP_2)
	v_mul_f32_e32 v11, v19, v12
	v_mul_f32_e32 v12, v18, v12
	s_cbranch_execz .LBB142_123
	s_branch .LBB142_124
.LBB142_122:                            ;   in Loop: Header=BB142_114 Depth=1
                                        ; implicit-def: $vgpr12
.LBB142_123:                            ;   in Loop: Header=BB142_114 Depth=1
	v_div_scale_f32 v11, null, v1, v1, v2
	v_div_scale_f32 v19, vcc_lo, v2, v1, v2
	s_delay_alu instid0(VALU_DEP_2) | instskip(SKIP_2) | instid1(VALU_DEP_1)
	v_rcp_f32_e32 v12, v11
	s_waitcnt_depctr 0xfff
	v_fma_f32 v18, -v11, v12, 1.0
	v_fmac_f32_e32 v12, v18, v12
	s_delay_alu instid0(VALU_DEP_1) | instskip(NEXT) | instid1(VALU_DEP_1)
	v_mul_f32_e32 v18, v19, v12
	v_fma_f32 v20, -v11, v18, v19
	s_delay_alu instid0(VALU_DEP_1) | instskip(NEXT) | instid1(VALU_DEP_1)
	v_fmac_f32_e32 v18, v20, v12
	v_fma_f32 v11, -v11, v18, v19
	s_delay_alu instid0(VALU_DEP_1) | instskip(NEXT) | instid1(VALU_DEP_1)
	v_div_fmas_f32 v11, v11, v12, v18
	v_div_fixup_f32 v11, v11, v1, v2
	s_delay_alu instid0(VALU_DEP_1) | instskip(NEXT) | instid1(VALU_DEP_1)
	v_fmac_f32_e32 v1, v2, v11
	v_div_scale_f32 v2, null, v1, v1, 1.0
	v_div_scale_f32 v19, vcc_lo, 1.0, v1, 1.0
	s_delay_alu instid0(VALU_DEP_2) | instskip(SKIP_2) | instid1(VALU_DEP_1)
	v_rcp_f32_e32 v12, v2
	s_waitcnt_depctr 0xfff
	v_fma_f32 v18, -v2, v12, 1.0
	v_fmac_f32_e32 v12, v18, v12
	s_delay_alu instid0(VALU_DEP_1) | instskip(NEXT) | instid1(VALU_DEP_1)
	v_mul_f32_e32 v18, v19, v12
	v_fma_f32 v20, -v2, v18, v19
	s_delay_alu instid0(VALU_DEP_1) | instskip(NEXT) | instid1(VALU_DEP_1)
	v_fmac_f32_e32 v18, v20, v12
	v_fma_f32 v2, -v2, v18, v19
	s_delay_alu instid0(VALU_DEP_1) | instskip(SKIP_1) | instid1(VALU_DEP_2)
	v_div_fmas_f32 v2, v2, v12, v18
	v_fma_f32 v12, v11, v4, v3
	v_div_fixup_f32 v1, v2, v1, 1.0
	v_fma_f32 v2, -v11, v3, v4
	s_delay_alu instid0(VALU_DEP_2) | instskip(NEXT) | instid1(VALU_DEP_2)
	v_mul_f32_e32 v11, v12, v1
	v_mul_f32_e32 v12, v2, v1
.LBB142_124:                            ;   in Loop: Header=BB142_114 Depth=1
	s_add_i32 s10, s10, s4
	s_delay_alu instid0(SALU_CYCLE_1) | instskip(SKIP_1) | instid1(SALU_CYCLE_1)
	s_lshl_b32 s15, s10, 3
	s_add_i32 s10, s14, 0xffffffb8
	v_dual_mov_b32 v1, s15 :: v_dual_mov_b32 v2, s10
	ds_load_b64 v[18:19], v1
	ds_load_2addr_b64 v[1:4], v2 offset1:1
	ds_store_b64 v17, v[11:12]
	s_waitcnt lgkmcnt(1)
	v_dual_mul_f32 v20, v10, v19 :: v_dual_mul_f32 v21, v12, v4
	v_cmp_gt_f32_e32 vcc_lo, 0, v1
	v_dual_mul_f32 v19, v9, v19 :: v_dual_mul_f32 v4, v11, v4
	s_delay_alu instid0(VALU_DEP_3) | instskip(NEXT) | instid1(VALU_DEP_4)
	v_fma_f32 v20, v9, v18, -v20
	v_fma_f32 v21, v11, v3, -v21
	v_cndmask_b32_e64 v22, v1, -v1, vcc_lo
	v_cmp_gt_f32_e32 vcc_lo, 0, v2
	v_dual_fmac_f32 v19, v10, v18 :: v_dual_fmac_f32 v4, v12, v3
	v_sub_f32_e32 v3, v7, v20
	v_cndmask_b32_e64 v18, v2, -v2, vcc_lo
	s_delay_alu instid0(VALU_DEP_3) | instskip(NEXT) | instid1(VALU_DEP_3)
	v_sub_f32_e32 v7, v8, v19
	v_sub_f32_e32 v3, v3, v21
	s_delay_alu instid0(VALU_DEP_3) | instskip(NEXT) | instid1(VALU_DEP_3)
	v_cmp_ngt_f32_e32 vcc_lo, v22, v18
	v_sub_f32_e32 v4, v7, v4
	s_cbranch_vccz .LBB142_126
; %bb.125:                              ;   in Loop: Header=BB142_114 Depth=1
	v_div_scale_f32 v7, null, v2, v2, v1
	v_div_scale_f32 v18, vcc_lo, v1, v2, v1
	s_delay_alu instid0(VALU_DEP_2) | instskip(SKIP_2) | instid1(VALU_DEP_1)
	v_rcp_f32_e32 v8, v7
	s_waitcnt_depctr 0xfff
	v_fma_f32 v17, -v7, v8, 1.0
	v_fmac_f32_e32 v8, v17, v8
	s_delay_alu instid0(VALU_DEP_1) | instskip(NEXT) | instid1(VALU_DEP_1)
	v_mul_f32_e32 v17, v18, v8
	v_fma_f32 v19, -v7, v17, v18
	s_delay_alu instid0(VALU_DEP_1) | instskip(NEXT) | instid1(VALU_DEP_1)
	v_fmac_f32_e32 v17, v19, v8
	v_fma_f32 v7, -v7, v17, v18
	s_delay_alu instid0(VALU_DEP_1) | instskip(NEXT) | instid1(VALU_DEP_1)
	v_div_fmas_f32 v7, v7, v8, v17
	v_div_fixup_f32 v7, v7, v2, v1
	s_delay_alu instid0(VALU_DEP_1) | instskip(NEXT) | instid1(VALU_DEP_1)
	v_fma_f32 v8, v1, v7, v2
	v_div_scale_f32 v17, null, v8, v8, 1.0
	v_div_scale_f32 v20, vcc_lo, 1.0, v8, 1.0
	s_delay_alu instid0(VALU_DEP_2) | instskip(SKIP_2) | instid1(VALU_DEP_1)
	v_rcp_f32_e32 v18, v17
	s_waitcnt_depctr 0xfff
	v_fma_f32 v19, -v17, v18, 1.0
	v_fmac_f32_e32 v18, v19, v18
	s_delay_alu instid0(VALU_DEP_1) | instskip(NEXT) | instid1(VALU_DEP_1)
	v_mul_f32_e32 v19, v20, v18
	v_fma_f32 v21, -v17, v19, v20
	s_delay_alu instid0(VALU_DEP_1) | instskip(NEXT) | instid1(VALU_DEP_1)
	v_fmac_f32_e32 v19, v21, v18
	v_fma_f32 v17, -v17, v19, v20
	s_delay_alu instid0(VALU_DEP_1) | instskip(SKIP_1) | instid1(VALU_DEP_2)
	v_div_fmas_f32 v17, v17, v18, v19
	v_fma_f32 v18, v7, v3, v4
	v_div_fixup_f32 v8, v17, v8, 1.0
	v_fma_f32 v17, v7, v4, -v3
	s_delay_alu instid0(VALU_DEP_2) | instskip(NEXT) | instid1(VALU_DEP_2)
	v_mul_f32_e32 v7, v18, v8
	v_mul_f32_e32 v8, v17, v8
	s_cbranch_execz .LBB142_127
	s_branch .LBB142_128
.LBB142_126:                            ;   in Loop: Header=BB142_114 Depth=1
                                        ; implicit-def: $vgpr8
.LBB142_127:                            ;   in Loop: Header=BB142_114 Depth=1
	v_div_scale_f32 v7, null, v1, v1, v2
	v_div_scale_f32 v18, vcc_lo, v2, v1, v2
	s_delay_alu instid0(VALU_DEP_2) | instskip(SKIP_2) | instid1(VALU_DEP_1)
	v_rcp_f32_e32 v8, v7
	s_waitcnt_depctr 0xfff
	v_fma_f32 v17, -v7, v8, 1.0
	v_fmac_f32_e32 v8, v17, v8
	s_delay_alu instid0(VALU_DEP_1) | instskip(NEXT) | instid1(VALU_DEP_1)
	v_mul_f32_e32 v17, v18, v8
	v_fma_f32 v19, -v7, v17, v18
	s_delay_alu instid0(VALU_DEP_1) | instskip(NEXT) | instid1(VALU_DEP_1)
	v_fmac_f32_e32 v17, v19, v8
	v_fma_f32 v7, -v7, v17, v18
	s_delay_alu instid0(VALU_DEP_1) | instskip(NEXT) | instid1(VALU_DEP_1)
	v_div_fmas_f32 v7, v7, v8, v17
	v_div_fixup_f32 v7, v7, v1, v2
	s_delay_alu instid0(VALU_DEP_1) | instskip(NEXT) | instid1(VALU_DEP_1)
	v_fmac_f32_e32 v1, v2, v7
	v_div_scale_f32 v2, null, v1, v1, 1.0
	v_div_scale_f32 v18, vcc_lo, 1.0, v1, 1.0
	s_delay_alu instid0(VALU_DEP_2) | instskip(SKIP_2) | instid1(VALU_DEP_1)
	v_rcp_f32_e32 v8, v2
	s_waitcnt_depctr 0xfff
	v_fma_f32 v17, -v2, v8, 1.0
	v_fmac_f32_e32 v8, v17, v8
	s_delay_alu instid0(VALU_DEP_1) | instskip(NEXT) | instid1(VALU_DEP_1)
	v_mul_f32_e32 v17, v18, v8
	v_fma_f32 v19, -v2, v17, v18
	s_delay_alu instid0(VALU_DEP_1) | instskip(NEXT) | instid1(VALU_DEP_1)
	v_fmac_f32_e32 v17, v19, v8
	v_fma_f32 v2, -v2, v17, v18
	s_delay_alu instid0(VALU_DEP_1) | instskip(SKIP_1) | instid1(VALU_DEP_2)
	v_div_fmas_f32 v2, v2, v8, v17
	v_fma_f32 v8, v7, v4, v3
	v_div_fixup_f32 v1, v2, v1, 1.0
	v_fma_f32 v2, -v7, v3, v4
	s_delay_alu instid0(VALU_DEP_2) | instskip(NEXT) | instid1(VALU_DEP_2)
	v_mul_f32_e32 v7, v8, v1
	v_mul_f32_e32 v8, v2, v1
.LBB142_128:                            ;   in Loop: Header=BB142_114 Depth=1
	s_add_i32 s5, s5, s9
	s_delay_alu instid0(SALU_CYCLE_1) | instskip(NEXT) | instid1(SALU_CYCLE_1)
	s_lshl_b32 s5, s5, 3
	v_mov_b32_e32 v1, s5
	s_add_i32 s5, s10, 0xffffffb8
	s_delay_alu instid0(SALU_CYCLE_1)
	v_mov_b32_e32 v2, s5
	ds_load_2addr_b64 v[17:20], v1 offset1:1
	ds_load_2addr_b64 v[1:4], v2 offset1:1
	ds_store_b64 v16, v[7:8]
	s_waitcnt lgkmcnt(2)
	v_dual_mul_f32 v21, v10, v20 :: v_dual_mul_f32 v22, v12, v18
	v_mul_f32_e32 v20, v9, v20
	s_waitcnt lgkmcnt(1)
	v_dual_mul_f32 v18, v11, v18 :: v_dual_mul_f32 v23, v8, v4
	s_delay_alu instid0(VALU_DEP_3) | instskip(SKIP_3) | instid1(VALU_DEP_4)
	v_fma_f32 v9, v9, v19, -v21
	v_mul_f32_e32 v4, v7, v4
	v_fma_f32 v11, v11, v17, -v22
	v_cmp_gt_f32_e32 vcc_lo, 0, v1
	v_sub_f32_e32 v5, v5, v9
	v_fmac_f32_e32 v18, v12, v17
	v_fma_f32 v12, v7, v3, -v23
	v_fmac_f32_e32 v4, v8, v3
	s_delay_alu instid0(VALU_DEP_4) | instskip(SKIP_3) | instid1(VALU_DEP_4)
	v_sub_f32_e32 v3, v5, v11
	v_fmac_f32_e32 v20, v10, v19
	v_cndmask_b32_e64 v10, v1, -v1, vcc_lo
	v_cmp_gt_f32_e32 vcc_lo, 0, v2
	v_sub_f32_e32 v5, v3, v12
	s_delay_alu instid0(VALU_DEP_4) | instskip(SKIP_1) | instid1(VALU_DEP_2)
	v_sub_f32_e32 v6, v6, v20
	v_cndmask_b32_e64 v9, v2, -v2, vcc_lo
	v_sub_f32_e32 v6, v6, v18
	s_delay_alu instid0(VALU_DEP_2) | instskip(NEXT) | instid1(VALU_DEP_2)
	v_cmp_ngt_f32_e32 vcc_lo, v10, v9
	v_sub_f32_e32 v6, v6, v4
	s_cbranch_vccz .LBB142_130
; %bb.129:                              ;   in Loop: Header=BB142_114 Depth=1
	v_div_scale_f32 v3, null, v2, v2, v1
	v_div_scale_f32 v8, vcc_lo, v1, v2, v1
	s_delay_alu instid0(VALU_DEP_2) | instskip(SKIP_2) | instid1(VALU_DEP_1)
	v_rcp_f32_e32 v4, v3
	s_waitcnt_depctr 0xfff
	v_fma_f32 v7, -v3, v4, 1.0
	v_fmac_f32_e32 v4, v7, v4
	s_delay_alu instid0(VALU_DEP_1) | instskip(NEXT) | instid1(VALU_DEP_1)
	v_mul_f32_e32 v7, v8, v4
	v_fma_f32 v9, -v3, v7, v8
	s_delay_alu instid0(VALU_DEP_1) | instskip(NEXT) | instid1(VALU_DEP_1)
	v_fmac_f32_e32 v7, v9, v4
	v_fma_f32 v3, -v3, v7, v8
	s_delay_alu instid0(VALU_DEP_1) | instskip(NEXT) | instid1(VALU_DEP_1)
	v_div_fmas_f32 v3, v3, v4, v7
	v_div_fixup_f32 v3, v3, v2, v1
	s_delay_alu instid0(VALU_DEP_1) | instskip(NEXT) | instid1(VALU_DEP_1)
	v_fma_f32 v4, v1, v3, v2
	v_div_scale_f32 v7, null, v4, v4, 1.0
	v_div_scale_f32 v10, vcc_lo, 1.0, v4, 1.0
	s_delay_alu instid0(VALU_DEP_2) | instskip(SKIP_2) | instid1(VALU_DEP_1)
	v_rcp_f32_e32 v8, v7
	s_waitcnt_depctr 0xfff
	v_fma_f32 v9, -v7, v8, 1.0
	v_fmac_f32_e32 v8, v9, v8
	s_delay_alu instid0(VALU_DEP_1) | instskip(NEXT) | instid1(VALU_DEP_1)
	v_mul_f32_e32 v9, v10, v8
	v_fma_f32 v11, -v7, v9, v10
	s_delay_alu instid0(VALU_DEP_1) | instskip(NEXT) | instid1(VALU_DEP_1)
	v_fmac_f32_e32 v9, v11, v8
	v_fma_f32 v7, -v7, v9, v10
	s_delay_alu instid0(VALU_DEP_1) | instskip(SKIP_1) | instid1(VALU_DEP_2)
	v_div_fmas_f32 v7, v7, v8, v9
	v_fma_f32 v8, v3, v5, v6
	v_div_fixup_f32 v4, v7, v4, 1.0
	v_fma_f32 v7, v3, v6, -v5
	s_delay_alu instid0(VALU_DEP_2) | instskip(NEXT) | instid1(VALU_DEP_2)
	v_mul_f32_e32 v3, v8, v4
	v_mul_f32_e32 v4, v7, v4
	s_cbranch_execz .LBB142_131
	s_branch .LBB142_132
.LBB142_130:                            ;   in Loop: Header=BB142_114 Depth=1
                                        ; implicit-def: $vgpr4
.LBB142_131:                            ;   in Loop: Header=BB142_114 Depth=1
	v_div_scale_f32 v3, null, v1, v1, v2
	v_div_scale_f32 v8, vcc_lo, v2, v1, v2
	s_delay_alu instid0(VALU_DEP_2) | instskip(SKIP_2) | instid1(VALU_DEP_1)
	v_rcp_f32_e32 v4, v3
	s_waitcnt_depctr 0xfff
	v_fma_f32 v7, -v3, v4, 1.0
	v_fmac_f32_e32 v4, v7, v4
	s_delay_alu instid0(VALU_DEP_1) | instskip(NEXT) | instid1(VALU_DEP_1)
	v_mul_f32_e32 v7, v8, v4
	v_fma_f32 v9, -v3, v7, v8
	s_delay_alu instid0(VALU_DEP_1) | instskip(NEXT) | instid1(VALU_DEP_1)
	v_fmac_f32_e32 v7, v9, v4
	v_fma_f32 v3, -v3, v7, v8
	s_delay_alu instid0(VALU_DEP_1) | instskip(NEXT) | instid1(VALU_DEP_1)
	v_div_fmas_f32 v3, v3, v4, v7
	v_div_fixup_f32 v3, v3, v1, v2
	s_delay_alu instid0(VALU_DEP_1) | instskip(NEXT) | instid1(VALU_DEP_1)
	v_fmac_f32_e32 v1, v2, v3
	v_div_scale_f32 v2, null, v1, v1, 1.0
	v_div_scale_f32 v8, vcc_lo, 1.0, v1, 1.0
	s_delay_alu instid0(VALU_DEP_2) | instskip(SKIP_2) | instid1(VALU_DEP_1)
	v_rcp_f32_e32 v4, v2
	s_waitcnt_depctr 0xfff
	v_fma_f32 v7, -v2, v4, 1.0
	v_fmac_f32_e32 v4, v7, v4
	s_delay_alu instid0(VALU_DEP_1) | instskip(NEXT) | instid1(VALU_DEP_1)
	v_mul_f32_e32 v7, v8, v4
	v_fma_f32 v9, -v2, v7, v8
	s_delay_alu instid0(VALU_DEP_1) | instskip(NEXT) | instid1(VALU_DEP_1)
	v_fmac_f32_e32 v7, v9, v4
	v_fma_f32 v2, -v2, v7, v8
	s_delay_alu instid0(VALU_DEP_1) | instskip(SKIP_1) | instid1(VALU_DEP_2)
	v_div_fmas_f32 v2, v2, v4, v7
	v_fma_f32 v4, v3, v6, v5
	v_div_fixup_f32 v1, v2, v1, 1.0
	v_fma_f32 v2, -v3, v5, v6
	s_delay_alu instid0(VALU_DEP_2) | instskip(NEXT) | instid1(VALU_DEP_2)
	v_mul_f32_e32 v3, v4, v1
	v_mul_f32_e32 v4, v2, v1
.LBB142_132:                            ;   in Loop: Header=BB142_114 Depth=1
	s_add_i32 s5, s4, -4
	s_addk_i32 s1, 0xff00
	s_cmp_lt_i32 s4, 7
	ds_store_b64 v15, v[3:4]
	s_cbranch_scc1 .LBB142_134
; %bb.133:                              ;   in Loop: Header=BB142_114 Depth=1
	s_mov_b32 s4, s5
	s_branch .LBB142_114
.LBB142_134:
	s_cmp_lt_i32 s5, 0
	s_cbranch_scc1 .LBB142_143
; %bb.135:
	v_lshlrev_b32_e32 v7, 3, v0
	s_lshl_b32 s1, s5, 6
	s_lshl_b32 s4, s11, 3
	s_delay_alu instid0(SALU_CYCLE_1) | instskip(NEXT) | instid1(VALU_DEP_1)
	s_add_i32 s1, s1, s4
	v_lshl_or_b32 v1, s11, 6, v7
	s_add_i32 s1, s1, -8
	s_delay_alu instid0(VALU_DEP_1)
	v_add_nc_u32_e32 v8, 0x1c0, v1
	s_branch .LBB142_137
.LBB142_136:                            ;   in Loop: Header=BB142_137 Depth=1
	s_add_i32 s4, s5, -1
	s_sub_i32 s1, s1, 64
	s_cmp_lt_i32 s5, 1
	s_mov_b32 s5, s4
	ds_store_b64 v9, v[5:6]
	s_cbranch_scc1 .LBB142_143
.LBB142_137:                            ; =>This Loop Header: Depth=1
                                        ;     Child Loop BB142_138 Depth 2
	v_lshl_or_b32 v3, s5, 6, v7
	s_delay_alu instid0(VALU_DEP_2)
	v_mov_b32_e32 v4, v8
	s_cmp_le_i32 s30, s5
	s_mov_b32 s4, s1
	s_mov_b32 s9, s30
	ds_load_b64 v[1:2], v3 offset:512
	s_cbranch_scc1 .LBB142_139
	.p2align	6
.LBB142_138:                            ;   Parent Loop BB142_137 Depth=1
                                        ; =>  This Inner Loop Header: Depth=2
	v_mov_b32_e32 v9, s4
	s_add_i32 s9, s9, -1
	s_add_i32 s4, s4, -8
	s_cmp_le_i32 s9, s5
	ds_load_b64 v[5:6], v4
	ds_load_b64 v[9:10], v9
	v_subrev_nc_u32_e32 v4, 64, v4
	s_waitcnt lgkmcnt(0)
	v_mul_f32_e32 v11, v10, v6
	v_mul_f32_e32 v6, v9, v6
	s_delay_alu instid0(VALU_DEP_2) | instskip(NEXT) | instid1(VALU_DEP_2)
	v_fma_f32 v9, v9, v5, -v11
	v_fmac_f32_e32 v6, v10, v5
	s_delay_alu instid0(VALU_DEP_1)
	v_dual_sub_f32 v1, v1, v9 :: v_dual_sub_f32 v2, v2, v6
	s_cbranch_scc0 .LBB142_138
.LBB142_139:                            ;   in Loop: Header=BB142_137 Depth=1
	s_mul_i32 s4, s5, 0x48
	v_add_nc_u32_e32 v9, 0x200, v3
	v_mov_b32_e32 v3, s4
	ds_load_b64 v[3:4], v3
	s_waitcnt lgkmcnt(0)
	v_cmp_gt_f32_e32 vcc_lo, 0, v3
	v_cndmask_b32_e64 v5, v3, -v3, vcc_lo
	v_cmp_gt_f32_e32 vcc_lo, 0, v4
	v_cndmask_b32_e64 v6, v4, -v4, vcc_lo
	s_delay_alu instid0(VALU_DEP_1)
	v_cmp_ngt_f32_e32 vcc_lo, v5, v6
	s_cbranch_vccz .LBB142_141
; %bb.140:                              ;   in Loop: Header=BB142_137 Depth=1
	v_div_scale_f32 v5, null, v4, v4, v3
	v_div_scale_f32 v11, vcc_lo, v3, v4, v3
	s_delay_alu instid0(VALU_DEP_2) | instskip(SKIP_2) | instid1(VALU_DEP_1)
	v_rcp_f32_e32 v6, v5
	s_waitcnt_depctr 0xfff
	v_fma_f32 v10, -v5, v6, 1.0
	v_fmac_f32_e32 v6, v10, v6
	s_delay_alu instid0(VALU_DEP_1) | instskip(NEXT) | instid1(VALU_DEP_1)
	v_mul_f32_e32 v10, v11, v6
	v_fma_f32 v12, -v5, v10, v11
	s_delay_alu instid0(VALU_DEP_1) | instskip(NEXT) | instid1(VALU_DEP_1)
	v_fmac_f32_e32 v10, v12, v6
	v_fma_f32 v5, -v5, v10, v11
	s_delay_alu instid0(VALU_DEP_1) | instskip(NEXT) | instid1(VALU_DEP_1)
	v_div_fmas_f32 v5, v5, v6, v10
	v_div_fixup_f32 v5, v5, v4, v3
	s_delay_alu instid0(VALU_DEP_1) | instskip(NEXT) | instid1(VALU_DEP_1)
	v_fma_f32 v6, v3, v5, v4
	v_div_scale_f32 v10, null, v6, v6, 1.0
	v_div_scale_f32 v13, vcc_lo, 1.0, v6, 1.0
	s_delay_alu instid0(VALU_DEP_2) | instskip(SKIP_2) | instid1(VALU_DEP_1)
	v_rcp_f32_e32 v11, v10
	s_waitcnt_depctr 0xfff
	v_fma_f32 v12, -v10, v11, 1.0
	v_fmac_f32_e32 v11, v12, v11
	s_delay_alu instid0(VALU_DEP_1) | instskip(NEXT) | instid1(VALU_DEP_1)
	v_mul_f32_e32 v12, v13, v11
	v_fma_f32 v14, -v10, v12, v13
	s_delay_alu instid0(VALU_DEP_1) | instskip(NEXT) | instid1(VALU_DEP_1)
	v_fmac_f32_e32 v12, v14, v11
	v_fma_f32 v10, -v10, v12, v13
	s_delay_alu instid0(VALU_DEP_1) | instskip(SKIP_1) | instid1(VALU_DEP_2)
	v_div_fmas_f32 v10, v10, v11, v12
	v_fma_f32 v11, v1, v5, v2
	v_div_fixup_f32 v6, v10, v6, 1.0
	v_fma_f32 v10, v2, v5, -v1
	s_delay_alu instid0(VALU_DEP_2) | instskip(NEXT) | instid1(VALU_DEP_2)
	v_mul_f32_e32 v5, v11, v6
	v_mul_f32_e32 v6, v10, v6
	s_cbranch_execnz .LBB142_136
	s_branch .LBB142_142
.LBB142_141:                            ;   in Loop: Header=BB142_137 Depth=1
                                        ; implicit-def: $vgpr5
.LBB142_142:                            ;   in Loop: Header=BB142_137 Depth=1
	v_div_scale_f32 v5, null, v3, v3, v4
	v_div_scale_f32 v11, vcc_lo, v4, v3, v4
	s_delay_alu instid0(VALU_DEP_2) | instskip(SKIP_2) | instid1(VALU_DEP_1)
	v_rcp_f32_e32 v6, v5
	s_waitcnt_depctr 0xfff
	v_fma_f32 v10, -v5, v6, 1.0
	v_fmac_f32_e32 v6, v10, v6
	s_delay_alu instid0(VALU_DEP_1) | instskip(NEXT) | instid1(VALU_DEP_1)
	v_mul_f32_e32 v10, v11, v6
	v_fma_f32 v12, -v5, v10, v11
	s_delay_alu instid0(VALU_DEP_1) | instskip(NEXT) | instid1(VALU_DEP_1)
	v_fmac_f32_e32 v10, v12, v6
	v_fma_f32 v5, -v5, v10, v11
	s_delay_alu instid0(VALU_DEP_1) | instskip(NEXT) | instid1(VALU_DEP_1)
	v_div_fmas_f32 v5, v5, v6, v10
	v_div_fixup_f32 v5, v5, v3, v4
	s_delay_alu instid0(VALU_DEP_1) | instskip(NEXT) | instid1(VALU_DEP_1)
	v_fmac_f32_e32 v3, v4, v5
	v_div_scale_f32 v4, null, v3, v3, 1.0
	v_div_scale_f32 v11, vcc_lo, 1.0, v3, 1.0
	s_delay_alu instid0(VALU_DEP_2) | instskip(SKIP_2) | instid1(VALU_DEP_1)
	v_rcp_f32_e32 v6, v4
	s_waitcnt_depctr 0xfff
	v_fma_f32 v10, -v4, v6, 1.0
	v_fmac_f32_e32 v6, v10, v6
	s_delay_alu instid0(VALU_DEP_1) | instskip(NEXT) | instid1(VALU_DEP_1)
	v_mul_f32_e32 v10, v11, v6
	v_fma_f32 v12, -v4, v10, v11
	s_delay_alu instid0(VALU_DEP_1) | instskip(NEXT) | instid1(VALU_DEP_1)
	v_fmac_f32_e32 v10, v12, v6
	v_fma_f32 v4, -v4, v10, v11
	s_delay_alu instid0(VALU_DEP_1) | instskip(SKIP_2) | instid1(VALU_DEP_3)
	v_div_fmas_f32 v4, v4, v6, v10
	v_fma_f32 v6, v2, v5, v1
	v_fma_f32 v1, -v1, v5, v2
	v_div_fixup_f32 v3, v4, v3, 1.0
	s_delay_alu instid0(VALU_DEP_1) | instskip(NEXT) | instid1(VALU_DEP_3)
	v_mul_f32_e32 v5, v6, v3
	v_mul_f32_e32 v6, v1, v3
	s_branch .LBB142_136
.LBB142_143:
	s_mov_b32 s9, 0
.LBB142_144:
	s_delay_alu instid0(SALU_CYCLE_1)
	s_and_not1_b32 vcc_lo, exec_lo, s9
	s_cbranch_vccnz .LBB142_183
; %bb.145:
	s_cmp_lt_i32 s8, 4
	s_mov_b32 s5, 0
	s_cbranch_scc1 .LBB142_168
; %bb.146:
	v_lshl_or_b32 v13, v0, 3, 0x200
	s_mov_b32 s1, 0
	s_mov_b32 s4, 0
.LBB142_147:                            ; =>This Loop Header: Depth=1
                                        ;     Child Loop BB142_149 Depth 2
	s_delay_alu instid0(SALU_CYCLE_1) | instskip(NEXT) | instid1(SALU_CYCLE_1)
	s_lshl_b32 s5, s4, 3
	s_or_b32 s10, s5, 8
	v_or_b32_e32 v1, s5, v0
	s_or_b32 s9, s5, 16
	v_or_b32_e32 v2, s10, v0
	s_or_b32 s5, s5, 24
	v_or_b32_e32 v5, s9, v0
	v_or_b32_e32 v6, s5, v0
	v_lshlrev_b32_e32 v3, 3, v1
	v_lshlrev_b32_e32 v4, 3, v2
	s_cmp_eq_u32 s4, 0
	v_lshlrev_b32_e32 v9, 3, v5
	v_lshlrev_b32_e32 v10, 3, v6
	ds_load_b64 v[1:2], v3 offset:512
	ds_load_b64 v[11:12], v4 offset:512
	;; [unrolled: 1-line block ×4, first 2 shown]
	s_cbranch_scc1 .LBB142_150
; %bb.148:                              ;   in Loop: Header=BB142_147 Depth=1
	v_mov_b32_e32 v14, v13
	s_mov_b32 s14, 0
	s_mov_b32 s15, s1
	s_set_inst_prefetch_distance 0x1
	.p2align	6
.LBB142_149:                            ;   Parent Loop BB142_147 Depth=1
                                        ; =>  This Inner Loop Header: Depth=2
	v_mov_b32_e32 v19, s15
	s_add_i32 s14, s14, 1
	s_add_i32 s15, s15, 8
	s_cmp_ge_u32 s14, s4
	ds_load_b64 v[23:24], v14
	ds_load_2addr_b64 v[15:18], v19 offset1:8
	ds_load_2addr_b64 v[19:22], v19 offset0:16 offset1:24
	s_waitcnt lgkmcnt(1)
	v_dual_mul_f32 v25, v16, v24 :: v_dual_add_nc_u32 v14, 64, v14
	v_mul_f32_e32 v26, v15, v24
	v_mul_f32_e32 v27, v18, v24
	;; [unrolled: 1-line block ×3, first 2 shown]
	s_waitcnt lgkmcnt(0)
	v_mul_f32_e32 v28, v20, v24
	v_fma_f32 v15, v15, v23, -v25
	v_mul_f32_e32 v20, v20, v23
	v_fmac_f32_e32 v18, v17, v24
	s_delay_alu instid0(VALU_DEP_3)
	v_sub_f32_e32 v1, v1, v15
	v_dual_mul_f32 v29, v22, v24 :: v_dual_fmac_f32 v26, v16, v23
	v_fma_f32 v16, v17, v23, -v27
	v_mul_f32_e32 v22, v22, v23
	v_fma_f32 v17, v19, v23, -v28
	v_fmac_f32_e32 v20, v19, v24
	v_fma_f32 v19, v21, v23, -v29
	v_sub_f32_e32 v11, v11, v16
	v_fmac_f32_e32 v22, v21, v24
	v_sub_f32_e32 v2, v2, v26
	s_delay_alu instid0(VALU_DEP_4) | instskip(SKIP_1) | instid1(VALU_DEP_4)
	v_dual_sub_f32 v12, v12, v18 :: v_dual_sub_f32 v5, v5, v19
	v_dual_sub_f32 v7, v7, v17 :: v_dual_sub_f32 v8, v8, v20
	v_sub_f32_e32 v6, v6, v22
	s_cbranch_scc0 .LBB142_149
.LBB142_150:                            ;   in Loop: Header=BB142_147 Depth=1
	s_set_inst_prefetch_distance 0x2
	s_mul_i32 s14, s4, 0x48
	v_add_nc_u32_e32 v17, 0x200, v3
	v_dual_mov_b32 v3, s14 :: v_dual_add_nc_u32 v16, 0x200, v4
	v_add_nc_u32_e32 v15, 0x200, v9
	v_add_nc_u32_e32 v14, 0x200, v10
	ds_load_b64 v[3:4], v3
	s_waitcnt lgkmcnt(0)
	v_cmp_gt_f32_e32 vcc_lo, 0, v3
	v_cndmask_b32_e64 v9, v3, -v3, vcc_lo
	v_cmp_gt_f32_e32 vcc_lo, 0, v4
	v_cndmask_b32_e64 v10, v4, -v4, vcc_lo
	s_delay_alu instid0(VALU_DEP_1)
	v_cmp_ngt_f32_e32 vcc_lo, v9, v10
	s_cbranch_vccz .LBB142_152
; %bb.151:                              ;   in Loop: Header=BB142_147 Depth=1
	v_div_scale_f32 v9, null, v4, v4, v3
	v_div_scale_f32 v19, vcc_lo, v3, v4, v3
	s_delay_alu instid0(VALU_DEP_2) | instskip(SKIP_2) | instid1(VALU_DEP_1)
	v_rcp_f32_e32 v10, v9
	s_waitcnt_depctr 0xfff
	v_fma_f32 v18, -v9, v10, 1.0
	v_fmac_f32_e32 v10, v18, v10
	s_delay_alu instid0(VALU_DEP_1) | instskip(NEXT) | instid1(VALU_DEP_1)
	v_mul_f32_e32 v18, v19, v10
	v_fma_f32 v20, -v9, v18, v19
	s_delay_alu instid0(VALU_DEP_1) | instskip(NEXT) | instid1(VALU_DEP_1)
	v_fmac_f32_e32 v18, v20, v10
	v_fma_f32 v9, -v9, v18, v19
	s_delay_alu instid0(VALU_DEP_1) | instskip(NEXT) | instid1(VALU_DEP_1)
	v_div_fmas_f32 v9, v9, v10, v18
	v_div_fixup_f32 v9, v9, v4, v3
	s_delay_alu instid0(VALU_DEP_1) | instskip(NEXT) | instid1(VALU_DEP_1)
	v_fma_f32 v10, v3, v9, v4
	v_div_scale_f32 v18, null, v10, v10, 1.0
	v_div_scale_f32 v21, vcc_lo, 1.0, v10, 1.0
	s_delay_alu instid0(VALU_DEP_2) | instskip(SKIP_2) | instid1(VALU_DEP_1)
	v_rcp_f32_e32 v19, v18
	s_waitcnt_depctr 0xfff
	v_fma_f32 v20, -v18, v19, 1.0
	v_fmac_f32_e32 v19, v20, v19
	s_delay_alu instid0(VALU_DEP_1) | instskip(NEXT) | instid1(VALU_DEP_1)
	v_mul_f32_e32 v20, v21, v19
	v_fma_f32 v22, -v18, v20, v21
	s_delay_alu instid0(VALU_DEP_1) | instskip(NEXT) | instid1(VALU_DEP_1)
	v_fmac_f32_e32 v20, v22, v19
	v_fma_f32 v18, -v18, v20, v21
	s_delay_alu instid0(VALU_DEP_1) | instskip(SKIP_1) | instid1(VALU_DEP_2)
	v_div_fmas_f32 v18, v18, v19, v20
	v_fma_f32 v19, v1, v9, v2
	v_div_fixup_f32 v10, v18, v10, 1.0
	v_fma_f32 v18, v2, v9, -v1
	s_delay_alu instid0(VALU_DEP_2) | instskip(NEXT) | instid1(VALU_DEP_2)
	v_mul_f32_e32 v9, v19, v10
	v_mul_f32_e32 v10, v18, v10
	s_cbranch_execz .LBB142_153
	s_branch .LBB142_154
.LBB142_152:                            ;   in Loop: Header=BB142_147 Depth=1
                                        ; implicit-def: $vgpr10
.LBB142_153:                            ;   in Loop: Header=BB142_147 Depth=1
	v_div_scale_f32 v9, null, v3, v3, v4
	v_div_scale_f32 v19, vcc_lo, v4, v3, v4
	s_delay_alu instid0(VALU_DEP_2) | instskip(SKIP_2) | instid1(VALU_DEP_1)
	v_rcp_f32_e32 v10, v9
	s_waitcnt_depctr 0xfff
	v_fma_f32 v18, -v9, v10, 1.0
	v_fmac_f32_e32 v10, v18, v10
	s_delay_alu instid0(VALU_DEP_1) | instskip(NEXT) | instid1(VALU_DEP_1)
	v_mul_f32_e32 v18, v19, v10
	v_fma_f32 v20, -v9, v18, v19
	s_delay_alu instid0(VALU_DEP_1) | instskip(NEXT) | instid1(VALU_DEP_1)
	v_fmac_f32_e32 v18, v20, v10
	v_fma_f32 v9, -v9, v18, v19
	s_delay_alu instid0(VALU_DEP_1) | instskip(NEXT) | instid1(VALU_DEP_1)
	v_div_fmas_f32 v9, v9, v10, v18
	v_div_fixup_f32 v9, v9, v3, v4
	s_delay_alu instid0(VALU_DEP_1) | instskip(NEXT) | instid1(VALU_DEP_1)
	v_fmac_f32_e32 v3, v4, v9
	v_div_scale_f32 v4, null, v3, v3, 1.0
	v_div_scale_f32 v19, vcc_lo, 1.0, v3, 1.0
	s_delay_alu instid0(VALU_DEP_2) | instskip(SKIP_2) | instid1(VALU_DEP_1)
	v_rcp_f32_e32 v10, v4
	s_waitcnt_depctr 0xfff
	v_fma_f32 v18, -v4, v10, 1.0
	v_fmac_f32_e32 v10, v18, v10
	s_delay_alu instid0(VALU_DEP_1) | instskip(NEXT) | instid1(VALU_DEP_1)
	v_mul_f32_e32 v18, v19, v10
	v_fma_f32 v20, -v4, v18, v19
	s_delay_alu instid0(VALU_DEP_1) | instskip(NEXT) | instid1(VALU_DEP_1)
	v_fmac_f32_e32 v18, v20, v10
	v_fma_f32 v4, -v4, v18, v19
	s_delay_alu instid0(VALU_DEP_1) | instskip(SKIP_2) | instid1(VALU_DEP_3)
	v_div_fmas_f32 v4, v4, v10, v18
	v_fma_f32 v10, v2, v9, v1
	v_fma_f32 v1, -v1, v9, v2
	v_div_fixup_f32 v3, v4, v3, 1.0
	s_delay_alu instid0(VALU_DEP_1) | instskip(NEXT) | instid1(VALU_DEP_3)
	v_mul_f32_e32 v9, v10, v3
	v_mul_f32_e32 v10, v1, v3
.LBB142_154:                            ;   in Loop: Header=BB142_147 Depth=1
	s_add_i32 s10, s10, s4
	ds_store_b64 v17, v[9:10]
	s_lshl_b32 s10, s10, 3
	s_delay_alu instid0(SALU_CYCLE_1)
	v_mov_b32_e32 v1, s10
	ds_load_b128 v[1:4], v1
	s_waitcnt lgkmcnt(0)
	v_mul_f32_e32 v18, v10, v2
	v_cmp_gt_f32_e32 vcc_lo, 0, v3
	v_mul_f32_e32 v2, v9, v2
	s_delay_alu instid0(VALU_DEP_3) | instskip(SKIP_2) | instid1(VALU_DEP_3)
	v_fma_f32 v18, v9, v1, -v18
	v_cndmask_b32_e64 v19, v3, -v3, vcc_lo
	v_cmp_gt_f32_e32 vcc_lo, 0, v4
	v_dual_fmac_f32 v2, v10, v1 :: v_dual_sub_f32 v1, v11, v18
	v_cndmask_b32_e64 v20, v4, -v4, vcc_lo
	s_delay_alu instid0(VALU_DEP_2) | instskip(NEXT) | instid1(VALU_DEP_2)
	v_sub_f32_e32 v2, v12, v2
	v_cmp_ngt_f32_e32 vcc_lo, v19, v20
	s_cbranch_vccz .LBB142_156
; %bb.155:                              ;   in Loop: Header=BB142_147 Depth=1
	v_div_scale_f32 v11, null, v4, v4, v3
	v_div_scale_f32 v18, vcc_lo, v3, v4, v3
	s_delay_alu instid0(VALU_DEP_2) | instskip(SKIP_2) | instid1(VALU_DEP_1)
	v_rcp_f32_e32 v12, v11
	s_waitcnt_depctr 0xfff
	v_fma_f32 v17, -v11, v12, 1.0
	v_fmac_f32_e32 v12, v17, v12
	s_delay_alu instid0(VALU_DEP_1) | instskip(NEXT) | instid1(VALU_DEP_1)
	v_mul_f32_e32 v17, v18, v12
	v_fma_f32 v19, -v11, v17, v18
	s_delay_alu instid0(VALU_DEP_1) | instskip(NEXT) | instid1(VALU_DEP_1)
	v_fmac_f32_e32 v17, v19, v12
	v_fma_f32 v11, -v11, v17, v18
	s_delay_alu instid0(VALU_DEP_1) | instskip(NEXT) | instid1(VALU_DEP_1)
	v_div_fmas_f32 v11, v11, v12, v17
	v_div_fixup_f32 v11, v11, v4, v3
	s_delay_alu instid0(VALU_DEP_1) | instskip(NEXT) | instid1(VALU_DEP_1)
	v_fma_f32 v12, v3, v11, v4
	v_div_scale_f32 v17, null, v12, v12, 1.0
	v_div_scale_f32 v20, vcc_lo, 1.0, v12, 1.0
	s_delay_alu instid0(VALU_DEP_2) | instskip(SKIP_2) | instid1(VALU_DEP_1)
	v_rcp_f32_e32 v18, v17
	s_waitcnt_depctr 0xfff
	v_fma_f32 v19, -v17, v18, 1.0
	v_fmac_f32_e32 v18, v19, v18
	s_delay_alu instid0(VALU_DEP_1) | instskip(NEXT) | instid1(VALU_DEP_1)
	v_mul_f32_e32 v19, v20, v18
	v_fma_f32 v21, -v17, v19, v20
	s_delay_alu instid0(VALU_DEP_1) | instskip(NEXT) | instid1(VALU_DEP_1)
	v_fmac_f32_e32 v19, v21, v18
	v_fma_f32 v17, -v17, v19, v20
	s_delay_alu instid0(VALU_DEP_1) | instskip(SKIP_1) | instid1(VALU_DEP_2)
	v_div_fmas_f32 v17, v17, v18, v19
	v_fma_f32 v18, v11, v1, v2
	v_div_fixup_f32 v12, v17, v12, 1.0
	v_fma_f32 v17, v11, v2, -v1
	s_delay_alu instid0(VALU_DEP_2) | instskip(NEXT) | instid1(VALU_DEP_2)
	v_mul_f32_e32 v11, v18, v12
	v_mul_f32_e32 v12, v17, v12
	s_cbranch_execz .LBB142_157
	s_branch .LBB142_158
.LBB142_156:                            ;   in Loop: Header=BB142_147 Depth=1
                                        ; implicit-def: $vgpr12
.LBB142_157:                            ;   in Loop: Header=BB142_147 Depth=1
	v_div_scale_f32 v11, null, v3, v3, v4
	v_div_scale_f32 v18, vcc_lo, v4, v3, v4
	s_delay_alu instid0(VALU_DEP_2) | instskip(SKIP_2) | instid1(VALU_DEP_1)
	v_rcp_f32_e32 v12, v11
	s_waitcnt_depctr 0xfff
	v_fma_f32 v17, -v11, v12, 1.0
	v_fmac_f32_e32 v12, v17, v12
	s_delay_alu instid0(VALU_DEP_1) | instskip(NEXT) | instid1(VALU_DEP_1)
	v_mul_f32_e32 v17, v18, v12
	v_fma_f32 v19, -v11, v17, v18
	s_delay_alu instid0(VALU_DEP_1) | instskip(NEXT) | instid1(VALU_DEP_1)
	v_fmac_f32_e32 v17, v19, v12
	v_fma_f32 v11, -v11, v17, v18
	s_delay_alu instid0(VALU_DEP_1) | instskip(NEXT) | instid1(VALU_DEP_1)
	v_div_fmas_f32 v11, v11, v12, v17
	v_div_fixup_f32 v11, v11, v3, v4
	s_delay_alu instid0(VALU_DEP_1) | instskip(NEXT) | instid1(VALU_DEP_1)
	v_fmac_f32_e32 v3, v4, v11
	v_div_scale_f32 v4, null, v3, v3, 1.0
	v_div_scale_f32 v18, vcc_lo, 1.0, v3, 1.0
	s_delay_alu instid0(VALU_DEP_2) | instskip(SKIP_2) | instid1(VALU_DEP_1)
	v_rcp_f32_e32 v12, v4
	s_waitcnt_depctr 0xfff
	v_fma_f32 v17, -v4, v12, 1.0
	v_fmac_f32_e32 v12, v17, v12
	s_delay_alu instid0(VALU_DEP_1) | instskip(NEXT) | instid1(VALU_DEP_1)
	v_mul_f32_e32 v17, v18, v12
	v_fma_f32 v19, -v4, v17, v18
	s_delay_alu instid0(VALU_DEP_1) | instskip(NEXT) | instid1(VALU_DEP_1)
	v_fmac_f32_e32 v17, v19, v12
	v_fma_f32 v4, -v4, v17, v18
	s_delay_alu instid0(VALU_DEP_1) | instskip(SKIP_2) | instid1(VALU_DEP_3)
	v_div_fmas_f32 v4, v4, v12, v17
	v_fma_f32 v12, v11, v2, v1
	v_fma_f32 v1, -v11, v1, v2
	v_div_fixup_f32 v3, v4, v3, 1.0
	s_delay_alu instid0(VALU_DEP_1) | instskip(NEXT) | instid1(VALU_DEP_3)
	v_mul_f32_e32 v11, v12, v3
	v_mul_f32_e32 v12, v1, v3
.LBB142_158:                            ;   in Loop: Header=BB142_147 Depth=1
	s_add_i32 s9, s9, s4
	v_mov_b32_e32 v2, s14
	s_lshl_b32 s9, s9, 3
	s_delay_alu instid0(SALU_CYCLE_1)
	v_mov_b32_e32 v1, s9
	ds_load_b128 v[17:20], v1
	ds_load_b64 v[1:2], v2 offset:144
	ds_store_b64 v16, v[11:12]
	s_waitcnt lgkmcnt(2)
	v_mul_f32_e32 v3, v10, v18
	s_waitcnt lgkmcnt(1)
	v_cmp_gt_f32_e32 vcc_lo, 0, v1
	v_mul_f32_e32 v4, v9, v18
	v_mul_f32_e32 v18, v12, v20
	;; [unrolled: 1-line block ×3, first 2 shown]
	v_fma_f32 v3, v9, v17, -v3
	v_cndmask_b32_e64 v21, v1, -v1, vcc_lo
	v_cmp_gt_f32_e32 vcc_lo, 0, v2
	v_fma_f32 v18, v11, v19, -v18
	v_fmac_f32_e32 v20, v12, v19
	v_dual_sub_f32 v3, v7, v3 :: v_dual_fmac_f32 v4, v10, v17
	v_cndmask_b32_e64 v17, v2, -v2, vcc_lo
	s_delay_alu instid0(VALU_DEP_2) | instskip(NEXT) | instid1(VALU_DEP_2)
	v_dual_sub_f32 v3, v3, v18 :: v_dual_sub_f32 v4, v8, v4
	v_cmp_ngt_f32_e32 vcc_lo, v21, v17
	s_delay_alu instid0(VALU_DEP_2)
	v_sub_f32_e32 v4, v4, v20
	s_cbranch_vccz .LBB142_160
; %bb.159:                              ;   in Loop: Header=BB142_147 Depth=1
	v_div_scale_f32 v7, null, v2, v2, v1
	v_div_scale_f32 v17, vcc_lo, v1, v2, v1
	s_delay_alu instid0(VALU_DEP_2) | instskip(SKIP_2) | instid1(VALU_DEP_1)
	v_rcp_f32_e32 v8, v7
	s_waitcnt_depctr 0xfff
	v_fma_f32 v16, -v7, v8, 1.0
	v_fmac_f32_e32 v8, v16, v8
	s_delay_alu instid0(VALU_DEP_1) | instskip(NEXT) | instid1(VALU_DEP_1)
	v_mul_f32_e32 v16, v17, v8
	v_fma_f32 v18, -v7, v16, v17
	s_delay_alu instid0(VALU_DEP_1) | instskip(NEXT) | instid1(VALU_DEP_1)
	v_fmac_f32_e32 v16, v18, v8
	v_fma_f32 v7, -v7, v16, v17
	s_delay_alu instid0(VALU_DEP_1) | instskip(NEXT) | instid1(VALU_DEP_1)
	v_div_fmas_f32 v7, v7, v8, v16
	v_div_fixup_f32 v7, v7, v2, v1
	s_delay_alu instid0(VALU_DEP_1) | instskip(NEXT) | instid1(VALU_DEP_1)
	v_fma_f32 v8, v1, v7, v2
	v_div_scale_f32 v16, null, v8, v8, 1.0
	v_div_scale_f32 v19, vcc_lo, 1.0, v8, 1.0
	s_delay_alu instid0(VALU_DEP_2) | instskip(SKIP_2) | instid1(VALU_DEP_1)
	v_rcp_f32_e32 v17, v16
	s_waitcnt_depctr 0xfff
	v_fma_f32 v18, -v16, v17, 1.0
	v_fmac_f32_e32 v17, v18, v17
	s_delay_alu instid0(VALU_DEP_1) | instskip(NEXT) | instid1(VALU_DEP_1)
	v_mul_f32_e32 v18, v19, v17
	v_fma_f32 v20, -v16, v18, v19
	s_delay_alu instid0(VALU_DEP_1) | instskip(NEXT) | instid1(VALU_DEP_1)
	v_fmac_f32_e32 v18, v20, v17
	v_fma_f32 v16, -v16, v18, v19
	s_delay_alu instid0(VALU_DEP_1) | instskip(SKIP_1) | instid1(VALU_DEP_2)
	v_div_fmas_f32 v16, v16, v17, v18
	v_fma_f32 v17, v7, v3, v4
	v_div_fixup_f32 v8, v16, v8, 1.0
	v_fma_f32 v16, v7, v4, -v3
	s_delay_alu instid0(VALU_DEP_2) | instskip(NEXT) | instid1(VALU_DEP_2)
	v_mul_f32_e32 v7, v17, v8
	v_mul_f32_e32 v8, v16, v8
	s_cbranch_execz .LBB142_161
	s_branch .LBB142_162
.LBB142_160:                            ;   in Loop: Header=BB142_147 Depth=1
                                        ; implicit-def: $vgpr8
.LBB142_161:                            ;   in Loop: Header=BB142_147 Depth=1
	v_div_scale_f32 v7, null, v1, v1, v2
	v_div_scale_f32 v17, vcc_lo, v2, v1, v2
	s_delay_alu instid0(VALU_DEP_2) | instskip(SKIP_2) | instid1(VALU_DEP_1)
	v_rcp_f32_e32 v8, v7
	s_waitcnt_depctr 0xfff
	v_fma_f32 v16, -v7, v8, 1.0
	v_fmac_f32_e32 v8, v16, v8
	s_delay_alu instid0(VALU_DEP_1) | instskip(NEXT) | instid1(VALU_DEP_1)
	v_mul_f32_e32 v16, v17, v8
	v_fma_f32 v18, -v7, v16, v17
	s_delay_alu instid0(VALU_DEP_1) | instskip(NEXT) | instid1(VALU_DEP_1)
	v_fmac_f32_e32 v16, v18, v8
	v_fma_f32 v7, -v7, v16, v17
	s_delay_alu instid0(VALU_DEP_1) | instskip(NEXT) | instid1(VALU_DEP_1)
	v_div_fmas_f32 v7, v7, v8, v16
	v_div_fixup_f32 v7, v7, v1, v2
	s_delay_alu instid0(VALU_DEP_1) | instskip(NEXT) | instid1(VALU_DEP_1)
	v_fmac_f32_e32 v1, v2, v7
	v_div_scale_f32 v2, null, v1, v1, 1.0
	v_div_scale_f32 v17, vcc_lo, 1.0, v1, 1.0
	s_delay_alu instid0(VALU_DEP_2) | instskip(SKIP_2) | instid1(VALU_DEP_1)
	v_rcp_f32_e32 v8, v2
	s_waitcnt_depctr 0xfff
	v_fma_f32 v16, -v2, v8, 1.0
	v_fmac_f32_e32 v8, v16, v8
	s_delay_alu instid0(VALU_DEP_1) | instskip(NEXT) | instid1(VALU_DEP_1)
	v_mul_f32_e32 v16, v17, v8
	v_fma_f32 v18, -v2, v16, v17
	s_delay_alu instid0(VALU_DEP_1) | instskip(NEXT) | instid1(VALU_DEP_1)
	v_fmac_f32_e32 v16, v18, v8
	v_fma_f32 v2, -v2, v16, v17
	s_delay_alu instid0(VALU_DEP_1) | instskip(SKIP_1) | instid1(VALU_DEP_2)
	v_div_fmas_f32 v2, v2, v8, v16
	v_fma_f32 v8, v7, v4, v3
	v_div_fixup_f32 v1, v2, v1, 1.0
	v_fma_f32 v2, -v7, v3, v4
	s_delay_alu instid0(VALU_DEP_2) | instskip(NEXT) | instid1(VALU_DEP_2)
	v_mul_f32_e32 v7, v8, v1
	v_mul_f32_e32 v8, v2, v1
.LBB142_162:                            ;   in Loop: Header=BB142_147 Depth=1
	s_add_i32 s5, s5, s4
	s_delay_alu instid0(SALU_CYCLE_1) | instskip(NEXT) | instid1(SALU_CYCLE_1)
	s_lshl_b32 s5, s5, 3
	v_mov_b32_e32 v1, s5
	ds_load_b128 v[16:19], v1
	ds_load_b128 v[1:4], v1 offset:16
	ds_store_b64 v15, v[7:8]
	s_waitcnt lgkmcnt(2)
	v_mul_f32_e32 v20, v10, v17
	s_waitcnt lgkmcnt(1)
	v_dual_mul_f32 v17, v9, v17 :: v_dual_mul_f32 v22, v8, v2
	v_dual_mul_f32 v21, v12, v19 :: v_dual_mul_f32 v2, v7, v2
	v_cmp_gt_f32_e32 vcc_lo, 0, v3
	v_fma_f32 v9, v9, v16, -v20
	s_delay_alu instid0(VALU_DEP_3) | instskip(SKIP_2) | instid1(VALU_DEP_3)
	v_dual_fmac_f32 v17, v10, v16 :: v_dual_fmac_f32 v2, v8, v1
	v_mul_f32_e32 v19, v11, v19
	v_cndmask_b32_e64 v10, v3, -v3, vcc_lo
	v_sub_f32_e32 v6, v6, v17
	v_cmp_gt_f32_e32 vcc_lo, 0, v4
	v_fma_f32 v11, v11, v18, -v21
	v_fmac_f32_e32 v19, v12, v18
	v_sub_f32_e32 v5, v5, v9
	v_fma_f32 v12, v7, v1, -v22
	v_cndmask_b32_e64 v9, v4, -v4, vcc_lo
	s_delay_alu instid0(VALU_DEP_4) | instskip(NEXT) | instid1(VALU_DEP_4)
	v_sub_f32_e32 v6, v6, v19
	v_sub_f32_e32 v1, v5, v11
	s_delay_alu instid0(VALU_DEP_3) | instskip(NEXT) | instid1(VALU_DEP_2)
	v_cmp_ngt_f32_e32 vcc_lo, v10, v9
	v_dual_sub_f32 v6, v6, v2 :: v_dual_sub_f32 v5, v1, v12
	s_cbranch_vccz .LBB142_164
; %bb.163:                              ;   in Loop: Header=BB142_147 Depth=1
	v_div_scale_f32 v1, null, v4, v4, v3
	v_div_scale_f32 v8, vcc_lo, v3, v4, v3
	s_delay_alu instid0(VALU_DEP_2) | instskip(SKIP_2) | instid1(VALU_DEP_1)
	v_rcp_f32_e32 v2, v1
	s_waitcnt_depctr 0xfff
	v_fma_f32 v7, -v1, v2, 1.0
	v_fmac_f32_e32 v2, v7, v2
	s_delay_alu instid0(VALU_DEP_1) | instskip(NEXT) | instid1(VALU_DEP_1)
	v_mul_f32_e32 v7, v8, v2
	v_fma_f32 v9, -v1, v7, v8
	s_delay_alu instid0(VALU_DEP_1) | instskip(NEXT) | instid1(VALU_DEP_1)
	v_fmac_f32_e32 v7, v9, v2
	v_fma_f32 v1, -v1, v7, v8
	s_delay_alu instid0(VALU_DEP_1) | instskip(NEXT) | instid1(VALU_DEP_1)
	v_div_fmas_f32 v1, v1, v2, v7
	v_div_fixup_f32 v1, v1, v4, v3
	s_delay_alu instid0(VALU_DEP_1) | instskip(NEXT) | instid1(VALU_DEP_1)
	v_fma_f32 v2, v3, v1, v4
	v_div_scale_f32 v7, null, v2, v2, 1.0
	v_div_scale_f32 v10, vcc_lo, 1.0, v2, 1.0
	s_delay_alu instid0(VALU_DEP_2) | instskip(SKIP_2) | instid1(VALU_DEP_1)
	v_rcp_f32_e32 v8, v7
	s_waitcnt_depctr 0xfff
	v_fma_f32 v9, -v7, v8, 1.0
	v_fmac_f32_e32 v8, v9, v8
	s_delay_alu instid0(VALU_DEP_1) | instskip(NEXT) | instid1(VALU_DEP_1)
	v_mul_f32_e32 v9, v10, v8
	v_fma_f32 v11, -v7, v9, v10
	s_delay_alu instid0(VALU_DEP_1) | instskip(NEXT) | instid1(VALU_DEP_1)
	v_fmac_f32_e32 v9, v11, v8
	v_fma_f32 v7, -v7, v9, v10
	s_delay_alu instid0(VALU_DEP_1) | instskip(SKIP_1) | instid1(VALU_DEP_2)
	v_div_fmas_f32 v7, v7, v8, v9
	v_fma_f32 v8, v1, v5, v6
	v_div_fixup_f32 v2, v7, v2, 1.0
	v_fma_f32 v7, v1, v6, -v5
	s_delay_alu instid0(VALU_DEP_2) | instskip(NEXT) | instid1(VALU_DEP_2)
	v_mul_f32_e32 v1, v8, v2
	v_mul_f32_e32 v2, v7, v2
	s_cbranch_execz .LBB142_165
	s_branch .LBB142_166
.LBB142_164:                            ;   in Loop: Header=BB142_147 Depth=1
                                        ; implicit-def: $vgpr2
.LBB142_165:                            ;   in Loop: Header=BB142_147 Depth=1
	v_div_scale_f32 v1, null, v3, v3, v4
	v_div_scale_f32 v8, vcc_lo, v4, v3, v4
	s_delay_alu instid0(VALU_DEP_2) | instskip(SKIP_2) | instid1(VALU_DEP_1)
	v_rcp_f32_e32 v2, v1
	s_waitcnt_depctr 0xfff
	v_fma_f32 v7, -v1, v2, 1.0
	v_fmac_f32_e32 v2, v7, v2
	s_delay_alu instid0(VALU_DEP_1) | instskip(NEXT) | instid1(VALU_DEP_1)
	v_mul_f32_e32 v7, v8, v2
	v_fma_f32 v9, -v1, v7, v8
	s_delay_alu instid0(VALU_DEP_1) | instskip(NEXT) | instid1(VALU_DEP_1)
	v_fmac_f32_e32 v7, v9, v2
	v_fma_f32 v1, -v1, v7, v8
	s_delay_alu instid0(VALU_DEP_1) | instskip(NEXT) | instid1(VALU_DEP_1)
	v_div_fmas_f32 v1, v1, v2, v7
	v_div_fixup_f32 v1, v1, v3, v4
	s_delay_alu instid0(VALU_DEP_1) | instskip(NEXT) | instid1(VALU_DEP_1)
	v_fmac_f32_e32 v3, v4, v1
	v_div_scale_f32 v2, null, v3, v3, 1.0
	v_div_scale_f32 v8, vcc_lo, 1.0, v3, 1.0
	s_delay_alu instid0(VALU_DEP_2) | instskip(SKIP_2) | instid1(VALU_DEP_1)
	v_rcp_f32_e32 v4, v2
	s_waitcnt_depctr 0xfff
	v_fma_f32 v7, -v2, v4, 1.0
	v_fmac_f32_e32 v4, v7, v4
	s_delay_alu instid0(VALU_DEP_1) | instskip(NEXT) | instid1(VALU_DEP_1)
	v_mul_f32_e32 v7, v8, v4
	v_fma_f32 v9, -v2, v7, v8
	s_delay_alu instid0(VALU_DEP_1) | instskip(NEXT) | instid1(VALU_DEP_1)
	v_fmac_f32_e32 v7, v9, v4
	v_fma_f32 v2, -v2, v7, v8
	s_delay_alu instid0(VALU_DEP_1) | instskip(SKIP_1) | instid1(VALU_DEP_2)
	v_div_fmas_f32 v2, v2, v4, v7
	v_fma_f32 v4, v1, v6, v5
	v_div_fixup_f32 v2, v2, v3, 1.0
	v_fma_f32 v3, -v1, v5, v6
	s_delay_alu instid0(VALU_DEP_2) | instskip(NEXT) | instid1(VALU_DEP_2)
	v_mul_f32_e32 v1, v4, v2
	v_mul_f32_e32 v2, v3, v2
.LBB142_166:                            ;   in Loop: Header=BB142_147 Depth=1
	s_add_i32 s5, s4, 4
	s_add_i32 s4, s4, 7
	s_addk_i32 s1, 0x100
	s_cmp_ge_i32 s4, s11
	ds_store_b64 v14, v[1:2]
	s_cbranch_scc1 .LBB142_168
; %bb.167:                              ;   in Loop: Header=BB142_147 Depth=1
	s_mov_b32 s4, s5
	s_branch .LBB142_147
.LBB142_168:
	s_cmp_ge_i32 s5, s11
	s_cbranch_scc1 .LBB142_183
; %bb.169:
	v_lshl_or_b32 v7, v0, 3, 0x200
	v_lshlrev_b32_e32 v8, 3, v0
	s_add_i32 s1, s5, -1
	s_lshl_b32 s4, s5, 6
	s_mov_b32 s9, 0
	s_mov_b32 s10, s5
	s_branch .LBB142_171
.LBB142_170:                            ;   in Loop: Header=BB142_171 Depth=1
	v_add_nc_u16 v1, s10, 1
	s_add_i32 s5, s5, 1
	s_add_i32 s9, s9, 1
	s_add_i32 s4, s4, 64
	s_cmp_ge_i32 s5, s11
	v_readfirstlane_b32 s10, v1
	ds_store_b64 v9, v[5:6]
	s_cbranch_scc1 .LBB142_183
.LBB142_171:                            ; =>This Loop Header: Depth=1
                                        ;     Child Loop BB142_174 Depth 2
                                        ;     Child Loop BB142_178 Depth 2
	v_lshl_or_b32 v3, s5, 6, v8
	s_cmp_eq_u32 s5, 0
	ds_load_b64 v[1:2], v3 offset:512
	s_cbranch_scc1 .LBB142_179
; %bb.172:                              ;   in Loop: Header=BB142_171 Depth=1
	s_add_i32 s14, s1, s9
	s_delay_alu instid0(SALU_CYCLE_1)
	s_cmp_lt_u32 s14, 7
	s_cbranch_scc1 .LBB142_176
; %bb.173:                              ;   in Loop: Header=BB142_171 Depth=1
	v_mov_b32_e32 v4, v7
	s_and_b32 s14, s5, -8
	s_mov_b32 s15, 0
	s_mov_b32 s16, s4
.LBB142_174:                            ;   Parent Loop BB142_171 Depth=1
                                        ; =>  This Inner Loop Header: Depth=2
	s_delay_alu instid0(SALU_CYCLE_1)
	v_mov_b32_e32 v5, s16
	ds_load_2addr_b64 v[9:12], v4 offset1:8
	ds_load_2addr_b64 v[13:16], v4 offset0:16 offset1:24
	ds_load_2addr_b64 v[17:20], v4 offset0:32 offset1:40
	;; [unrolled: 1-line block ×3, first 2 shown]
	ds_load_b128 v[25:28], v5
	ds_load_b128 v[29:32], v5 offset:16
	ds_load_b128 v[33:36], v5 offset:32
	;; [unrolled: 1-line block ×3, first 2 shown]
	v_add_nc_u32_e32 v4, 0x200, v4
	s_add_i32 s15, s15, 8
	s_add_i32 s16, s16, 64
	s_cmp_eq_u32 s14, s15
	s_waitcnt lgkmcnt(3)
	v_mul_f32_e32 v6, v25, v10
	v_dual_mul_f32 v5, v26, v10 :: v_dual_mul_f32 v10, v28, v12
	s_waitcnt lgkmcnt(2)
	v_dual_mul_f32 v12, v27, v12 :: v_dual_mul_f32 v41, v30, v14
	s_waitcnt lgkmcnt(1)
	v_dual_mul_f32 v42, v32, v16 :: v_dual_mul_f32 v43, v34, v18
	v_fma_f32 v5, v25, v9, -v5
	v_mul_f32_e32 v16, v31, v16
	v_fma_f32 v10, v27, v11, -v10
	v_mul_f32_e32 v14, v29, v14
	v_mul_f32_e32 v18, v33, v18
	v_sub_f32_e32 v1, v1, v5
	v_dual_mul_f32 v5, v35, v20 :: v_dual_fmac_f32 v6, v26, v9
	s_delay_alu instid0(VALU_DEP_4) | instskip(NEXT) | instid1(VALU_DEP_3)
	v_dual_mul_f32 v9, v36, v20 :: v_dual_fmac_f32 v14, v30, v13
	v_sub_f32_e32 v1, v1, v10
	s_delay_alu instid0(VALU_DEP_3) | instskip(SKIP_4) | instid1(VALU_DEP_4)
	v_dual_fmac_f32 v5, v36, v19 :: v_dual_sub_f32 v2, v2, v6
	v_fma_f32 v6, v29, v13, -v41
	v_fmac_f32_e32 v12, v28, v11
	v_fma_f32 v11, v31, v15, -v42
	v_fma_f32 v9, v35, v19, -v9
	v_sub_f32_e32 v1, v1, v6
	s_waitcnt lgkmcnt(0)
	v_mul_f32_e32 v6, v37, v22
	s_delay_alu instid0(VALU_DEP_2) | instskip(SKIP_2) | instid1(VALU_DEP_2)
	v_dual_sub_f32 v1, v1, v11 :: v_dual_sub_f32 v2, v2, v12
	v_fma_f32 v12, v33, v17, -v43
	v_dual_mul_f32 v10, v38, v22 :: v_dual_mul_f32 v11, v40, v24
	v_dual_fmac_f32 v6, v38, v21 :: v_dual_sub_f32 v1, v1, v12
	v_fmac_f32_e32 v16, v32, v15
	s_delay_alu instid0(VALU_DEP_3) | instskip(NEXT) | instid1(VALU_DEP_3)
	v_fma_f32 v10, v37, v21, -v10
	v_dual_mul_f32 v12, v39, v24 :: v_dual_sub_f32 v1, v1, v9
	v_fmac_f32_e32 v18, v34, v17
	s_delay_alu instid0(VALU_DEP_2) | instskip(SKIP_1) | instid1(VALU_DEP_1)
	v_dual_fmac_f32 v12, v40, v23 :: v_dual_sub_f32 v1, v1, v10
	v_sub_f32_e32 v2, v2, v14
	v_sub_f32_e32 v2, v2, v16
	s_delay_alu instid0(VALU_DEP_1) | instskip(NEXT) | instid1(VALU_DEP_1)
	v_sub_f32_e32 v2, v2, v18
	v_sub_f32_e32 v2, v2, v5
	v_fma_f32 v5, v39, v23, -v11
	s_delay_alu instid0(VALU_DEP_1) | instskip(NEXT) | instid1(VALU_DEP_1)
	v_dual_sub_f32 v2, v2, v6 :: v_dual_sub_f32 v1, v1, v5
	v_sub_f32_e32 v2, v2, v12
	s_cbranch_scc0 .LBB142_174
; %bb.175:                              ;   in Loop: Header=BB142_171 Depth=1
	s_and_b32 s15, s5, 7
	s_delay_alu instid0(SALU_CYCLE_1)
	s_cmp_eq_u32 s15, 0
	s_cbranch_scc0 .LBB142_177
	s_branch .LBB142_179
.LBB142_176:                            ;   in Loop: Header=BB142_171 Depth=1
	s_mov_b32 s14, 0
	s_and_b32 s15, s5, 7
	s_delay_alu instid0(SALU_CYCLE_1)
	s_cmp_eq_u32 s15, 0
	s_cbranch_scc1 .LBB142_179
.LBB142_177:                            ;   in Loop: Header=BB142_171 Depth=1
	v_lshl_add_u32 v4, s14, 6, v7
	s_and_b32 s15, s10, 7
	s_lshl_b32 s14, s14, 3
	.p2align	6
.LBB142_178:                            ;   Parent Loop BB142_171 Depth=1
                                        ; =>  This Inner Loop Header: Depth=2
	s_delay_alu instid0(SALU_CYCLE_1)
	s_add_i32 s16, s4, s14
	s_add_i32 s15, s15, -1
	v_mov_b32_e32 v9, s16
	s_add_i32 s14, s14, 8
	s_cmp_lg_u32 s15, 0
	ds_load_b64 v[5:6], v4
	ds_load_b64 v[9:10], v9
	s_waitcnt lgkmcnt(0)
	v_dual_mul_f32 v11, v10, v6 :: v_dual_add_nc_u32 v4, 64, v4
	v_mul_f32_e32 v6, v9, v6
	s_delay_alu instid0(VALU_DEP_2) | instskip(NEXT) | instid1(VALU_DEP_2)
	v_fma_f32 v9, v9, v5, -v11
	v_fmac_f32_e32 v6, v10, v5
	s_delay_alu instid0(VALU_DEP_1)
	v_dual_sub_f32 v1, v1, v9 :: v_dual_sub_f32 v2, v2, v6
	s_cbranch_scc1 .LBB142_178
.LBB142_179:                            ;   in Loop: Header=BB142_171 Depth=1
	s_mul_i32 s14, s5, 0x48
	v_add_nc_u32_e32 v9, 0x200, v3
	v_mov_b32_e32 v3, s14
	ds_load_b64 v[3:4], v3
	s_waitcnt lgkmcnt(0)
	v_cmp_gt_f32_e32 vcc_lo, 0, v3
	v_cndmask_b32_e64 v5, v3, -v3, vcc_lo
	v_cmp_gt_f32_e32 vcc_lo, 0, v4
	v_cndmask_b32_e64 v6, v4, -v4, vcc_lo
	s_delay_alu instid0(VALU_DEP_1)
	v_cmp_ngt_f32_e32 vcc_lo, v5, v6
	s_cbranch_vccz .LBB142_181
; %bb.180:                              ;   in Loop: Header=BB142_171 Depth=1
	v_div_scale_f32 v5, null, v4, v4, v3
	v_div_scale_f32 v11, vcc_lo, v3, v4, v3
	s_delay_alu instid0(VALU_DEP_2) | instskip(SKIP_2) | instid1(VALU_DEP_1)
	v_rcp_f32_e32 v6, v5
	s_waitcnt_depctr 0xfff
	v_fma_f32 v10, -v5, v6, 1.0
	v_fmac_f32_e32 v6, v10, v6
	s_delay_alu instid0(VALU_DEP_1) | instskip(NEXT) | instid1(VALU_DEP_1)
	v_mul_f32_e32 v10, v11, v6
	v_fma_f32 v12, -v5, v10, v11
	s_delay_alu instid0(VALU_DEP_1) | instskip(NEXT) | instid1(VALU_DEP_1)
	v_fmac_f32_e32 v10, v12, v6
	v_fma_f32 v5, -v5, v10, v11
	s_delay_alu instid0(VALU_DEP_1) | instskip(NEXT) | instid1(VALU_DEP_1)
	v_div_fmas_f32 v5, v5, v6, v10
	v_div_fixup_f32 v5, v5, v4, v3
	s_delay_alu instid0(VALU_DEP_1) | instskip(NEXT) | instid1(VALU_DEP_1)
	v_fma_f32 v6, v3, v5, v4
	v_div_scale_f32 v10, null, v6, v6, 1.0
	v_div_scale_f32 v13, vcc_lo, 1.0, v6, 1.0
	s_delay_alu instid0(VALU_DEP_2) | instskip(SKIP_2) | instid1(VALU_DEP_1)
	v_rcp_f32_e32 v11, v10
	s_waitcnt_depctr 0xfff
	v_fma_f32 v12, -v10, v11, 1.0
	v_fmac_f32_e32 v11, v12, v11
	s_delay_alu instid0(VALU_DEP_1) | instskip(NEXT) | instid1(VALU_DEP_1)
	v_mul_f32_e32 v12, v13, v11
	v_fma_f32 v14, -v10, v12, v13
	s_delay_alu instid0(VALU_DEP_1) | instskip(NEXT) | instid1(VALU_DEP_1)
	v_fmac_f32_e32 v12, v14, v11
	v_fma_f32 v10, -v10, v12, v13
	s_delay_alu instid0(VALU_DEP_1) | instskip(SKIP_1) | instid1(VALU_DEP_2)
	v_div_fmas_f32 v10, v10, v11, v12
	v_fma_f32 v11, v1, v5, v2
	v_div_fixup_f32 v6, v10, v6, 1.0
	v_fma_f32 v10, v2, v5, -v1
	s_delay_alu instid0(VALU_DEP_2) | instskip(NEXT) | instid1(VALU_DEP_2)
	v_mul_f32_e32 v5, v11, v6
	v_mul_f32_e32 v6, v10, v6
	s_cbranch_execnz .LBB142_170
	s_branch .LBB142_182
.LBB142_181:                            ;   in Loop: Header=BB142_171 Depth=1
                                        ; implicit-def: $vgpr5
.LBB142_182:                            ;   in Loop: Header=BB142_171 Depth=1
	v_div_scale_f32 v5, null, v3, v3, v4
	v_div_scale_f32 v11, vcc_lo, v4, v3, v4
	s_delay_alu instid0(VALU_DEP_2) | instskip(SKIP_2) | instid1(VALU_DEP_1)
	v_rcp_f32_e32 v6, v5
	s_waitcnt_depctr 0xfff
	v_fma_f32 v10, -v5, v6, 1.0
	v_fmac_f32_e32 v6, v10, v6
	s_delay_alu instid0(VALU_DEP_1) | instskip(NEXT) | instid1(VALU_DEP_1)
	v_mul_f32_e32 v10, v11, v6
	v_fma_f32 v12, -v5, v10, v11
	s_delay_alu instid0(VALU_DEP_1) | instskip(NEXT) | instid1(VALU_DEP_1)
	v_fmac_f32_e32 v10, v12, v6
	v_fma_f32 v5, -v5, v10, v11
	s_delay_alu instid0(VALU_DEP_1) | instskip(NEXT) | instid1(VALU_DEP_1)
	v_div_fmas_f32 v5, v5, v6, v10
	v_div_fixup_f32 v5, v5, v3, v4
	s_delay_alu instid0(VALU_DEP_1) | instskip(NEXT) | instid1(VALU_DEP_1)
	v_fmac_f32_e32 v3, v4, v5
	v_div_scale_f32 v4, null, v3, v3, 1.0
	v_div_scale_f32 v11, vcc_lo, 1.0, v3, 1.0
	s_delay_alu instid0(VALU_DEP_2) | instskip(SKIP_2) | instid1(VALU_DEP_1)
	v_rcp_f32_e32 v6, v4
	s_waitcnt_depctr 0xfff
	v_fma_f32 v10, -v4, v6, 1.0
	v_fmac_f32_e32 v6, v10, v6
	s_delay_alu instid0(VALU_DEP_1) | instskip(NEXT) | instid1(VALU_DEP_1)
	v_mul_f32_e32 v10, v11, v6
	v_fma_f32 v12, -v4, v10, v11
	s_delay_alu instid0(VALU_DEP_1) | instskip(NEXT) | instid1(VALU_DEP_1)
	v_fmac_f32_e32 v10, v12, v6
	v_fma_f32 v4, -v4, v10, v11
	s_delay_alu instid0(VALU_DEP_1) | instskip(SKIP_2) | instid1(VALU_DEP_3)
	v_div_fmas_f32 v4, v4, v6, v10
	v_fma_f32 v6, v2, v5, v1
	v_fma_f32 v1, -v1, v5, v2
	v_div_fixup_f32 v3, v4, v3, 1.0
	s_delay_alu instid0(VALU_DEP_1) | instskip(NEXT) | instid1(VALU_DEP_3)
	v_mul_f32_e32 v5, v6, v3
	v_mul_f32_e32 v6, v1, v3
	s_branch .LBB142_170
.LBB142_183:
	s_and_saveexec_b32 s1, s20
	s_cbranch_execz .LBB142_190
; %bb.184:
	v_lshlrev_b32_e32 v3, 3, v0
	s_ashr_i32 s1, s0, 31
	s_cmp_lt_u32 s8, 4
	s_mov_b32 s9, 0
	s_cbranch_scc1 .LBB142_187
; %bb.185:
	v_add_co_u32 v1, s4, s18, v3
	s_delay_alu instid0(VALU_DEP_1)
	v_add_co_ci_u32_e64 v2, null, s19, 0, s4
	v_lshl_or_b32 v0, v0, 3, 0x200
	s_and_b32 s9, s8, 0x7ffffffc
	s_mul_hi_i32 s16, s0, 24
	s_mul_i32 s17, s0, 24
	s_lshl_b64 s[4:5], s[0:1], 5
	s_lshl_b64 s[10:11], s[0:1], 4
	;; [unrolled: 1-line block ×3, first 2 shown]
	s_mov_b32 s18, 0
	.p2align	6
.LBB142_186:                            ; =>This Inner Loop Header: Depth=1
	ds_load_2addr_b64 v[4:7], v0 offset1:8
	ds_load_2addr_b64 v[8:11], v0 offset0:16 offset1:24
	v_add_co_u32 v12, vcc_lo, v1, s14
	v_add_co_ci_u32_e32 v13, vcc_lo, s15, v2, vcc_lo
	v_add_co_u32 v14, vcc_lo, v1, s10
	v_add_co_ci_u32_e32 v15, vcc_lo, s11, v2, vcc_lo
	v_add_co_u32 v16, vcc_lo, v1, s17
	v_add_co_ci_u32_e32 v17, vcc_lo, s16, v2, vcc_lo
	v_add_nc_u32_e32 v0, 0x100, v0
	s_add_i32 s18, s18, 4
	s_delay_alu instid0(SALU_CYCLE_1)
	s_cmp_lg_u32 s9, s18
	s_waitcnt lgkmcnt(1)
	global_store_b64 v[1:2], v[4:5], off
	v_add_co_u32 v1, vcc_lo, v1, s4
	v_add_co_ci_u32_e32 v2, vcc_lo, s5, v2, vcc_lo
	global_store_b64 v[12:13], v[6:7], off
	s_waitcnt lgkmcnt(0)
	s_clause 0x1
	global_store_b64 v[14:15], v[8:9], off
	global_store_b64 v[16:17], v[10:11], off
	s_cbranch_scc1 .LBB142_186
.LBB142_187:
	s_and_b32 s4, s8, 3
	s_delay_alu instid0(SALU_CYCLE_1)
	s_cmp_eq_u32 s4, 0
	s_cbranch_scc1 .LBB142_190
; %bb.188:
	s_mul_hi_i32 s11, s0, s9
	s_mul_i32 s10, s0, s9
	v_lshl_or_b32 v2, s9, 6, v3
	s_lshl_b64 s[10:11], s[10:11], 3
	s_delay_alu instid0(SALU_CYCLE_1)
	s_add_u32 s5, s10, s6
	s_addc_u32 s6, s11, s7
	s_add_u32 s5, s5, s12
	s_addc_u32 s6, s6, s13
	;; [unrolled: 2-line block ×3, first 2 shown]
	v_add_co_u32 v0, s2, s2, v3
	s_delay_alu instid0(VALU_DEP_1)
	v_add_co_ci_u32_e64 v1, null, s3, 0, s2
	v_add_nc_u32_e32 v2, 0x200, v2
	s_lshl_b64 s[0:1], s[0:1], 3
.LBB142_189:                            ; =>This Inner Loop Header: Depth=1
	ds_load_b64 v[3:4], v2
	v_add_nc_u32_e32 v2, 64, v2
	s_add_i32 s4, s4, -1
	s_delay_alu instid0(SALU_CYCLE_1)
	s_cmp_lg_u32 s4, 0
	s_waitcnt lgkmcnt(0)
	global_store_b64 v[0:1], v[3:4], off
	v_add_co_u32 v0, vcc_lo, v0, s0
	v_add_co_ci_u32_e32 v1, vcc_lo, s1, v1, vcc_lo
	s_cbranch_scc1 .LBB142_189
.LBB142_190:
	s_nop 0
	s_sendmsg sendmsg(MSG_DEALLOC_VGPRS)
	s_endpgm
	.section	.rodata,"a",@progbits
	.p2align	6, 0x0
	.amdhsa_kernel _ZL31rocblas_trsm_small_right_deviceI19rocblas_complex_numIfES1_PKPKS1_PKPS1_Li8EEv13rocblas_fill_18rocblas_operation_17rocblas_diagonal_iiT0_T1_lilT2_lili
		.amdhsa_group_segment_fixed_size 1024
		.amdhsa_private_segment_fixed_size 0
		.amdhsa_kernarg_size 360
		.amdhsa_user_sgpr_count 14
		.amdhsa_user_sgpr_dispatch_ptr 0
		.amdhsa_user_sgpr_queue_ptr 0
		.amdhsa_user_sgpr_kernarg_segment_ptr 1
		.amdhsa_user_sgpr_dispatch_id 0
		.amdhsa_user_sgpr_private_segment_size 0
		.amdhsa_wavefront_size32 1
		.amdhsa_uses_dynamic_stack 0
		.amdhsa_enable_private_segment 0
		.amdhsa_system_sgpr_workgroup_id_x 1
		.amdhsa_system_sgpr_workgroup_id_y 0
		.amdhsa_system_sgpr_workgroup_id_z 1
		.amdhsa_system_sgpr_workgroup_info 0
		.amdhsa_system_vgpr_workitem_id 0
		.amdhsa_next_free_vgpr 46
		.amdhsa_next_free_sgpr 36
		.amdhsa_reserve_vcc 1
		.amdhsa_float_round_mode_32 0
		.amdhsa_float_round_mode_16_64 0
		.amdhsa_float_denorm_mode_32 3
		.amdhsa_float_denorm_mode_16_64 3
		.amdhsa_dx10_clamp 1
		.amdhsa_ieee_mode 1
		.amdhsa_fp16_overflow 0
		.amdhsa_workgroup_processor_mode 1
		.amdhsa_memory_ordered 1
		.amdhsa_forward_progress 0
		.amdhsa_shared_vgpr_count 0
		.amdhsa_exception_fp_ieee_invalid_op 0
		.amdhsa_exception_fp_denorm_src 0
		.amdhsa_exception_fp_ieee_div_zero 0
		.amdhsa_exception_fp_ieee_overflow 0
		.amdhsa_exception_fp_ieee_underflow 0
		.amdhsa_exception_fp_ieee_inexact 0
		.amdhsa_exception_int_div_zero 0
	.end_amdhsa_kernel
	.section	.text._ZL31rocblas_trsm_small_right_deviceI19rocblas_complex_numIfES1_PKPKS1_PKPS1_Li8EEv13rocblas_fill_18rocblas_operation_17rocblas_diagonal_iiT0_T1_lilT2_lili,"axG",@progbits,_ZL31rocblas_trsm_small_right_deviceI19rocblas_complex_numIfES1_PKPKS1_PKPS1_Li8EEv13rocblas_fill_18rocblas_operation_17rocblas_diagonal_iiT0_T1_lilT2_lili,comdat
.Lfunc_end142:
	.size	_ZL31rocblas_trsm_small_right_deviceI19rocblas_complex_numIfES1_PKPKS1_PKPS1_Li8EEv13rocblas_fill_18rocblas_operation_17rocblas_diagonal_iiT0_T1_lilT2_lili, .Lfunc_end142-_ZL31rocblas_trsm_small_right_deviceI19rocblas_complex_numIfES1_PKPKS1_PKPS1_Li8EEv13rocblas_fill_18rocblas_operation_17rocblas_diagonal_iiT0_T1_lilT2_lili
                                        ; -- End function
	.section	.AMDGPU.csdata,"",@progbits
; Kernel info:
; codeLenInByte = 16940
; NumSgprs: 38
; NumVgprs: 46
; ScratchSize: 0
; MemoryBound: 0
; FloatMode: 240
; IeeeMode: 1
; LDSByteSize: 1024 bytes/workgroup (compile time only)
; SGPRBlocks: 4
; VGPRBlocks: 5
; NumSGPRsForWavesPerEU: 38
; NumVGPRsForWavesPerEU: 46
; Occupancy: 16
; WaveLimiterHint : 0
; COMPUTE_PGM_RSRC2:SCRATCH_EN: 0
; COMPUTE_PGM_RSRC2:USER_SGPR: 14
; COMPUTE_PGM_RSRC2:TRAP_HANDLER: 0
; COMPUTE_PGM_RSRC2:TGID_X_EN: 1
; COMPUTE_PGM_RSRC2:TGID_Y_EN: 0
; COMPUTE_PGM_RSRC2:TGID_Z_EN: 1
; COMPUTE_PGM_RSRC2:TIDIG_COMP_CNT: 0
	.section	.text._ZL38rocblas_trsm_small_left_device_sharedBILi12ELi12ELb0E19rocblas_complex_numIfES1_PKPKS1_PKPS1_Ev13rocblas_fill_18rocblas_operation_17rocblas_diagonal_iiT3_T4_lilT5_lili,"axG",@progbits,_ZL38rocblas_trsm_small_left_device_sharedBILi12ELi12ELb0E19rocblas_complex_numIfES1_PKPKS1_PKPS1_Ev13rocblas_fill_18rocblas_operation_17rocblas_diagonal_iiT3_T4_lilT5_lili,comdat
	.globl	_ZL38rocblas_trsm_small_left_device_sharedBILi12ELi12ELb0E19rocblas_complex_numIfES1_PKPKS1_PKPS1_Ev13rocblas_fill_18rocblas_operation_17rocblas_diagonal_iiT3_T4_lilT5_lili ; -- Begin function _ZL38rocblas_trsm_small_left_device_sharedBILi12ELi12ELb0E19rocblas_complex_numIfES1_PKPKS1_PKPS1_Ev13rocblas_fill_18rocblas_operation_17rocblas_diagonal_iiT3_T4_lilT5_lili
	.p2align	8
	.type	_ZL38rocblas_trsm_small_left_device_sharedBILi12ELi12ELb0E19rocblas_complex_numIfES1_PKPKS1_PKPS1_Ev13rocblas_fill_18rocblas_operation_17rocblas_diagonal_iiT3_T4_lilT5_lili,@function
_ZL38rocblas_trsm_small_left_device_sharedBILi12ELi12ELb0E19rocblas_complex_numIfES1_PKPKS1_PKPS1_Ev13rocblas_fill_18rocblas_operation_17rocblas_diagonal_iiT3_T4_lilT5_lili: ; @_ZL38rocblas_trsm_small_left_device_sharedBILi12ELi12ELb0E19rocblas_complex_numIfES1_PKPKS1_PKPS1_Ev13rocblas_fill_18rocblas_operation_17rocblas_diagonal_iiT3_T4_lilT5_lili
; %bb.0:
	s_clause 0x1
	s_load_b128 s[8:11], s[0:1], 0x40
	s_load_b128 s[4:7], s[0:1], 0x4
	s_mov_b32 s20, s15
	s_mov_b32 s21, 0
	s_load_b32 s28, s[0:1], 0x68
	s_lshl_b64 s[22:23], s[20:21], 3
	s_mov_b32 s29, exec_lo
	s_waitcnt lgkmcnt(0)
	s_add_u32 s2, s8, s22
	s_addc_u32 s3, s9, s23
	s_load_b64 s[12:13], s[0:1], 0x14
	s_load_b64 s[2:3], s[2:3], 0x0
	s_min_i32 s15, s6, 12
	s_delay_alu instid0(SALU_CYCLE_1)
	s_add_i32 s20, s15, -1
	v_cmpx_gt_i32_e64 s15, v0
	s_cbranch_execz .LBB143_35
; %bb.1:
	s_clause 0x1
	s_load_b32 s8, s[0:1], 0x30
	s_load_b128 s[16:19], s[0:1], 0x20
	s_waitcnt lgkmcnt(0)
	s_ashr_i32 s9, s8, 31
	s_cmpk_lg_i32 s4, 0x71
	s_cselect_b32 s30, -1, 0
	s_add_u32 s16, s16, s22
	s_addc_u32 s17, s17, s23
	v_cndmask_b32_e64 v7, 0, 1, s30
	s_load_b64 s[16:17], s[16:17], 0x0
	s_cmp_lt_u32 s20, 3
	s_cbranch_scc1 .LBB143_20
; %bb.2:
	v_lshlrev_b32_e32 v8, 3, v0
	s_lshl_b64 s[22:23], s[18:19], 3
	s_mul_hi_i32 s31, s8, 24
	s_waitcnt lgkmcnt(0)
	s_add_u32 s21, s16, s22
	s_addc_u32 s22, s17, s23
	v_add_co_u32 v1, s21, s21, v8
	s_delay_alu instid0(VALU_DEP_1)
	v_add_co_ci_u32_e64 v2, null, s22, 0, s21
	s_and_b32 s21, s15, -4
	s_mul_i32 s33, s8, 24
	s_lshl_b64 s[22:23], s[8:9], 5
	s_lshl_b64 s[24:25], s[8:9], 4
	;; [unrolled: 1-line block ×3, first 2 shown]
	s_mov_b32 s34, 0
	s_branch .LBB143_4
.LBB143_3:                              ;   in Loop: Header=BB143_4 Depth=1
	global_load_b32 v3, v[5:6], off
	v_add_co_u32 v1, vcc_lo, v1, s22
	v_add_co_ci_u32_e32 v2, vcc_lo, s23, v2, vcc_lo
	s_add_i32 s34, s34, 4
	s_delay_alu instid0(SALU_CYCLE_1)
	s_cmp_eq_u32 s21, s34
	s_waitcnt vmcnt(0)
	ds_store_b64 v8, v[3:4] offset:288
	v_add_nc_u32_e32 v8, 0x180, v8
	s_cbranch_scc1 .LBB143_20
.LBB143_4:                              ; =>This Inner Loop Header: Depth=1
	s_and_b32 vcc_lo, exec_lo, s30
	s_cbranch_vccz .LBB143_6
; %bb.5:                                ;   in Loop: Header=BB143_4 Depth=1
	global_load_b32 v4, v[1:2], off offset:4
	s_cbranch_execz .LBB143_7
	s_branch .LBB143_8
.LBB143_6:                              ;   in Loop: Header=BB143_4 Depth=1
                                        ; implicit-def: $vgpr4
.LBB143_7:                              ;   in Loop: Header=BB143_4 Depth=1
	global_load_b32 v3, v[1:2], off offset:4
	s_waitcnt vmcnt(0)
	v_xor_b32_e32 v4, 0x80000000, v3
.LBB143_8:                              ;   in Loop: Header=BB143_4 Depth=1
	global_load_b32 v3, v[1:2], off
	v_add_co_u32 v5, vcc_lo, v1, s26
	v_add_co_ci_u32_e32 v6, vcc_lo, s27, v2, vcc_lo
	s_and_not1_b32 vcc_lo, exec_lo, s30
	s_waitcnt vmcnt(0)
	ds_store_b64 v8, v[3:4]
	s_cbranch_vccnz .LBB143_10
; %bb.9:                                ;   in Loop: Header=BB143_4 Depth=1
	global_load_b32 v4, v[5:6], off offset:4
	s_cbranch_execz .LBB143_11
	s_branch .LBB143_12
.LBB143_10:                             ;   in Loop: Header=BB143_4 Depth=1
                                        ; implicit-def: $vgpr4
.LBB143_11:                             ;   in Loop: Header=BB143_4 Depth=1
	global_load_b32 v3, v[5:6], off offset:4
	s_waitcnt vmcnt(0)
	v_xor_b32_e32 v4, 0x80000000, v3
.LBB143_12:                             ;   in Loop: Header=BB143_4 Depth=1
	global_load_b32 v3, v[5:6], off
	v_add_co_u32 v5, vcc_lo, v1, s24
	v_add_co_ci_u32_e32 v6, vcc_lo, s25, v2, vcc_lo
	s_and_not1_b32 vcc_lo, exec_lo, s30
	s_waitcnt vmcnt(0)
	ds_store_b64 v8, v[3:4] offset:96
	s_cbranch_vccnz .LBB143_14
; %bb.13:                               ;   in Loop: Header=BB143_4 Depth=1
	global_load_b32 v4, v[5:6], off offset:4
	s_cbranch_execz .LBB143_15
	s_branch .LBB143_16
.LBB143_14:                             ;   in Loop: Header=BB143_4 Depth=1
                                        ; implicit-def: $vgpr4
.LBB143_15:                             ;   in Loop: Header=BB143_4 Depth=1
	global_load_b32 v3, v[5:6], off offset:4
	s_waitcnt vmcnt(0)
	v_xor_b32_e32 v4, 0x80000000, v3
.LBB143_16:                             ;   in Loop: Header=BB143_4 Depth=1
	global_load_b32 v3, v[5:6], off
	v_add_co_u32 v5, vcc_lo, v1, s33
	v_add_co_ci_u32_e32 v6, vcc_lo, s31, v2, vcc_lo
	s_and_not1_b32 vcc_lo, exec_lo, s30
	s_waitcnt vmcnt(0)
	ds_store_b64 v8, v[3:4] offset:192
	s_cbranch_vccnz .LBB143_18
; %bb.17:                               ;   in Loop: Header=BB143_4 Depth=1
	global_load_b32 v4, v[5:6], off offset:4
	s_cbranch_execnz .LBB143_3
	s_branch .LBB143_19
.LBB143_18:                             ;   in Loop: Header=BB143_4 Depth=1
                                        ; implicit-def: $vgpr4
.LBB143_19:                             ;   in Loop: Header=BB143_4 Depth=1
	global_load_b32 v3, v[5:6], off offset:4
	s_waitcnt vmcnt(0)
	v_xor_b32_e32 v4, 0x80000000, v3
	s_branch .LBB143_3
.LBB143_20:
	s_and_b32 s22, s15, 3
	s_delay_alu instid0(SALU_CYCLE_1)
	s_cmp_eq_u32 s22, 0
	s_cbranch_scc1 .LBB143_27
; %bb.21:
	s_mul_i32 s23, s9, s21
	s_mul_hi_u32 s25, s8, s21
	s_mul_i32 s24, s8, s21
	s_add_i32 s25, s25, s23
	s_lshl_b64 s[18:19], s[18:19], 3
	s_lshl_b64 s[24:25], s[24:25], 3
	v_lshlrev_b32_e32 v1, 3, v0
	s_add_u32 s18, s24, s18
	s_addc_u32 s19, s25, s19
	s_waitcnt lgkmcnt(0)
	s_add_u32 s16, s16, s18
	s_addc_u32 s17, s17, s19
	v_add_co_u32 v1, s16, s16, v1
	s_delay_alu instid0(VALU_DEP_1) | instskip(SKIP_1) | instid1(VALU_DEP_2)
	v_add_co_ci_u32_e64 v2, null, s17, 0, s16
	s_mulk_i32 s21, 0x60
	v_add_co_u32 v1, vcc_lo, v1, 4
	v_lshl_add_u32 v5, v0, 3, s21
	s_delay_alu instid0(VALU_DEP_3)
	v_add_co_ci_u32_e32 v2, vcc_lo, 0, v2, vcc_lo
	s_lshl_b64 s[8:9], s[8:9], 3
	s_set_inst_prefetch_distance 0x1
	s_branch .LBB143_23
	.p2align	6
.LBB143_22:                             ;   in Loop: Header=BB143_23 Depth=1
	global_load_b32 v3, v[1:2], off offset:-4
	v_add_co_u32 v1, vcc_lo, v1, s8
	v_add_co_ci_u32_e32 v2, vcc_lo, s9, v2, vcc_lo
	s_add_i32 s22, s22, -1
	s_delay_alu instid0(SALU_CYCLE_1)
	s_cmp_lg_u32 s22, 0
	s_waitcnt vmcnt(0)
	ds_store_b64 v5, v[3:4]
	v_add_nc_u32_e32 v5, 0x60, v5
	s_cbranch_scc0 .LBB143_27
.LBB143_23:                             ; =>This Inner Loop Header: Depth=1
	v_cmp_ne_u32_e32 vcc_lo, 1, v7
	s_mov_b32 s16, -1
                                        ; implicit-def: $vgpr4
	s_cbranch_vccnz .LBB143_25
; %bb.24:                               ;   in Loop: Header=BB143_23 Depth=1
	global_load_b32 v4, v[1:2], off
	s_mov_b32 s16, 0
.LBB143_25:                             ;   in Loop: Header=BB143_23 Depth=1
	s_delay_alu instid0(SALU_CYCLE_1)
	s_and_not1_b32 vcc_lo, exec_lo, s16
	s_cbranch_vccnz .LBB143_22
; %bb.26:                               ;   in Loop: Header=BB143_23 Depth=1
	global_load_b32 v3, v[1:2], off
	s_waitcnt vmcnt(0)
	v_xor_b32_e32 v4, 0x80000000, v3
	s_branch .LBB143_22
.LBB143_27:
	s_set_inst_prefetch_distance 0x2
	v_mul_u32_u24_e32 v1, 13, v0
	s_cmpk_lg_i32 s5, 0x84
	s_mov_b32 s5, -1
	s_delay_alu instid0(VALU_DEP_1)
	v_lshlrev_b32_e32 v5, 3, v1
	s_cbranch_scc0 .LBB143_33
; %bb.28:
	ds_load_b64 v[1:2], v5
	s_waitcnt lgkmcnt(0)
	v_cmp_gt_f32_e32 vcc_lo, 0, v1
	v_cndmask_b32_e64 v3, v1, -v1, vcc_lo
	v_cmp_gt_f32_e32 vcc_lo, 0, v2
	v_cndmask_b32_e64 v4, v2, -v2, vcc_lo
	s_delay_alu instid0(VALU_DEP_1) | instskip(SKIP_1) | instid1(SALU_CYCLE_1)
	v_cmp_ngt_f32_e32 vcc_lo, v3, v4
                                        ; implicit-def: $vgpr3
	s_and_saveexec_b32 s5, vcc_lo
	s_xor_b32 s5, exec_lo, s5
	s_cbranch_execz .LBB143_30
; %bb.29:
	v_div_scale_f32 v3, null, v2, v2, v1
	v_div_scale_f32 v7, vcc_lo, v1, v2, v1
	s_delay_alu instid0(VALU_DEP_2) | instskip(SKIP_2) | instid1(VALU_DEP_1)
	v_rcp_f32_e32 v4, v3
	s_waitcnt_depctr 0xfff
	v_fma_f32 v6, -v3, v4, 1.0
	v_fmac_f32_e32 v4, v6, v4
	s_delay_alu instid0(VALU_DEP_1) | instskip(NEXT) | instid1(VALU_DEP_1)
	v_mul_f32_e32 v6, v7, v4
	v_fma_f32 v8, -v3, v6, v7
	s_delay_alu instid0(VALU_DEP_1) | instskip(NEXT) | instid1(VALU_DEP_1)
	v_fmac_f32_e32 v6, v8, v4
	v_fma_f32 v3, -v3, v6, v7
	s_delay_alu instid0(VALU_DEP_1) | instskip(NEXT) | instid1(VALU_DEP_1)
	v_div_fmas_f32 v3, v3, v4, v6
	v_div_fixup_f32 v3, v3, v2, v1
	s_delay_alu instid0(VALU_DEP_1) | instskip(NEXT) | instid1(VALU_DEP_1)
	v_fmac_f32_e32 v2, v1, v3
	v_div_scale_f32 v1, null, v2, v2, 1.0
	v_div_scale_f32 v7, vcc_lo, 1.0, v2, 1.0
	s_delay_alu instid0(VALU_DEP_2) | instskip(SKIP_2) | instid1(VALU_DEP_1)
	v_rcp_f32_e32 v4, v1
	s_waitcnt_depctr 0xfff
	v_fma_f32 v6, -v1, v4, 1.0
	v_fmac_f32_e32 v4, v6, v4
	s_delay_alu instid0(VALU_DEP_1) | instskip(NEXT) | instid1(VALU_DEP_1)
	v_mul_f32_e32 v6, v7, v4
	v_fma_f32 v8, -v1, v6, v7
	s_delay_alu instid0(VALU_DEP_1) | instskip(NEXT) | instid1(VALU_DEP_1)
	v_fmac_f32_e32 v6, v8, v4
	v_fma_f32 v1, -v1, v6, v7
	s_delay_alu instid0(VALU_DEP_1) | instskip(SKIP_1) | instid1(VALU_DEP_2)
	v_div_fmas_f32 v1, v1, v4, v6
	v_add_f32_e32 v4, 0, v3
	v_div_fixup_f32 v1, v1, v2, 1.0
	v_fma_f32 v2, v3, 0, -1.0
	s_delay_alu instid0(VALU_DEP_2) | instskip(NEXT) | instid1(VALU_DEP_2)
	v_mul_f32_e32 v3, v4, v1
	v_mul_f32_e32 v4, v2, v1
                                        ; implicit-def: $vgpr1_vgpr2
.LBB143_30:
	s_and_not1_saveexec_b32 s5, s5
	s_cbranch_execz .LBB143_32
; %bb.31:
	v_div_scale_f32 v3, null, v1, v1, v2
	v_div_scale_f32 v7, vcc_lo, v2, v1, v2
	s_delay_alu instid0(VALU_DEP_2) | instskip(SKIP_2) | instid1(VALU_DEP_1)
	v_rcp_f32_e32 v4, v3
	s_waitcnt_depctr 0xfff
	v_fma_f32 v6, -v3, v4, 1.0
	v_fmac_f32_e32 v4, v6, v4
	s_delay_alu instid0(VALU_DEP_1) | instskip(NEXT) | instid1(VALU_DEP_1)
	v_mul_f32_e32 v6, v7, v4
	v_fma_f32 v8, -v3, v6, v7
	s_delay_alu instid0(VALU_DEP_1) | instskip(NEXT) | instid1(VALU_DEP_1)
	v_fmac_f32_e32 v6, v8, v4
	v_fma_f32 v3, -v3, v6, v7
	s_delay_alu instid0(VALU_DEP_1) | instskip(NEXT) | instid1(VALU_DEP_1)
	v_div_fmas_f32 v3, v3, v4, v6
	v_div_fixup_f32 v4, v3, v1, v2
	s_delay_alu instid0(VALU_DEP_1) | instskip(NEXT) | instid1(VALU_DEP_1)
	v_fmac_f32_e32 v1, v2, v4
	v_div_scale_f32 v2, null, v1, v1, 1.0
	v_div_scale_f32 v7, vcc_lo, 1.0, v1, 1.0
	s_delay_alu instid0(VALU_DEP_2) | instskip(SKIP_2) | instid1(VALU_DEP_1)
	v_rcp_f32_e32 v3, v2
	s_waitcnt_depctr 0xfff
	v_fma_f32 v6, -v2, v3, 1.0
	v_fmac_f32_e32 v3, v6, v3
	s_delay_alu instid0(VALU_DEP_1) | instskip(NEXT) | instid1(VALU_DEP_1)
	v_mul_f32_e32 v6, v7, v3
	v_fma_f32 v8, -v2, v6, v7
	s_delay_alu instid0(VALU_DEP_1) | instskip(NEXT) | instid1(VALU_DEP_1)
	v_fmac_f32_e32 v6, v8, v3
	v_fma_f32 v2, -v2, v6, v7
	s_delay_alu instid0(VALU_DEP_1) | instskip(SKIP_1) | instid1(VALU_DEP_2)
	v_div_fmas_f32 v2, v2, v3, v6
	v_fma_f32 v3, v4, 0, 1.0
	v_div_fixup_f32 v1, v2, v1, 1.0
	s_delay_alu instid0(VALU_DEP_1)
	v_mul_f32_e32 v3, v3, v1
	v_mul_f32_e64 v4, -v4, v1
.LBB143_32:
	s_or_b32 exec_lo, exec_lo, s5
	s_mov_b32 s5, 0
	ds_store_b64 v5, v[3:4]
.LBB143_33:
	s_and_b32 vcc_lo, exec_lo, s5
	s_cbranch_vccz .LBB143_35
; %bb.34:
	v_dual_mov_b32 v1, 1.0 :: v_dual_mov_b32 v2, 0
	ds_store_b64 v5, v[1:2]
.LBB143_35:
	s_or_b32 exec_lo, exec_lo, s29
	s_waitcnt lgkmcnt(0)
	s_load_b32 s16, s[0:1], 0x50
	s_lshl_b64 s[0:1], s[10:11], 3
	s_mul_i32 s5, s14, -12
	s_mul_i32 s8, s14, 12
	s_waitcnt lgkmcnt(0)
	s_ashr_i32 s17, s16, 31
	s_add_u32 s18, s2, s0
	s_addc_u32 s19, s3, s1
	s_add_i32 s28, s28, -1
	s_add_i32 s5, s5, s7
	s_mul_hi_i32 s11, s16, s8
	s_cmp_ge_u32 s14, s28
	s_mul_i32 s10, s16, s8
	s_cselect_b32 s5, s5, 12
	s_lshl_b64 s[10:11], s[10:11], 3
	s_ashr_i32 s9, s8, 31
	s_add_u32 s7, s18, s10
	s_addc_u32 s14, s19, s11
	v_cmp_gt_i32_e32 vcc_lo, s5, v0
	s_cmp_gt_i32 s6, 0
	s_mov_b32 s11, 0
	s_cselect_b32 s5, -1, 0
	s_delay_alu instid0(SALU_CYCLE_1) | instskip(NEXT) | instid1(SALU_CYCLE_1)
	s_and_b32 s18, vcc_lo, s5
	s_and_saveexec_b32 s5, s18
	s_cbranch_execz .LBB143_43
; %bb.36:
	s_cmp_lt_i32 s6, 8
	s_cbranch_scc1 .LBB143_40
; %bb.37:
	v_mad_i64_i32 v[1:2], null, s16, v0, 0
	s_lshl_b32 s10, s15, 3
	s_delay_alu instid0(SALU_CYCLE_1) | instskip(SKIP_1) | instid1(VALU_DEP_1)
	s_and_b32 s19, s10, 64
	s_mov_b64 s[10:11], 0
	v_lshlrev_b64 v[2:3], 3, v[1:2]
	v_lshl_or_b32 v1, v0, 3, 0x480
	s_delay_alu instid0(VALU_DEP_2) | instskip(NEXT) | instid1(VALU_DEP_3)
	v_add_co_u32 v2, vcc_lo, s7, v2
	v_add_co_ci_u32_e32 v3, vcc_lo, s14, v3, vcc_lo
.LBB143_38:                             ; =>This Inner Loop Header: Depth=1
	s_delay_alu instid0(VALU_DEP_2) | instskip(NEXT) | instid1(VALU_DEP_2)
	v_add_co_u32 v16, vcc_lo, v2, s10
	v_add_co_ci_u32_e32 v17, vcc_lo, s11, v3, vcc_lo
	s_add_u32 s10, s10, 64
	s_addc_u32 s11, s11, 0
	s_cmp_lg_u32 s19, s10
	s_clause 0x3
	global_load_b128 v[4:7], v[16:17], off
	global_load_b128 v[8:11], v[16:17], off offset:16
	global_load_b128 v[12:15], v[16:17], off offset:32
	;; [unrolled: 1-line block ×3, first 2 shown]
	s_waitcnt vmcnt(3)
	v_dual_mul_f32 v21, s13, v5 :: v_dual_mul_f32 v22, s13, v7
	v_dual_mul_f32 v20, s12, v5 :: v_dual_mul_f32 v5, s12, v7
	s_waitcnt vmcnt(2)
	v_dual_mul_f32 v23, s13, v9 :: v_dual_mul_f32 v24, s13, v11
	s_waitcnt vmcnt(1)
	v_dual_mul_f32 v7, s12, v9 :: v_dual_mul_f32 v26, s13, v15
	v_dual_mul_f32 v9, s12, v11 :: v_dual_fmac_f32 v20, s13, v4
	s_waitcnt vmcnt(0)
	v_dual_mul_f32 v25, s13, v13 :: v_dual_mul_f32 v28, s13, v19
	v_mul_f32_e32 v11, s12, v13
	v_mul_f32_e32 v13, s12, v15
	;; [unrolled: 1-line block ×5, first 2 shown]
	v_fma_f32 v19, s12, v4, -v21
	v_fma_f32 v4, s12, v6, -v22
	v_fmac_f32_e32 v5, s13, v6
	v_fma_f32 v6, s12, v8, -v23
	v_fmac_f32_e32 v7, s13, v8
	;; [unrolled: 2-line block ×7, first 2 shown]
	ds_store_2addr_b64 v1, v[19:20], v[4:5] offset1:12
	ds_store_2addr_b64 v1, v[6:7], v[8:9] offset0:24 offset1:36
	ds_store_2addr_b64 v1, v[10:11], v[12:13] offset0:48 offset1:60
	;; [unrolled: 1-line block ×3, first 2 shown]
	v_add_nc_u32_e32 v1, 0x300, v1
	s_cbranch_scc1 .LBB143_38
; %bb.39:
	s_mov_b32 s11, 8
.LBB143_40:
	s_and_b32 s10, s15, 7
	s_delay_alu instid0(SALU_CYCLE_1)
	s_cmp_eq_u32 s10, 0
	s_cbranch_scc1 .LBB143_43
; %bb.41:
	v_lshlrev_b32_e32 v3, 3, v0
	s_lshl_b64 s[22:23], s[8:9], 3
	s_lshl_b32 s19, s11, 3
	s_mulk_i32 s11, 0x60
	s_add_u32 s19, s2, s19
	v_add_co_u32 v4, s21, s22, v3
	s_delay_alu instid0(VALU_DEP_1) | instskip(SKIP_3) | instid1(VALU_DEP_1)
	v_add_co_ci_u32_e64 v5, null, s23, 0, s21
	s_addc_u32 s21, s3, 0
	s_add_u32 s22, s19, s0
	s_addc_u32 s23, s21, s1
	v_mul_lo_u32 v5, v5, s16
	v_mad_u64_u32 v[1:2], null, v4, s16, s[22:23]
	v_mul_lo_u32 v4, v4, s17
	v_add3_u32 v3, s11, v3, 0x480
	s_delay_alu instid0(VALU_DEP_3) | instskip(NEXT) | instid1(VALU_DEP_3)
	v_add_co_u32 v1, vcc_lo, v1, 4
	v_add3_u32 v2, v5, v2, v4
	s_delay_alu instid0(VALU_DEP_1)
	v_add_co_ci_u32_e32 v2, vcc_lo, 0, v2, vcc_lo
	.p2align	6
.LBB143_42:                             ; =>This Inner Loop Header: Depth=1
	global_load_b64 v[4:5], v[1:2], off offset:-4
	v_add_co_u32 v1, vcc_lo, v1, 8
	v_add_co_ci_u32_e32 v2, vcc_lo, 0, v2, vcc_lo
	s_add_i32 s10, s10, -1
	s_delay_alu instid0(SALU_CYCLE_1) | instskip(SKIP_2) | instid1(VALU_DEP_1)
	s_cmp_lg_u32 s10, 0
	s_waitcnt vmcnt(0)
	v_mul_f32_e32 v6, s12, v5
	v_dual_mul_f32 v7, s13, v5 :: v_dual_fmac_f32 v6, s13, v4
	s_delay_alu instid0(VALU_DEP_1)
	v_fma_f32 v5, s12, v4, -v7
	ds_store_b64 v3, v[5:6]
	v_add_nc_u32_e32 v3, 0x60, v3
	s_cbranch_scc1 .LBB143_42
.LBB143_43:
	s_or_b32 exec_lo, exec_lo, s5
	v_or_b32_e64 v5, 0, 4
	s_cmpk_eq_i32 s4, 0x6f
	s_mov_b32 s4, -1
	s_waitcnt vmcnt(0) lgkmcnt(0)
	s_waitcnt_vscnt null, 0x0
	; wave barrier
	s_waitcnt lgkmcnt(0)
	buffer_gl0_inv
	s_cbranch_scc1 .LBB143_65
; %bb.44:
	v_lshl_or_b32 v3, v0, 3, 0x480
	s_mov_b32 s5, 0
	s_delay_alu instid0(SALU_CYCLE_1)
	s_mov_b32 s4, s5
	s_mov_b32 s10, s5
	s_branch .LBB143_46
.LBB143_45:                             ;   in Loop: Header=BB143_46 Depth=1
	s_cmp_ge_i32 s10, s15
	s_cselect_b32 s11, -1, 0
	s_add_i32 s4, s4, 1
	s_delay_alu instid0(SALU_CYCLE_1) | instskip(SKIP_1) | instid1(SALU_CYCLE_1)
	s_cmp_eq_u32 s4, 3
	s_cselect_b32 s12, -1, 0
	s_or_b32 s11, s11, s12
	s_delay_alu instid0(SALU_CYCLE_1)
	s_and_not1_b32 vcc_lo, exec_lo, s11
	s_cbranch_vccz .LBB143_64
.LBB143_46:                             ; =>This Loop Header: Depth=1
                                        ;     Child Loop BB143_49 Depth 2
                                        ;       Child Loop BB143_50 Depth 3
                                        ;       Child Loop BB143_53 Depth 3
                                        ;         Child Loop BB143_54 Depth 4
                                        ;       Child Loop BB143_58 Depth 3
                                        ;         Child Loop BB143_60 Depth 4
	s_getpc_b64 s[12:13]
	s_add_u32 s12, s12, __const._ZL38rocblas_trsm_small_left_device_sharedBILi12ELi12ELb0E19rocblas_complex_numIfES1_PKPKS1_PKPS1_Ev13rocblas_fill_18rocblas_operation_17rocblas_diagonal_iiT3_T4_lilT5_lili.step_sizes@rel32@lo+4
	s_addc_u32 s13, s13, __const._ZL38rocblas_trsm_small_left_device_sharedBILi12ELi12ELb0E19rocblas_complex_numIfES1_PKPKS1_PKPS1_Ev13rocblas_fill_18rocblas_operation_17rocblas_diagonal_iiT3_T4_lilT5_lili.step_sizes@rel32@hi+12
	s_lshl_b64 s[22:23], s[4:5], 2
	s_delay_alu instid0(SALU_CYCLE_1) | instskip(SKIP_4) | instid1(SALU_CYCLE_1)
	s_add_u32 s12, s22, s12
	s_addc_u32 s13, s23, s13
	s_load_b32 s11, s[12:13], 0x0
	s_waitcnt lgkmcnt(0)
	s_add_i32 s12, s11, -1
	s_add_i32 s13, s12, s10
	s_delay_alu instid0(SALU_CYCLE_1)
	s_cmp_ge_i32 s13, s15
	s_cbranch_scc1 .LBB143_45
; %bb.47:                               ;   in Loop: Header=BB143_46 Depth=1
	s_mul_i32 s13, s10, 0x60
	s_max_i32 s19, s11, 1
	v_add_nc_u32_e32 v4, s13, v3
	s_mul_i32 s21, s11, 0x60
	s_mul_i32 s22, s10, 0x68
	;; [unrolled: 1-line block ×3, first 2 shown]
	s_branch .LBB143_49
.LBB143_48:                             ;   in Loop: Header=BB143_49 Depth=2
	s_add_i32 s10, s10, s11
	v_add_nc_u32_e32 v4, s21, v4
	s_add_i32 s24, s12, s10
	s_add_i32 s13, s13, s21
	;; [unrolled: 1-line block ×3, first 2 shown]
	s_cmp_ge_i32 s24, s15
	s_cbranch_scc1 .LBB143_45
.LBB143_49:                             ;   Parent Loop BB143_46 Depth=1
                                        ; =>  This Loop Header: Depth=2
                                        ;       Child Loop BB143_50 Depth 3
                                        ;       Child Loop BB143_53 Depth 3
                                        ;         Child Loop BB143_54 Depth 4
                                        ;       Child Loop BB143_58 Depth 3
                                        ;         Child Loop BB143_60 Depth 4
	v_dual_mov_b32 v1, 0 :: v_dual_mov_b32 v2, v4
	s_mov_b32 s24, s19
.LBB143_50:                             ;   Parent Loop BB143_46 Depth=1
                                        ;     Parent Loop BB143_49 Depth=2
                                        ; =>    This Inner Loop Header: Depth=3
	ds_load_b64 v[6:7], v2
	v_add_nc_u32_e32 v2, 0x60, v2
	s_add_i32 s24, s24, -1
	s_delay_alu instid0(SALU_CYCLE_1)
	s_cmp_eq_u32 s24, 0
	s_waitcnt lgkmcnt(0)
	scratch_store_b64 v1, v[6:7], off
	v_add_nc_u32_e32 v1, 8, v1
	s_cbranch_scc0 .LBB143_50
; %bb.51:                               ;   in Loop: Header=BB143_49 Depth=2
	s_cmp_lt_i32 s10, 1
	s_cbranch_scc1 .LBB143_56
; %bb.52:                               ;   in Loop: Header=BB143_49 Depth=2
	s_mov_b32 s24, 0
	s_mov_b32 s25, s13
	.p2align	6
.LBB143_53:                             ;   Parent Loop BB143_46 Depth=1
                                        ;     Parent Loop BB143_49 Depth=2
                                        ; =>    This Loop Header: Depth=3
                                        ;         Child Loop BB143_54 Depth 4
	s_mul_i32 s26, s24, 12
	v_mov_b32_e32 v6, v5
	v_add_lshl_u32 v1, s26, v0, 3
	s_mov_b32 s26, s25
	s_mov_b32 s27, s19
	ds_load_b64 v[1:2], v1 offset:1152
	.p2align	6
.LBB143_54:                             ;   Parent Loop BB143_46 Depth=1
                                        ;     Parent Loop BB143_49 Depth=2
                                        ;       Parent Loop BB143_53 Depth=3
                                        ; =>      This Inner Loop Header: Depth=4
	scratch_load_b64 v[7:8], v6, off offset:-4
	v_mov_b32_e32 v9, s26
	s_add_i32 s27, s27, -1
	s_addk_i32 s26, 0x60
	s_cmp_eq_u32 s27, 0
	ds_load_b64 v[9:10], v9
	s_waitcnt lgkmcnt(0)
	v_mul_f32_e32 v11, v10, v2
	v_mul_f32_e32 v10, v10, v1
	s_delay_alu instid0(VALU_DEP_2) | instskip(SKIP_1) | instid1(VALU_DEP_1)
	v_fma_f32 v11, v9, v1, -v11
	s_waitcnt vmcnt(0)
	v_dual_fmac_f32 v10, v9, v2 :: v_dual_sub_f32 v7, v7, v11
	s_delay_alu instid0(VALU_DEP_1)
	v_sub_f32_e32 v8, v8, v10
	scratch_store_b64 v6, v[7:8], off offset:-4
	v_add_nc_u32_e32 v6, 8, v6
	s_cbranch_scc0 .LBB143_54
; %bb.55:                               ;   in Loop: Header=BB143_53 Depth=3
	s_add_i32 s24, s24, 1
	s_add_i32 s25, s25, 8
	s_cmp_ge_i32 s24, s10
	s_cbranch_scc0 .LBB143_53
.LBB143_56:                             ;   in Loop: Header=BB143_49 Depth=2
	s_mul_i32 s24, s10, 12
	s_mov_b32 s25, 0
	s_mov_b32 s26, s22
	s_branch .LBB143_58
.LBB143_57:                             ;   in Loop: Header=BB143_58 Depth=3
	s_mulk_i32 s28, 0x68
	s_addk_i32 s26, 0x60
	v_mov_b32_e32 v6, s28
	s_lshl_b32 s28, s25, 3
	s_add_i32 s25, s25, 1
	ds_load_b64 v[6:7], v6
	s_waitcnt vmcnt(0) lgkmcnt(0)
	v_mul_f32_e32 v8, v7, v2
	v_mul_f32_e32 v9, v6, v2
	v_add_lshl_u32 v2, s27, v0, 3
	s_add_i32 s27, s28, 0
	s_cmp_eq_u32 s25, s19
	v_fma_f32 v8, v6, v1, -v8
	v_fmac_f32_e32 v9, v7, v1
	scratch_store_b64 off, v[8:9], s27
	ds_store_b64 v2, v[8:9] offset:1152
	s_cbranch_scc1 .LBB143_48
.LBB143_58:                             ;   Parent Loop BB143_46 Depth=1
                                        ;     Parent Loop BB143_49 Depth=2
                                        ; =>    This Loop Header: Depth=3
                                        ;         Child Loop BB143_60 Depth 4
	s_cmp_lg_u32 s25, 0
	s_cbranch_scc0 .LBB143_62
; %bb.59:                               ;   in Loop: Header=BB143_58 Depth=3
	s_lshl_b32 s27, s25, 3
	v_mov_b32_e32 v7, 0
	s_add_i32 s28, s27, 0
	v_add_nc_u32_e64 v6, s27, 0
	scratch_load_b64 v[1:2], off, s28
	s_add_i32 s28, s25, s10
	s_mov_b32 s29, 0
	s_mul_i32 s27, s28, 12
	s_mov_b32 s30, s26
	.p2align	6
.LBB143_60:                             ;   Parent Loop BB143_46 Depth=1
                                        ;     Parent Loop BB143_49 Depth=2
                                        ;       Parent Loop BB143_58 Depth=3
                                        ; =>      This Inner Loop Header: Depth=4
	scratch_load_b64 v[8:9], v7, off
	v_mov_b32_e32 v10, s30
	s_add_i32 s29, s29, 1
	s_add_i32 s30, s30, 8
	s_cmp_ge_u32 s29, s25
	v_add_nc_u32_e32 v7, 8, v7
	ds_load_b64 v[10:11], v10
	s_waitcnt vmcnt(0) lgkmcnt(0)
	v_mul_f32_e32 v12, v11, v9
	v_mul_f32_e32 v9, v10, v9
	s_delay_alu instid0(VALU_DEP_2) | instskip(NEXT) | instid1(VALU_DEP_2)
	v_fma_f32 v10, v10, v8, -v12
	v_fmac_f32_e32 v9, v11, v8
	s_delay_alu instid0(VALU_DEP_1)
	v_dual_sub_f32 v1, v1, v10 :: v_dual_sub_f32 v2, v2, v9
	scratch_store_b64 v6, v[1:2], off
	s_cbranch_scc0 .LBB143_60
; %bb.61:                               ;   in Loop: Header=BB143_58 Depth=3
	s_branch .LBB143_57
.LBB143_62:                             ;   in Loop: Header=BB143_58 Depth=3
                                        ; implicit-def: $vgpr1
                                        ; implicit-def: $sgpr28
                                        ; implicit-def: $sgpr27
	s_cbranch_execz .LBB143_57
; %bb.63:                               ;   in Loop: Header=BB143_58 Depth=3
	scratch_load_b64 v[1:2], off, off
	s_mov_b32 s27, s24
	s_mov_b32 s28, s10
	s_branch .LBB143_57
.LBB143_64:
	s_mov_b32 s4, 0
.LBB143_65:
	s_delay_alu instid0(SALU_CYCLE_1)
	s_and_b32 vcc_lo, exec_lo, s4
	s_cbranch_vccz .LBB143_85
; %bb.66:
	v_lshl_or_b32 v1, v0, 3, 0x480
	s_mul_i32 s10, s15, 0x60
	s_mov_b32 s5, 0
	s_addk_i32 s10, 0xffa0
	s_mov_b32 s4, s5
	s_mov_b32 s11, s20
	s_branch .LBB143_68
.LBB143_67:                             ;   in Loop: Header=BB143_68 Depth=1
	s_cmp_lt_i32 s11, 0
	s_cselect_b32 s12, -1, 0
	s_add_i32 s4, s4, 1
	s_delay_alu instid0(SALU_CYCLE_1) | instskip(SKIP_1) | instid1(SALU_CYCLE_1)
	s_cmp_eq_u32 s4, 3
	s_cselect_b32 s13, -1, 0
	s_or_b32 s12, s12, s13
	s_delay_alu instid0(SALU_CYCLE_1)
	s_and_b32 vcc_lo, exec_lo, s12
	s_cbranch_vccnz .LBB143_85
.LBB143_68:                             ; =>This Loop Header: Depth=1
                                        ;     Child Loop BB143_71 Depth 2
                                        ;       Child Loop BB143_72 Depth 3
                                        ;       Child Loop BB143_74 Depth 3
                                        ;         Child Loop BB143_75 Depth 4
                                        ;       Child Loop BB143_79 Depth 3
                                        ;         Child Loop BB143_81 Depth 4
	s_getpc_b64 s[12:13]
	s_add_u32 s12, s12, __const._ZL38rocblas_trsm_small_left_device_sharedBILi12ELi12ELb0E19rocblas_complex_numIfES1_PKPKS1_PKPS1_Ev13rocblas_fill_18rocblas_operation_17rocblas_diagonal_iiT3_T4_lilT5_lili.step_sizes@rel32@lo+4
	s_addc_u32 s13, s13, __const._ZL38rocblas_trsm_small_left_device_sharedBILi12ELi12ELb0E19rocblas_complex_numIfES1_PKPKS1_PKPS1_Ev13rocblas_fill_18rocblas_operation_17rocblas_diagonal_iiT3_T4_lilT5_lili.step_sizes@rel32@hi+12
	s_lshl_b64 s[22:23], s[4:5], 2
	s_delay_alu instid0(SALU_CYCLE_1) | instskip(SKIP_4) | instid1(SALU_CYCLE_1)
	s_add_u32 s12, s22, s12
	s_addc_u32 s13, s23, s13
	s_load_b32 s12, s[12:13], 0x0
	s_waitcnt lgkmcnt(0)
	s_add_i32 s13, s12, -1
	s_cmp_lt_i32 s11, s13
	s_cbranch_scc1 .LBB143_67
; %bb.69:                               ;   in Loop: Header=BB143_68 Depth=1
	v_mad_u64_u32 v[2:3], null, 0x60, s11, v[1:2]
	s_lshl_b32 s22, s11, 3
	s_lshl_b32 s23, s12, 3
	s_max_i32 s19, s12, 1
	s_mul_i32 s21, s12, 0xffffffa0
	s_add_i32 s22, s10, s22
	s_sub_i32 s23, 0, s23
	s_mul_i32 s24, s11, 0x68
	s_mul_i32 s25, s12, 0xffffff98
	s_branch .LBB143_71
.LBB143_70:                             ;   in Loop: Header=BB143_71 Depth=2
	v_add_nc_u32_e32 v2, s21, v2
	s_sub_i32 s11, s11, s12
	s_add_i32 s22, s22, s23
	s_add_i32 s24, s24, s25
	s_cmp_lt_i32 s11, s13
	s_cbranch_scc1 .LBB143_67
.LBB143_71:                             ;   Parent Loop BB143_68 Depth=1
                                        ; =>  This Loop Header: Depth=2
                                        ;       Child Loop BB143_72 Depth 3
                                        ;       Child Loop BB143_74 Depth 3
                                        ;         Child Loop BB143_75 Depth 4
                                        ;       Child Loop BB143_79 Depth 3
                                        ;         Child Loop BB143_81 Depth 4
	v_dual_mov_b32 v3, 0 :: v_dual_mov_b32 v4, v2
	s_mov_b32 s26, s19
.LBB143_72:                             ;   Parent Loop BB143_68 Depth=1
                                        ;     Parent Loop BB143_71 Depth=2
                                        ; =>    This Inner Loop Header: Depth=3
	ds_load_b64 v[6:7], v4
	v_add_nc_u32_e32 v4, 0xffffffa0, v4
	s_add_i32 s26, s26, -1
	s_delay_alu instid0(SALU_CYCLE_1)
	s_cmp_eq_u32 s26, 0
	s_waitcnt lgkmcnt(0)
	scratch_store_b64 v3, v[6:7], off
	v_add_nc_u32_e32 v3, 8, v3
	s_cbranch_scc0 .LBB143_72
; %bb.73:                               ;   in Loop: Header=BB143_71 Depth=2
	s_cmp_le_i32 s20, s11
	s_mov_b32 s26, s22
	s_mov_b32 s27, s20
	s_cbranch_scc1 .LBB143_77
	.p2align	6
.LBB143_74:                             ;   Parent Loop BB143_68 Depth=1
                                        ;     Parent Loop BB143_71 Depth=2
                                        ; =>    This Loop Header: Depth=3
                                        ;         Child Loop BB143_75 Depth 4
	s_mul_i32 s28, s27, 12
	v_mov_b32_e32 v6, v5
	v_add_lshl_u32 v3, s28, v0, 3
	s_mov_b32 s28, s19
	s_mov_b32 s29, s26
	ds_load_b64 v[3:4], v3 offset:1152
	.p2align	6
.LBB143_75:                             ;   Parent Loop BB143_68 Depth=1
                                        ;     Parent Loop BB143_71 Depth=2
                                        ;       Parent Loop BB143_74 Depth=3
                                        ; =>      This Inner Loop Header: Depth=4
	scratch_load_b64 v[7:8], v6, off offset:-4
	v_mov_b32_e32 v9, s29
	s_add_i32 s28, s28, -1
	s_add_i32 s29, s29, -8
	s_cmp_eq_u32 s28, 0
	ds_load_b64 v[9:10], v9
	s_waitcnt lgkmcnt(0)
	v_mul_f32_e32 v11, v10, v4
	v_mul_f32_e32 v10, v10, v3
	s_delay_alu instid0(VALU_DEP_1) | instskip(SKIP_1) | instid1(VALU_DEP_1)
	v_fmac_f32_e32 v10, v9, v4
	s_waitcnt vmcnt(0)
	v_sub_f32_e32 v8, v8, v10
	v_fma_f32 v11, v9, v3, -v11
	s_delay_alu instid0(VALU_DEP_1)
	v_sub_f32_e32 v7, v7, v11
	scratch_store_b64 v6, v[7:8], off offset:-4
	v_add_nc_u32_e32 v6, 8, v6
	s_cbranch_scc0 .LBB143_75
; %bb.76:                               ;   in Loop: Header=BB143_74 Depth=3
	s_add_i32 s27, s27, -1
	s_addk_i32 s26, 0xffa0
	s_cmp_le_i32 s27, s11
	s_cbranch_scc0 .LBB143_74
.LBB143_77:                             ;   in Loop: Header=BB143_71 Depth=2
	s_mov_b32 s26, 0
	s_mov_b32 s27, s24
	s_branch .LBB143_79
.LBB143_78:                             ;   in Loop: Header=BB143_79 Depth=3
	s_mul_i32 s29, s28, 0x68
	s_mul_i32 s28, s28, 12
	v_mov_b32_e32 v6, s29
	s_lshl_b32 s29, s26, 3
	s_add_i32 s26, s26, 1
	s_add_i32 s27, s27, -8
	ds_load_b64 v[6:7], v6
	s_waitcnt vmcnt(0) lgkmcnt(0)
	v_mul_f32_e32 v8, v7, v4
	v_mul_f32_e32 v9, v6, v4
	s_delay_alu instid0(VALU_DEP_2) | instskip(NEXT) | instid1(VALU_DEP_2)
	v_fma_f32 v8, v6, v3, -v8
	v_fmac_f32_e32 v9, v7, v3
	v_add_lshl_u32 v3, s28, v0, 3
	s_add_i32 s28, s29, 0
	s_cmp_eq_u32 s26, s19
	scratch_store_b64 off, v[8:9], s28
	ds_store_b64 v3, v[8:9] offset:1152
	s_cbranch_scc1 .LBB143_70
.LBB143_79:                             ;   Parent Loop BB143_68 Depth=1
                                        ;     Parent Loop BB143_71 Depth=2
                                        ; =>    This Loop Header: Depth=3
                                        ;         Child Loop BB143_81 Depth 4
	s_cmp_lg_u32 s26, 0
	s_cbranch_scc0 .LBB143_83
; %bb.80:                               ;   in Loop: Header=BB143_79 Depth=3
	s_lshl_b32 s28, s26, 3
	v_mov_b32_e32 v7, 0
	s_add_i32 s29, s28, 0
	v_add_nc_u32_e64 v6, s28, 0
	scratch_load_b64 v[3:4], off, s29
	s_sub_i32 s28, s11, s26
	s_mov_b32 s29, 0
	s_mov_b32 s30, s27
	.p2align	6
.LBB143_81:                             ;   Parent Loop BB143_68 Depth=1
                                        ;     Parent Loop BB143_71 Depth=2
                                        ;       Parent Loop BB143_79 Depth=3
                                        ; =>      This Inner Loop Header: Depth=4
	scratch_load_b64 v[8:9], v7, off
	v_mov_b32_e32 v10, s30
	s_add_i32 s29, s29, 1
	s_addk_i32 s30, 0xffa0
	s_cmp_ge_u32 s29, s26
	v_add_nc_u32_e32 v7, 8, v7
	ds_load_b64 v[10:11], v10
	s_waitcnt vmcnt(0) lgkmcnt(0)
	v_mul_f32_e32 v12, v11, v9
	v_mul_f32_e32 v9, v10, v9
	s_delay_alu instid0(VALU_DEP_2) | instskip(NEXT) | instid1(VALU_DEP_2)
	v_fma_f32 v10, v10, v8, -v12
	v_fmac_f32_e32 v9, v11, v8
	s_delay_alu instid0(VALU_DEP_1)
	v_dual_sub_f32 v3, v3, v10 :: v_dual_sub_f32 v4, v4, v9
	scratch_store_b64 v6, v[3:4], off
	s_cbranch_scc0 .LBB143_81
; %bb.82:                               ;   in Loop: Header=BB143_79 Depth=3
	s_branch .LBB143_78
.LBB143_83:                             ;   in Loop: Header=BB143_79 Depth=3
                                        ; implicit-def: $vgpr3
                                        ; implicit-def: $sgpr28
	s_cbranch_execz .LBB143_78
; %bb.84:                               ;   in Loop: Header=BB143_79 Depth=3
	scratch_load_b64 v[3:4], off, off
	s_mov_b32 s28, s11
	s_branch .LBB143_78
.LBB143_85:
	s_waitcnt vmcnt(0) lgkmcnt(0)
	s_waitcnt_vscnt null, 0x0
	; wave barrier
	s_waitcnt lgkmcnt(0)
	s_waitcnt_vscnt null, 0x0
	buffer_gl0_inv
	s_and_saveexec_b32 s4, s18
	s_cbranch_execz .LBB143_93
; %bb.86:
	s_cmp_lt_i32 s6, 8
	s_mov_b32 s5, 0
	s_cbranch_scc1 .LBB143_90
; %bb.87:
	v_mad_i64_i32 v[1:2], null, s16, v0, 0
	s_lshl_b32 s4, s15, 3
	s_delay_alu instid0(SALU_CYCLE_1) | instskip(SKIP_1) | instid1(VALU_DEP_1)
	s_and_b32 s6, s4, 64
	s_mov_b64 s[4:5], 0
	v_lshlrev_b64 v[2:3], 3, v[1:2]
	v_lshl_or_b32 v1, v0, 3, 0x480
	s_delay_alu instid0(VALU_DEP_2) | instskip(NEXT) | instid1(VALU_DEP_3)
	v_add_co_u32 v2, vcc_lo, s7, v2
	v_add_co_ci_u32_e32 v3, vcc_lo, s14, v3, vcc_lo
	.p2align	6
.LBB143_88:                             ; =>This Inner Loop Header: Depth=1
	ds_load_2addr_b64 v[4:7], v1 offset1:12
	ds_load_2addr_b64 v[8:11], v1 offset0:24 offset1:36
	ds_load_2addr_b64 v[12:15], v1 offset0:48 offset1:60
	ds_load_2addr_b64 v[16:19], v1 offset0:72 offset1:84
	v_add_co_u32 v20, vcc_lo, v2, s4
	v_add_co_ci_u32_e32 v21, vcc_lo, s5, v3, vcc_lo
	v_add_nc_u32_e32 v1, 0x300, v1
	s_add_u32 s4, s4, 64
	s_addc_u32 s5, s5, 0
	s_cmp_lg_u32 s6, s4
	s_waitcnt lgkmcnt(3)
	global_store_b128 v[20:21], v[4:7], off
	s_waitcnt lgkmcnt(2)
	global_store_b128 v[20:21], v[8:11], off offset:16
	s_waitcnt lgkmcnt(1)
	global_store_b128 v[20:21], v[12:15], off offset:32
	;; [unrolled: 2-line block ×3, first 2 shown]
	s_cbranch_scc1 .LBB143_88
; %bb.89:
	s_mov_b32 s5, 8
.LBB143_90:
	s_and_b32 s4, s15, 7
	s_delay_alu instid0(SALU_CYCLE_1)
	s_cmp_eq_u32 s4, 0
	s_cbranch_scc1 .LBB143_93
; %bb.91:
	v_lshlrev_b32_e32 v2, 3, v0
	s_lshl_b64 s[6:7], s[8:9], 3
	s_lshl_b32 s8, s5, 3
	s_delay_alu instid0(SALU_CYCLE_1) | instskip(NEXT) | instid1(VALU_DEP_1)
	s_add_u32 s2, s2, s8
	v_add_co_u32 v3, s6, s6, v2
	s_delay_alu instid0(VALU_DEP_1) | instskip(SKIP_3) | instid1(VALU_DEP_1)
	v_add_co_ci_u32_e64 v4, null, s7, 0, s6
	s_addc_u32 s3, s3, 0
	s_add_u32 s0, s2, s0
	s_addc_u32 s1, s3, s1
	v_mul_lo_u32 v4, v4, s16
	v_mad_u64_u32 v[0:1], null, v3, s16, s[0:1]
	v_mul_lo_u32 v3, v3, s17
	s_mul_i32 s0, s5, 0x60
	s_delay_alu instid0(SALU_CYCLE_1) | instskip(NEXT) | instid1(VALU_DEP_2)
	v_add3_u32 v2, s0, v2, 0x480
	v_add3_u32 v1, v4, v1, v3
.LBB143_92:                             ; =>This Inner Loop Header: Depth=1
	ds_load_b64 v[3:4], v2
	v_add_nc_u32_e32 v2, 0x60, v2
	s_add_i32 s4, s4, -1
	s_delay_alu instid0(SALU_CYCLE_1)
	s_cmp_lg_u32 s4, 0
	s_waitcnt lgkmcnt(0)
	global_store_b64 v[0:1], v[3:4], off
	v_add_co_u32 v0, vcc_lo, v0, 8
	v_add_co_ci_u32_e32 v1, vcc_lo, 0, v1, vcc_lo
	s_cbranch_scc1 .LBB143_92
.LBB143_93:
	s_nop 0
	s_sendmsg sendmsg(MSG_DEALLOC_VGPRS)
	s_endpgm
	.section	.rodata,"a",@progbits
	.p2align	6, 0x0
	.amdhsa_kernel _ZL38rocblas_trsm_small_left_device_sharedBILi12ELi12ELb0E19rocblas_complex_numIfES1_PKPKS1_PKPS1_Ev13rocblas_fill_18rocblas_operation_17rocblas_diagonal_iiT3_T4_lilT5_lili
		.amdhsa_group_segment_fixed_size 2304
		.amdhsa_private_segment_fixed_size 112
		.amdhsa_kernarg_size 360
		.amdhsa_user_sgpr_count 14
		.amdhsa_user_sgpr_dispatch_ptr 0
		.amdhsa_user_sgpr_queue_ptr 0
		.amdhsa_user_sgpr_kernarg_segment_ptr 1
		.amdhsa_user_sgpr_dispatch_id 0
		.amdhsa_user_sgpr_private_segment_size 0
		.amdhsa_wavefront_size32 1
		.amdhsa_uses_dynamic_stack 0
		.amdhsa_enable_private_segment 1
		.amdhsa_system_sgpr_workgroup_id_x 1
		.amdhsa_system_sgpr_workgroup_id_y 0
		.amdhsa_system_sgpr_workgroup_id_z 1
		.amdhsa_system_sgpr_workgroup_info 0
		.amdhsa_system_vgpr_workitem_id 0
		.amdhsa_next_free_vgpr 29
		.amdhsa_next_free_sgpr 35
		.amdhsa_reserve_vcc 1
		.amdhsa_float_round_mode_32 0
		.amdhsa_float_round_mode_16_64 0
		.amdhsa_float_denorm_mode_32 3
		.amdhsa_float_denorm_mode_16_64 3
		.amdhsa_dx10_clamp 1
		.amdhsa_ieee_mode 1
		.amdhsa_fp16_overflow 0
		.amdhsa_workgroup_processor_mode 1
		.amdhsa_memory_ordered 1
		.amdhsa_forward_progress 0
		.amdhsa_shared_vgpr_count 0
		.amdhsa_exception_fp_ieee_invalid_op 0
		.amdhsa_exception_fp_denorm_src 0
		.amdhsa_exception_fp_ieee_div_zero 0
		.amdhsa_exception_fp_ieee_overflow 0
		.amdhsa_exception_fp_ieee_underflow 0
		.amdhsa_exception_fp_ieee_inexact 0
		.amdhsa_exception_int_div_zero 0
	.end_amdhsa_kernel
	.section	.text._ZL38rocblas_trsm_small_left_device_sharedBILi12ELi12ELb0E19rocblas_complex_numIfES1_PKPKS1_PKPS1_Ev13rocblas_fill_18rocblas_operation_17rocblas_diagonal_iiT3_T4_lilT5_lili,"axG",@progbits,_ZL38rocblas_trsm_small_left_device_sharedBILi12ELi12ELb0E19rocblas_complex_numIfES1_PKPKS1_PKPS1_Ev13rocblas_fill_18rocblas_operation_17rocblas_diagonal_iiT3_T4_lilT5_lili,comdat
.Lfunc_end143:
	.size	_ZL38rocblas_trsm_small_left_device_sharedBILi12ELi12ELb0E19rocblas_complex_numIfES1_PKPKS1_PKPS1_Ev13rocblas_fill_18rocblas_operation_17rocblas_diagonal_iiT3_T4_lilT5_lili, .Lfunc_end143-_ZL38rocblas_trsm_small_left_device_sharedBILi12ELi12ELb0E19rocblas_complex_numIfES1_PKPKS1_PKPS1_Ev13rocblas_fill_18rocblas_operation_17rocblas_diagonal_iiT3_T4_lilT5_lili
                                        ; -- End function
	.section	.AMDGPU.csdata,"",@progbits
; Kernel info:
; codeLenInByte = 3944
; NumSgprs: 37
; NumVgprs: 29
; ScratchSize: 112
; MemoryBound: 0
; FloatMode: 240
; IeeeMode: 1
; LDSByteSize: 2304 bytes/workgroup (compile time only)
; SGPRBlocks: 4
; VGPRBlocks: 3
; NumSGPRsForWavesPerEU: 37
; NumVGPRsForWavesPerEU: 29
; Occupancy: 14
; WaveLimiterHint : 1
; COMPUTE_PGM_RSRC2:SCRATCH_EN: 1
; COMPUTE_PGM_RSRC2:USER_SGPR: 14
; COMPUTE_PGM_RSRC2:TRAP_HANDLER: 0
; COMPUTE_PGM_RSRC2:TGID_X_EN: 1
; COMPUTE_PGM_RSRC2:TGID_Y_EN: 0
; COMPUTE_PGM_RSRC2:TGID_Z_EN: 1
; COMPUTE_PGM_RSRC2:TIDIG_COMP_CNT: 0
	.section	.text._ZL30rocblas_trsm_small_left_deviceILi12ELi12ELb0E19rocblas_complex_numIfES1_PKPKS1_PKPS1_Ev13rocblas_fill_18rocblas_operation_17rocblas_diagonal_iiT3_T4_lilT5_lili,"axG",@progbits,_ZL30rocblas_trsm_small_left_deviceILi12ELi12ELb0E19rocblas_complex_numIfES1_PKPKS1_PKPS1_Ev13rocblas_fill_18rocblas_operation_17rocblas_diagonal_iiT3_T4_lilT5_lili,comdat
	.globl	_ZL30rocblas_trsm_small_left_deviceILi12ELi12ELb0E19rocblas_complex_numIfES1_PKPKS1_PKPS1_Ev13rocblas_fill_18rocblas_operation_17rocblas_diagonal_iiT3_T4_lilT5_lili ; -- Begin function _ZL30rocblas_trsm_small_left_deviceILi12ELi12ELb0E19rocblas_complex_numIfES1_PKPKS1_PKPS1_Ev13rocblas_fill_18rocblas_operation_17rocblas_diagonal_iiT3_T4_lilT5_lili
	.p2align	8
	.type	_ZL30rocblas_trsm_small_left_deviceILi12ELi12ELb0E19rocblas_complex_numIfES1_PKPKS1_PKPS1_Ev13rocblas_fill_18rocblas_operation_17rocblas_diagonal_iiT3_T4_lilT5_lili,@function
_ZL30rocblas_trsm_small_left_deviceILi12ELi12ELb0E19rocblas_complex_numIfES1_PKPKS1_PKPS1_Ev13rocblas_fill_18rocblas_operation_17rocblas_diagonal_iiT3_T4_lilT5_lili: ; @_ZL30rocblas_trsm_small_left_deviceILi12ELi12ELb0E19rocblas_complex_numIfES1_PKPKS1_PKPS1_Ev13rocblas_fill_18rocblas_operation_17rocblas_diagonal_iiT3_T4_lilT5_lili
; %bb.0:
	s_clause 0x1
	s_load_b128 s[8:11], s[0:1], 0x40
	s_load_b128 s[4:7], s[0:1], 0x4
	s_mov_b32 s12, s15
	s_mov_b32 s13, 0
	s_load_b32 s15, s[0:1], 0x68
	s_lshl_b64 s[22:23], s[12:13], 3
	s_waitcnt lgkmcnt(0)
	s_add_u32 s8, s8, s22
	s_addc_u32 s9, s9, s23
	s_load_b64 s[2:3], s[0:1], 0x14
	s_load_b64 s[8:9], s[8:9], 0x0
	s_min_i32 s29, s6, 12
	s_mov_b32 s6, exec_lo
	s_add_i32 s28, s29, -1
	v_cmpx_gt_i32_e64 s29, v0
	s_cbranch_execz .LBB144_35
; %bb.1:
	s_clause 0x1
	s_load_b32 s20, s[0:1], 0x30
	s_load_b128 s[16:19], s[0:1], 0x20
	v_lshlrev_b32_e32 v8, 3, v0
	s_waitcnt lgkmcnt(0)
	s_ashr_i32 s21, s20, 31
	s_cmpk_lg_i32 s4, 0x71
	s_cselect_b32 s12, -1, 0
	s_add_u32 s16, s16, s22
	s_addc_u32 s17, s17, s23
	v_cndmask_b32_e64 v7, 0, 1, s12
	s_load_b64 s[16:17], s[16:17], 0x0
	s_cmp_lt_u32 s28, 3
	s_cbranch_scc1 .LBB144_20
; %bb.2:
	s_lshl_b64 s[22:23], s[18:19], 3
	v_mov_b32_e32 v9, v8
	s_waitcnt lgkmcnt(0)
	s_add_u32 s13, s16, s22
	s_addc_u32 s22, s17, s23
	v_add_co_u32 v1, s13, s13, v8
	s_delay_alu instid0(VALU_DEP_1)
	v_add_co_ci_u32_e64 v2, null, s22, 0, s13
	s_and_b32 s13, s29, -4
	s_mul_hi_i32 s30, s20, 24
	s_mul_i32 s31, s20, 24
	s_lshl_b64 s[22:23], s[20:21], 5
	s_lshl_b64 s[24:25], s[20:21], 4
	;; [unrolled: 1-line block ×3, first 2 shown]
	s_mov_b32 s33, 0
	s_branch .LBB144_4
.LBB144_3:                              ;   in Loop: Header=BB144_4 Depth=1
	global_load_b32 v3, v[5:6], off
	v_add_co_u32 v1, vcc_lo, v1, s22
	v_add_co_ci_u32_e32 v2, vcc_lo, s23, v2, vcc_lo
	s_add_i32 s33, s33, 4
	s_delay_alu instid0(SALU_CYCLE_1)
	s_cmp_eq_u32 s13, s33
	s_waitcnt vmcnt(0)
	ds_store_b64 v9, v[3:4] offset:288
	v_add_nc_u32_e32 v9, 0x180, v9
	s_cbranch_scc1 .LBB144_20
.LBB144_4:                              ; =>This Inner Loop Header: Depth=1
	s_and_b32 vcc_lo, exec_lo, s12
	s_cbranch_vccz .LBB144_6
; %bb.5:                                ;   in Loop: Header=BB144_4 Depth=1
	global_load_b32 v4, v[1:2], off offset:4
	s_cbranch_execz .LBB144_7
	s_branch .LBB144_8
.LBB144_6:                              ;   in Loop: Header=BB144_4 Depth=1
                                        ; implicit-def: $vgpr4
.LBB144_7:                              ;   in Loop: Header=BB144_4 Depth=1
	global_load_b32 v3, v[1:2], off offset:4
	s_waitcnt vmcnt(0)
	v_xor_b32_e32 v4, 0x80000000, v3
.LBB144_8:                              ;   in Loop: Header=BB144_4 Depth=1
	global_load_b32 v3, v[1:2], off
	v_add_co_u32 v5, vcc_lo, v1, s26
	v_add_co_ci_u32_e32 v6, vcc_lo, s27, v2, vcc_lo
	s_and_not1_b32 vcc_lo, exec_lo, s12
	s_waitcnt vmcnt(0)
	ds_store_b64 v9, v[3:4]
	s_cbranch_vccnz .LBB144_10
; %bb.9:                                ;   in Loop: Header=BB144_4 Depth=1
	global_load_b32 v4, v[5:6], off offset:4
	s_cbranch_execz .LBB144_11
	s_branch .LBB144_12
.LBB144_10:                             ;   in Loop: Header=BB144_4 Depth=1
                                        ; implicit-def: $vgpr4
.LBB144_11:                             ;   in Loop: Header=BB144_4 Depth=1
	global_load_b32 v3, v[5:6], off offset:4
	s_waitcnt vmcnt(0)
	v_xor_b32_e32 v4, 0x80000000, v3
.LBB144_12:                             ;   in Loop: Header=BB144_4 Depth=1
	global_load_b32 v3, v[5:6], off
	v_add_co_u32 v5, vcc_lo, v1, s24
	v_add_co_ci_u32_e32 v6, vcc_lo, s25, v2, vcc_lo
	s_and_not1_b32 vcc_lo, exec_lo, s12
	s_waitcnt vmcnt(0)
	ds_store_b64 v9, v[3:4] offset:96
	s_cbranch_vccnz .LBB144_14
; %bb.13:                               ;   in Loop: Header=BB144_4 Depth=1
	global_load_b32 v4, v[5:6], off offset:4
	s_cbranch_execz .LBB144_15
	s_branch .LBB144_16
.LBB144_14:                             ;   in Loop: Header=BB144_4 Depth=1
                                        ; implicit-def: $vgpr4
.LBB144_15:                             ;   in Loop: Header=BB144_4 Depth=1
	global_load_b32 v3, v[5:6], off offset:4
	s_waitcnt vmcnt(0)
	v_xor_b32_e32 v4, 0x80000000, v3
.LBB144_16:                             ;   in Loop: Header=BB144_4 Depth=1
	global_load_b32 v3, v[5:6], off
	v_add_co_u32 v5, vcc_lo, v1, s31
	v_add_co_ci_u32_e32 v6, vcc_lo, s30, v2, vcc_lo
	s_and_not1_b32 vcc_lo, exec_lo, s12
	s_waitcnt vmcnt(0)
	ds_store_b64 v9, v[3:4] offset:192
	s_cbranch_vccnz .LBB144_18
; %bb.17:                               ;   in Loop: Header=BB144_4 Depth=1
	global_load_b32 v4, v[5:6], off offset:4
	s_cbranch_execnz .LBB144_3
	s_branch .LBB144_19
.LBB144_18:                             ;   in Loop: Header=BB144_4 Depth=1
                                        ; implicit-def: $vgpr4
.LBB144_19:                             ;   in Loop: Header=BB144_4 Depth=1
	global_load_b32 v3, v[5:6], off offset:4
	s_waitcnt vmcnt(0)
	v_xor_b32_e32 v4, 0x80000000, v3
	s_branch .LBB144_3
.LBB144_20:
	s_and_b32 s22, s29, 3
	s_delay_alu instid0(SALU_CYCLE_1)
	s_cmp_eq_u32 s22, 0
	s_cbranch_scc1 .LBB144_27
; %bb.21:
	s_mul_i32 s12, s21, s13
	s_mul_hi_u32 s23, s20, s13
	s_mul_i32 s24, s20, s13
	s_add_i32 s25, s23, s12
	s_lshl_b64 s[18:19], s[18:19], 3
	s_lshl_b64 s[24:25], s[24:25], 3
	s_mul_i32 s12, s13, 0x60
	s_add_u32 s13, s24, s18
	s_addc_u32 s18, s25, s19
	s_waitcnt lgkmcnt(0)
	s_add_u32 s13, s16, s13
	s_addc_u32 s16, s17, s18
	v_add_co_u32 v1, s13, s13, v8
	s_delay_alu instid0(VALU_DEP_1) | instskip(SKIP_1) | instid1(VALU_DEP_3)
	v_add_co_ci_u32_e64 v2, null, s16, 0, s13
	v_lshl_add_u32 v5, v0, 3, s12
	v_add_co_u32 v1, vcc_lo, v1, 4
	s_delay_alu instid0(VALU_DEP_3)
	v_add_co_ci_u32_e32 v2, vcc_lo, 0, v2, vcc_lo
	s_lshl_b64 s[12:13], s[20:21], 3
	s_set_inst_prefetch_distance 0x1
	s_branch .LBB144_23
	.p2align	6
.LBB144_22:                             ;   in Loop: Header=BB144_23 Depth=1
	global_load_b32 v3, v[1:2], off offset:-4
	v_add_co_u32 v1, vcc_lo, v1, s12
	v_add_co_ci_u32_e32 v2, vcc_lo, s13, v2, vcc_lo
	s_add_i32 s22, s22, -1
	s_delay_alu instid0(SALU_CYCLE_1)
	s_cmp_lg_u32 s22, 0
	s_waitcnt vmcnt(0)
	ds_store_b64 v5, v[3:4]
	v_add_nc_u32_e32 v5, 0x60, v5
	s_cbranch_scc0 .LBB144_27
.LBB144_23:                             ; =>This Inner Loop Header: Depth=1
	v_cmp_ne_u32_e32 vcc_lo, 1, v7
	s_mov_b32 s16, -1
                                        ; implicit-def: $vgpr4
	s_cbranch_vccnz .LBB144_25
; %bb.24:                               ;   in Loop: Header=BB144_23 Depth=1
	global_load_b32 v4, v[1:2], off
	s_mov_b32 s16, 0
.LBB144_25:                             ;   in Loop: Header=BB144_23 Depth=1
	s_delay_alu instid0(SALU_CYCLE_1)
	s_and_not1_b32 vcc_lo, exec_lo, s16
	s_cbranch_vccnz .LBB144_22
; %bb.26:                               ;   in Loop: Header=BB144_23 Depth=1
	global_load_b32 v3, v[1:2], off
	s_waitcnt vmcnt(0)
	v_xor_b32_e32 v4, 0x80000000, v3
	s_branch .LBB144_22
.LBB144_27:
	s_set_inst_prefetch_distance 0x2
	v_mul_u32_u24_e32 v1, 13, v0
	s_cmpk_lg_i32 s5, 0x84
	s_mov_b32 s5, -1
	s_delay_alu instid0(VALU_DEP_1)
	v_lshlrev_b32_e32 v5, 3, v1
	s_cbranch_scc0 .LBB144_33
; %bb.28:
	ds_load_b64 v[1:2], v5
	s_waitcnt lgkmcnt(0)
	v_cmp_gt_f32_e32 vcc_lo, 0, v1
	v_cndmask_b32_e64 v3, v1, -v1, vcc_lo
	v_cmp_gt_f32_e32 vcc_lo, 0, v2
	v_cndmask_b32_e64 v4, v2, -v2, vcc_lo
	s_delay_alu instid0(VALU_DEP_1) | instskip(SKIP_1) | instid1(SALU_CYCLE_1)
	v_cmp_ngt_f32_e32 vcc_lo, v3, v4
                                        ; implicit-def: $vgpr3
	s_and_saveexec_b32 s5, vcc_lo
	s_xor_b32 s5, exec_lo, s5
	s_cbranch_execz .LBB144_30
; %bb.29:
	v_div_scale_f32 v3, null, v2, v2, v1
	v_div_scale_f32 v7, vcc_lo, v1, v2, v1
	s_delay_alu instid0(VALU_DEP_2) | instskip(SKIP_2) | instid1(VALU_DEP_1)
	v_rcp_f32_e32 v4, v3
	s_waitcnt_depctr 0xfff
	v_fma_f32 v6, -v3, v4, 1.0
	v_fmac_f32_e32 v4, v6, v4
	s_delay_alu instid0(VALU_DEP_1) | instskip(NEXT) | instid1(VALU_DEP_1)
	v_mul_f32_e32 v6, v7, v4
	v_fma_f32 v8, -v3, v6, v7
	s_delay_alu instid0(VALU_DEP_1) | instskip(NEXT) | instid1(VALU_DEP_1)
	v_fmac_f32_e32 v6, v8, v4
	v_fma_f32 v3, -v3, v6, v7
	s_delay_alu instid0(VALU_DEP_1) | instskip(NEXT) | instid1(VALU_DEP_1)
	v_div_fmas_f32 v3, v3, v4, v6
	v_div_fixup_f32 v3, v3, v2, v1
	s_delay_alu instid0(VALU_DEP_1) | instskip(NEXT) | instid1(VALU_DEP_1)
	v_fmac_f32_e32 v2, v1, v3
	v_div_scale_f32 v1, null, v2, v2, 1.0
	v_div_scale_f32 v7, vcc_lo, 1.0, v2, 1.0
	s_delay_alu instid0(VALU_DEP_2) | instskip(SKIP_2) | instid1(VALU_DEP_1)
	v_rcp_f32_e32 v4, v1
	s_waitcnt_depctr 0xfff
	v_fma_f32 v6, -v1, v4, 1.0
	v_fmac_f32_e32 v4, v6, v4
	s_delay_alu instid0(VALU_DEP_1) | instskip(NEXT) | instid1(VALU_DEP_1)
	v_mul_f32_e32 v6, v7, v4
	v_fma_f32 v8, -v1, v6, v7
	s_delay_alu instid0(VALU_DEP_1) | instskip(NEXT) | instid1(VALU_DEP_1)
	v_fmac_f32_e32 v6, v8, v4
	v_fma_f32 v1, -v1, v6, v7
	s_delay_alu instid0(VALU_DEP_1) | instskip(SKIP_1) | instid1(VALU_DEP_2)
	v_div_fmas_f32 v1, v1, v4, v6
	v_add_f32_e32 v4, 0, v3
	v_div_fixup_f32 v1, v1, v2, 1.0
	v_fma_f32 v2, v3, 0, -1.0
	s_delay_alu instid0(VALU_DEP_2) | instskip(NEXT) | instid1(VALU_DEP_2)
	v_mul_f32_e32 v3, v4, v1
	v_mul_f32_e32 v4, v2, v1
                                        ; implicit-def: $vgpr1_vgpr2
.LBB144_30:
	s_and_not1_saveexec_b32 s5, s5
	s_cbranch_execz .LBB144_32
; %bb.31:
	v_div_scale_f32 v3, null, v1, v1, v2
	v_div_scale_f32 v7, vcc_lo, v2, v1, v2
	s_delay_alu instid0(VALU_DEP_2) | instskip(SKIP_2) | instid1(VALU_DEP_1)
	v_rcp_f32_e32 v4, v3
	s_waitcnt_depctr 0xfff
	v_fma_f32 v6, -v3, v4, 1.0
	v_fmac_f32_e32 v4, v6, v4
	s_delay_alu instid0(VALU_DEP_1) | instskip(NEXT) | instid1(VALU_DEP_1)
	v_mul_f32_e32 v6, v7, v4
	v_fma_f32 v8, -v3, v6, v7
	s_delay_alu instid0(VALU_DEP_1) | instskip(NEXT) | instid1(VALU_DEP_1)
	v_fmac_f32_e32 v6, v8, v4
	v_fma_f32 v3, -v3, v6, v7
	s_delay_alu instid0(VALU_DEP_1) | instskip(NEXT) | instid1(VALU_DEP_1)
	v_div_fmas_f32 v3, v3, v4, v6
	v_div_fixup_f32 v4, v3, v1, v2
	s_delay_alu instid0(VALU_DEP_1) | instskip(NEXT) | instid1(VALU_DEP_1)
	v_fmac_f32_e32 v1, v2, v4
	v_div_scale_f32 v2, null, v1, v1, 1.0
	v_div_scale_f32 v7, vcc_lo, 1.0, v1, 1.0
	s_delay_alu instid0(VALU_DEP_2) | instskip(SKIP_2) | instid1(VALU_DEP_1)
	v_rcp_f32_e32 v3, v2
	s_waitcnt_depctr 0xfff
	v_fma_f32 v6, -v2, v3, 1.0
	v_fmac_f32_e32 v3, v6, v3
	s_delay_alu instid0(VALU_DEP_1) | instskip(NEXT) | instid1(VALU_DEP_1)
	v_mul_f32_e32 v6, v7, v3
	v_fma_f32 v8, -v2, v6, v7
	s_delay_alu instid0(VALU_DEP_1) | instskip(NEXT) | instid1(VALU_DEP_1)
	v_fmac_f32_e32 v6, v8, v3
	v_fma_f32 v2, -v2, v6, v7
	s_delay_alu instid0(VALU_DEP_1) | instskip(SKIP_1) | instid1(VALU_DEP_2)
	v_div_fmas_f32 v2, v2, v3, v6
	v_fma_f32 v3, v4, 0, 1.0
	v_div_fixup_f32 v1, v2, v1, 1.0
	s_delay_alu instid0(VALU_DEP_1)
	v_mul_f32_e32 v3, v3, v1
	v_mul_f32_e64 v4, -v4, v1
.LBB144_32:
	s_or_b32 exec_lo, exec_lo, s5
	s_mov_b32 s5, 0
	ds_store_b64 v5, v[3:4]
.LBB144_33:
	s_and_b32 vcc_lo, exec_lo, s5
	s_cbranch_vccz .LBB144_35
; %bb.34:
	v_dual_mov_b32 v1, 1.0 :: v_dual_mov_b32 v2, 0
	ds_store_b64 v5, v[1:2]
.LBB144_35:
	s_or_b32 exec_lo, exec_lo, s6
	s_mul_i32 s5, s14, -12
	s_add_i32 s15, s15, -1
	s_add_i32 s5, s5, s7
	s_cmp_ge_u32 s14, s15
	s_waitcnt lgkmcnt(0)
	s_cselect_b32 s5, s5, 12
	; wave barrier
	buffer_gl0_inv
	v_cmp_gt_i32_e32 vcc_lo, s5, v0
	s_mov_b32 s5, -1
	s_and_saveexec_b32 s6, vcc_lo
	s_cbranch_execz .LBB144_78
; %bb.36:
	s_load_b32 s0, s[0:1], 0x50
	v_mad_u64_u32 v[1:2], null, s14, 12, v[0:1]
	v_or_b32_e64 v8, 0, 4
	s_waitcnt lgkmcnt(0)
	s_delay_alu instid0(VALU_DEP_2) | instskip(SKIP_1) | instid1(SALU_CYCLE_1)
	v_mad_i64_i32 v[2:3], null, s0, v1, 0
	s_lshl_b64 s[0:1], s[10:11], 3
	s_add_u32 s6, s8, s0
	s_addc_u32 s7, s9, s1
	s_cmpk_eq_i32 s4, 0x6f
	s_delay_alu instid0(VALU_DEP_1) | instskip(NEXT) | instid1(VALU_DEP_1)
	v_lshlrev_b64 v[0:1], 3, v[2:3]
	v_add_co_u32 v6, vcc_lo, s6, v0
	s_delay_alu instid0(VALU_DEP_2)
	v_add_co_ci_u32_e32 v7, vcc_lo, s7, v1, vcc_lo
	s_cbranch_scc1 .LBB144_58
; %bb.37:
	s_add_u32 s4, s8, s0
	s_addc_u32 s5, s9, s1
	v_add_co_u32 v2, vcc_lo, s4, v0
	v_add_co_ci_u32_e32 v3, vcc_lo, s5, v1, vcc_lo
	s_mov_b32 s5, 0
	s_delay_alu instid0(VALU_DEP_2) | instskip(NEXT) | instid1(VALU_DEP_2)
	v_add_co_u32 v9, vcc_lo, v2, 4
	v_add_co_ci_u32_e32 v10, vcc_lo, 0, v3, vcc_lo
	s_mov_b32 s6, s5
	s_mov_b32 s10, s5
	s_branch .LBB144_39
.LBB144_38:                             ;   in Loop: Header=BB144_39 Depth=1
	s_cmp_ge_i32 s10, s29
	s_cselect_b32 s4, -1, 0
	s_add_i32 s6, s6, 1
	s_delay_alu instid0(SALU_CYCLE_1) | instskip(SKIP_1) | instid1(SALU_CYCLE_1)
	s_cmp_eq_u32 s6, 3
	s_cselect_b32 s7, -1, 0
	s_or_b32 s4, s4, s7
	s_delay_alu instid0(SALU_CYCLE_1)
	s_and_not1_b32 vcc_lo, exec_lo, s4
	s_cbranch_vccz .LBB144_57
.LBB144_39:                             ; =>This Loop Header: Depth=1
                                        ;     Child Loop BB144_42 Depth 2
                                        ;       Child Loop BB144_43 Depth 3
                                        ;       Child Loop BB144_46 Depth 3
                                        ;         Child Loop BB144_47 Depth 4
                                        ;       Child Loop BB144_51 Depth 3
                                        ;         Child Loop BB144_53 Depth 4
	s_mov_b32 s7, s5
	s_getpc_b64 s[12:13]
	s_add_u32 s12, s12, __const._ZL30rocblas_trsm_small_left_deviceILi12ELi12ELb0E19rocblas_complex_numIfES1_PKPKS1_PKPS1_Ev13rocblas_fill_18rocblas_operation_17rocblas_diagonal_iiT3_T4_lilT5_lili.step_sizes@rel32@lo+4
	s_addc_u32 s13, s13, __const._ZL30rocblas_trsm_small_left_deviceILi12ELi12ELb0E19rocblas_complex_numIfES1_PKPKS1_PKPS1_Ev13rocblas_fill_18rocblas_operation_17rocblas_diagonal_iiT3_T4_lilT5_lili.step_sizes@rel32@hi+12
	s_lshl_b64 s[14:15], s[6:7], 2
	s_delay_alu instid0(SALU_CYCLE_1) | instskip(SKIP_4) | instid1(SALU_CYCLE_1)
	s_add_u32 s12, s14, s12
	s_addc_u32 s13, s15, s13
	s_load_b32 s12, s[12:13], 0x0
	s_waitcnt lgkmcnt(0)
	s_add_i32 s7, s12, -1
	s_add_i32 s4, s7, s10
	s_delay_alu instid0(SALU_CYCLE_1)
	s_cmp_ge_i32 s4, s29
	s_cbranch_scc1 .LBB144_38
; %bb.40:                               ;   in Loop: Header=BB144_39 Depth=1
	s_ashr_i32 s11, s10, 31
	s_ashr_i32 s13, s12, 31
	s_lshl_b64 s[14:15], s[10:11], 3
	s_max_i32 s18, s12, 1
	v_add_co_u32 v2, vcc_lo, v9, s14
	v_add_co_ci_u32_e32 v3, vcc_lo, s15, v10, vcc_lo
	s_lshl_b64 s[14:15], s[12:13], 3
	s_mul_i32 s11, s10, 0x60
	s_mul_i32 s13, s12, 0x60
	;; [unrolled: 1-line block ×4, first 2 shown]
	s_branch .LBB144_42
.LBB144_41:                             ;   in Loop: Header=BB144_42 Depth=2
	v_add_co_u32 v2, vcc_lo, v2, s14
	s_add_i32 s10, s10, s12
	v_add_co_ci_u32_e32 v3, vcc_lo, s15, v3, vcc_lo
	s_add_i32 s4, s7, s10
	s_add_i32 s11, s11, s13
	;; [unrolled: 1-line block ×3, first 2 shown]
	s_cmp_ge_i32 s4, s29
	s_cbranch_scc1 .LBB144_38
.LBB144_42:                             ;   Parent Loop BB144_39 Depth=1
                                        ; =>  This Loop Header: Depth=2
                                        ;       Child Loop BB144_43 Depth 3
                                        ;       Child Loop BB144_46 Depth 3
                                        ;         Child Loop BB144_47 Depth 4
                                        ;       Child Loop BB144_51 Depth 3
                                        ;         Child Loop BB144_53 Depth 4
	v_dual_mov_b32 v5, v3 :: v_dual_mov_b32 v4, v2
	s_mov_b32 s4, 4
	s_mov_b32 s16, s18
	.p2align	6
.LBB144_43:                             ;   Parent Loop BB144_39 Depth=1
                                        ;     Parent Loop BB144_42 Depth=2
                                        ; =>    This Inner Loop Header: Depth=3
	global_load_b64 v[11:12], v[4:5], off offset:-4
	v_add_co_u32 v4, vcc_lo, v4, 8
	v_add_co_ci_u32_e32 v5, vcc_lo, 0, v5, vcc_lo
	s_add_i32 s16, s16, -1
	s_add_i32 s17, s4, 0
	s_add_i32 s4, s4, 8
	s_cmp_eq_u32 s16, 0
	s_waitcnt vmcnt(0)
	v_mul_f32_e32 v13, s2, v12
	s_delay_alu instid0(VALU_DEP_1) | instskip(NEXT) | instid1(VALU_DEP_1)
	v_dual_mul_f32 v14, s3, v12 :: v_dual_fmac_f32 v13, s3, v11
	v_fma_f32 v12, v11, s2, -v14
	scratch_store_b64 off, v[12:13], s17 offset:-4
	s_cbranch_scc0 .LBB144_43
; %bb.44:                               ;   in Loop: Header=BB144_42 Depth=2
	s_cmp_lt_i32 s10, 1
	s_cbranch_scc1 .LBB144_49
; %bb.45:                               ;   in Loop: Header=BB144_42 Depth=2
	s_mov_b32 s4, 0
	s_mov_b32 s16, s11
	.p2align	6
.LBB144_46:                             ;   Parent Loop BB144_39 Depth=1
                                        ;     Parent Loop BB144_42 Depth=2
                                        ; =>    This Loop Header: Depth=3
                                        ;         Child Loop BB144_47 Depth 4
	s_lshl_b64 s[22:23], s[4:5], 3
	v_mov_b32_e32 v11, v8
	v_add_co_u32 v4, vcc_lo, v6, s22
	v_add_co_ci_u32_e32 v5, vcc_lo, s23, v7, vcc_lo
	s_mov_b32 s17, s16
	s_mov_b32 s21, s18
	global_load_b64 v[4:5], v[4:5], off
	.p2align	6
.LBB144_47:                             ;   Parent Loop BB144_39 Depth=1
                                        ;     Parent Loop BB144_42 Depth=2
                                        ;       Parent Loop BB144_46 Depth=3
                                        ; =>      This Inner Loop Header: Depth=4
	scratch_load_b64 v[12:13], v11, off offset:-4
	v_mov_b32_e32 v14, s17
	s_add_i32 s21, s21, -1
	s_addk_i32 s17, 0x60
	s_cmp_eq_u32 s21, 0
	ds_load_b64 v[14:15], v14
	s_waitcnt vmcnt(1) lgkmcnt(0)
	v_mul_f32_e32 v16, v15, v5
	v_mul_f32_e32 v15, v15, v4
	s_delay_alu instid0(VALU_DEP_1) | instskip(SKIP_1) | instid1(VALU_DEP_1)
	v_fmac_f32_e32 v15, v14, v5
	s_waitcnt vmcnt(0)
	v_sub_f32_e32 v13, v13, v15
	v_fma_f32 v16, v14, v4, -v16
	s_delay_alu instid0(VALU_DEP_1)
	v_sub_f32_e32 v12, v12, v16
	scratch_store_b64 v11, v[12:13], off offset:-4
	v_add_nc_u32_e32 v11, 8, v11
	s_cbranch_scc0 .LBB144_47
; %bb.48:                               ;   in Loop: Header=BB144_46 Depth=3
	s_add_i32 s4, s4, 1
	s_add_i32 s16, s16, 8
	s_cmp_ge_i32 s4, s10
	s_cbranch_scc0 .LBB144_46
.LBB144_49:                             ;   in Loop: Header=BB144_42 Depth=2
	s_mov_b32 s4, 0
	s_mov_b32 s21, s19
	s_branch .LBB144_51
.LBB144_50:                             ;   in Loop: Header=BB144_51 Depth=3
	s_mul_i32 s17, s16, 0x68
	s_lshl_b32 s22, s4, 3
	v_mov_b32_e32 v11, s17
	s_ashr_i32 s17, s16, 31
	s_add_i32 s4, s4, 1
	s_lshl_b64 s[16:17], s[16:17], 3
	s_addk_i32 s21, 0x60
	ds_load_b64 v[11:12], v11
	s_waitcnt vmcnt(0) lgkmcnt(0)
	v_mul_f32_e32 v13, v12, v5
	v_mul_f32_e32 v14, v11, v5
	s_delay_alu instid0(VALU_DEP_2) | instskip(NEXT) | instid1(VALU_DEP_2)
	v_fma_f32 v13, v11, v4, -v13
	v_fmac_f32_e32 v14, v12, v4
	v_add_co_u32 v4, vcc_lo, v6, s16
	v_add_co_ci_u32_e32 v5, vcc_lo, s17, v7, vcc_lo
	s_add_i32 s16, s22, 0
	s_cmp_eq_u32 s4, s18
	scratch_store_b64 off, v[13:14], s16
	global_store_b64 v[4:5], v[13:14], off
	s_cbranch_scc1 .LBB144_41
.LBB144_51:                             ;   Parent Loop BB144_39 Depth=1
                                        ;     Parent Loop BB144_42 Depth=2
                                        ; =>    This Loop Header: Depth=3
                                        ;         Child Loop BB144_53 Depth 4
	s_cmp_lg_u32 s4, 0
	s_cbranch_scc0 .LBB144_55
; %bb.52:                               ;   in Loop: Header=BB144_51 Depth=3
	s_lshl_b32 s16, s4, 3
	v_mov_b32_e32 v12, 0
	s_add_i32 s17, s16, 0
	v_add_nc_u32_e64 v11, s16, 0
	scratch_load_b64 v[4:5], off, s17
	s_add_i32 s16, s4, s10
	s_mov_b32 s17, 0
	s_mov_b32 s22, s21
	.p2align	6
.LBB144_53:                             ;   Parent Loop BB144_39 Depth=1
                                        ;     Parent Loop BB144_42 Depth=2
                                        ;       Parent Loop BB144_51 Depth=3
                                        ; =>      This Inner Loop Header: Depth=4
	scratch_load_b64 v[13:14], v12, off
	v_mov_b32_e32 v15, s22
	s_add_i32 s17, s17, 1
	s_add_i32 s22, s22, 8
	s_cmp_ge_u32 s17, s4
	v_add_nc_u32_e32 v12, 8, v12
	ds_load_b64 v[15:16], v15
	s_waitcnt vmcnt(0) lgkmcnt(0)
	v_mul_f32_e32 v17, v16, v14
	v_mul_f32_e32 v14, v15, v14
	s_delay_alu instid0(VALU_DEP_2) | instskip(NEXT) | instid1(VALU_DEP_2)
	v_fma_f32 v15, v15, v13, -v17
	v_fmac_f32_e32 v14, v16, v13
	s_delay_alu instid0(VALU_DEP_1)
	v_dual_sub_f32 v4, v4, v15 :: v_dual_sub_f32 v5, v5, v14
	scratch_store_b64 v11, v[4:5], off
	s_cbranch_scc0 .LBB144_53
; %bb.54:                               ;   in Loop: Header=BB144_51 Depth=3
	s_branch .LBB144_50
.LBB144_55:                             ;   in Loop: Header=BB144_51 Depth=3
                                        ; implicit-def: $vgpr4
                                        ; implicit-def: $sgpr16
	s_cbranch_execz .LBB144_50
; %bb.56:                               ;   in Loop: Header=BB144_51 Depth=3
	scratch_load_b64 v[4:5], off, off
	s_mov_b32 s16, s10
	s_branch .LBB144_50
.LBB144_57:
	s_mov_b32 s5, 0
.LBB144_58:
	s_delay_alu instid0(SALU_CYCLE_1)
	s_and_b32 vcc_lo, exec_lo, s5
	s_cbranch_vccz .LBB144_78
; %bb.59:
	s_add_u32 s0, s8, s0
	s_addc_u32 s1, s9, s1
	v_add_co_u32 v0, vcc_lo, s0, v0
	v_add_co_ci_u32_e32 v1, vcc_lo, s1, v1, vcc_lo
	s_mul_i32 s10, s29, 0x60
	s_delay_alu instid0(VALU_DEP_2) | instskip(NEXT) | instid1(VALU_DEP_2)
	v_add_co_u32 v2, vcc_lo, v0, 4
	v_add_co_ci_u32_e32 v3, vcc_lo, 0, v1, vcc_lo
	s_mov_b32 s1, 0
	s_addk_i32 s10, 0xffa0
	s_mov_b32 s4, s28
	s_mov_b32 s0, s1
	s_branch .LBB144_61
.LBB144_60:                             ;   in Loop: Header=BB144_61 Depth=1
	s_cmp_lt_i32 s4, 0
	s_cselect_b32 s5, -1, 0
	s_add_i32 s0, s0, 1
	s_delay_alu instid0(SALU_CYCLE_1) | instskip(SKIP_1) | instid1(SALU_CYCLE_1)
	s_cmp_eq_u32 s0, 3
	s_cselect_b32 s6, -1, 0
	s_or_b32 s5, s5, s6
	s_delay_alu instid0(SALU_CYCLE_1)
	s_and_b32 vcc_lo, exec_lo, s5
	s_cbranch_vccnz .LBB144_78
.LBB144_61:                             ; =>This Loop Header: Depth=1
                                        ;     Child Loop BB144_64 Depth 2
                                        ;       Child Loop BB144_65 Depth 3
                                        ;       Child Loop BB144_67 Depth 3
                                        ;         Child Loop BB144_68 Depth 4
                                        ;       Child Loop BB144_72 Depth 3
                                        ;         Child Loop BB144_74 Depth 4
	s_getpc_b64 s[6:7]
	s_add_u32 s6, s6, __const._ZL30rocblas_trsm_small_left_deviceILi12ELi12ELb0E19rocblas_complex_numIfES1_PKPKS1_PKPS1_Ev13rocblas_fill_18rocblas_operation_17rocblas_diagonal_iiT3_T4_lilT5_lili.step_sizes@rel32@lo+4
	s_addc_u32 s7, s7, __const._ZL30rocblas_trsm_small_left_deviceILi12ELi12ELb0E19rocblas_complex_numIfES1_PKPKS1_PKPS1_Ev13rocblas_fill_18rocblas_operation_17rocblas_diagonal_iiT3_T4_lilT5_lili.step_sizes@rel32@hi+12
	s_lshl_b64 s[8:9], s[0:1], 2
	s_delay_alu instid0(SALU_CYCLE_1) | instskip(SKIP_4) | instid1(SALU_CYCLE_1)
	s_add_u32 s6, s8, s6
	s_addc_u32 s7, s9, s7
	s_load_b32 s11, s[6:7], 0x0
	s_waitcnt lgkmcnt(0)
	s_add_i32 s12, s11, -1
	s_cmp_lt_i32 s4, s12
	s_cbranch_scc1 .LBB144_60
; %bb.62:                               ;   in Loop: Header=BB144_61 Depth=1
	s_lshl_b32 s5, s4, 3
	s_lshl_b32 s6, s11, 3
	s_max_i32 s13, s11, 1
	s_add_i32 s14, s10, s5
	s_sub_i32 s15, 0, s6
	s_mul_i32 s16, s4, 0x68
	s_mul_i32 s17, s11, 0xffffff98
	s_branch .LBB144_64
.LBB144_63:                             ;   in Loop: Header=BB144_64 Depth=2
	s_sub_i32 s4, s4, s11
	s_add_i32 s14, s14, s15
	s_add_i32 s16, s16, s17
	s_cmp_lt_i32 s4, s12
	s_cbranch_scc1 .LBB144_60
.LBB144_64:                             ;   Parent Loop BB144_61 Depth=1
                                        ; =>  This Loop Header: Depth=2
                                        ;       Child Loop BB144_65 Depth 3
                                        ;       Child Loop BB144_67 Depth 3
                                        ;         Child Loop BB144_68 Depth 4
                                        ;       Child Loop BB144_72 Depth 3
                                        ;         Child Loop BB144_74 Depth 4
	s_ashr_i32 s5, s4, 31
	s_delay_alu instid0(SALU_CYCLE_1) | instskip(NEXT) | instid1(SALU_CYCLE_1)
	s_lshl_b64 s[6:7], s[4:5], 3
	v_add_co_u32 v0, vcc_lo, v2, s6
	v_add_co_ci_u32_e32 v1, vcc_lo, s7, v3, vcc_lo
	s_mov_b32 s6, 4
	s_mov_b32 s7, s13
	.p2align	6
.LBB144_65:                             ;   Parent Loop BB144_61 Depth=1
                                        ;     Parent Loop BB144_64 Depth=2
                                        ; =>    This Inner Loop Header: Depth=3
	global_load_b64 v[4:5], v[0:1], off offset:-4
	v_add_co_u32 v0, vcc_lo, v0, -8
	v_add_co_ci_u32_e32 v1, vcc_lo, -1, v1, vcc_lo
	s_add_i32 s7, s7, -1
	s_add_i32 s8, s6, 0
	s_add_i32 s6, s6, 8
	s_cmp_eq_u32 s7, 0
	s_waitcnt vmcnt(0)
	v_mul_f32_e32 v10, s2, v5
	s_delay_alu instid0(VALU_DEP_1) | instskip(NEXT) | instid1(VALU_DEP_1)
	v_dual_mul_f32 v9, s3, v5 :: v_dual_fmac_f32 v10, s3, v4
	v_fma_f32 v9, v4, s2, -v9
	scratch_store_b64 off, v[9:10], s8 offset:-4
	s_cbranch_scc0 .LBB144_65
; %bb.66:                               ;   in Loop: Header=BB144_64 Depth=2
	s_cmp_le_i32 s28, s4
	s_mov_b32 s8, s14
	s_mov_b32 s6, s28
	s_cbranch_scc1 .LBB144_70
	.p2align	6
.LBB144_67:                             ;   Parent Loop BB144_61 Depth=1
                                        ;     Parent Loop BB144_64 Depth=2
                                        ; =>    This Loop Header: Depth=3
                                        ;         Child Loop BB144_68 Depth 4
	s_ashr_i32 s7, s6, 31
	v_mov_b32_e32 v4, v8
	s_lshl_b64 s[18:19], s[6:7], 3
	s_mov_b32 s7, s13
	v_add_co_u32 v0, vcc_lo, v6, s18
	v_add_co_ci_u32_e32 v1, vcc_lo, s19, v7, vcc_lo
	s_mov_b32 s9, s8
	global_load_b64 v[0:1], v[0:1], off
	.p2align	6
.LBB144_68:                             ;   Parent Loop BB144_61 Depth=1
                                        ;     Parent Loop BB144_64 Depth=2
                                        ;       Parent Loop BB144_67 Depth=3
                                        ; =>      This Inner Loop Header: Depth=4
	scratch_load_b64 v[9:10], v4, off offset:-4
	v_mov_b32_e32 v5, s9
	s_add_i32 s7, s7, -1
	s_add_i32 s9, s9, -8
	s_cmp_eq_u32 s7, 0
	ds_load_b64 v[11:12], v5
	s_waitcnt vmcnt(1) lgkmcnt(0)
	v_mul_f32_e32 v5, v12, v1
	v_mul_f32_e32 v12, v12, v0
	s_delay_alu instid0(VALU_DEP_1) | instskip(SKIP_1) | instid1(VALU_DEP_1)
	v_fmac_f32_e32 v12, v11, v1
	s_waitcnt vmcnt(0)
	v_sub_f32_e32 v10, v10, v12
	v_fma_f32 v5, v11, v0, -v5
	s_delay_alu instid0(VALU_DEP_1)
	v_sub_f32_e32 v9, v9, v5
	scratch_store_b64 v4, v[9:10], off offset:-4
	v_add_nc_u32_e32 v4, 8, v4
	s_cbranch_scc0 .LBB144_68
; %bb.69:                               ;   in Loop: Header=BB144_67 Depth=3
	s_add_i32 s6, s6, -1
	s_addk_i32 s8, 0xffa0
	s_cmp_le_i32 s6, s4
	s_cbranch_scc0 .LBB144_67
.LBB144_70:                             ;   in Loop: Header=BB144_64 Depth=2
	s_mov_b32 s18, 0
	s_mov_b32 s19, s16
	s_branch .LBB144_72
.LBB144_71:                             ;   in Loop: Header=BB144_72 Depth=3
	s_mulk_i32 s8, 0x68
	s_lshl_b64 s[6:7], s[6:7], 3
	v_mov_b32_e32 v4, s8
	s_lshl_b32 s8, s18, 3
	s_add_i32 s18, s18, 1
	s_add_i32 s19, s19, -8
	ds_load_b64 v[4:5], v4
	s_waitcnt vmcnt(0) lgkmcnt(0)
	v_mul_f32_e32 v9, v5, v1
	v_mul_f32_e32 v10, v4, v1
	s_delay_alu instid0(VALU_DEP_2) | instskip(NEXT) | instid1(VALU_DEP_2)
	v_fma_f32 v9, v4, v0, -v9
	v_fmac_f32_e32 v10, v5, v0
	v_add_co_u32 v0, vcc_lo, v6, s6
	v_add_co_ci_u32_e32 v1, vcc_lo, s7, v7, vcc_lo
	s_add_i32 s6, s8, 0
	s_cmp_eq_u32 s18, s13
	scratch_store_b64 off, v[9:10], s6
	global_store_b64 v[0:1], v[9:10], off
	s_cbranch_scc1 .LBB144_63
.LBB144_72:                             ;   Parent Loop BB144_61 Depth=1
                                        ;     Parent Loop BB144_64 Depth=2
                                        ; =>    This Loop Header: Depth=3
                                        ;         Child Loop BB144_74 Depth 4
	s_cmp_lg_u32 s18, 0
	s_cbranch_scc0 .LBB144_76
; %bb.73:                               ;   in Loop: Header=BB144_72 Depth=3
	s_lshl_b32 s6, s18, 3
	v_mov_b32_e32 v5, 0
	s_add_i32 s7, s6, 0
	v_add_nc_u32_e64 v4, s6, 0
	scratch_load_b64 v[0:1], off, s7
	s_mov_b32 s6, 0
	s_mov_b32 s7, s19
	.p2align	6
.LBB144_74:                             ;   Parent Loop BB144_61 Depth=1
                                        ;     Parent Loop BB144_64 Depth=2
                                        ;       Parent Loop BB144_72 Depth=3
                                        ; =>      This Inner Loop Header: Depth=4
	scratch_load_b64 v[9:10], v5, off
	v_mov_b32_e32 v11, s7
	s_add_i32 s6, s6, 1
	s_addk_i32 s7, 0xffa0
	s_cmp_ge_u32 s6, s18
	v_add_nc_u32_e32 v5, 8, v5
	ds_load_b64 v[11:12], v11
	s_waitcnt vmcnt(0) lgkmcnt(0)
	v_mul_f32_e32 v13, v12, v10
	v_mul_f32_e32 v10, v11, v10
	s_delay_alu instid0(VALU_DEP_2) | instskip(NEXT) | instid1(VALU_DEP_2)
	v_fma_f32 v11, v11, v9, -v13
	v_fmac_f32_e32 v10, v12, v9
	s_delay_alu instid0(VALU_DEP_1)
	v_dual_sub_f32 v0, v0, v11 :: v_dual_sub_f32 v1, v1, v10
	scratch_store_b64 v4, v[0:1], off
	s_cbranch_scc0 .LBB144_74
; %bb.75:                               ;   in Loop: Header=BB144_72 Depth=3
	s_sub_i32 s8, s4, s18
	s_delay_alu instid0(SALU_CYCLE_1) | instskip(NEXT) | instid1(SALU_CYCLE_1)
	s_ashr_i32 s9, s8, 31
	s_mov_b64 s[6:7], s[8:9]
	s_branch .LBB144_71
.LBB144_76:                             ;   in Loop: Header=BB144_72 Depth=3
                                        ; implicit-def: $vgpr0
                                        ; implicit-def: $sgpr8
                                        ; implicit-def: $sgpr6_sgpr7
	s_cbranch_execz .LBB144_71
; %bb.77:                               ;   in Loop: Header=BB144_72 Depth=3
	scratch_load_b64 v[0:1], off, off
	s_mov_b64 s[6:7], s[4:5]
	s_mov_b32 s8, s4
	s_branch .LBB144_71
.LBB144_78:
	s_endpgm
	.section	.rodata,"a",@progbits
	.p2align	6, 0x0
	.amdhsa_kernel _ZL30rocblas_trsm_small_left_deviceILi12ELi12ELb0E19rocblas_complex_numIfES1_PKPKS1_PKPS1_Ev13rocblas_fill_18rocblas_operation_17rocblas_diagonal_iiT3_T4_lilT5_lili
		.amdhsa_group_segment_fixed_size 1152
		.amdhsa_private_segment_fixed_size 112
		.amdhsa_kernarg_size 360
		.amdhsa_user_sgpr_count 14
		.amdhsa_user_sgpr_dispatch_ptr 0
		.amdhsa_user_sgpr_queue_ptr 0
		.amdhsa_user_sgpr_kernarg_segment_ptr 1
		.amdhsa_user_sgpr_dispatch_id 0
		.amdhsa_user_sgpr_private_segment_size 0
		.amdhsa_wavefront_size32 1
		.amdhsa_uses_dynamic_stack 0
		.amdhsa_enable_private_segment 1
		.amdhsa_system_sgpr_workgroup_id_x 1
		.amdhsa_system_sgpr_workgroup_id_y 0
		.amdhsa_system_sgpr_workgroup_id_z 1
		.amdhsa_system_sgpr_workgroup_info 0
		.amdhsa_system_vgpr_workitem_id 0
		.amdhsa_next_free_vgpr 18
		.amdhsa_next_free_sgpr 34
		.amdhsa_reserve_vcc 1
		.amdhsa_float_round_mode_32 0
		.amdhsa_float_round_mode_16_64 0
		.amdhsa_float_denorm_mode_32 3
		.amdhsa_float_denorm_mode_16_64 3
		.amdhsa_dx10_clamp 1
		.amdhsa_ieee_mode 1
		.amdhsa_fp16_overflow 0
		.amdhsa_workgroup_processor_mode 1
		.amdhsa_memory_ordered 1
		.amdhsa_forward_progress 0
		.amdhsa_shared_vgpr_count 0
		.amdhsa_exception_fp_ieee_invalid_op 0
		.amdhsa_exception_fp_denorm_src 0
		.amdhsa_exception_fp_ieee_div_zero 0
		.amdhsa_exception_fp_ieee_overflow 0
		.amdhsa_exception_fp_ieee_underflow 0
		.amdhsa_exception_fp_ieee_inexact 0
		.amdhsa_exception_int_div_zero 0
	.end_amdhsa_kernel
	.section	.text._ZL30rocblas_trsm_small_left_deviceILi12ELi12ELb0E19rocblas_complex_numIfES1_PKPKS1_PKPS1_Ev13rocblas_fill_18rocblas_operation_17rocblas_diagonal_iiT3_T4_lilT5_lili,"axG",@progbits,_ZL30rocblas_trsm_small_left_deviceILi12ELi12ELb0E19rocblas_complex_numIfES1_PKPKS1_PKPS1_Ev13rocblas_fill_18rocblas_operation_17rocblas_diagonal_iiT3_T4_lilT5_lili,comdat
.Lfunc_end144:
	.size	_ZL30rocblas_trsm_small_left_deviceILi12ELi12ELb0E19rocblas_complex_numIfES1_PKPKS1_PKPS1_Ev13rocblas_fill_18rocblas_operation_17rocblas_diagonal_iiT3_T4_lilT5_lili, .Lfunc_end144-_ZL30rocblas_trsm_small_left_deviceILi12ELi12ELb0E19rocblas_complex_numIfES1_PKPKS1_PKPS1_Ev13rocblas_fill_18rocblas_operation_17rocblas_diagonal_iiT3_T4_lilT5_lili
                                        ; -- End function
	.section	.AMDGPU.csdata,"",@progbits
; Kernel info:
; codeLenInByte = 3116
; NumSgprs: 36
; NumVgprs: 18
; ScratchSize: 112
; MemoryBound: 0
; FloatMode: 240
; IeeeMode: 1
; LDSByteSize: 1152 bytes/workgroup (compile time only)
; SGPRBlocks: 4
; VGPRBlocks: 2
; NumSGPRsForWavesPerEU: 36
; NumVGPRsForWavesPerEU: 18
; Occupancy: 16
; WaveLimiterHint : 1
; COMPUTE_PGM_RSRC2:SCRATCH_EN: 1
; COMPUTE_PGM_RSRC2:USER_SGPR: 14
; COMPUTE_PGM_RSRC2:TRAP_HANDLER: 0
; COMPUTE_PGM_RSRC2:TGID_X_EN: 1
; COMPUTE_PGM_RSRC2:TGID_Y_EN: 0
; COMPUTE_PGM_RSRC2:TGID_Z_EN: 1
; COMPUTE_PGM_RSRC2:TIDIG_COMP_CNT: 0
	.section	.text._ZL38rocblas_trsm_small_left_device_sharedBILi12ELi12ELb1E19rocblas_complex_numIfES1_PKPKS1_PKPS1_Ev13rocblas_fill_18rocblas_operation_17rocblas_diagonal_iiT3_T4_lilT5_lili,"axG",@progbits,_ZL38rocblas_trsm_small_left_device_sharedBILi12ELi12ELb1E19rocblas_complex_numIfES1_PKPKS1_PKPS1_Ev13rocblas_fill_18rocblas_operation_17rocblas_diagonal_iiT3_T4_lilT5_lili,comdat
	.globl	_ZL38rocblas_trsm_small_left_device_sharedBILi12ELi12ELb1E19rocblas_complex_numIfES1_PKPKS1_PKPS1_Ev13rocblas_fill_18rocblas_operation_17rocblas_diagonal_iiT3_T4_lilT5_lili ; -- Begin function _ZL38rocblas_trsm_small_left_device_sharedBILi12ELi12ELb1E19rocblas_complex_numIfES1_PKPKS1_PKPS1_Ev13rocblas_fill_18rocblas_operation_17rocblas_diagonal_iiT3_T4_lilT5_lili
	.p2align	8
	.type	_ZL38rocblas_trsm_small_left_device_sharedBILi12ELi12ELb1E19rocblas_complex_numIfES1_PKPKS1_PKPS1_Ev13rocblas_fill_18rocblas_operation_17rocblas_diagonal_iiT3_T4_lilT5_lili,@function
_ZL38rocblas_trsm_small_left_device_sharedBILi12ELi12ELb1E19rocblas_complex_numIfES1_PKPKS1_PKPS1_Ev13rocblas_fill_18rocblas_operation_17rocblas_diagonal_iiT3_T4_lilT5_lili: ; @_ZL38rocblas_trsm_small_left_device_sharedBILi12ELi12ELb1E19rocblas_complex_numIfES1_PKPKS1_PKPS1_Ev13rocblas_fill_18rocblas_operation_17rocblas_diagonal_iiT3_T4_lilT5_lili
; %bb.0:
	s_clause 0x1
	s_load_b128 s[8:11], s[0:1], 0x40
	s_load_b128 s[4:7], s[0:1], 0x4
	s_mov_b32 s20, s15
	s_mov_b32 s21, 0
	s_load_b32 s28, s[0:1], 0x68
	s_lshl_b64 s[22:23], s[20:21], 3
	s_mov_b32 s29, exec_lo
	s_waitcnt lgkmcnt(0)
	s_add_u32 s2, s8, s22
	s_addc_u32 s3, s9, s23
	s_load_b64 s[12:13], s[0:1], 0x14
	s_load_b64 s[2:3], s[2:3], 0x0
	s_min_i32 s15, s6, 12
	s_delay_alu instid0(SALU_CYCLE_1)
	s_add_i32 s20, s15, -1
	v_cmpx_gt_i32_e64 s15, v0
	s_cbranch_execz .LBB145_35
; %bb.1:
	s_clause 0x1
	s_load_b32 s8, s[0:1], 0x30
	s_load_b128 s[16:19], s[0:1], 0x20
	s_waitcnt lgkmcnt(0)
	s_ashr_i32 s9, s8, 31
	s_cmpk_lg_i32 s4, 0x71
	s_cselect_b32 s30, -1, 0
	s_add_u32 s16, s16, s22
	s_addc_u32 s17, s17, s23
	v_cndmask_b32_e64 v7, 0, 1, s30
	s_load_b64 s[16:17], s[16:17], 0x0
	s_cmp_lt_u32 s20, 3
	s_cbranch_scc1 .LBB145_20
; %bb.2:
	v_lshlrev_b32_e32 v8, 3, v0
	s_lshl_b64 s[22:23], s[18:19], 3
	s_mul_hi_i32 s31, s8, 24
	s_waitcnt lgkmcnt(0)
	s_add_u32 s21, s16, s22
	s_addc_u32 s22, s17, s23
	v_add_co_u32 v1, s21, s21, v8
	s_delay_alu instid0(VALU_DEP_1)
	v_add_co_ci_u32_e64 v2, null, s22, 0, s21
	s_and_b32 s21, s15, -4
	s_mul_i32 s33, s8, 24
	s_lshl_b64 s[22:23], s[8:9], 5
	s_lshl_b64 s[24:25], s[8:9], 4
	;; [unrolled: 1-line block ×3, first 2 shown]
	s_mov_b32 s34, 0
	s_branch .LBB145_4
.LBB145_3:                              ;   in Loop: Header=BB145_4 Depth=1
	global_load_b32 v3, v[5:6], off
	v_add_co_u32 v1, vcc_lo, v1, s22
	v_add_co_ci_u32_e32 v2, vcc_lo, s23, v2, vcc_lo
	s_add_i32 s34, s34, 4
	s_delay_alu instid0(SALU_CYCLE_1)
	s_cmp_eq_u32 s21, s34
	s_waitcnt vmcnt(0)
	ds_store_b64 v8, v[3:4] offset:288
	v_add_nc_u32_e32 v8, 0x180, v8
	s_cbranch_scc1 .LBB145_20
.LBB145_4:                              ; =>This Inner Loop Header: Depth=1
	s_and_b32 vcc_lo, exec_lo, s30
	s_cbranch_vccz .LBB145_6
; %bb.5:                                ;   in Loop: Header=BB145_4 Depth=1
	global_load_b32 v4, v[1:2], off offset:4
	s_cbranch_execz .LBB145_7
	s_branch .LBB145_8
.LBB145_6:                              ;   in Loop: Header=BB145_4 Depth=1
                                        ; implicit-def: $vgpr4
.LBB145_7:                              ;   in Loop: Header=BB145_4 Depth=1
	global_load_b32 v3, v[1:2], off offset:4
	s_waitcnt vmcnt(0)
	v_xor_b32_e32 v4, 0x80000000, v3
.LBB145_8:                              ;   in Loop: Header=BB145_4 Depth=1
	global_load_b32 v3, v[1:2], off
	v_add_co_u32 v5, vcc_lo, v1, s26
	v_add_co_ci_u32_e32 v6, vcc_lo, s27, v2, vcc_lo
	s_and_not1_b32 vcc_lo, exec_lo, s30
	s_waitcnt vmcnt(0)
	ds_store_b64 v8, v[3:4]
	s_cbranch_vccnz .LBB145_10
; %bb.9:                                ;   in Loop: Header=BB145_4 Depth=1
	global_load_b32 v4, v[5:6], off offset:4
	s_cbranch_execz .LBB145_11
	s_branch .LBB145_12
.LBB145_10:                             ;   in Loop: Header=BB145_4 Depth=1
                                        ; implicit-def: $vgpr4
.LBB145_11:                             ;   in Loop: Header=BB145_4 Depth=1
	global_load_b32 v3, v[5:6], off offset:4
	s_waitcnt vmcnt(0)
	v_xor_b32_e32 v4, 0x80000000, v3
.LBB145_12:                             ;   in Loop: Header=BB145_4 Depth=1
	global_load_b32 v3, v[5:6], off
	v_add_co_u32 v5, vcc_lo, v1, s24
	v_add_co_ci_u32_e32 v6, vcc_lo, s25, v2, vcc_lo
	s_and_not1_b32 vcc_lo, exec_lo, s30
	s_waitcnt vmcnt(0)
	ds_store_b64 v8, v[3:4] offset:96
	s_cbranch_vccnz .LBB145_14
; %bb.13:                               ;   in Loop: Header=BB145_4 Depth=1
	global_load_b32 v4, v[5:6], off offset:4
	s_cbranch_execz .LBB145_15
	s_branch .LBB145_16
.LBB145_14:                             ;   in Loop: Header=BB145_4 Depth=1
                                        ; implicit-def: $vgpr4
.LBB145_15:                             ;   in Loop: Header=BB145_4 Depth=1
	global_load_b32 v3, v[5:6], off offset:4
	s_waitcnt vmcnt(0)
	v_xor_b32_e32 v4, 0x80000000, v3
.LBB145_16:                             ;   in Loop: Header=BB145_4 Depth=1
	global_load_b32 v3, v[5:6], off
	v_add_co_u32 v5, vcc_lo, v1, s33
	v_add_co_ci_u32_e32 v6, vcc_lo, s31, v2, vcc_lo
	s_and_not1_b32 vcc_lo, exec_lo, s30
	s_waitcnt vmcnt(0)
	ds_store_b64 v8, v[3:4] offset:192
	s_cbranch_vccnz .LBB145_18
; %bb.17:                               ;   in Loop: Header=BB145_4 Depth=1
	global_load_b32 v4, v[5:6], off offset:4
	s_cbranch_execnz .LBB145_3
	s_branch .LBB145_19
.LBB145_18:                             ;   in Loop: Header=BB145_4 Depth=1
                                        ; implicit-def: $vgpr4
.LBB145_19:                             ;   in Loop: Header=BB145_4 Depth=1
	global_load_b32 v3, v[5:6], off offset:4
	s_waitcnt vmcnt(0)
	v_xor_b32_e32 v4, 0x80000000, v3
	s_branch .LBB145_3
.LBB145_20:
	s_and_b32 s22, s15, 3
	s_delay_alu instid0(SALU_CYCLE_1)
	s_cmp_eq_u32 s22, 0
	s_cbranch_scc1 .LBB145_27
; %bb.21:
	s_mul_i32 s23, s9, s21
	s_mul_hi_u32 s25, s8, s21
	s_mul_i32 s24, s8, s21
	s_add_i32 s25, s25, s23
	s_lshl_b64 s[18:19], s[18:19], 3
	s_lshl_b64 s[24:25], s[24:25], 3
	v_lshlrev_b32_e32 v1, 3, v0
	s_add_u32 s18, s24, s18
	s_addc_u32 s19, s25, s19
	s_waitcnt lgkmcnt(0)
	s_add_u32 s16, s16, s18
	s_addc_u32 s17, s17, s19
	v_add_co_u32 v1, s16, s16, v1
	s_delay_alu instid0(VALU_DEP_1) | instskip(SKIP_1) | instid1(VALU_DEP_2)
	v_add_co_ci_u32_e64 v2, null, s17, 0, s16
	s_mulk_i32 s21, 0x60
	v_add_co_u32 v1, vcc_lo, v1, 4
	v_lshl_add_u32 v5, v0, 3, s21
	s_delay_alu instid0(VALU_DEP_3)
	v_add_co_ci_u32_e32 v2, vcc_lo, 0, v2, vcc_lo
	s_lshl_b64 s[8:9], s[8:9], 3
	s_set_inst_prefetch_distance 0x1
	s_branch .LBB145_23
	.p2align	6
.LBB145_22:                             ;   in Loop: Header=BB145_23 Depth=1
	global_load_b32 v3, v[1:2], off offset:-4
	v_add_co_u32 v1, vcc_lo, v1, s8
	v_add_co_ci_u32_e32 v2, vcc_lo, s9, v2, vcc_lo
	s_add_i32 s22, s22, -1
	s_delay_alu instid0(SALU_CYCLE_1)
	s_cmp_lg_u32 s22, 0
	s_waitcnt vmcnt(0)
	ds_store_b64 v5, v[3:4]
	v_add_nc_u32_e32 v5, 0x60, v5
	s_cbranch_scc0 .LBB145_27
.LBB145_23:                             ; =>This Inner Loop Header: Depth=1
	v_cmp_ne_u32_e32 vcc_lo, 1, v7
	s_mov_b32 s16, -1
                                        ; implicit-def: $vgpr4
	s_cbranch_vccnz .LBB145_25
; %bb.24:                               ;   in Loop: Header=BB145_23 Depth=1
	global_load_b32 v4, v[1:2], off
	s_mov_b32 s16, 0
.LBB145_25:                             ;   in Loop: Header=BB145_23 Depth=1
	s_delay_alu instid0(SALU_CYCLE_1)
	s_and_not1_b32 vcc_lo, exec_lo, s16
	s_cbranch_vccnz .LBB145_22
; %bb.26:                               ;   in Loop: Header=BB145_23 Depth=1
	global_load_b32 v3, v[1:2], off
	s_waitcnt vmcnt(0)
	v_xor_b32_e32 v4, 0x80000000, v3
	s_branch .LBB145_22
.LBB145_27:
	s_set_inst_prefetch_distance 0x2
	v_mul_u32_u24_e32 v1, 13, v0
	s_cmpk_lg_i32 s5, 0x84
	s_mov_b32 s5, -1
	s_delay_alu instid0(VALU_DEP_1)
	v_lshlrev_b32_e32 v5, 3, v1
	s_cbranch_scc0 .LBB145_33
; %bb.28:
	ds_load_b64 v[1:2], v5
	s_waitcnt lgkmcnt(0)
	v_cmp_gt_f32_e32 vcc_lo, 0, v1
	v_cndmask_b32_e64 v3, v1, -v1, vcc_lo
	v_cmp_gt_f32_e32 vcc_lo, 0, v2
	v_cndmask_b32_e64 v4, v2, -v2, vcc_lo
	s_delay_alu instid0(VALU_DEP_1) | instskip(SKIP_1) | instid1(SALU_CYCLE_1)
	v_cmp_ngt_f32_e32 vcc_lo, v3, v4
                                        ; implicit-def: $vgpr3
	s_and_saveexec_b32 s5, vcc_lo
	s_xor_b32 s5, exec_lo, s5
	s_cbranch_execz .LBB145_30
; %bb.29:
	v_div_scale_f32 v3, null, v2, v2, v1
	v_div_scale_f32 v7, vcc_lo, v1, v2, v1
	s_delay_alu instid0(VALU_DEP_2) | instskip(SKIP_2) | instid1(VALU_DEP_1)
	v_rcp_f32_e32 v4, v3
	s_waitcnt_depctr 0xfff
	v_fma_f32 v6, -v3, v4, 1.0
	v_fmac_f32_e32 v4, v6, v4
	s_delay_alu instid0(VALU_DEP_1) | instskip(NEXT) | instid1(VALU_DEP_1)
	v_mul_f32_e32 v6, v7, v4
	v_fma_f32 v8, -v3, v6, v7
	s_delay_alu instid0(VALU_DEP_1) | instskip(NEXT) | instid1(VALU_DEP_1)
	v_fmac_f32_e32 v6, v8, v4
	v_fma_f32 v3, -v3, v6, v7
	s_delay_alu instid0(VALU_DEP_1) | instskip(NEXT) | instid1(VALU_DEP_1)
	v_div_fmas_f32 v3, v3, v4, v6
	v_div_fixup_f32 v3, v3, v2, v1
	s_delay_alu instid0(VALU_DEP_1) | instskip(NEXT) | instid1(VALU_DEP_1)
	v_fmac_f32_e32 v2, v1, v3
	v_div_scale_f32 v1, null, v2, v2, 1.0
	v_div_scale_f32 v7, vcc_lo, 1.0, v2, 1.0
	s_delay_alu instid0(VALU_DEP_2) | instskip(SKIP_2) | instid1(VALU_DEP_1)
	v_rcp_f32_e32 v4, v1
	s_waitcnt_depctr 0xfff
	v_fma_f32 v6, -v1, v4, 1.0
	v_fmac_f32_e32 v4, v6, v4
	s_delay_alu instid0(VALU_DEP_1) | instskip(NEXT) | instid1(VALU_DEP_1)
	v_mul_f32_e32 v6, v7, v4
	v_fma_f32 v8, -v1, v6, v7
	s_delay_alu instid0(VALU_DEP_1) | instskip(NEXT) | instid1(VALU_DEP_1)
	v_fmac_f32_e32 v6, v8, v4
	v_fma_f32 v1, -v1, v6, v7
	s_delay_alu instid0(VALU_DEP_1) | instskip(SKIP_1) | instid1(VALU_DEP_2)
	v_div_fmas_f32 v1, v1, v4, v6
	v_add_f32_e32 v4, 0, v3
	v_div_fixup_f32 v1, v1, v2, 1.0
	v_fma_f32 v2, v3, 0, -1.0
	s_delay_alu instid0(VALU_DEP_2) | instskip(NEXT) | instid1(VALU_DEP_2)
	v_mul_f32_e32 v3, v4, v1
	v_mul_f32_e32 v4, v2, v1
                                        ; implicit-def: $vgpr1_vgpr2
.LBB145_30:
	s_and_not1_saveexec_b32 s5, s5
	s_cbranch_execz .LBB145_32
; %bb.31:
	v_div_scale_f32 v3, null, v1, v1, v2
	v_div_scale_f32 v7, vcc_lo, v2, v1, v2
	s_delay_alu instid0(VALU_DEP_2) | instskip(SKIP_2) | instid1(VALU_DEP_1)
	v_rcp_f32_e32 v4, v3
	s_waitcnt_depctr 0xfff
	v_fma_f32 v6, -v3, v4, 1.0
	v_fmac_f32_e32 v4, v6, v4
	s_delay_alu instid0(VALU_DEP_1) | instskip(NEXT) | instid1(VALU_DEP_1)
	v_mul_f32_e32 v6, v7, v4
	v_fma_f32 v8, -v3, v6, v7
	s_delay_alu instid0(VALU_DEP_1) | instskip(NEXT) | instid1(VALU_DEP_1)
	v_fmac_f32_e32 v6, v8, v4
	v_fma_f32 v3, -v3, v6, v7
	s_delay_alu instid0(VALU_DEP_1) | instskip(NEXT) | instid1(VALU_DEP_1)
	v_div_fmas_f32 v3, v3, v4, v6
	v_div_fixup_f32 v4, v3, v1, v2
	s_delay_alu instid0(VALU_DEP_1) | instskip(NEXT) | instid1(VALU_DEP_1)
	v_fmac_f32_e32 v1, v2, v4
	v_div_scale_f32 v2, null, v1, v1, 1.0
	v_div_scale_f32 v7, vcc_lo, 1.0, v1, 1.0
	s_delay_alu instid0(VALU_DEP_2) | instskip(SKIP_2) | instid1(VALU_DEP_1)
	v_rcp_f32_e32 v3, v2
	s_waitcnt_depctr 0xfff
	v_fma_f32 v6, -v2, v3, 1.0
	v_fmac_f32_e32 v3, v6, v3
	s_delay_alu instid0(VALU_DEP_1) | instskip(NEXT) | instid1(VALU_DEP_1)
	v_mul_f32_e32 v6, v7, v3
	v_fma_f32 v8, -v2, v6, v7
	s_delay_alu instid0(VALU_DEP_1) | instskip(NEXT) | instid1(VALU_DEP_1)
	v_fmac_f32_e32 v6, v8, v3
	v_fma_f32 v2, -v2, v6, v7
	s_delay_alu instid0(VALU_DEP_1) | instskip(SKIP_1) | instid1(VALU_DEP_2)
	v_div_fmas_f32 v2, v2, v3, v6
	v_fma_f32 v3, v4, 0, 1.0
	v_div_fixup_f32 v1, v2, v1, 1.0
	s_delay_alu instid0(VALU_DEP_1)
	v_mul_f32_e32 v3, v3, v1
	v_mul_f32_e64 v4, -v4, v1
.LBB145_32:
	s_or_b32 exec_lo, exec_lo, s5
	s_mov_b32 s5, 0
	ds_store_b64 v5, v[3:4]
.LBB145_33:
	s_and_b32 vcc_lo, exec_lo, s5
	s_cbranch_vccz .LBB145_35
; %bb.34:
	v_dual_mov_b32 v1, 1.0 :: v_dual_mov_b32 v2, 0
	ds_store_b64 v5, v[1:2]
.LBB145_35:
	s_or_b32 exec_lo, exec_lo, s29
	s_waitcnt lgkmcnt(0)
	s_load_b32 s16, s[0:1], 0x50
	s_lshl_b64 s[0:1], s[10:11], 3
	s_mul_i32 s5, s14, -12
	s_mul_i32 s8, s14, 12
	s_waitcnt lgkmcnt(0)
	s_ashr_i32 s17, s16, 31
	s_add_u32 s18, s2, s0
	s_addc_u32 s19, s3, s1
	s_add_i32 s28, s28, -1
	s_add_i32 s5, s5, s7
	s_mul_hi_i32 s11, s16, s8
	s_cmp_ge_u32 s14, s28
	s_mul_i32 s10, s16, s8
	s_cselect_b32 s5, s5, 12
	s_lshl_b64 s[10:11], s[10:11], 3
	s_ashr_i32 s9, s8, 31
	s_add_u32 s7, s18, s10
	s_addc_u32 s14, s19, s11
	v_cmp_gt_i32_e32 vcc_lo, s5, v0
	s_cmp_gt_i32 s6, 0
	s_mov_b32 s11, 0
	s_cselect_b32 s5, -1, 0
	s_delay_alu instid0(SALU_CYCLE_1) | instskip(NEXT) | instid1(SALU_CYCLE_1)
	s_and_b32 s18, vcc_lo, s5
	s_and_saveexec_b32 s5, s18
	s_cbranch_execz .LBB145_43
; %bb.36:
	s_cmp_lt_i32 s6, 8
	s_cbranch_scc1 .LBB145_40
; %bb.37:
	v_mad_i64_i32 v[1:2], null, s16, v0, 0
	s_lshl_b32 s10, s15, 3
	s_delay_alu instid0(SALU_CYCLE_1) | instskip(SKIP_1) | instid1(VALU_DEP_1)
	s_and_b32 s19, s10, 64
	s_mov_b64 s[10:11], 0
	v_lshlrev_b64 v[2:3], 3, v[1:2]
	v_lshl_or_b32 v1, v0, 3, 0x480
	s_delay_alu instid0(VALU_DEP_2) | instskip(NEXT) | instid1(VALU_DEP_3)
	v_add_co_u32 v2, vcc_lo, s7, v2
	v_add_co_ci_u32_e32 v3, vcc_lo, s14, v3, vcc_lo
.LBB145_38:                             ; =>This Inner Loop Header: Depth=1
	s_delay_alu instid0(VALU_DEP_2) | instskip(NEXT) | instid1(VALU_DEP_2)
	v_add_co_u32 v16, vcc_lo, v2, s10
	v_add_co_ci_u32_e32 v17, vcc_lo, s11, v3, vcc_lo
	s_add_u32 s10, s10, 64
	s_addc_u32 s11, s11, 0
	s_cmp_lg_u32 s19, s10
	s_clause 0x3
	global_load_b128 v[4:7], v[16:17], off
	global_load_b128 v[8:11], v[16:17], off offset:16
	global_load_b128 v[12:15], v[16:17], off offset:32
	global_load_b128 v[16:19], v[16:17], off offset:48
	s_waitcnt vmcnt(3)
	v_dual_mul_f32 v21, s13, v5 :: v_dual_mul_f32 v22, s13, v7
	v_dual_mul_f32 v20, s12, v5 :: v_dual_mul_f32 v5, s12, v7
	s_waitcnt vmcnt(2)
	v_dual_mul_f32 v23, s13, v9 :: v_dual_mul_f32 v24, s13, v11
	s_waitcnt vmcnt(1)
	v_dual_mul_f32 v7, s12, v9 :: v_dual_mul_f32 v26, s13, v15
	v_dual_mul_f32 v9, s12, v11 :: v_dual_fmac_f32 v20, s13, v4
	s_waitcnt vmcnt(0)
	v_dual_mul_f32 v25, s13, v13 :: v_dual_mul_f32 v28, s13, v19
	v_mul_f32_e32 v11, s12, v13
	v_mul_f32_e32 v13, s12, v15
	;; [unrolled: 1-line block ×5, first 2 shown]
	v_fma_f32 v19, s12, v4, -v21
	v_fma_f32 v4, s12, v6, -v22
	v_fmac_f32_e32 v5, s13, v6
	v_fma_f32 v6, s12, v8, -v23
	v_fmac_f32_e32 v7, s13, v8
	;; [unrolled: 2-line block ×7, first 2 shown]
	ds_store_2addr_b64 v1, v[19:20], v[4:5] offset1:12
	ds_store_2addr_b64 v1, v[6:7], v[8:9] offset0:24 offset1:36
	ds_store_2addr_b64 v1, v[10:11], v[12:13] offset0:48 offset1:60
	;; [unrolled: 1-line block ×3, first 2 shown]
	v_add_nc_u32_e32 v1, 0x300, v1
	s_cbranch_scc1 .LBB145_38
; %bb.39:
	s_mov_b32 s11, 8
.LBB145_40:
	s_and_b32 s10, s15, 7
	s_delay_alu instid0(SALU_CYCLE_1)
	s_cmp_eq_u32 s10, 0
	s_cbranch_scc1 .LBB145_43
; %bb.41:
	v_lshlrev_b32_e32 v3, 3, v0
	s_lshl_b64 s[22:23], s[8:9], 3
	s_lshl_b32 s19, s11, 3
	s_mulk_i32 s11, 0x60
	s_add_u32 s19, s2, s19
	v_add_co_u32 v4, s21, s22, v3
	s_delay_alu instid0(VALU_DEP_1) | instskip(SKIP_3) | instid1(VALU_DEP_1)
	v_add_co_ci_u32_e64 v5, null, s23, 0, s21
	s_addc_u32 s21, s3, 0
	s_add_u32 s22, s19, s0
	s_addc_u32 s23, s21, s1
	v_mul_lo_u32 v5, v5, s16
	v_mad_u64_u32 v[1:2], null, v4, s16, s[22:23]
	v_mul_lo_u32 v4, v4, s17
	v_add3_u32 v3, s11, v3, 0x480
	s_delay_alu instid0(VALU_DEP_3) | instskip(NEXT) | instid1(VALU_DEP_3)
	v_add_co_u32 v1, vcc_lo, v1, 4
	v_add3_u32 v2, v5, v2, v4
	s_delay_alu instid0(VALU_DEP_1)
	v_add_co_ci_u32_e32 v2, vcc_lo, 0, v2, vcc_lo
	.p2align	6
.LBB145_42:                             ; =>This Inner Loop Header: Depth=1
	global_load_b64 v[4:5], v[1:2], off offset:-4
	v_add_co_u32 v1, vcc_lo, v1, 8
	v_add_co_ci_u32_e32 v2, vcc_lo, 0, v2, vcc_lo
	s_add_i32 s10, s10, -1
	s_delay_alu instid0(SALU_CYCLE_1) | instskip(SKIP_2) | instid1(VALU_DEP_1)
	s_cmp_lg_u32 s10, 0
	s_waitcnt vmcnt(0)
	v_mul_f32_e32 v6, s12, v5
	v_dual_mul_f32 v7, s13, v5 :: v_dual_fmac_f32 v6, s13, v4
	s_delay_alu instid0(VALU_DEP_1)
	v_fma_f32 v5, s12, v4, -v7
	ds_store_b64 v3, v[5:6]
	v_add_nc_u32_e32 v3, 0x60, v3
	s_cbranch_scc1 .LBB145_42
.LBB145_43:
	s_or_b32 exec_lo, exec_lo, s5
	v_or_b32_e64 v5, 0, 4
	s_cmpk_eq_i32 s4, 0x6f
	s_mov_b32 s4, -1
	s_waitcnt vmcnt(0) lgkmcnt(0)
	s_waitcnt_vscnt null, 0x0
	; wave barrier
	s_waitcnt lgkmcnt(0)
	buffer_gl0_inv
	s_cbranch_scc1 .LBB145_64
; %bb.44:
	v_lshl_or_b32 v3, v0, 3, 0x480
	s_lshl_b32 s10, s15, 3
	s_mov_b32 s5, 0
	s_add_i32 s10, s10, -8
	s_mov_b32 s4, s5
	s_mov_b32 s11, s20
	s_branch .LBB145_46
.LBB145_45:                             ;   in Loop: Header=BB145_46 Depth=1
	s_cmp_lt_i32 s11, 0
	s_cselect_b32 s12, -1, 0
	s_add_i32 s4, s4, 1
	s_delay_alu instid0(SALU_CYCLE_1) | instskip(SKIP_1) | instid1(SALU_CYCLE_1)
	s_cmp_eq_u32 s4, 3
	s_cselect_b32 s13, -1, 0
	s_or_b32 s12, s12, s13
	s_delay_alu instid0(SALU_CYCLE_1)
	s_and_not1_b32 vcc_lo, exec_lo, s12
	s_cbranch_vccz .LBB145_63
.LBB145_46:                             ; =>This Loop Header: Depth=1
                                        ;     Child Loop BB145_49 Depth 2
                                        ;       Child Loop BB145_50 Depth 3
                                        ;       Child Loop BB145_52 Depth 3
                                        ;         Child Loop BB145_53 Depth 4
                                        ;       Child Loop BB145_57 Depth 3
                                        ;         Child Loop BB145_59 Depth 4
	s_getpc_b64 s[12:13]
	s_add_u32 s12, s12, __const._ZL38rocblas_trsm_small_left_device_sharedBILi12ELi12ELb1E19rocblas_complex_numIfES1_PKPKS1_PKPS1_Ev13rocblas_fill_18rocblas_operation_17rocblas_diagonal_iiT3_T4_lilT5_lili.step_sizes@rel32@lo+4
	s_addc_u32 s13, s13, __const._ZL38rocblas_trsm_small_left_device_sharedBILi12ELi12ELb1E19rocblas_complex_numIfES1_PKPKS1_PKPS1_Ev13rocblas_fill_18rocblas_operation_17rocblas_diagonal_iiT3_T4_lilT5_lili.step_sizes@rel32@hi+12
	s_lshl_b64 s[22:23], s[4:5], 2
	s_delay_alu instid0(SALU_CYCLE_1) | instskip(SKIP_4) | instid1(SALU_CYCLE_1)
	s_add_u32 s12, s22, s12
	s_addc_u32 s13, s23, s13
	s_load_b32 s12, s[12:13], 0x0
	s_waitcnt lgkmcnt(0)
	s_add_i32 s13, s12, -1
	s_cmp_lt_i32 s11, s13
	s_cbranch_scc1 .LBB145_45
; %bb.47:                               ;   in Loop: Header=BB145_46 Depth=1
	s_mul_i32 s22, s11, 0x60
	s_max_i32 s19, s12, 1
	v_add_nc_u32_e32 v4, s22, v3
	s_mul_i32 s21, s12, 0xffffffa0
	s_add_i32 s22, s10, s22
	s_mul_i32 s23, s11, 0x68
	s_mul_i32 s24, s12, 0xffffff98
	s_branch .LBB145_49
.LBB145_48:                             ;   in Loop: Header=BB145_49 Depth=2
	v_add_nc_u32_e32 v4, s21, v4
	s_sub_i32 s11, s11, s12
	s_add_i32 s22, s22, s21
	s_add_i32 s23, s23, s24
	s_cmp_lt_i32 s11, s13
	s_cbranch_scc1 .LBB145_45
.LBB145_49:                             ;   Parent Loop BB145_46 Depth=1
                                        ; =>  This Loop Header: Depth=2
                                        ;       Child Loop BB145_50 Depth 3
                                        ;       Child Loop BB145_52 Depth 3
                                        ;         Child Loop BB145_53 Depth 4
                                        ;       Child Loop BB145_57 Depth 3
                                        ;         Child Loop BB145_59 Depth 4
	v_dual_mov_b32 v1, 0 :: v_dual_mov_b32 v2, v4
	s_mov_b32 s25, s19
.LBB145_50:                             ;   Parent Loop BB145_46 Depth=1
                                        ;     Parent Loop BB145_49 Depth=2
                                        ; =>    This Inner Loop Header: Depth=3
	ds_load_b64 v[6:7], v2
	v_add_nc_u32_e32 v2, 0xffffffa0, v2
	s_add_i32 s25, s25, -1
	s_delay_alu instid0(SALU_CYCLE_1)
	s_cmp_eq_u32 s25, 0
	s_waitcnt lgkmcnt(0)
	scratch_store_b64 v1, v[6:7], off
	v_add_nc_u32_e32 v1, 8, v1
	s_cbranch_scc0 .LBB145_50
; %bb.51:                               ;   in Loop: Header=BB145_49 Depth=2
	s_cmp_le_i32 s20, s11
	s_mov_b32 s25, s22
	s_mov_b32 s26, s20
	s_cbranch_scc1 .LBB145_55
	.p2align	6
.LBB145_52:                             ;   Parent Loop BB145_46 Depth=1
                                        ;     Parent Loop BB145_49 Depth=2
                                        ; =>    This Loop Header: Depth=3
                                        ;         Child Loop BB145_53 Depth 4
	s_mul_i32 s27, s26, 12
	v_mov_b32_e32 v6, v5
	v_add_lshl_u32 v1, s27, v0, 3
	s_mov_b32 s27, s25
	s_mov_b32 s28, s19
	ds_load_b64 v[1:2], v1 offset:1152
	.p2align	6
.LBB145_53:                             ;   Parent Loop BB145_46 Depth=1
                                        ;     Parent Loop BB145_49 Depth=2
                                        ;       Parent Loop BB145_52 Depth=3
                                        ; =>      This Inner Loop Header: Depth=4
	scratch_load_b64 v[7:8], v6, off offset:-4
	v_mov_b32_e32 v9, s27
	s_add_i32 s28, s28, -1
	s_addk_i32 s27, 0xffa0
	s_cmp_eq_u32 s28, 0
	ds_load_b64 v[9:10], v9
	s_waitcnt lgkmcnt(0)
	v_mul_f32_e32 v11, v10, v2
	v_mul_f32_e32 v10, v10, v1
	s_delay_alu instid0(VALU_DEP_2) | instskip(SKIP_1) | instid1(VALU_DEP_1)
	v_fma_f32 v11, v9, v1, -v11
	s_waitcnt vmcnt(0)
	v_dual_fmac_f32 v10, v9, v2 :: v_dual_sub_f32 v7, v7, v11
	s_delay_alu instid0(VALU_DEP_1)
	v_sub_f32_e32 v8, v8, v10
	scratch_store_b64 v6, v[7:8], off offset:-4
	v_add_nc_u32_e32 v6, 8, v6
	s_cbranch_scc0 .LBB145_53
; %bb.54:                               ;   in Loop: Header=BB145_52 Depth=3
	s_add_i32 s26, s26, -1
	s_add_i32 s25, s25, -8
	s_cmp_le_i32 s26, s11
	s_cbranch_scc0 .LBB145_52
.LBB145_55:                             ;   in Loop: Header=BB145_49 Depth=2
	s_mul_i32 s25, s11, 12
	s_mov_b32 s26, 0
	s_mov_b32 s27, s23
	s_branch .LBB145_57
.LBB145_56:                             ;   in Loop: Header=BB145_57 Depth=3
	s_mulk_i32 s29, 0x68
	s_addk_i32 s27, 0xffa0
	v_mov_b32_e32 v6, s29
	s_lshl_b32 s29, s26, 3
	s_add_i32 s26, s26, 1
	ds_load_b64 v[6:7], v6
	s_waitcnt vmcnt(0) lgkmcnt(0)
	v_mul_f32_e32 v8, v7, v2
	v_mul_f32_e32 v9, v6, v2
	v_add_lshl_u32 v2, s28, v0, 3
	s_add_i32 s28, s29, 0
	s_cmp_eq_u32 s26, s19
	v_fma_f32 v8, v6, v1, -v8
	v_fmac_f32_e32 v9, v7, v1
	scratch_store_b64 off, v[8:9], s28
	ds_store_b64 v2, v[8:9] offset:1152
	s_cbranch_scc1 .LBB145_48
.LBB145_57:                             ;   Parent Loop BB145_46 Depth=1
                                        ;     Parent Loop BB145_49 Depth=2
                                        ; =>    This Loop Header: Depth=3
                                        ;         Child Loop BB145_59 Depth 4
	s_cmp_lg_u32 s26, 0
	s_cbranch_scc0 .LBB145_61
; %bb.58:                               ;   in Loop: Header=BB145_57 Depth=3
	s_lshl_b32 s28, s26, 3
	v_mov_b32_e32 v7, 0
	s_add_i32 s29, s28, 0
	v_add_nc_u32_e64 v6, s28, 0
	scratch_load_b64 v[1:2], off, s29
	s_sub_i32 s29, s11, s26
	s_mov_b32 s30, 0
	s_mul_i32 s28, s29, 12
	s_mov_b32 s31, s27
	.p2align	6
.LBB145_59:                             ;   Parent Loop BB145_46 Depth=1
                                        ;     Parent Loop BB145_49 Depth=2
                                        ;       Parent Loop BB145_57 Depth=3
                                        ; =>      This Inner Loop Header: Depth=4
	scratch_load_b64 v[8:9], v7, off
	v_mov_b32_e32 v10, s31
	s_add_i32 s30, s30, 1
	s_add_i32 s31, s31, -8
	s_cmp_ge_u32 s30, s26
	v_add_nc_u32_e32 v7, 8, v7
	ds_load_b64 v[10:11], v10
	s_waitcnt vmcnt(0) lgkmcnt(0)
	v_mul_f32_e32 v12, v11, v9
	v_mul_f32_e32 v9, v10, v9
	s_delay_alu instid0(VALU_DEP_2) | instskip(NEXT) | instid1(VALU_DEP_2)
	v_fma_f32 v10, v10, v8, -v12
	v_fmac_f32_e32 v9, v11, v8
	s_delay_alu instid0(VALU_DEP_1)
	v_dual_sub_f32 v1, v1, v10 :: v_dual_sub_f32 v2, v2, v9
	scratch_store_b64 v6, v[1:2], off
	s_cbranch_scc0 .LBB145_59
; %bb.60:                               ;   in Loop: Header=BB145_57 Depth=3
	s_branch .LBB145_56
.LBB145_61:                             ;   in Loop: Header=BB145_57 Depth=3
                                        ; implicit-def: $vgpr1
                                        ; implicit-def: $sgpr29
                                        ; implicit-def: $sgpr28
	s_cbranch_execz .LBB145_56
; %bb.62:                               ;   in Loop: Header=BB145_57 Depth=3
	scratch_load_b64 v[1:2], off, off
	s_mov_b32 s28, s25
	s_mov_b32 s29, s11
	s_branch .LBB145_56
.LBB145_63:
	s_mov_b32 s4, 0
.LBB145_64:
	s_delay_alu instid0(SALU_CYCLE_1)
	s_and_b32 vcc_lo, exec_lo, s4
	s_cbranch_vccz .LBB145_85
; %bb.65:
	v_lshl_or_b32 v1, v0, 3, 0x480
	s_mov_b32 s5, 0
	s_delay_alu instid0(SALU_CYCLE_1)
	s_mov_b32 s4, s5
	s_mov_b32 s10, s5
	s_branch .LBB145_67
.LBB145_66:                             ;   in Loop: Header=BB145_67 Depth=1
	s_cmp_ge_i32 s10, s15
	s_cselect_b32 s11, -1, 0
	s_add_i32 s4, s4, 1
	s_delay_alu instid0(SALU_CYCLE_1) | instskip(SKIP_1) | instid1(SALU_CYCLE_1)
	s_cmp_eq_u32 s4, 3
	s_cselect_b32 s12, -1, 0
	s_or_b32 s11, s11, s12
	s_delay_alu instid0(SALU_CYCLE_1)
	s_and_b32 vcc_lo, exec_lo, s11
	s_cbranch_vccnz .LBB145_85
.LBB145_67:                             ; =>This Loop Header: Depth=1
                                        ;     Child Loop BB145_70 Depth 2
                                        ;       Child Loop BB145_71 Depth 3
                                        ;       Child Loop BB145_74 Depth 3
                                        ;         Child Loop BB145_75 Depth 4
                                        ;       Child Loop BB145_79 Depth 3
                                        ;         Child Loop BB145_81 Depth 4
	s_getpc_b64 s[12:13]
	s_add_u32 s12, s12, __const._ZL38rocblas_trsm_small_left_device_sharedBILi12ELi12ELb1E19rocblas_complex_numIfES1_PKPKS1_PKPS1_Ev13rocblas_fill_18rocblas_operation_17rocblas_diagonal_iiT3_T4_lilT5_lili.step_sizes@rel32@lo+4
	s_addc_u32 s13, s13, __const._ZL38rocblas_trsm_small_left_device_sharedBILi12ELi12ELb1E19rocblas_complex_numIfES1_PKPKS1_PKPS1_Ev13rocblas_fill_18rocblas_operation_17rocblas_diagonal_iiT3_T4_lilT5_lili.step_sizes@rel32@hi+12
	s_lshl_b64 s[20:21], s[4:5], 2
	s_delay_alu instid0(SALU_CYCLE_1) | instskip(SKIP_4) | instid1(SALU_CYCLE_1)
	s_add_u32 s12, s20, s12
	s_addc_u32 s13, s21, s13
	s_load_b32 s11, s[12:13], 0x0
	s_waitcnt lgkmcnt(0)
	s_add_i32 s12, s11, -1
	s_add_i32 s13, s12, s10
	s_delay_alu instid0(SALU_CYCLE_1)
	s_cmp_ge_i32 s13, s15
	s_cbranch_scc1 .LBB145_66
; %bb.68:                               ;   in Loop: Header=BB145_67 Depth=1
	v_mad_u64_u32 v[2:3], null, 0x60, s10, v[1:2]
	s_max_i32 s13, s11, 1
	s_mul_i32 s19, s11, 0x60
	s_lshl_b32 s20, s10, 3
	s_lshl_b32 s21, s11, 3
	s_mul_i32 s22, s10, 0x68
	s_mul_i32 s23, s11, 0x68
	s_branch .LBB145_70
.LBB145_69:                             ;   in Loop: Header=BB145_70 Depth=2
	s_add_i32 s10, s10, s11
	v_add_nc_u32_e32 v2, s19, v2
	s_add_i32 s24, s12, s10
	s_add_i32 s20, s20, s21
	;; [unrolled: 1-line block ×3, first 2 shown]
	s_cmp_ge_i32 s24, s15
	s_cbranch_scc1 .LBB145_66
.LBB145_70:                             ;   Parent Loop BB145_67 Depth=1
                                        ; =>  This Loop Header: Depth=2
                                        ;       Child Loop BB145_71 Depth 3
                                        ;       Child Loop BB145_74 Depth 3
                                        ;         Child Loop BB145_75 Depth 4
                                        ;       Child Loop BB145_79 Depth 3
                                        ;         Child Loop BB145_81 Depth 4
	v_dual_mov_b32 v3, 0 :: v_dual_mov_b32 v4, v2
	s_mov_b32 s24, s13
.LBB145_71:                             ;   Parent Loop BB145_67 Depth=1
                                        ;     Parent Loop BB145_70 Depth=2
                                        ; =>    This Inner Loop Header: Depth=3
	ds_load_b64 v[6:7], v4
	v_add_nc_u32_e32 v4, 0x60, v4
	s_add_i32 s24, s24, -1
	s_delay_alu instid0(SALU_CYCLE_1)
	s_cmp_eq_u32 s24, 0
	s_waitcnt lgkmcnt(0)
	scratch_store_b64 v3, v[6:7], off
	v_add_nc_u32_e32 v3, 8, v3
	s_cbranch_scc0 .LBB145_71
; %bb.72:                               ;   in Loop: Header=BB145_70 Depth=2
	s_cmp_lt_i32 s10, 1
	s_cbranch_scc1 .LBB145_77
; %bb.73:                               ;   in Loop: Header=BB145_70 Depth=2
	s_mov_b32 s24, 0
	s_mov_b32 s25, s20
	.p2align	6
.LBB145_74:                             ;   Parent Loop BB145_67 Depth=1
                                        ;     Parent Loop BB145_70 Depth=2
                                        ; =>    This Loop Header: Depth=3
                                        ;         Child Loop BB145_75 Depth 4
	s_mul_i32 s26, s24, 12
	v_mov_b32_e32 v6, v5
	v_add_lshl_u32 v3, s26, v0, 3
	s_mov_b32 s26, s25
	s_mov_b32 s27, s13
	ds_load_b64 v[3:4], v3 offset:1152
	.p2align	6
.LBB145_75:                             ;   Parent Loop BB145_67 Depth=1
                                        ;     Parent Loop BB145_70 Depth=2
                                        ;       Parent Loop BB145_74 Depth=3
                                        ; =>      This Inner Loop Header: Depth=4
	scratch_load_b64 v[7:8], v6, off offset:-4
	v_mov_b32_e32 v9, s26
	s_add_i32 s27, s27, -1
	s_add_i32 s26, s26, 8
	s_cmp_eq_u32 s27, 0
	ds_load_b64 v[9:10], v9
	s_waitcnt lgkmcnt(0)
	v_mul_f32_e32 v11, v10, v4
	v_mul_f32_e32 v10, v10, v3
	s_delay_alu instid0(VALU_DEP_1) | instskip(SKIP_1) | instid1(VALU_DEP_1)
	v_fmac_f32_e32 v10, v9, v4
	s_waitcnt vmcnt(0)
	v_sub_f32_e32 v8, v8, v10
	v_fma_f32 v11, v9, v3, -v11
	s_delay_alu instid0(VALU_DEP_1)
	v_sub_f32_e32 v7, v7, v11
	scratch_store_b64 v6, v[7:8], off offset:-4
	v_add_nc_u32_e32 v6, 8, v6
	s_cbranch_scc0 .LBB145_75
; %bb.76:                               ;   in Loop: Header=BB145_74 Depth=3
	s_add_i32 s24, s24, 1
	s_addk_i32 s25, 0x60
	s_cmp_ge_i32 s24, s10
	s_cbranch_scc0 .LBB145_74
.LBB145_77:                             ;   in Loop: Header=BB145_70 Depth=2
	s_mov_b32 s24, 0
	s_mov_b32 s25, s22
	s_branch .LBB145_79
.LBB145_78:                             ;   in Loop: Header=BB145_79 Depth=3
	s_mul_i32 s27, s26, 0x68
	s_mul_i32 s26, s26, 12
	v_mov_b32_e32 v6, s27
	s_lshl_b32 s27, s24, 3
	s_add_i32 s24, s24, 1
	s_add_i32 s25, s25, 8
	ds_load_b64 v[6:7], v6
	s_waitcnt vmcnt(0) lgkmcnt(0)
	v_mul_f32_e32 v8, v7, v4
	v_mul_f32_e32 v9, v6, v4
	s_delay_alu instid0(VALU_DEP_2) | instskip(NEXT) | instid1(VALU_DEP_2)
	v_fma_f32 v8, v6, v3, -v8
	v_fmac_f32_e32 v9, v7, v3
	v_add_lshl_u32 v3, s26, v0, 3
	s_add_i32 s26, s27, 0
	s_cmp_eq_u32 s24, s13
	scratch_store_b64 off, v[8:9], s26
	ds_store_b64 v3, v[8:9] offset:1152
	s_cbranch_scc1 .LBB145_69
.LBB145_79:                             ;   Parent Loop BB145_67 Depth=1
                                        ;     Parent Loop BB145_70 Depth=2
                                        ; =>    This Loop Header: Depth=3
                                        ;         Child Loop BB145_81 Depth 4
	s_cmp_lg_u32 s24, 0
	s_cbranch_scc0 .LBB145_83
; %bb.80:                               ;   in Loop: Header=BB145_79 Depth=3
	s_lshl_b32 s26, s24, 3
	v_mov_b32_e32 v7, 0
	s_add_i32 s27, s26, 0
	v_add_nc_u32_e64 v6, s26, 0
	scratch_load_b64 v[3:4], off, s27
	s_add_i32 s26, s24, s10
	s_mov_b32 s27, 0
	s_mov_b32 s28, s25
	.p2align	6
.LBB145_81:                             ;   Parent Loop BB145_67 Depth=1
                                        ;     Parent Loop BB145_70 Depth=2
                                        ;       Parent Loop BB145_79 Depth=3
                                        ; =>      This Inner Loop Header: Depth=4
	scratch_load_b64 v[8:9], v7, off
	v_mov_b32_e32 v10, s28
	s_add_i32 s27, s27, 1
	s_addk_i32 s28, 0x60
	s_cmp_ge_u32 s27, s24
	v_add_nc_u32_e32 v7, 8, v7
	ds_load_b64 v[10:11], v10
	s_waitcnt vmcnt(0) lgkmcnt(0)
	v_mul_f32_e32 v12, v11, v9
	v_mul_f32_e32 v9, v10, v9
	s_delay_alu instid0(VALU_DEP_2) | instskip(NEXT) | instid1(VALU_DEP_2)
	v_fma_f32 v10, v10, v8, -v12
	v_fmac_f32_e32 v9, v11, v8
	s_delay_alu instid0(VALU_DEP_1)
	v_dual_sub_f32 v3, v3, v10 :: v_dual_sub_f32 v4, v4, v9
	scratch_store_b64 v6, v[3:4], off
	s_cbranch_scc0 .LBB145_81
; %bb.82:                               ;   in Loop: Header=BB145_79 Depth=3
	s_branch .LBB145_78
.LBB145_83:                             ;   in Loop: Header=BB145_79 Depth=3
                                        ; implicit-def: $vgpr3
                                        ; implicit-def: $sgpr26
	s_cbranch_execz .LBB145_78
; %bb.84:                               ;   in Loop: Header=BB145_79 Depth=3
	scratch_load_b64 v[3:4], off, off
	s_mov_b32 s26, s10
	s_branch .LBB145_78
.LBB145_85:
	s_waitcnt vmcnt(0) lgkmcnt(0)
	s_waitcnt_vscnt null, 0x0
	; wave barrier
	s_waitcnt lgkmcnt(0)
	s_waitcnt_vscnt null, 0x0
	buffer_gl0_inv
	s_and_saveexec_b32 s4, s18
	s_cbranch_execz .LBB145_93
; %bb.86:
	s_cmp_lt_i32 s6, 8
	s_mov_b32 s5, 0
	s_cbranch_scc1 .LBB145_90
; %bb.87:
	v_mad_i64_i32 v[1:2], null, s16, v0, 0
	s_lshl_b32 s4, s15, 3
	s_delay_alu instid0(SALU_CYCLE_1) | instskip(SKIP_1) | instid1(VALU_DEP_1)
	s_and_b32 s6, s4, 64
	s_mov_b64 s[4:5], 0
	v_lshlrev_b64 v[2:3], 3, v[1:2]
	v_lshl_or_b32 v1, v0, 3, 0x480
	s_delay_alu instid0(VALU_DEP_2) | instskip(NEXT) | instid1(VALU_DEP_3)
	v_add_co_u32 v2, vcc_lo, s7, v2
	v_add_co_ci_u32_e32 v3, vcc_lo, s14, v3, vcc_lo
	.p2align	6
.LBB145_88:                             ; =>This Inner Loop Header: Depth=1
	ds_load_2addr_b64 v[4:7], v1 offset1:12
	ds_load_2addr_b64 v[8:11], v1 offset0:24 offset1:36
	ds_load_2addr_b64 v[12:15], v1 offset0:48 offset1:60
	;; [unrolled: 1-line block ×3, first 2 shown]
	v_add_co_u32 v20, vcc_lo, v2, s4
	v_add_co_ci_u32_e32 v21, vcc_lo, s5, v3, vcc_lo
	v_add_nc_u32_e32 v1, 0x300, v1
	s_add_u32 s4, s4, 64
	s_addc_u32 s5, s5, 0
	s_cmp_lg_u32 s6, s4
	s_waitcnt lgkmcnt(3)
	global_store_b128 v[20:21], v[4:7], off
	s_waitcnt lgkmcnt(2)
	global_store_b128 v[20:21], v[8:11], off offset:16
	s_waitcnt lgkmcnt(1)
	global_store_b128 v[20:21], v[12:15], off offset:32
	;; [unrolled: 2-line block ×3, first 2 shown]
	s_cbranch_scc1 .LBB145_88
; %bb.89:
	s_mov_b32 s5, 8
.LBB145_90:
	s_and_b32 s4, s15, 7
	s_delay_alu instid0(SALU_CYCLE_1)
	s_cmp_eq_u32 s4, 0
	s_cbranch_scc1 .LBB145_93
; %bb.91:
	v_lshlrev_b32_e32 v2, 3, v0
	s_lshl_b64 s[6:7], s[8:9], 3
	s_lshl_b32 s8, s5, 3
	s_delay_alu instid0(SALU_CYCLE_1) | instskip(NEXT) | instid1(VALU_DEP_1)
	s_add_u32 s2, s2, s8
	v_add_co_u32 v3, s6, s6, v2
	s_delay_alu instid0(VALU_DEP_1) | instskip(SKIP_3) | instid1(VALU_DEP_1)
	v_add_co_ci_u32_e64 v4, null, s7, 0, s6
	s_addc_u32 s3, s3, 0
	s_add_u32 s0, s2, s0
	s_addc_u32 s1, s3, s1
	v_mul_lo_u32 v4, v4, s16
	v_mad_u64_u32 v[0:1], null, v3, s16, s[0:1]
	v_mul_lo_u32 v3, v3, s17
	s_mul_i32 s0, s5, 0x60
	s_delay_alu instid0(SALU_CYCLE_1) | instskip(NEXT) | instid1(VALU_DEP_2)
	v_add3_u32 v2, s0, v2, 0x480
	v_add3_u32 v1, v4, v1, v3
.LBB145_92:                             ; =>This Inner Loop Header: Depth=1
	ds_load_b64 v[3:4], v2
	v_add_nc_u32_e32 v2, 0x60, v2
	s_add_i32 s4, s4, -1
	s_delay_alu instid0(SALU_CYCLE_1)
	s_cmp_lg_u32 s4, 0
	s_waitcnt lgkmcnt(0)
	global_store_b64 v[0:1], v[3:4], off
	v_add_co_u32 v0, vcc_lo, v0, 8
	v_add_co_ci_u32_e32 v1, vcc_lo, 0, v1, vcc_lo
	s_cbranch_scc1 .LBB145_92
.LBB145_93:
	s_nop 0
	s_sendmsg sendmsg(MSG_DEALLOC_VGPRS)
	s_endpgm
	.section	.rodata,"a",@progbits
	.p2align	6, 0x0
	.amdhsa_kernel _ZL38rocblas_trsm_small_left_device_sharedBILi12ELi12ELb1E19rocblas_complex_numIfES1_PKPKS1_PKPS1_Ev13rocblas_fill_18rocblas_operation_17rocblas_diagonal_iiT3_T4_lilT5_lili
		.amdhsa_group_segment_fixed_size 2304
		.amdhsa_private_segment_fixed_size 112
		.amdhsa_kernarg_size 360
		.amdhsa_user_sgpr_count 14
		.amdhsa_user_sgpr_dispatch_ptr 0
		.amdhsa_user_sgpr_queue_ptr 0
		.amdhsa_user_sgpr_kernarg_segment_ptr 1
		.amdhsa_user_sgpr_dispatch_id 0
		.amdhsa_user_sgpr_private_segment_size 0
		.amdhsa_wavefront_size32 1
		.amdhsa_uses_dynamic_stack 0
		.amdhsa_enable_private_segment 1
		.amdhsa_system_sgpr_workgroup_id_x 1
		.amdhsa_system_sgpr_workgroup_id_y 0
		.amdhsa_system_sgpr_workgroup_id_z 1
		.amdhsa_system_sgpr_workgroup_info 0
		.amdhsa_system_vgpr_workitem_id 0
		.amdhsa_next_free_vgpr 29
		.amdhsa_next_free_sgpr 35
		.amdhsa_reserve_vcc 1
		.amdhsa_float_round_mode_32 0
		.amdhsa_float_round_mode_16_64 0
		.amdhsa_float_denorm_mode_32 3
		.amdhsa_float_denorm_mode_16_64 3
		.amdhsa_dx10_clamp 1
		.amdhsa_ieee_mode 1
		.amdhsa_fp16_overflow 0
		.amdhsa_workgroup_processor_mode 1
		.amdhsa_memory_ordered 1
		.amdhsa_forward_progress 0
		.amdhsa_shared_vgpr_count 0
		.amdhsa_exception_fp_ieee_invalid_op 0
		.amdhsa_exception_fp_denorm_src 0
		.amdhsa_exception_fp_ieee_div_zero 0
		.amdhsa_exception_fp_ieee_overflow 0
		.amdhsa_exception_fp_ieee_underflow 0
		.amdhsa_exception_fp_ieee_inexact 0
		.amdhsa_exception_int_div_zero 0
	.end_amdhsa_kernel
	.section	.text._ZL38rocblas_trsm_small_left_device_sharedBILi12ELi12ELb1E19rocblas_complex_numIfES1_PKPKS1_PKPS1_Ev13rocblas_fill_18rocblas_operation_17rocblas_diagonal_iiT3_T4_lilT5_lili,"axG",@progbits,_ZL38rocblas_trsm_small_left_device_sharedBILi12ELi12ELb1E19rocblas_complex_numIfES1_PKPKS1_PKPS1_Ev13rocblas_fill_18rocblas_operation_17rocblas_diagonal_iiT3_T4_lilT5_lili,comdat
.Lfunc_end145:
	.size	_ZL38rocblas_trsm_small_left_device_sharedBILi12ELi12ELb1E19rocblas_complex_numIfES1_PKPKS1_PKPS1_Ev13rocblas_fill_18rocblas_operation_17rocblas_diagonal_iiT3_T4_lilT5_lili, .Lfunc_end145-_ZL38rocblas_trsm_small_left_device_sharedBILi12ELi12ELb1E19rocblas_complex_numIfES1_PKPKS1_PKPS1_Ev13rocblas_fill_18rocblas_operation_17rocblas_diagonal_iiT3_T4_lilT5_lili
                                        ; -- End function
	.section	.AMDGPU.csdata,"",@progbits
; Kernel info:
; codeLenInByte = 3936
; NumSgprs: 37
; NumVgprs: 29
; ScratchSize: 112
; MemoryBound: 0
; FloatMode: 240
; IeeeMode: 1
; LDSByteSize: 2304 bytes/workgroup (compile time only)
; SGPRBlocks: 4
; VGPRBlocks: 3
; NumSGPRsForWavesPerEU: 37
; NumVGPRsForWavesPerEU: 29
; Occupancy: 14
; WaveLimiterHint : 1
; COMPUTE_PGM_RSRC2:SCRATCH_EN: 1
; COMPUTE_PGM_RSRC2:USER_SGPR: 14
; COMPUTE_PGM_RSRC2:TRAP_HANDLER: 0
; COMPUTE_PGM_RSRC2:TGID_X_EN: 1
; COMPUTE_PGM_RSRC2:TGID_Y_EN: 0
; COMPUTE_PGM_RSRC2:TGID_Z_EN: 1
; COMPUTE_PGM_RSRC2:TIDIG_COMP_CNT: 0
	.section	.text._ZL30rocblas_trsm_small_left_deviceILi12ELi12ELb1E19rocblas_complex_numIfES1_PKPKS1_PKPS1_Ev13rocblas_fill_18rocblas_operation_17rocblas_diagonal_iiT3_T4_lilT5_lili,"axG",@progbits,_ZL30rocblas_trsm_small_left_deviceILi12ELi12ELb1E19rocblas_complex_numIfES1_PKPKS1_PKPS1_Ev13rocblas_fill_18rocblas_operation_17rocblas_diagonal_iiT3_T4_lilT5_lili,comdat
	.globl	_ZL30rocblas_trsm_small_left_deviceILi12ELi12ELb1E19rocblas_complex_numIfES1_PKPKS1_PKPS1_Ev13rocblas_fill_18rocblas_operation_17rocblas_diagonal_iiT3_T4_lilT5_lili ; -- Begin function _ZL30rocblas_trsm_small_left_deviceILi12ELi12ELb1E19rocblas_complex_numIfES1_PKPKS1_PKPS1_Ev13rocblas_fill_18rocblas_operation_17rocblas_diagonal_iiT3_T4_lilT5_lili
	.p2align	8
	.type	_ZL30rocblas_trsm_small_left_deviceILi12ELi12ELb1E19rocblas_complex_numIfES1_PKPKS1_PKPS1_Ev13rocblas_fill_18rocblas_operation_17rocblas_diagonal_iiT3_T4_lilT5_lili,@function
_ZL30rocblas_trsm_small_left_deviceILi12ELi12ELb1E19rocblas_complex_numIfES1_PKPKS1_PKPS1_Ev13rocblas_fill_18rocblas_operation_17rocblas_diagonal_iiT3_T4_lilT5_lili: ; @_ZL30rocblas_trsm_small_left_deviceILi12ELi12ELb1E19rocblas_complex_numIfES1_PKPKS1_PKPS1_Ev13rocblas_fill_18rocblas_operation_17rocblas_diagonal_iiT3_T4_lilT5_lili
; %bb.0:
	s_clause 0x1
	s_load_b128 s[8:11], s[0:1], 0x40
	s_load_b128 s[4:7], s[0:1], 0x4
	s_mov_b32 s12, s15
	s_mov_b32 s13, 0
	s_load_b32 s29, s[0:1], 0x68
	s_lshl_b64 s[22:23], s[12:13], 3
	s_waitcnt lgkmcnt(0)
	s_add_u32 s8, s8, s22
	s_addc_u32 s9, s9, s23
	s_load_b64 s[2:3], s[0:1], 0x14
	s_load_b64 s[8:9], s[8:9], 0x0
	s_min_i32 s15, s6, 12
	s_mov_b32 s6, exec_lo
	s_add_i32 s28, s15, -1
	v_cmpx_gt_i32_e64 s15, v0
	s_cbranch_execz .LBB146_35
; %bb.1:
	s_clause 0x1
	s_load_b32 s20, s[0:1], 0x30
	s_load_b128 s[16:19], s[0:1], 0x20
	v_lshlrev_b32_e32 v8, 3, v0
	s_waitcnt lgkmcnt(0)
	s_ashr_i32 s21, s20, 31
	s_cmpk_lg_i32 s4, 0x71
	s_cselect_b32 s12, -1, 0
	s_add_u32 s16, s16, s22
	s_addc_u32 s17, s17, s23
	v_cndmask_b32_e64 v7, 0, 1, s12
	s_load_b64 s[16:17], s[16:17], 0x0
	s_cmp_lt_u32 s28, 3
	s_cbranch_scc1 .LBB146_20
; %bb.2:
	s_lshl_b64 s[22:23], s[18:19], 3
	v_mov_b32_e32 v9, v8
	s_waitcnt lgkmcnt(0)
	s_add_u32 s13, s16, s22
	s_addc_u32 s22, s17, s23
	v_add_co_u32 v1, s13, s13, v8
	s_delay_alu instid0(VALU_DEP_1)
	v_add_co_ci_u32_e64 v2, null, s22, 0, s13
	s_and_b32 s13, s15, -4
	s_mul_hi_i32 s30, s20, 24
	s_mul_i32 s31, s20, 24
	s_lshl_b64 s[22:23], s[20:21], 5
	s_lshl_b64 s[24:25], s[20:21], 4
	;; [unrolled: 1-line block ×3, first 2 shown]
	s_mov_b32 s33, 0
	s_branch .LBB146_4
.LBB146_3:                              ;   in Loop: Header=BB146_4 Depth=1
	global_load_b32 v3, v[5:6], off
	v_add_co_u32 v1, vcc_lo, v1, s22
	v_add_co_ci_u32_e32 v2, vcc_lo, s23, v2, vcc_lo
	s_add_i32 s33, s33, 4
	s_delay_alu instid0(SALU_CYCLE_1)
	s_cmp_eq_u32 s13, s33
	s_waitcnt vmcnt(0)
	ds_store_b64 v9, v[3:4] offset:288
	v_add_nc_u32_e32 v9, 0x180, v9
	s_cbranch_scc1 .LBB146_20
.LBB146_4:                              ; =>This Inner Loop Header: Depth=1
	s_and_b32 vcc_lo, exec_lo, s12
	s_cbranch_vccz .LBB146_6
; %bb.5:                                ;   in Loop: Header=BB146_4 Depth=1
	global_load_b32 v4, v[1:2], off offset:4
	s_cbranch_execz .LBB146_7
	s_branch .LBB146_8
.LBB146_6:                              ;   in Loop: Header=BB146_4 Depth=1
                                        ; implicit-def: $vgpr4
.LBB146_7:                              ;   in Loop: Header=BB146_4 Depth=1
	global_load_b32 v3, v[1:2], off offset:4
	s_waitcnt vmcnt(0)
	v_xor_b32_e32 v4, 0x80000000, v3
.LBB146_8:                              ;   in Loop: Header=BB146_4 Depth=1
	global_load_b32 v3, v[1:2], off
	v_add_co_u32 v5, vcc_lo, v1, s26
	v_add_co_ci_u32_e32 v6, vcc_lo, s27, v2, vcc_lo
	s_and_not1_b32 vcc_lo, exec_lo, s12
	s_waitcnt vmcnt(0)
	ds_store_b64 v9, v[3:4]
	s_cbranch_vccnz .LBB146_10
; %bb.9:                                ;   in Loop: Header=BB146_4 Depth=1
	global_load_b32 v4, v[5:6], off offset:4
	s_cbranch_execz .LBB146_11
	s_branch .LBB146_12
.LBB146_10:                             ;   in Loop: Header=BB146_4 Depth=1
                                        ; implicit-def: $vgpr4
.LBB146_11:                             ;   in Loop: Header=BB146_4 Depth=1
	global_load_b32 v3, v[5:6], off offset:4
	s_waitcnt vmcnt(0)
	v_xor_b32_e32 v4, 0x80000000, v3
.LBB146_12:                             ;   in Loop: Header=BB146_4 Depth=1
	global_load_b32 v3, v[5:6], off
	v_add_co_u32 v5, vcc_lo, v1, s24
	v_add_co_ci_u32_e32 v6, vcc_lo, s25, v2, vcc_lo
	s_and_not1_b32 vcc_lo, exec_lo, s12
	s_waitcnt vmcnt(0)
	ds_store_b64 v9, v[3:4] offset:96
	s_cbranch_vccnz .LBB146_14
; %bb.13:                               ;   in Loop: Header=BB146_4 Depth=1
	global_load_b32 v4, v[5:6], off offset:4
	s_cbranch_execz .LBB146_15
	s_branch .LBB146_16
.LBB146_14:                             ;   in Loop: Header=BB146_4 Depth=1
                                        ; implicit-def: $vgpr4
.LBB146_15:                             ;   in Loop: Header=BB146_4 Depth=1
	global_load_b32 v3, v[5:6], off offset:4
	s_waitcnt vmcnt(0)
	v_xor_b32_e32 v4, 0x80000000, v3
.LBB146_16:                             ;   in Loop: Header=BB146_4 Depth=1
	global_load_b32 v3, v[5:6], off
	v_add_co_u32 v5, vcc_lo, v1, s31
	v_add_co_ci_u32_e32 v6, vcc_lo, s30, v2, vcc_lo
	s_and_not1_b32 vcc_lo, exec_lo, s12
	s_waitcnt vmcnt(0)
	ds_store_b64 v9, v[3:4] offset:192
	s_cbranch_vccnz .LBB146_18
; %bb.17:                               ;   in Loop: Header=BB146_4 Depth=1
	global_load_b32 v4, v[5:6], off offset:4
	s_cbranch_execnz .LBB146_3
	s_branch .LBB146_19
.LBB146_18:                             ;   in Loop: Header=BB146_4 Depth=1
                                        ; implicit-def: $vgpr4
.LBB146_19:                             ;   in Loop: Header=BB146_4 Depth=1
	global_load_b32 v3, v[5:6], off offset:4
	s_waitcnt vmcnt(0)
	v_xor_b32_e32 v4, 0x80000000, v3
	s_branch .LBB146_3
.LBB146_20:
	s_and_b32 s22, s15, 3
	s_delay_alu instid0(SALU_CYCLE_1)
	s_cmp_eq_u32 s22, 0
	s_cbranch_scc1 .LBB146_27
; %bb.21:
	s_mul_i32 s12, s21, s13
	s_mul_hi_u32 s23, s20, s13
	s_mul_i32 s24, s20, s13
	s_add_i32 s25, s23, s12
	s_lshl_b64 s[18:19], s[18:19], 3
	s_lshl_b64 s[24:25], s[24:25], 3
	s_mul_i32 s12, s13, 0x60
	s_add_u32 s13, s24, s18
	s_addc_u32 s18, s25, s19
	s_waitcnt lgkmcnt(0)
	s_add_u32 s13, s16, s13
	s_addc_u32 s16, s17, s18
	v_add_co_u32 v1, s13, s13, v8
	s_delay_alu instid0(VALU_DEP_1) | instskip(SKIP_1) | instid1(VALU_DEP_3)
	v_add_co_ci_u32_e64 v2, null, s16, 0, s13
	v_lshl_add_u32 v5, v0, 3, s12
	v_add_co_u32 v1, vcc_lo, v1, 4
	s_delay_alu instid0(VALU_DEP_3)
	v_add_co_ci_u32_e32 v2, vcc_lo, 0, v2, vcc_lo
	s_lshl_b64 s[12:13], s[20:21], 3
	s_set_inst_prefetch_distance 0x1
	s_branch .LBB146_23
	.p2align	6
.LBB146_22:                             ;   in Loop: Header=BB146_23 Depth=1
	global_load_b32 v3, v[1:2], off offset:-4
	v_add_co_u32 v1, vcc_lo, v1, s12
	v_add_co_ci_u32_e32 v2, vcc_lo, s13, v2, vcc_lo
	s_add_i32 s22, s22, -1
	s_delay_alu instid0(SALU_CYCLE_1)
	s_cmp_lg_u32 s22, 0
	s_waitcnt vmcnt(0)
	ds_store_b64 v5, v[3:4]
	v_add_nc_u32_e32 v5, 0x60, v5
	s_cbranch_scc0 .LBB146_27
.LBB146_23:                             ; =>This Inner Loop Header: Depth=1
	v_cmp_ne_u32_e32 vcc_lo, 1, v7
	s_mov_b32 s16, -1
                                        ; implicit-def: $vgpr4
	s_cbranch_vccnz .LBB146_25
; %bb.24:                               ;   in Loop: Header=BB146_23 Depth=1
	global_load_b32 v4, v[1:2], off
	s_mov_b32 s16, 0
.LBB146_25:                             ;   in Loop: Header=BB146_23 Depth=1
	s_delay_alu instid0(SALU_CYCLE_1)
	s_and_not1_b32 vcc_lo, exec_lo, s16
	s_cbranch_vccnz .LBB146_22
; %bb.26:                               ;   in Loop: Header=BB146_23 Depth=1
	global_load_b32 v3, v[1:2], off
	s_waitcnt vmcnt(0)
	v_xor_b32_e32 v4, 0x80000000, v3
	s_branch .LBB146_22
.LBB146_27:
	s_set_inst_prefetch_distance 0x2
	v_mul_u32_u24_e32 v1, 13, v0
	s_cmpk_lg_i32 s5, 0x84
	s_mov_b32 s5, -1
	s_delay_alu instid0(VALU_DEP_1)
	v_lshlrev_b32_e32 v5, 3, v1
	s_cbranch_scc0 .LBB146_33
; %bb.28:
	ds_load_b64 v[1:2], v5
	s_waitcnt lgkmcnt(0)
	v_cmp_gt_f32_e32 vcc_lo, 0, v1
	v_cndmask_b32_e64 v3, v1, -v1, vcc_lo
	v_cmp_gt_f32_e32 vcc_lo, 0, v2
	v_cndmask_b32_e64 v4, v2, -v2, vcc_lo
	s_delay_alu instid0(VALU_DEP_1) | instskip(SKIP_1) | instid1(SALU_CYCLE_1)
	v_cmp_ngt_f32_e32 vcc_lo, v3, v4
                                        ; implicit-def: $vgpr3
	s_and_saveexec_b32 s5, vcc_lo
	s_xor_b32 s5, exec_lo, s5
	s_cbranch_execz .LBB146_30
; %bb.29:
	v_div_scale_f32 v3, null, v2, v2, v1
	v_div_scale_f32 v7, vcc_lo, v1, v2, v1
	s_delay_alu instid0(VALU_DEP_2) | instskip(SKIP_2) | instid1(VALU_DEP_1)
	v_rcp_f32_e32 v4, v3
	s_waitcnt_depctr 0xfff
	v_fma_f32 v6, -v3, v4, 1.0
	v_fmac_f32_e32 v4, v6, v4
	s_delay_alu instid0(VALU_DEP_1) | instskip(NEXT) | instid1(VALU_DEP_1)
	v_mul_f32_e32 v6, v7, v4
	v_fma_f32 v8, -v3, v6, v7
	s_delay_alu instid0(VALU_DEP_1) | instskip(NEXT) | instid1(VALU_DEP_1)
	v_fmac_f32_e32 v6, v8, v4
	v_fma_f32 v3, -v3, v6, v7
	s_delay_alu instid0(VALU_DEP_1) | instskip(NEXT) | instid1(VALU_DEP_1)
	v_div_fmas_f32 v3, v3, v4, v6
	v_div_fixup_f32 v3, v3, v2, v1
	s_delay_alu instid0(VALU_DEP_1) | instskip(NEXT) | instid1(VALU_DEP_1)
	v_fmac_f32_e32 v2, v1, v3
	v_div_scale_f32 v1, null, v2, v2, 1.0
	v_div_scale_f32 v7, vcc_lo, 1.0, v2, 1.0
	s_delay_alu instid0(VALU_DEP_2) | instskip(SKIP_2) | instid1(VALU_DEP_1)
	v_rcp_f32_e32 v4, v1
	s_waitcnt_depctr 0xfff
	v_fma_f32 v6, -v1, v4, 1.0
	v_fmac_f32_e32 v4, v6, v4
	s_delay_alu instid0(VALU_DEP_1) | instskip(NEXT) | instid1(VALU_DEP_1)
	v_mul_f32_e32 v6, v7, v4
	v_fma_f32 v8, -v1, v6, v7
	s_delay_alu instid0(VALU_DEP_1) | instskip(NEXT) | instid1(VALU_DEP_1)
	v_fmac_f32_e32 v6, v8, v4
	v_fma_f32 v1, -v1, v6, v7
	s_delay_alu instid0(VALU_DEP_1) | instskip(SKIP_1) | instid1(VALU_DEP_2)
	v_div_fmas_f32 v1, v1, v4, v6
	v_add_f32_e32 v4, 0, v3
	v_div_fixup_f32 v1, v1, v2, 1.0
	v_fma_f32 v2, v3, 0, -1.0
	s_delay_alu instid0(VALU_DEP_2) | instskip(NEXT) | instid1(VALU_DEP_2)
	v_mul_f32_e32 v3, v4, v1
	v_mul_f32_e32 v4, v2, v1
                                        ; implicit-def: $vgpr1_vgpr2
.LBB146_30:
	s_and_not1_saveexec_b32 s5, s5
	s_cbranch_execz .LBB146_32
; %bb.31:
	v_div_scale_f32 v3, null, v1, v1, v2
	v_div_scale_f32 v7, vcc_lo, v2, v1, v2
	s_delay_alu instid0(VALU_DEP_2) | instskip(SKIP_2) | instid1(VALU_DEP_1)
	v_rcp_f32_e32 v4, v3
	s_waitcnt_depctr 0xfff
	v_fma_f32 v6, -v3, v4, 1.0
	v_fmac_f32_e32 v4, v6, v4
	s_delay_alu instid0(VALU_DEP_1) | instskip(NEXT) | instid1(VALU_DEP_1)
	v_mul_f32_e32 v6, v7, v4
	v_fma_f32 v8, -v3, v6, v7
	s_delay_alu instid0(VALU_DEP_1) | instskip(NEXT) | instid1(VALU_DEP_1)
	v_fmac_f32_e32 v6, v8, v4
	v_fma_f32 v3, -v3, v6, v7
	s_delay_alu instid0(VALU_DEP_1) | instskip(NEXT) | instid1(VALU_DEP_1)
	v_div_fmas_f32 v3, v3, v4, v6
	v_div_fixup_f32 v4, v3, v1, v2
	s_delay_alu instid0(VALU_DEP_1) | instskip(NEXT) | instid1(VALU_DEP_1)
	v_fmac_f32_e32 v1, v2, v4
	v_div_scale_f32 v2, null, v1, v1, 1.0
	v_div_scale_f32 v7, vcc_lo, 1.0, v1, 1.0
	s_delay_alu instid0(VALU_DEP_2) | instskip(SKIP_2) | instid1(VALU_DEP_1)
	v_rcp_f32_e32 v3, v2
	s_waitcnt_depctr 0xfff
	v_fma_f32 v6, -v2, v3, 1.0
	v_fmac_f32_e32 v3, v6, v3
	s_delay_alu instid0(VALU_DEP_1) | instskip(NEXT) | instid1(VALU_DEP_1)
	v_mul_f32_e32 v6, v7, v3
	v_fma_f32 v8, -v2, v6, v7
	s_delay_alu instid0(VALU_DEP_1) | instskip(NEXT) | instid1(VALU_DEP_1)
	v_fmac_f32_e32 v6, v8, v3
	v_fma_f32 v2, -v2, v6, v7
	s_delay_alu instid0(VALU_DEP_1) | instskip(SKIP_1) | instid1(VALU_DEP_2)
	v_div_fmas_f32 v2, v2, v3, v6
	v_fma_f32 v3, v4, 0, 1.0
	v_div_fixup_f32 v1, v2, v1, 1.0
	s_delay_alu instid0(VALU_DEP_1)
	v_mul_f32_e32 v3, v3, v1
	v_mul_f32_e64 v4, -v4, v1
.LBB146_32:
	s_or_b32 exec_lo, exec_lo, s5
	s_mov_b32 s5, 0
	ds_store_b64 v5, v[3:4]
.LBB146_33:
	s_and_b32 vcc_lo, exec_lo, s5
	s_cbranch_vccz .LBB146_35
; %bb.34:
	v_dual_mov_b32 v1, 1.0 :: v_dual_mov_b32 v2, 0
	ds_store_b64 v5, v[1:2]
.LBB146_35:
	s_or_b32 exec_lo, exec_lo, s6
	s_mul_i32 s5, s14, -12
	s_add_i32 s29, s29, -1
	s_add_i32 s5, s5, s7
	s_cmp_ge_u32 s14, s29
	s_waitcnt lgkmcnt(0)
	s_cselect_b32 s5, s5, 12
	; wave barrier
	buffer_gl0_inv
	v_cmp_gt_i32_e32 vcc_lo, s5, v0
	s_mov_b32 s5, -1
	s_and_saveexec_b32 s6, vcc_lo
	s_cbranch_execz .LBB146_78
; %bb.36:
	s_load_b32 s0, s[0:1], 0x50
	v_mad_u64_u32 v[1:2], null, s14, 12, v[0:1]
	v_or_b32_e64 v6, 0, 4
	s_waitcnt lgkmcnt(0)
	s_delay_alu instid0(VALU_DEP_2) | instskip(SKIP_1) | instid1(SALU_CYCLE_1)
	v_mad_i64_i32 v[2:3], null, s0, v1, 0
	s_lshl_b64 s[0:1], s[10:11], 3
	s_add_u32 s6, s8, s0
	s_addc_u32 s7, s9, s1
	s_cmpk_eq_i32 s4, 0x6f
	s_delay_alu instid0(VALU_DEP_1) | instskip(NEXT) | instid1(VALU_DEP_1)
	v_lshlrev_b64 v[0:1], 3, v[2:3]
	v_add_co_u32 v4, vcc_lo, s6, v0
	s_delay_alu instid0(VALU_DEP_2)
	v_add_co_ci_u32_e32 v5, vcc_lo, s7, v1, vcc_lo
	s_cbranch_scc1 .LBB146_57
; %bb.37:
	s_add_u32 s4, s8, s0
	s_addc_u32 s5, s9, s1
	v_add_co_u32 v2, vcc_lo, s4, v0
	v_add_co_ci_u32_e32 v3, vcc_lo, s5, v1, vcc_lo
	s_lshl_b32 s14, s15, 3
	s_delay_alu instid0(VALU_DEP_2) | instskip(NEXT) | instid1(VALU_DEP_2)
	v_add_co_u32 v7, vcc_lo, v2, 4
	v_add_co_ci_u32_e32 v8, vcc_lo, 0, v3, vcc_lo
	s_mov_b32 s5, 0
	s_add_i32 s14, s14, -8
	s_mov_b32 s4, s5
	s_mov_b32 s6, s28
	s_branch .LBB146_39
.LBB146_38:                             ;   in Loop: Header=BB146_39 Depth=1
	s_cmp_lt_i32 s6, 0
	s_cselect_b32 s7, -1, 0
	s_add_i32 s4, s4, 1
	s_delay_alu instid0(SALU_CYCLE_1) | instskip(SKIP_1) | instid1(SALU_CYCLE_1)
	s_cmp_eq_u32 s4, 3
	s_cselect_b32 s10, -1, 0
	s_or_b32 s7, s7, s10
	s_delay_alu instid0(SALU_CYCLE_1)
	s_and_not1_b32 vcc_lo, exec_lo, s7
	s_cbranch_vccz .LBB146_56
.LBB146_39:                             ; =>This Loop Header: Depth=1
                                        ;     Child Loop BB146_42 Depth 2
                                        ;       Child Loop BB146_43 Depth 3
                                        ;       Child Loop BB146_45 Depth 3
                                        ;         Child Loop BB146_46 Depth 4
                                        ;       Child Loop BB146_50 Depth 3
                                        ;         Child Loop BB146_52 Depth 4
	s_getpc_b64 s[10:11]
	s_add_u32 s10, s10, __const._ZL30rocblas_trsm_small_left_deviceILi12ELi12ELb1E19rocblas_complex_numIfES1_PKPKS1_PKPS1_Ev13rocblas_fill_18rocblas_operation_17rocblas_diagonal_iiT3_T4_lilT5_lili.step_sizes@rel32@lo+4
	s_addc_u32 s11, s11, __const._ZL30rocblas_trsm_small_left_deviceILi12ELi12ELb1E19rocblas_complex_numIfES1_PKPKS1_PKPS1_Ev13rocblas_fill_18rocblas_operation_17rocblas_diagonal_iiT3_T4_lilT5_lili.step_sizes@rel32@hi+12
	s_lshl_b64 s[12:13], s[4:5], 2
	s_delay_alu instid0(SALU_CYCLE_1) | instskip(SKIP_4) | instid1(SALU_CYCLE_1)
	s_add_u32 s10, s12, s10
	s_addc_u32 s11, s13, s11
	s_load_b32 s16, s[10:11], 0x0
	s_waitcnt lgkmcnt(0)
	s_add_i32 s17, s16, -1
	s_cmp_lt_i32 s6, s17
	s_cbranch_scc1 .LBB146_38
; %bb.40:                               ;   in Loop: Header=BB146_39 Depth=1
	s_mul_i32 s7, s6, 0x60
	s_max_i32 s18, s16, 1
	s_add_i32 s19, s14, s7
	s_mul_i32 s20, s16, 0xffffffa0
	s_mul_i32 s21, s6, 0x68
	;; [unrolled: 1-line block ×3, first 2 shown]
	s_branch .LBB146_42
.LBB146_41:                             ;   in Loop: Header=BB146_42 Depth=2
	s_sub_i32 s6, s6, s16
	s_add_i32 s19, s19, s20
	s_add_i32 s21, s21, s22
	s_cmp_lt_i32 s6, s17
	s_cbranch_scc1 .LBB146_38
.LBB146_42:                             ;   Parent Loop BB146_39 Depth=1
                                        ; =>  This Loop Header: Depth=2
                                        ;       Child Loop BB146_43 Depth 3
                                        ;       Child Loop BB146_45 Depth 3
                                        ;         Child Loop BB146_46 Depth 4
                                        ;       Child Loop BB146_50 Depth 3
                                        ;         Child Loop BB146_52 Depth 4
	s_ashr_i32 s7, s6, 31
	s_delay_alu instid0(SALU_CYCLE_1) | instskip(NEXT) | instid1(SALU_CYCLE_1)
	s_lshl_b64 s[10:11], s[6:7], 3
	v_add_co_u32 v2, vcc_lo, v7, s10
	v_add_co_ci_u32_e32 v3, vcc_lo, s11, v8, vcc_lo
	s_mov_b32 s10, 4
	s_mov_b32 s11, s18
	.p2align	6
.LBB146_43:                             ;   Parent Loop BB146_39 Depth=1
                                        ;     Parent Loop BB146_42 Depth=2
                                        ; =>    This Inner Loop Header: Depth=3
	global_load_b64 v[9:10], v[2:3], off offset:-4
	v_add_co_u32 v2, vcc_lo, v2, -8
	v_add_co_ci_u32_e32 v3, vcc_lo, -1, v3, vcc_lo
	s_add_i32 s11, s11, -1
	s_add_i32 s12, s10, 0
	s_add_i32 s10, s10, 8
	s_cmp_eq_u32 s11, 0
	s_waitcnt vmcnt(0)
	v_mul_f32_e32 v11, s2, v10
	s_delay_alu instid0(VALU_DEP_1) | instskip(NEXT) | instid1(VALU_DEP_1)
	v_dual_mul_f32 v12, s3, v10 :: v_dual_fmac_f32 v11, s3, v9
	v_fma_f32 v10, v9, s2, -v12
	scratch_store_b64 off, v[10:11], s12 offset:-4
	s_cbranch_scc0 .LBB146_43
; %bb.44:                               ;   in Loop: Header=BB146_42 Depth=2
	s_cmp_le_i32 s28, s6
	s_mov_b32 s12, s19
	s_mov_b32 s10, s28
	s_cbranch_scc1 .LBB146_48
	.p2align	6
.LBB146_45:                             ;   Parent Loop BB146_39 Depth=1
                                        ;     Parent Loop BB146_42 Depth=2
                                        ; =>    This Loop Header: Depth=3
                                        ;         Child Loop BB146_46 Depth 4
	s_ashr_i32 s11, s10, 31
	v_mov_b32_e32 v9, v6
	s_lshl_b64 s[24:25], s[10:11], 3
	s_mov_b32 s11, s12
	v_add_co_u32 v2, vcc_lo, v4, s24
	v_add_co_ci_u32_e32 v3, vcc_lo, s25, v5, vcc_lo
	s_mov_b32 s13, s18
	global_load_b64 v[2:3], v[2:3], off
	.p2align	6
.LBB146_46:                             ;   Parent Loop BB146_39 Depth=1
                                        ;     Parent Loop BB146_42 Depth=2
                                        ;       Parent Loop BB146_45 Depth=3
                                        ; =>      This Inner Loop Header: Depth=4
	scratch_load_b64 v[10:11], v9, off offset:-4
	v_mov_b32_e32 v12, s11
	s_add_i32 s13, s13, -1
	s_addk_i32 s11, 0xffa0
	s_cmp_eq_u32 s13, 0
	ds_load_b64 v[12:13], v12
	s_waitcnt vmcnt(1) lgkmcnt(0)
	v_mul_f32_e32 v14, v13, v3
	v_mul_f32_e32 v13, v13, v2
	s_delay_alu instid0(VALU_DEP_1) | instskip(SKIP_1) | instid1(VALU_DEP_1)
	v_fmac_f32_e32 v13, v12, v3
	s_waitcnt vmcnt(0)
	v_sub_f32_e32 v11, v11, v13
	v_fma_f32 v14, v12, v2, -v14
	s_delay_alu instid0(VALU_DEP_1)
	v_sub_f32_e32 v10, v10, v14
	scratch_store_b64 v9, v[10:11], off offset:-4
	v_add_nc_u32_e32 v9, 8, v9
	s_cbranch_scc0 .LBB146_46
; %bb.47:                               ;   in Loop: Header=BB146_45 Depth=3
	s_add_i32 s10, s10, -1
	s_add_i32 s12, s12, -8
	s_cmp_le_i32 s10, s6
	s_cbranch_scc0 .LBB146_45
.LBB146_48:                             ;   in Loop: Header=BB146_42 Depth=2
	s_mov_b32 s23, 0
	s_mov_b32 s24, s21
	s_branch .LBB146_50
.LBB146_49:                             ;   in Loop: Header=BB146_50 Depth=3
	s_mulk_i32 s12, 0x68
	s_lshl_b64 s[10:11], s[10:11], 3
	v_mov_b32_e32 v9, s12
	s_lshl_b32 s12, s23, 3
	s_add_i32 s23, s23, 1
	s_addk_i32 s24, 0xffa0
	ds_load_b64 v[9:10], v9
	s_waitcnt vmcnt(0) lgkmcnt(0)
	v_mul_f32_e32 v11, v10, v3
	v_mul_f32_e32 v12, v9, v3
	s_delay_alu instid0(VALU_DEP_2) | instskip(NEXT) | instid1(VALU_DEP_2)
	v_fma_f32 v11, v9, v2, -v11
	v_fmac_f32_e32 v12, v10, v2
	v_add_co_u32 v2, vcc_lo, v4, s10
	v_add_co_ci_u32_e32 v3, vcc_lo, s11, v5, vcc_lo
	s_add_i32 s10, s12, 0
	s_cmp_eq_u32 s23, s18
	scratch_store_b64 off, v[11:12], s10
	global_store_b64 v[2:3], v[11:12], off
	s_cbranch_scc1 .LBB146_41
.LBB146_50:                             ;   Parent Loop BB146_39 Depth=1
                                        ;     Parent Loop BB146_42 Depth=2
                                        ; =>    This Loop Header: Depth=3
                                        ;         Child Loop BB146_52 Depth 4
	s_cmp_lg_u32 s23, 0
	s_cbranch_scc0 .LBB146_54
; %bb.51:                               ;   in Loop: Header=BB146_50 Depth=3
	s_lshl_b32 s10, s23, 3
	v_mov_b32_e32 v10, 0
	s_add_i32 s11, s10, 0
	v_add_nc_u32_e64 v9, s10, 0
	scratch_load_b64 v[2:3], off, s11
	s_mov_b32 s10, 0
	s_mov_b32 s11, s24
	.p2align	6
.LBB146_52:                             ;   Parent Loop BB146_39 Depth=1
                                        ;     Parent Loop BB146_42 Depth=2
                                        ;       Parent Loop BB146_50 Depth=3
                                        ; =>      This Inner Loop Header: Depth=4
	scratch_load_b64 v[11:12], v10, off
	v_mov_b32_e32 v13, s11
	s_add_i32 s10, s10, 1
	s_add_i32 s11, s11, -8
	s_cmp_ge_u32 s10, s23
	v_add_nc_u32_e32 v10, 8, v10
	ds_load_b64 v[13:14], v13
	s_waitcnt vmcnt(0) lgkmcnt(0)
	v_mul_f32_e32 v15, v14, v12
	v_mul_f32_e32 v12, v13, v12
	s_delay_alu instid0(VALU_DEP_2) | instskip(NEXT) | instid1(VALU_DEP_2)
	v_fma_f32 v13, v13, v11, -v15
	v_fmac_f32_e32 v12, v14, v11
	s_delay_alu instid0(VALU_DEP_1)
	v_dual_sub_f32 v2, v2, v13 :: v_dual_sub_f32 v3, v3, v12
	scratch_store_b64 v9, v[2:3], off
	s_cbranch_scc0 .LBB146_52
; %bb.53:                               ;   in Loop: Header=BB146_50 Depth=3
	s_sub_i32 s12, s6, s23
	s_delay_alu instid0(SALU_CYCLE_1) | instskip(NEXT) | instid1(SALU_CYCLE_1)
	s_ashr_i32 s13, s12, 31
	s_mov_b64 s[10:11], s[12:13]
	s_branch .LBB146_49
.LBB146_54:                             ;   in Loop: Header=BB146_50 Depth=3
                                        ; implicit-def: $vgpr2
                                        ; implicit-def: $sgpr12
                                        ; implicit-def: $sgpr10_sgpr11
	s_cbranch_execz .LBB146_49
; %bb.55:                               ;   in Loop: Header=BB146_50 Depth=3
	scratch_load_b64 v[2:3], off, off
	s_mov_b64 s[10:11], s[6:7]
	s_mov_b32 s12, s6
	s_branch .LBB146_49
.LBB146_56:
	s_mov_b32 s5, 0
.LBB146_57:
	s_delay_alu instid0(SALU_CYCLE_1)
	s_and_b32 vcc_lo, exec_lo, s5
	s_cbranch_vccz .LBB146_78
; %bb.58:
	s_add_u32 s0, s8, s0
	s_addc_u32 s1, s9, s1
	v_add_co_u32 v0, vcc_lo, s0, v0
	v_add_co_ci_u32_e32 v1, vcc_lo, s1, v1, vcc_lo
	s_mov_b32 s1, 0
	s_delay_alu instid0(VALU_DEP_2) | instskip(NEXT) | instid1(VALU_DEP_2)
	v_add_co_u32 v7, vcc_lo, v0, 4
	v_add_co_ci_u32_e32 v8, vcc_lo, 0, v1, vcc_lo
	s_mov_b32 s4, s1
	s_mov_b32 s6, s1
	s_branch .LBB146_60
.LBB146_59:                             ;   in Loop: Header=BB146_60 Depth=1
	s_cmp_ge_i32 s4, s15
	s_cselect_b32 s0, -1, 0
	s_add_i32 s6, s6, 1
	s_delay_alu instid0(SALU_CYCLE_1) | instskip(SKIP_1) | instid1(SALU_CYCLE_1)
	s_cmp_eq_u32 s6, 3
	s_cselect_b32 s5, -1, 0
	s_or_b32 s0, s0, s5
	s_delay_alu instid0(SALU_CYCLE_1)
	s_and_b32 vcc_lo, exec_lo, s0
	s_cbranch_vccnz .LBB146_78
.LBB146_60:                             ; =>This Loop Header: Depth=1
                                        ;     Child Loop BB146_63 Depth 2
                                        ;       Child Loop BB146_64 Depth 3
                                        ;       Child Loop BB146_67 Depth 3
                                        ;         Child Loop BB146_68 Depth 4
                                        ;       Child Loop BB146_72 Depth 3
                                        ;         Child Loop BB146_74 Depth 4
	s_mov_b32 s7, s1
	s_getpc_b64 s[8:9]
	s_add_u32 s8, s8, __const._ZL30rocblas_trsm_small_left_deviceILi12ELi12ELb1E19rocblas_complex_numIfES1_PKPKS1_PKPS1_Ev13rocblas_fill_18rocblas_operation_17rocblas_diagonal_iiT3_T4_lilT5_lili.step_sizes@rel32@lo+4
	s_addc_u32 s9, s9, __const._ZL30rocblas_trsm_small_left_deviceILi12ELi12ELb1E19rocblas_complex_numIfES1_PKPKS1_PKPS1_Ev13rocblas_fill_18rocblas_operation_17rocblas_diagonal_iiT3_T4_lilT5_lili.step_sizes@rel32@hi+12
	s_lshl_b64 s[10:11], s[6:7], 2
	s_delay_alu instid0(SALU_CYCLE_1) | instskip(SKIP_4) | instid1(SALU_CYCLE_1)
	s_add_u32 s8, s10, s8
	s_addc_u32 s9, s11, s9
	s_load_b32 s8, s[8:9], 0x0
	s_waitcnt lgkmcnt(0)
	s_add_i32 s7, s8, -1
	s_add_i32 s0, s7, s4
	s_delay_alu instid0(SALU_CYCLE_1)
	s_cmp_ge_i32 s0, s15
	s_cbranch_scc1 .LBB146_59
; %bb.61:                               ;   in Loop: Header=BB146_60 Depth=1
	s_ashr_i32 s5, s4, 31
	s_ashr_i32 s9, s8, 31
	s_lshl_b64 s[10:11], s[4:5], 3
	s_max_i32 s14, s8, 1
	v_add_co_u32 v0, vcc_lo, v7, s10
	v_add_co_ci_u32_e32 v1, vcc_lo, s11, v8, vcc_lo
	s_lshl_b64 s[10:11], s[8:9], 3
	s_lshl_b32 s5, s4, 3
	s_lshl_b32 s9, s8, 3
	s_mul_i32 s16, s4, 0x68
	s_mul_i32 s17, s8, 0x68
	s_branch .LBB146_63
.LBB146_62:                             ;   in Loop: Header=BB146_63 Depth=2
	v_add_co_u32 v0, vcc_lo, v0, s10
	s_add_i32 s4, s4, s8
	v_add_co_ci_u32_e32 v1, vcc_lo, s11, v1, vcc_lo
	s_add_i32 s0, s7, s4
	s_add_i32 s5, s5, s9
	;; [unrolled: 1-line block ×3, first 2 shown]
	s_cmp_ge_i32 s0, s15
	s_cbranch_scc1 .LBB146_59
.LBB146_63:                             ;   Parent Loop BB146_60 Depth=1
                                        ; =>  This Loop Header: Depth=2
                                        ;       Child Loop BB146_64 Depth 3
                                        ;       Child Loop BB146_67 Depth 3
                                        ;         Child Loop BB146_68 Depth 4
                                        ;       Child Loop BB146_72 Depth 3
                                        ;         Child Loop BB146_74 Depth 4
	v_dual_mov_b32 v3, v1 :: v_dual_mov_b32 v2, v0
	s_mov_b32 s0, 4
	s_mov_b32 s12, s14
	.p2align	6
.LBB146_64:                             ;   Parent Loop BB146_60 Depth=1
                                        ;     Parent Loop BB146_63 Depth=2
                                        ; =>    This Inner Loop Header: Depth=3
	global_load_b64 v[9:10], v[2:3], off offset:-4
	v_add_co_u32 v2, vcc_lo, v2, 8
	v_add_co_ci_u32_e32 v3, vcc_lo, 0, v3, vcc_lo
	s_add_i32 s12, s12, -1
	s_add_i32 s13, s0, 0
	s_add_i32 s0, s0, 8
	s_cmp_eq_u32 s12, 0
	s_waitcnt vmcnt(0)
	v_mul_f32_e32 v11, s2, v10
	s_delay_alu instid0(VALU_DEP_1) | instskip(NEXT) | instid1(VALU_DEP_1)
	v_dual_mul_f32 v12, s3, v10 :: v_dual_fmac_f32 v11, s3, v9
	v_fma_f32 v10, v9, s2, -v12
	scratch_store_b64 off, v[10:11], s13 offset:-4
	s_cbranch_scc0 .LBB146_64
; %bb.65:                               ;   in Loop: Header=BB146_63 Depth=2
	s_cmp_lt_i32 s4, 1
	s_cbranch_scc1 .LBB146_70
; %bb.66:                               ;   in Loop: Header=BB146_63 Depth=2
	s_mov_b32 s0, 0
	s_mov_b32 s12, s5
	.p2align	6
.LBB146_67:                             ;   Parent Loop BB146_60 Depth=1
                                        ;     Parent Loop BB146_63 Depth=2
                                        ; =>    This Loop Header: Depth=3
                                        ;         Child Loop BB146_68 Depth 4
	s_lshl_b64 s[18:19], s[0:1], 3
	v_mov_b32_e32 v9, v6
	v_add_co_u32 v2, vcc_lo, v4, s18
	v_add_co_ci_u32_e32 v3, vcc_lo, s19, v5, vcc_lo
	s_mov_b32 s13, s12
	s_mov_b32 s18, s14
	global_load_b64 v[2:3], v[2:3], off
	.p2align	6
.LBB146_68:                             ;   Parent Loop BB146_60 Depth=1
                                        ;     Parent Loop BB146_63 Depth=2
                                        ;       Parent Loop BB146_67 Depth=3
                                        ; =>      This Inner Loop Header: Depth=4
	scratch_load_b64 v[10:11], v9, off offset:-4
	v_mov_b32_e32 v12, s13
	s_add_i32 s18, s18, -1
	s_add_i32 s13, s13, 8
	s_cmp_eq_u32 s18, 0
	ds_load_b64 v[12:13], v12
	s_waitcnt vmcnt(1) lgkmcnt(0)
	v_mul_f32_e32 v14, v13, v3
	v_mul_f32_e32 v13, v13, v2
	s_delay_alu instid0(VALU_DEP_1) | instskip(SKIP_1) | instid1(VALU_DEP_1)
	v_fmac_f32_e32 v13, v12, v3
	s_waitcnt vmcnt(0)
	v_sub_f32_e32 v11, v11, v13
	v_fma_f32 v14, v12, v2, -v14
	s_delay_alu instid0(VALU_DEP_1)
	v_sub_f32_e32 v10, v10, v14
	scratch_store_b64 v9, v[10:11], off offset:-4
	v_add_nc_u32_e32 v9, 8, v9
	s_cbranch_scc0 .LBB146_68
; %bb.69:                               ;   in Loop: Header=BB146_67 Depth=3
	s_add_i32 s0, s0, 1
	s_addk_i32 s12, 0x60
	s_cmp_ge_i32 s0, s4
	s_cbranch_scc0 .LBB146_67
.LBB146_70:                             ;   in Loop: Header=BB146_63 Depth=2
	s_mov_b32 s0, 0
	s_mov_b32 s18, s16
	s_branch .LBB146_72
.LBB146_71:                             ;   in Loop: Header=BB146_72 Depth=3
	s_mul_i32 s13, s12, 0x68
	s_lshl_b32 s19, s0, 3
	v_mov_b32_e32 v9, s13
	s_ashr_i32 s13, s12, 31
	s_add_i32 s0, s0, 1
	s_lshl_b64 s[12:13], s[12:13], 3
	s_add_i32 s18, s18, 8
	ds_load_b64 v[9:10], v9
	s_waitcnt vmcnt(0) lgkmcnt(0)
	v_mul_f32_e32 v11, v10, v3
	v_mul_f32_e32 v12, v9, v3
	s_delay_alu instid0(VALU_DEP_2) | instskip(NEXT) | instid1(VALU_DEP_2)
	v_fma_f32 v11, v9, v2, -v11
	v_fmac_f32_e32 v12, v10, v2
	v_add_co_u32 v2, vcc_lo, v4, s12
	v_add_co_ci_u32_e32 v3, vcc_lo, s13, v5, vcc_lo
	s_add_i32 s12, s19, 0
	s_cmp_eq_u32 s0, s14
	scratch_store_b64 off, v[11:12], s12
	global_store_b64 v[2:3], v[11:12], off
	s_cbranch_scc1 .LBB146_62
.LBB146_72:                             ;   Parent Loop BB146_60 Depth=1
                                        ;     Parent Loop BB146_63 Depth=2
                                        ; =>    This Loop Header: Depth=3
                                        ;         Child Loop BB146_74 Depth 4
	s_cmp_lg_u32 s0, 0
	s_cbranch_scc0 .LBB146_76
; %bb.73:                               ;   in Loop: Header=BB146_72 Depth=3
	s_lshl_b32 s12, s0, 3
	v_mov_b32_e32 v10, 0
	s_add_i32 s13, s12, 0
	v_add_nc_u32_e64 v9, s12, 0
	scratch_load_b64 v[2:3], off, s13
	s_add_i32 s12, s0, s4
	s_mov_b32 s13, 0
	s_mov_b32 s19, s18
	.p2align	6
.LBB146_74:                             ;   Parent Loop BB146_60 Depth=1
                                        ;     Parent Loop BB146_63 Depth=2
                                        ;       Parent Loop BB146_72 Depth=3
                                        ; =>      This Inner Loop Header: Depth=4
	scratch_load_b64 v[11:12], v10, off
	v_mov_b32_e32 v13, s19
	s_add_i32 s13, s13, 1
	s_addk_i32 s19, 0x60
	s_cmp_ge_u32 s13, s0
	v_add_nc_u32_e32 v10, 8, v10
	ds_load_b64 v[13:14], v13
	s_waitcnt vmcnt(0) lgkmcnt(0)
	v_mul_f32_e32 v15, v14, v12
	v_mul_f32_e32 v12, v13, v12
	s_delay_alu instid0(VALU_DEP_2) | instskip(NEXT) | instid1(VALU_DEP_2)
	v_fma_f32 v13, v13, v11, -v15
	v_fmac_f32_e32 v12, v14, v11
	s_delay_alu instid0(VALU_DEP_1)
	v_dual_sub_f32 v2, v2, v13 :: v_dual_sub_f32 v3, v3, v12
	scratch_store_b64 v9, v[2:3], off
	s_cbranch_scc0 .LBB146_74
; %bb.75:                               ;   in Loop: Header=BB146_72 Depth=3
	s_branch .LBB146_71
.LBB146_76:                             ;   in Loop: Header=BB146_72 Depth=3
                                        ; implicit-def: $vgpr2
                                        ; implicit-def: $sgpr12
	s_cbranch_execz .LBB146_71
; %bb.77:                               ;   in Loop: Header=BB146_72 Depth=3
	scratch_load_b64 v[2:3], off, off
	s_mov_b32 s12, s4
	s_branch .LBB146_71
.LBB146_78:
	s_endpgm
	.section	.rodata,"a",@progbits
	.p2align	6, 0x0
	.amdhsa_kernel _ZL30rocblas_trsm_small_left_deviceILi12ELi12ELb1E19rocblas_complex_numIfES1_PKPKS1_PKPS1_Ev13rocblas_fill_18rocblas_operation_17rocblas_diagonal_iiT3_T4_lilT5_lili
		.amdhsa_group_segment_fixed_size 1152
		.amdhsa_private_segment_fixed_size 112
		.amdhsa_kernarg_size 360
		.amdhsa_user_sgpr_count 14
		.amdhsa_user_sgpr_dispatch_ptr 0
		.amdhsa_user_sgpr_queue_ptr 0
		.amdhsa_user_sgpr_kernarg_segment_ptr 1
		.amdhsa_user_sgpr_dispatch_id 0
		.amdhsa_user_sgpr_private_segment_size 0
		.amdhsa_wavefront_size32 1
		.amdhsa_uses_dynamic_stack 0
		.amdhsa_enable_private_segment 1
		.amdhsa_system_sgpr_workgroup_id_x 1
		.amdhsa_system_sgpr_workgroup_id_y 0
		.amdhsa_system_sgpr_workgroup_id_z 1
		.amdhsa_system_sgpr_workgroup_info 0
		.amdhsa_system_vgpr_workitem_id 0
		.amdhsa_next_free_vgpr 16
		.amdhsa_next_free_sgpr 34
		.amdhsa_reserve_vcc 1
		.amdhsa_float_round_mode_32 0
		.amdhsa_float_round_mode_16_64 0
		.amdhsa_float_denorm_mode_32 3
		.amdhsa_float_denorm_mode_16_64 3
		.amdhsa_dx10_clamp 1
		.amdhsa_ieee_mode 1
		.amdhsa_fp16_overflow 0
		.amdhsa_workgroup_processor_mode 1
		.amdhsa_memory_ordered 1
		.amdhsa_forward_progress 0
		.amdhsa_shared_vgpr_count 0
		.amdhsa_exception_fp_ieee_invalid_op 0
		.amdhsa_exception_fp_denorm_src 0
		.amdhsa_exception_fp_ieee_div_zero 0
		.amdhsa_exception_fp_ieee_overflow 0
		.amdhsa_exception_fp_ieee_underflow 0
		.amdhsa_exception_fp_ieee_inexact 0
		.amdhsa_exception_int_div_zero 0
	.end_amdhsa_kernel
	.section	.text._ZL30rocblas_trsm_small_left_deviceILi12ELi12ELb1E19rocblas_complex_numIfES1_PKPKS1_PKPS1_Ev13rocblas_fill_18rocblas_operation_17rocblas_diagonal_iiT3_T4_lilT5_lili,"axG",@progbits,_ZL30rocblas_trsm_small_left_deviceILi12ELi12ELb1E19rocblas_complex_numIfES1_PKPKS1_PKPS1_Ev13rocblas_fill_18rocblas_operation_17rocblas_diagonal_iiT3_T4_lilT5_lili,comdat
.Lfunc_end146:
	.size	_ZL30rocblas_trsm_small_left_deviceILi12ELi12ELb1E19rocblas_complex_numIfES1_PKPKS1_PKPS1_Ev13rocblas_fill_18rocblas_operation_17rocblas_diagonal_iiT3_T4_lilT5_lili, .Lfunc_end146-_ZL30rocblas_trsm_small_left_deviceILi12ELi12ELb1E19rocblas_complex_numIfES1_PKPKS1_PKPS1_Ev13rocblas_fill_18rocblas_operation_17rocblas_diagonal_iiT3_T4_lilT5_lili
                                        ; -- End function
	.section	.AMDGPU.csdata,"",@progbits
; Kernel info:
; codeLenInByte = 3108
; NumSgprs: 36
; NumVgprs: 16
; ScratchSize: 112
; MemoryBound: 0
; FloatMode: 240
; IeeeMode: 1
; LDSByteSize: 1152 bytes/workgroup (compile time only)
; SGPRBlocks: 4
; VGPRBlocks: 1
; NumSGPRsForWavesPerEU: 36
; NumVGPRsForWavesPerEU: 16
; Occupancy: 16
; WaveLimiterHint : 1
; COMPUTE_PGM_RSRC2:SCRATCH_EN: 1
; COMPUTE_PGM_RSRC2:USER_SGPR: 14
; COMPUTE_PGM_RSRC2:TRAP_HANDLER: 0
; COMPUTE_PGM_RSRC2:TGID_X_EN: 1
; COMPUTE_PGM_RSRC2:TGID_Y_EN: 0
; COMPUTE_PGM_RSRC2:TGID_Z_EN: 1
; COMPUTE_PGM_RSRC2:TIDIG_COMP_CNT: 0
	.section	.text._ZL31rocblas_trsm_small_right_deviceI19rocblas_complex_numIfES1_PKPKS1_PKPS1_Li12EEv13rocblas_fill_18rocblas_operation_17rocblas_diagonal_iiT0_T1_lilT2_lili,"axG",@progbits,_ZL31rocblas_trsm_small_right_deviceI19rocblas_complex_numIfES1_PKPKS1_PKPS1_Li12EEv13rocblas_fill_18rocblas_operation_17rocblas_diagonal_iiT0_T1_lilT2_lili,comdat
	.globl	_ZL31rocblas_trsm_small_right_deviceI19rocblas_complex_numIfES1_PKPKS1_PKPS1_Li12EEv13rocblas_fill_18rocblas_operation_17rocblas_diagonal_iiT0_T1_lilT2_lili ; -- Begin function _ZL31rocblas_trsm_small_right_deviceI19rocblas_complex_numIfES1_PKPKS1_PKPS1_Li12EEv13rocblas_fill_18rocblas_operation_17rocblas_diagonal_iiT0_T1_lilT2_lili
	.p2align	8
	.type	_ZL31rocblas_trsm_small_right_deviceI19rocblas_complex_numIfES1_PKPKS1_PKPS1_Li12EEv13rocblas_fill_18rocblas_operation_17rocblas_diagonal_iiT0_T1_lilT2_lili,@function
_ZL31rocblas_trsm_small_right_deviceI19rocblas_complex_numIfES1_PKPKS1_PKPS1_Li12EEv13rocblas_fill_18rocblas_operation_17rocblas_diagonal_iiT0_T1_lilT2_lili: ; @_ZL31rocblas_trsm_small_right_deviceI19rocblas_complex_numIfES1_PKPKS1_PKPS1_Li12EEv13rocblas_fill_18rocblas_operation_17rocblas_diagonal_iiT0_T1_lilT2_lili
; %bb.0:
	s_clause 0x1
	s_load_b128 s[16:19], s[0:1], 0x40
	s_load_b256 s[4:11], s[0:1], 0x0
	s_mov_b32 s12, s15
	s_mov_b32 s13, 0
	s_load_b32 s15, s[0:1], 0x68
	s_lshl_b64 s[24:25], s[12:13], 3
	s_mov_b32 s31, exec_lo
	s_waitcnt lgkmcnt(0)
	s_add_u32 s2, s16, s24
	s_addc_u32 s3, s17, s25
	s_min_i32 s11, s8, 12
	s_load_b64 s[2:3], s[2:3], 0x0
	s_add_i32 s30, s11, -1
	v_cmpx_gt_i32_e64 s11, v0
	s_cbranch_execz .LBB147_29
; %bb.1:
	s_clause 0x1
	s_load_b32 s16, s[0:1], 0x30
	s_load_b128 s[20:23], s[0:1], 0x20
	s_waitcnt lgkmcnt(0)
	s_ashr_i32 s17, s16, 31
	s_cmpk_lg_i32 s5, 0x71
	s_cselect_b32 s12, -1, 0
	s_add_u32 s20, s20, s24
	s_addc_u32 s21, s21, s25
	v_cndmask_b32_e64 v7, 0, 1, s12
	s_load_b64 s[20:21], s[20:21], 0x0
	s_cmp_lt_u32 s30, 3
	s_cbranch_scc1 .LBB147_20
; %bb.2:
	v_lshlrev_b32_e32 v8, 3, v0
	s_lshl_b64 s[24:25], s[22:23], 3
	s_mul_hi_i32 s33, s16, 24
	s_waitcnt lgkmcnt(0)
	s_add_u32 s13, s20, s24
	s_addc_u32 s24, s21, s25
	v_add_co_u32 v1, s13, s13, v8
	s_delay_alu instid0(VALU_DEP_1)
	v_add_co_ci_u32_e64 v2, null, s24, 0, s13
	s_and_b32 s13, s11, -4
	s_mul_i32 s34, s16, 24
	s_lshl_b64 s[24:25], s[16:17], 5
	s_lshl_b64 s[26:27], s[16:17], 4
	;; [unrolled: 1-line block ×3, first 2 shown]
	s_mov_b32 s35, 0
	s_branch .LBB147_4
.LBB147_3:                              ;   in Loop: Header=BB147_4 Depth=1
	global_load_b32 v3, v[5:6], off
	v_add_co_u32 v1, vcc_lo, v1, s24
	v_add_co_ci_u32_e32 v2, vcc_lo, s25, v2, vcc_lo
	s_add_i32 s35, s35, 4
	s_delay_alu instid0(SALU_CYCLE_1)
	s_cmp_eq_u32 s13, s35
	s_waitcnt vmcnt(0)
	ds_store_b64 v8, v[3:4] offset:288
	v_add_nc_u32_e32 v8, 0x180, v8
	s_cbranch_scc1 .LBB147_20
.LBB147_4:                              ; =>This Inner Loop Header: Depth=1
	s_and_b32 vcc_lo, exec_lo, s12
	s_cbranch_vccz .LBB147_6
; %bb.5:                                ;   in Loop: Header=BB147_4 Depth=1
	global_load_b32 v4, v[1:2], off offset:4
	s_cbranch_execz .LBB147_7
	s_branch .LBB147_8
.LBB147_6:                              ;   in Loop: Header=BB147_4 Depth=1
                                        ; implicit-def: $vgpr4
.LBB147_7:                              ;   in Loop: Header=BB147_4 Depth=1
	global_load_b32 v3, v[1:2], off offset:4
	s_waitcnt vmcnt(0)
	v_xor_b32_e32 v4, 0x80000000, v3
.LBB147_8:                              ;   in Loop: Header=BB147_4 Depth=1
	global_load_b32 v3, v[1:2], off
	v_add_co_u32 v5, vcc_lo, v1, s28
	v_add_co_ci_u32_e32 v6, vcc_lo, s29, v2, vcc_lo
	s_and_not1_b32 vcc_lo, exec_lo, s12
	s_waitcnt vmcnt(0)
	ds_store_b64 v8, v[3:4]
	s_cbranch_vccnz .LBB147_10
; %bb.9:                                ;   in Loop: Header=BB147_4 Depth=1
	global_load_b32 v4, v[5:6], off offset:4
	s_cbranch_execz .LBB147_11
	s_branch .LBB147_12
.LBB147_10:                             ;   in Loop: Header=BB147_4 Depth=1
                                        ; implicit-def: $vgpr4
.LBB147_11:                             ;   in Loop: Header=BB147_4 Depth=1
	global_load_b32 v3, v[5:6], off offset:4
	s_waitcnt vmcnt(0)
	v_xor_b32_e32 v4, 0x80000000, v3
.LBB147_12:                             ;   in Loop: Header=BB147_4 Depth=1
	global_load_b32 v3, v[5:6], off
	v_add_co_u32 v5, vcc_lo, v1, s26
	v_add_co_ci_u32_e32 v6, vcc_lo, s27, v2, vcc_lo
	s_and_not1_b32 vcc_lo, exec_lo, s12
	s_waitcnt vmcnt(0)
	ds_store_b64 v8, v[3:4] offset:96
	s_cbranch_vccnz .LBB147_14
; %bb.13:                               ;   in Loop: Header=BB147_4 Depth=1
	global_load_b32 v4, v[5:6], off offset:4
	s_cbranch_execz .LBB147_15
	s_branch .LBB147_16
.LBB147_14:                             ;   in Loop: Header=BB147_4 Depth=1
                                        ; implicit-def: $vgpr4
.LBB147_15:                             ;   in Loop: Header=BB147_4 Depth=1
	global_load_b32 v3, v[5:6], off offset:4
	s_waitcnt vmcnt(0)
	v_xor_b32_e32 v4, 0x80000000, v3
.LBB147_16:                             ;   in Loop: Header=BB147_4 Depth=1
	global_load_b32 v3, v[5:6], off
	v_add_co_u32 v5, vcc_lo, v1, s34
	v_add_co_ci_u32_e32 v6, vcc_lo, s33, v2, vcc_lo
	s_and_not1_b32 vcc_lo, exec_lo, s12
	s_waitcnt vmcnt(0)
	ds_store_b64 v8, v[3:4] offset:192
	s_cbranch_vccnz .LBB147_18
; %bb.17:                               ;   in Loop: Header=BB147_4 Depth=1
	global_load_b32 v4, v[5:6], off offset:4
	s_cbranch_execnz .LBB147_3
	s_branch .LBB147_19
.LBB147_18:                             ;   in Loop: Header=BB147_4 Depth=1
                                        ; implicit-def: $vgpr4
.LBB147_19:                             ;   in Loop: Header=BB147_4 Depth=1
	global_load_b32 v3, v[5:6], off offset:4
	s_waitcnt vmcnt(0)
	v_xor_b32_e32 v4, 0x80000000, v3
	s_branch .LBB147_3
.LBB147_20:
	s_and_b32 s24, s11, 3
	s_delay_alu instid0(SALU_CYCLE_1)
	s_cmp_eq_u32 s24, 0
	s_cbranch_scc1 .LBB147_27
; %bb.21:
	s_mul_i32 s12, s17, s13
	s_mul_hi_u32 s25, s16, s13
	s_mul_i32 s26, s16, s13
	s_add_i32 s27, s25, s12
	s_lshl_b64 s[22:23], s[22:23], 3
	s_lshl_b64 s[26:27], s[26:27], 3
	v_lshlrev_b32_e32 v1, 3, v0
	s_mul_i32 s12, s13, 0x60
	s_add_u32 s13, s26, s22
	s_addc_u32 s22, s27, s23
	s_waitcnt lgkmcnt(0)
	s_add_u32 s13, s20, s13
	s_addc_u32 s20, s21, s22
	v_add_co_u32 v1, s13, s13, v1
	s_delay_alu instid0(VALU_DEP_1) | instskip(SKIP_1) | instid1(VALU_DEP_3)
	v_add_co_ci_u32_e64 v2, null, s20, 0, s13
	v_lshl_add_u32 v5, v0, 3, s12
	v_add_co_u32 v1, vcc_lo, v1, 4
	s_delay_alu instid0(VALU_DEP_3)
	v_add_co_ci_u32_e32 v2, vcc_lo, 0, v2, vcc_lo
	s_lshl_b64 s[12:13], s[16:17], 3
	s_set_inst_prefetch_distance 0x1
	s_branch .LBB147_23
	.p2align	6
.LBB147_22:                             ;   in Loop: Header=BB147_23 Depth=1
	global_load_b32 v3, v[1:2], off offset:-4
	v_add_co_u32 v1, vcc_lo, v1, s12
	v_add_co_ci_u32_e32 v2, vcc_lo, s13, v2, vcc_lo
	s_add_i32 s24, s24, -1
	s_delay_alu instid0(SALU_CYCLE_1)
	s_cmp_lg_u32 s24, 0
	s_waitcnt vmcnt(0)
	ds_store_b64 v5, v[3:4]
	v_add_nc_u32_e32 v5, 0x60, v5
	s_cbranch_scc0 .LBB147_27
.LBB147_23:                             ; =>This Inner Loop Header: Depth=1
	v_cmp_ne_u32_e32 vcc_lo, 1, v7
	s_mov_b32 s16, -1
                                        ; implicit-def: $vgpr4
	s_cbranch_vccnz .LBB147_25
; %bb.24:                               ;   in Loop: Header=BB147_23 Depth=1
	global_load_b32 v4, v[1:2], off
	s_mov_b32 s16, 0
.LBB147_25:                             ;   in Loop: Header=BB147_23 Depth=1
	s_delay_alu instid0(SALU_CYCLE_1)
	s_and_not1_b32 vcc_lo, exec_lo, s16
	s_cbranch_vccnz .LBB147_22
; %bb.26:                               ;   in Loop: Header=BB147_23 Depth=1
	global_load_b32 v3, v[1:2], off
	s_waitcnt vmcnt(0)
	v_xor_b32_e32 v4, 0x80000000, v3
	s_branch .LBB147_22
.LBB147_27:
	s_set_inst_prefetch_distance 0x2
	s_cmpk_eq_i32 s6, 0x84
	s_cbranch_scc0 .LBB147_29
; %bb.28:
	v_mul_u32_u24_e32 v2, 13, v0
	v_mov_b32_e32 v1, 1.0
	s_delay_alu instid0(VALU_DEP_2)
	v_dual_mov_b32 v2, 0 :: v_dual_lshlrev_b32 v3, 3, v2
	ds_store_b64 v3, v[1:2]
.LBB147_29:
	s_or_b32 exec_lo, exec_lo, s31
	s_load_b32 s0, s[0:1], 0x50
	s_lshl_b64 s[12:13], s[18:19], 3
	s_mul_i32 s16, s14, -12
	s_waitcnt lgkmcnt(0)
	s_add_u32 s1, s2, s12
	s_addc_u32 s6, s3, s13
	s_add_i32 s15, s15, -1
	s_add_i32 s16, s16, s7
	s_cmp_ge_u32 s14, s15
	s_mul_hi_i32 s17, s14, 0x60
	s_cselect_b32 s7, s16, 12
	s_mul_i32 s16, s14, 0x60
	v_cmp_gt_i32_e32 vcc_lo, s7, v0
	s_add_u32 s18, s1, s16
	s_addc_u32 s19, s6, s17
	s_cmp_gt_i32 s8, 0
	s_mov_b32 s22, 0
	s_cselect_b32 s1, -1, 0
	s_delay_alu instid0(SALU_CYCLE_1) | instskip(NEXT) | instid1(SALU_CYCLE_1)
	s_and_b32 s20, vcc_lo, s1
	s_and_saveexec_b32 s21, s20
	s_cbranch_execz .LBB147_36
; %bb.30:
	s_ashr_i32 s1, s0, 31
	s_cmp_lt_u32 s8, 4
	s_cbranch_scc1 .LBB147_33
; %bb.31:
	v_lshlrev_b32_e32 v1, 3, v0
	v_lshl_or_b32 v3, v0, 3, 0x480
	s_and_b32 s22, s8, 0x7ffffffc
	s_lshl_b64 s[14:15], s[0:1], 3
	s_mov_b32 s23, 0
	v_add_co_u32 v1, s6, s18, v1
	s_delay_alu instid0(VALU_DEP_1)
	v_add_co_ci_u32_e64 v2, null, s19, 0, s6
	s_lshl_b64 s[6:7], s[0:1], 5
.LBB147_32:                             ; =>This Inner Loop Header: Depth=1
	s_delay_alu instid0(VALU_DEP_2) | instskip(NEXT) | instid1(VALU_DEP_2)
	v_add_co_u32 v4, vcc_lo, v1, s14
	v_add_co_ci_u32_e32 v5, vcc_lo, s15, v2, vcc_lo
	global_load_b64 v[6:7], v[1:2], off
	v_add_co_u32 v8, vcc_lo, v4, s14
	v_add_co_ci_u32_e32 v9, vcc_lo, s15, v5, vcc_lo
	global_load_b64 v[4:5], v[4:5], off
	v_add_co_u32 v10, vcc_lo, v8, s14
	v_add_co_ci_u32_e32 v11, vcc_lo, s15, v9, vcc_lo
	v_add_co_u32 v1, vcc_lo, v1, s6
	s_clause 0x1
	global_load_b64 v[8:9], v[8:9], off
	global_load_b64 v[10:11], v[10:11], off
	v_add_co_ci_u32_e32 v2, vcc_lo, s7, v2, vcc_lo
	s_add_i32 s23, s23, 4
	s_delay_alu instid0(SALU_CYCLE_1)
	s_cmp_lg_u32 s22, s23
	s_waitcnt vmcnt(3)
	v_mul_f32_e32 v12, s10, v7
	s_waitcnt vmcnt(2)
	v_dual_mul_f32 v13, s9, v7 :: v_dual_mul_f32 v14, s10, v5
	v_mul_f32_e32 v7, s9, v5
	s_delay_alu instid0(VALU_DEP_3) | instskip(NEXT) | instid1(VALU_DEP_3)
	v_fma_f32 v12, s9, v6, -v12
	v_fmac_f32_e32 v13, s10, v6
	s_delay_alu instid0(VALU_DEP_4)
	v_fma_f32 v6, s9, v4, -v14
	s_waitcnt vmcnt(0)
	v_dual_fmac_f32 v7, s10, v4 :: v_dual_mul_f32 v14, s10, v11
	v_mul_f32_e32 v4, s10, v9
	v_mul_f32_e32 v5, s9, v9
	;; [unrolled: 1-line block ×3, first 2 shown]
	s_delay_alu instid0(VALU_DEP_3) | instskip(NEXT) | instid1(VALU_DEP_3)
	v_fma_f32 v4, s9, v8, -v4
	v_fmac_f32_e32 v5, s10, v8
	v_fma_f32 v8, s9, v10, -v14
	s_delay_alu instid0(VALU_DEP_4)
	v_fmac_f32_e32 v9, s10, v10
	ds_store_2addr_b64 v3, v[12:13], v[6:7] offset1:12
	ds_store_2addr_b64 v3, v[4:5], v[8:9] offset0:24 offset1:36
	v_add_nc_u32_e32 v3, 0x180, v3
	s_cbranch_scc1 .LBB147_32
.LBB147_33:
	s_and_b32 s14, s8, 3
	s_delay_alu instid0(SALU_CYCLE_1)
	s_cmp_eq_u32 s14, 0
	s_cbranch_scc1 .LBB147_36
; %bb.34:
	s_mul_hi_i32 s7, s0, s22
	s_mul_i32 s6, s0, s22
	v_lshlrev_b32_e32 v1, 3, v0
	s_lshl_b64 s[6:7], s[6:7], 3
	s_mul_i32 s15, s22, 0x60
	s_add_u32 s6, s6, s16
	s_addc_u32 s7, s7, s17
	s_add_u32 s6, s6, s12
	s_addc_u32 s7, s7, s13
	;; [unrolled: 2-line block ×3, first 2 shown]
	v_add_co_u32 v2, s6, s6, v1
	s_delay_alu instid0(VALU_DEP_1) | instskip(SKIP_1) | instid1(VALU_DEP_3)
	v_add_co_ci_u32_e64 v4, null, s7, 0, s6
	v_add3_u32 v3, s15, v1, 0x480
	v_add_co_u32 v1, vcc_lo, v2, 4
	s_delay_alu instid0(VALU_DEP_3)
	v_add_co_ci_u32_e32 v2, vcc_lo, 0, v4, vcc_lo
	s_lshl_b64 s[6:7], s[0:1], 3
	.p2align	6
.LBB147_35:                             ; =>This Inner Loop Header: Depth=1
	global_load_b64 v[4:5], v[1:2], off offset:-4
	v_add_co_u32 v1, vcc_lo, v1, s6
	v_add_co_ci_u32_e32 v2, vcc_lo, s7, v2, vcc_lo
	s_add_i32 s14, s14, -1
	s_delay_alu instid0(SALU_CYCLE_1) | instskip(SKIP_2) | instid1(VALU_DEP_1)
	s_cmp_lg_u32 s14, 0
	s_waitcnt vmcnt(0)
	v_mul_f32_e32 v6, s9, v5
	v_dual_mul_f32 v7, s10, v5 :: v_dual_fmac_f32 v6, s10, v4
	s_delay_alu instid0(VALU_DEP_1)
	v_fma_f32 v5, s9, v4, -v7
	ds_store_b64 v3, v[5:6]
	v_add_nc_u32_e32 v3, 0x60, v3
	s_cbranch_scc1 .LBB147_35
.LBB147_36:
	s_or_b32 exec_lo, exec_lo, s21
	s_cmpk_eq_i32 s5, 0x6f
	s_waitcnt lgkmcnt(0)
	s_cselect_b32 s1, -1, 0
	s_cmpk_eq_i32 s4, 0x79
	; wave barrier
	buffer_gl0_inv
	s_cselect_b32 s6, -1, 0
	s_cmpk_lg_i32 s4, 0x79
	s_cselect_b32 s5, -1, 0
	s_and_b32 s6, s6, s1
	s_delay_alu instid0(SALU_CYCLE_1)
	s_and_not1_b32 vcc_lo, exec_lo, s6
	s_mov_b32 s6, -1
	s_cbranch_vccz .LBB147_144
; %bb.37:
	s_cmpk_lg_i32 s4, 0x7a
	s_cselect_b32 s4, -1, 0
	s_xor_b32 s1, s1, -1
	s_delay_alu instid0(SALU_CYCLE_1)
	s_or_b32 s4, s4, s1
	s_cmp_gt_i32 s8, 3
	s_cselect_b32 s1, -1, 0
	s_and_b32 vcc_lo, exec_lo, s4
	s_mov_b32 s4, -1
	s_cbranch_vccz .LBB147_111
; %bb.38:
	s_and_not1_b32 vcc_lo, exec_lo, s5
	s_cbranch_vccnz .LBB147_78
; %bb.39:
	s_and_not1_b32 vcc_lo, exec_lo, s1
	s_mov_b32 s6, 0
	s_cbranch_vccnz .LBB147_62
; %bb.40:
	v_lshl_or_b32 v13, v0, 3, 0x480
	s_mov_b32 s4, 0
	s_mov_b32 s5, 0
.LBB147_41:                             ; =>This Loop Header: Depth=1
                                        ;     Child Loop BB147_43 Depth 2
	s_delay_alu instid0(SALU_CYCLE_1) | instskip(NEXT) | instid1(SALU_CYCLE_1)
	s_mul_i32 s6, s5, 12
	s_add_i32 s7, s6, 12
	v_add_lshl_u32 v7, s6, v0, 3
	s_add_i32 s6, s6, 24
	v_add_lshl_u32 v8, s7, v0, 3
	v_add_lshl_u32 v9, s6, v0, 3
	s_cmp_eq_u32 s5, 0
	ds_load_b64 v[5:6], v7 offset:1152
	ds_load_b64 v[11:12], v8 offset:1152
	ds_load_2addr_b64 v[1:4], v9 offset0:144 offset1:156
	s_cbranch_scc1 .LBB147_44
; %bb.42:                               ;   in Loop: Header=BB147_41 Depth=1
	v_mov_b32_e32 v10, v13
	s_mov_b32 s9, 0
	s_mov_b32 s10, s4
.LBB147_43:                             ;   Parent Loop BB147_41 Depth=1
                                        ; =>  This Inner Loop Header: Depth=2
	ds_load_2addr_b64 v[14:17], v10 offset1:12
	v_mov_b32_e32 v30, s10
	s_add_i32 s9, s9, 2
	s_addk_i32 s10, 0xc0
	s_cmp_ge_u32 s9, s5
	ds_load_b128 v[18:21], v30
	ds_load_b128 v[22:25], v30 offset:16
	ds_load_b128 v[26:29], v30 offset:96
	;; [unrolled: 1-line block ×3, first 2 shown]
	s_waitcnt lgkmcnt(3)
	v_dual_mul_f32 v35, v18, v15 :: v_dual_add_nc_u32 v10, 0xc0, v10
	s_waitcnt lgkmcnt(2)
	v_mul_f32_e32 v37, v23, v15
	s_waitcnt lgkmcnt(1)
	v_dual_mul_f32 v38, v25, v15 :: v_dual_mul_f32 v39, v27, v17
	v_dual_mul_f32 v25, v25, v14 :: v_dual_mul_f32 v40, v26, v17
	v_mul_f32_e32 v34, v19, v15
	v_dual_mul_f32 v36, v21, v15 :: v_dual_mul_f32 v23, v23, v14
	v_mul_f32_e32 v21, v21, v14
	s_delay_alu instid0(VALU_DEP_4)
	v_fmac_f32_e32 v25, v24, v15
	v_fmac_f32_e32 v35, v19, v14
	v_dual_mul_f32 v41, v29, v17 :: v_dual_fmac_f32 v40, v27, v16
	s_waitcnt lgkmcnt(0)
	v_dual_mul_f32 v29, v29, v16 :: v_dual_mul_f32 v42, v31, v17
	v_dual_sub_f32 v4, v4, v25 :: v_dual_mul_f32 v31, v31, v16
	v_sub_f32_e32 v6, v6, v35
	v_fmac_f32_e32 v21, v20, v15
	v_fma_f32 v18, v18, v14, -v34
	v_fma_f32 v19, v20, v14, -v36
	;; [unrolled: 1-line block ×3, first 2 shown]
	v_sub_f32_e32 v6, v6, v40
	v_fma_f32 v14, v24, v14, -v38
	v_fmac_f32_e32 v31, v30, v17
	v_fmac_f32_e32 v29, v28, v17
	v_fmac_f32_e32 v23, v22, v15
	v_mul_f32_e32 v43, v33, v17
	v_dual_mul_f32 v33, v33, v16 :: v_dual_sub_f32 v12, v12, v21
	v_fma_f32 v15, v26, v16, -v39
	v_fma_f32 v22, v28, v16, -v41
	;; [unrolled: 1-line block ×3, first 2 shown]
	s_delay_alu instid0(VALU_DEP_4) | instskip(SKIP_3) | instid1(VALU_DEP_4)
	v_fmac_f32_e32 v33, v32, v17
	v_sub_f32_e32 v5, v5, v18
	v_sub_f32_e32 v11, v11, v19
	;; [unrolled: 1-line block ×3, first 2 shown]
	v_dual_sub_f32 v3, v3, v14 :: v_dual_sub_f32 v4, v4, v33
	v_sub_f32_e32 v12, v12, v29
	v_sub_f32_e32 v2, v2, v23
	v_fma_f32 v16, v32, v16, -v43
	v_sub_f32_e32 v5, v5, v15
	v_sub_f32_e32 v11, v11, v22
	s_delay_alu instid0(VALU_DEP_4) | instskip(NEXT) | instid1(VALU_DEP_4)
	v_dual_sub_f32 v1, v1, v24 :: v_dual_sub_f32 v2, v2, v31
	v_sub_f32_e32 v3, v3, v16
	s_cbranch_scc0 .LBB147_43
.LBB147_44:                             ;   in Loop: Header=BB147_41 Depth=1
	s_mul_i32 s9, s5, 0x68
	s_delay_alu instid0(SALU_CYCLE_1)
	v_dual_mov_b32 v7, s9 :: v_dual_add_nc_u32 v16, 0x480, v7
	v_add_nc_u32_e32 v15, 0x480, v8
	v_add_nc_u32_e32 v14, 0x480, v9
	ds_load_b64 v[7:8], v7
	s_waitcnt lgkmcnt(0)
	v_cmp_gt_f32_e32 vcc_lo, 0, v7
	v_cndmask_b32_e64 v9, v7, -v7, vcc_lo
	v_cmp_gt_f32_e32 vcc_lo, 0, v8
	v_cndmask_b32_e64 v10, v8, -v8, vcc_lo
	s_delay_alu instid0(VALU_DEP_1)
	v_cmp_ngt_f32_e32 vcc_lo, v9, v10
	s_cbranch_vccz .LBB147_46
; %bb.45:                               ;   in Loop: Header=BB147_41 Depth=1
	v_div_scale_f32 v9, null, v8, v8, v7
	v_div_scale_f32 v18, vcc_lo, v7, v8, v7
	s_delay_alu instid0(VALU_DEP_2) | instskip(SKIP_2) | instid1(VALU_DEP_1)
	v_rcp_f32_e32 v10, v9
	s_waitcnt_depctr 0xfff
	v_fma_f32 v17, -v9, v10, 1.0
	v_fmac_f32_e32 v10, v17, v10
	s_delay_alu instid0(VALU_DEP_1) | instskip(NEXT) | instid1(VALU_DEP_1)
	v_mul_f32_e32 v17, v18, v10
	v_fma_f32 v19, -v9, v17, v18
	s_delay_alu instid0(VALU_DEP_1) | instskip(NEXT) | instid1(VALU_DEP_1)
	v_fmac_f32_e32 v17, v19, v10
	v_fma_f32 v9, -v9, v17, v18
	s_delay_alu instid0(VALU_DEP_1) | instskip(NEXT) | instid1(VALU_DEP_1)
	v_div_fmas_f32 v9, v9, v10, v17
	v_div_fixup_f32 v9, v9, v8, v7
	s_delay_alu instid0(VALU_DEP_1) | instskip(NEXT) | instid1(VALU_DEP_1)
	v_fma_f32 v10, v7, v9, v8
	v_div_scale_f32 v17, null, v10, v10, 1.0
	v_div_scale_f32 v20, vcc_lo, 1.0, v10, 1.0
	s_delay_alu instid0(VALU_DEP_2) | instskip(SKIP_2) | instid1(VALU_DEP_1)
	v_rcp_f32_e32 v18, v17
	s_waitcnt_depctr 0xfff
	v_fma_f32 v19, -v17, v18, 1.0
	v_fmac_f32_e32 v18, v19, v18
	s_delay_alu instid0(VALU_DEP_1) | instskip(NEXT) | instid1(VALU_DEP_1)
	v_mul_f32_e32 v19, v20, v18
	v_fma_f32 v21, -v17, v19, v20
	s_delay_alu instid0(VALU_DEP_1) | instskip(NEXT) | instid1(VALU_DEP_1)
	v_fmac_f32_e32 v19, v21, v18
	v_fma_f32 v17, -v17, v19, v20
	s_delay_alu instid0(VALU_DEP_1) | instskip(SKIP_1) | instid1(VALU_DEP_2)
	v_div_fmas_f32 v17, v17, v18, v19
	v_fma_f32 v18, v5, v9, v6
	v_div_fixup_f32 v10, v17, v10, 1.0
	v_fma_f32 v17, v6, v9, -v5
	s_delay_alu instid0(VALU_DEP_2) | instskip(NEXT) | instid1(VALU_DEP_2)
	v_mul_f32_e32 v9, v18, v10
	v_mul_f32_e32 v10, v17, v10
	s_cbranch_execz .LBB147_47
	s_branch .LBB147_48
.LBB147_46:                             ;   in Loop: Header=BB147_41 Depth=1
                                        ; implicit-def: $vgpr10
.LBB147_47:                             ;   in Loop: Header=BB147_41 Depth=1
	v_div_scale_f32 v9, null, v7, v7, v8
	v_div_scale_f32 v18, vcc_lo, v8, v7, v8
	s_delay_alu instid0(VALU_DEP_2) | instskip(SKIP_2) | instid1(VALU_DEP_1)
	v_rcp_f32_e32 v10, v9
	s_waitcnt_depctr 0xfff
	v_fma_f32 v17, -v9, v10, 1.0
	v_fmac_f32_e32 v10, v17, v10
	s_delay_alu instid0(VALU_DEP_1) | instskip(NEXT) | instid1(VALU_DEP_1)
	v_mul_f32_e32 v17, v18, v10
	v_fma_f32 v19, -v9, v17, v18
	s_delay_alu instid0(VALU_DEP_1) | instskip(NEXT) | instid1(VALU_DEP_1)
	v_fmac_f32_e32 v17, v19, v10
	v_fma_f32 v9, -v9, v17, v18
	s_delay_alu instid0(VALU_DEP_1) | instskip(NEXT) | instid1(VALU_DEP_1)
	v_div_fmas_f32 v9, v9, v10, v17
	v_div_fixup_f32 v9, v9, v7, v8
	s_delay_alu instid0(VALU_DEP_1) | instskip(NEXT) | instid1(VALU_DEP_1)
	v_fmac_f32_e32 v7, v8, v9
	v_div_scale_f32 v8, null, v7, v7, 1.0
	v_div_scale_f32 v18, vcc_lo, 1.0, v7, 1.0
	s_delay_alu instid0(VALU_DEP_2) | instskip(SKIP_2) | instid1(VALU_DEP_1)
	v_rcp_f32_e32 v10, v8
	s_waitcnt_depctr 0xfff
	v_fma_f32 v17, -v8, v10, 1.0
	v_fmac_f32_e32 v10, v17, v10
	s_delay_alu instid0(VALU_DEP_1) | instskip(NEXT) | instid1(VALU_DEP_1)
	v_mul_f32_e32 v17, v18, v10
	v_fma_f32 v19, -v8, v17, v18
	s_delay_alu instid0(VALU_DEP_1) | instskip(NEXT) | instid1(VALU_DEP_1)
	v_fmac_f32_e32 v17, v19, v10
	v_fma_f32 v8, -v8, v17, v18
	s_delay_alu instid0(VALU_DEP_1) | instskip(SKIP_2) | instid1(VALU_DEP_3)
	v_div_fmas_f32 v8, v8, v10, v17
	v_fma_f32 v10, v6, v9, v5
	v_fma_f32 v5, -v5, v9, v6
	v_div_fixup_f32 v7, v8, v7, 1.0
	s_delay_alu instid0(VALU_DEP_1) | instskip(NEXT) | instid1(VALU_DEP_3)
	v_mul_f32_e32 v9, v10, v7
	v_mul_f32_e32 v10, v5, v7
.LBB147_48:                             ;   in Loop: Header=BB147_41 Depth=1
	v_mov_b32_e32 v5, s9
	ds_store_b64 v16, v[9:10]
	ds_load_2addr_b64 v[5:8], v5 offset0:1 offset1:13
	s_waitcnt lgkmcnt(0)
	v_cmp_gt_f32_e32 vcc_lo, 0, v7
	v_mul_f32_e32 v17, v10, v6
	v_mul_f32_e32 v6, v9, v6
	v_cndmask_b32_e64 v18, v7, -v7, vcc_lo
	v_cmp_gt_f32_e32 vcc_lo, 0, v8
	s_delay_alu instid0(VALU_DEP_4) | instskip(NEXT) | instid1(VALU_DEP_4)
	v_fma_f32 v17, v9, v5, -v17
	v_fmac_f32_e32 v6, v10, v5
	v_cndmask_b32_e64 v19, v8, -v8, vcc_lo
	s_delay_alu instid0(VALU_DEP_2) | instskip(NEXT) | instid1(VALU_DEP_2)
	v_dual_sub_f32 v5, v11, v17 :: v_dual_sub_f32 v6, v12, v6
	v_cmp_ngt_f32_e32 vcc_lo, v18, v19
	s_cbranch_vccz .LBB147_50
; %bb.49:                               ;   in Loop: Header=BB147_41 Depth=1
	v_div_scale_f32 v11, null, v8, v8, v7
	v_div_scale_f32 v17, vcc_lo, v7, v8, v7
	s_delay_alu instid0(VALU_DEP_2) | instskip(SKIP_2) | instid1(VALU_DEP_1)
	v_rcp_f32_e32 v12, v11
	s_waitcnt_depctr 0xfff
	v_fma_f32 v16, -v11, v12, 1.0
	v_fmac_f32_e32 v12, v16, v12
	s_delay_alu instid0(VALU_DEP_1) | instskip(NEXT) | instid1(VALU_DEP_1)
	v_mul_f32_e32 v16, v17, v12
	v_fma_f32 v18, -v11, v16, v17
	s_delay_alu instid0(VALU_DEP_1) | instskip(NEXT) | instid1(VALU_DEP_1)
	v_fmac_f32_e32 v16, v18, v12
	v_fma_f32 v11, -v11, v16, v17
	s_delay_alu instid0(VALU_DEP_1) | instskip(NEXT) | instid1(VALU_DEP_1)
	v_div_fmas_f32 v11, v11, v12, v16
	v_div_fixup_f32 v11, v11, v8, v7
	s_delay_alu instid0(VALU_DEP_1) | instskip(NEXT) | instid1(VALU_DEP_1)
	v_fma_f32 v12, v7, v11, v8
	v_div_scale_f32 v16, null, v12, v12, 1.0
	v_div_scale_f32 v19, vcc_lo, 1.0, v12, 1.0
	s_delay_alu instid0(VALU_DEP_2) | instskip(SKIP_2) | instid1(VALU_DEP_1)
	v_rcp_f32_e32 v17, v16
	s_waitcnt_depctr 0xfff
	v_fma_f32 v18, -v16, v17, 1.0
	v_fmac_f32_e32 v17, v18, v17
	s_delay_alu instid0(VALU_DEP_1) | instskip(NEXT) | instid1(VALU_DEP_1)
	v_mul_f32_e32 v18, v19, v17
	v_fma_f32 v20, -v16, v18, v19
	s_delay_alu instid0(VALU_DEP_1) | instskip(NEXT) | instid1(VALU_DEP_1)
	v_fmac_f32_e32 v18, v20, v17
	v_fma_f32 v16, -v16, v18, v19
	s_delay_alu instid0(VALU_DEP_1) | instskip(SKIP_1) | instid1(VALU_DEP_2)
	v_div_fmas_f32 v16, v16, v17, v18
	v_fma_f32 v17, v11, v5, v6
	v_div_fixup_f32 v12, v16, v12, 1.0
	v_fma_f32 v16, v11, v6, -v5
	s_delay_alu instid0(VALU_DEP_2) | instskip(NEXT) | instid1(VALU_DEP_2)
	v_mul_f32_e32 v11, v17, v12
	v_mul_f32_e32 v12, v16, v12
	s_cbranch_execz .LBB147_51
	s_branch .LBB147_52
.LBB147_50:                             ;   in Loop: Header=BB147_41 Depth=1
                                        ; implicit-def: $vgpr12
.LBB147_51:                             ;   in Loop: Header=BB147_41 Depth=1
	v_div_scale_f32 v11, null, v7, v7, v8
	v_div_scale_f32 v17, vcc_lo, v8, v7, v8
	s_delay_alu instid0(VALU_DEP_2) | instskip(SKIP_2) | instid1(VALU_DEP_1)
	v_rcp_f32_e32 v12, v11
	s_waitcnt_depctr 0xfff
	v_fma_f32 v16, -v11, v12, 1.0
	v_fmac_f32_e32 v12, v16, v12
	s_delay_alu instid0(VALU_DEP_1) | instskip(NEXT) | instid1(VALU_DEP_1)
	v_mul_f32_e32 v16, v17, v12
	v_fma_f32 v18, -v11, v16, v17
	s_delay_alu instid0(VALU_DEP_1) | instskip(NEXT) | instid1(VALU_DEP_1)
	v_fmac_f32_e32 v16, v18, v12
	v_fma_f32 v11, -v11, v16, v17
	s_delay_alu instid0(VALU_DEP_1) | instskip(NEXT) | instid1(VALU_DEP_1)
	v_div_fmas_f32 v11, v11, v12, v16
	v_div_fixup_f32 v11, v11, v7, v8
	s_delay_alu instid0(VALU_DEP_1) | instskip(NEXT) | instid1(VALU_DEP_1)
	v_fmac_f32_e32 v7, v8, v11
	v_div_scale_f32 v8, null, v7, v7, 1.0
	v_div_scale_f32 v17, vcc_lo, 1.0, v7, 1.0
	s_delay_alu instid0(VALU_DEP_2) | instskip(SKIP_2) | instid1(VALU_DEP_1)
	v_rcp_f32_e32 v12, v8
	s_waitcnt_depctr 0xfff
	v_fma_f32 v16, -v8, v12, 1.0
	v_fmac_f32_e32 v12, v16, v12
	s_delay_alu instid0(VALU_DEP_1) | instskip(NEXT) | instid1(VALU_DEP_1)
	v_mul_f32_e32 v16, v17, v12
	v_fma_f32 v18, -v8, v16, v17
	s_delay_alu instid0(VALU_DEP_1) | instskip(NEXT) | instid1(VALU_DEP_1)
	v_fmac_f32_e32 v16, v18, v12
	v_fma_f32 v8, -v8, v16, v17
	s_delay_alu instid0(VALU_DEP_1) | instskip(SKIP_2) | instid1(VALU_DEP_3)
	v_div_fmas_f32 v8, v8, v12, v16
	v_fma_f32 v12, v11, v6, v5
	v_fma_f32 v5, -v11, v5, v6
	v_div_fixup_f32 v7, v8, v7, 1.0
	s_delay_alu instid0(VALU_DEP_1) | instskip(NEXT) | instid1(VALU_DEP_3)
	v_mul_f32_e32 v11, v12, v7
	v_mul_f32_e32 v12, v5, v7
.LBB147_52:                             ;   in Loop: Header=BB147_41 Depth=1
	s_add_i32 s7, s7, s5
	s_delay_alu instid0(SALU_CYCLE_1) | instskip(NEXT) | instid1(SALU_CYCLE_1)
	s_lshl_b32 s7, s7, 3
	v_dual_mov_b32 v5, s9 :: v_dual_mov_b32 v16, s7
	ds_load_2addr_b64 v[5:8], v5 offset0:2 offset1:26
	ds_load_b64 v[16:17], v16 offset:16
	ds_store_b64 v15, v[11:12]
	s_waitcnt lgkmcnt(2)
	v_mul_f32_e32 v18, v10, v6
	v_cmp_gt_f32_e32 vcc_lo, 0, v7
	s_waitcnt lgkmcnt(1)
	v_mul_f32_e32 v20, v12, v17
	v_dual_mul_f32 v17, v11, v17 :: v_dual_mul_f32 v6, v9, v6
	v_fma_f32 v18, v9, v5, -v18
	v_cndmask_b32_e64 v19, v7, -v7, vcc_lo
	v_cmp_gt_f32_e32 vcc_lo, 0, v8
	s_delay_alu instid0(VALU_DEP_4) | instskip(NEXT) | instid1(VALU_DEP_4)
	v_fmac_f32_e32 v17, v12, v16
	v_sub_f32_e32 v1, v1, v18
	v_fma_f32 v20, v11, v16, -v20
	v_fmac_f32_e32 v6, v10, v5
	v_cndmask_b32_e64 v5, v8, -v8, vcc_lo
	s_delay_alu instid0(VALU_DEP_1) | instskip(NEXT) | instid1(VALU_DEP_3)
	v_cmp_ngt_f32_e32 vcc_lo, v19, v5
	v_dual_sub_f32 v5, v1, v20 :: v_dual_sub_f32 v2, v2, v6
	s_delay_alu instid0(VALU_DEP_1)
	v_sub_f32_e32 v6, v2, v17
	s_cbranch_vccz .LBB147_54
; %bb.53:                               ;   in Loop: Header=BB147_41 Depth=1
	v_div_scale_f32 v1, null, v8, v8, v7
	v_div_scale_f32 v16, vcc_lo, v7, v8, v7
	s_delay_alu instid0(VALU_DEP_2) | instskip(SKIP_2) | instid1(VALU_DEP_1)
	v_rcp_f32_e32 v2, v1
	s_waitcnt_depctr 0xfff
	v_fma_f32 v15, -v1, v2, 1.0
	v_fmac_f32_e32 v2, v15, v2
	s_delay_alu instid0(VALU_DEP_1) | instskip(NEXT) | instid1(VALU_DEP_1)
	v_mul_f32_e32 v15, v16, v2
	v_fma_f32 v17, -v1, v15, v16
	s_delay_alu instid0(VALU_DEP_1) | instskip(NEXT) | instid1(VALU_DEP_1)
	v_fmac_f32_e32 v15, v17, v2
	v_fma_f32 v1, -v1, v15, v16
	s_delay_alu instid0(VALU_DEP_1) | instskip(NEXT) | instid1(VALU_DEP_1)
	v_div_fmas_f32 v1, v1, v2, v15
	v_div_fixup_f32 v1, v1, v8, v7
	s_delay_alu instid0(VALU_DEP_1) | instskip(NEXT) | instid1(VALU_DEP_1)
	v_fma_f32 v2, v7, v1, v8
	v_div_scale_f32 v15, null, v2, v2, 1.0
	v_div_scale_f32 v18, vcc_lo, 1.0, v2, 1.0
	s_delay_alu instid0(VALU_DEP_2) | instskip(SKIP_2) | instid1(VALU_DEP_1)
	v_rcp_f32_e32 v16, v15
	s_waitcnt_depctr 0xfff
	v_fma_f32 v17, -v15, v16, 1.0
	v_fmac_f32_e32 v16, v17, v16
	s_delay_alu instid0(VALU_DEP_1) | instskip(NEXT) | instid1(VALU_DEP_1)
	v_mul_f32_e32 v17, v18, v16
	v_fma_f32 v19, -v15, v17, v18
	s_delay_alu instid0(VALU_DEP_1) | instskip(NEXT) | instid1(VALU_DEP_1)
	v_fmac_f32_e32 v17, v19, v16
	v_fma_f32 v15, -v15, v17, v18
	s_delay_alu instid0(VALU_DEP_1) | instskip(SKIP_1) | instid1(VALU_DEP_2)
	v_div_fmas_f32 v15, v15, v16, v17
	v_fma_f32 v16, v1, v5, v6
	v_div_fixup_f32 v2, v15, v2, 1.0
	v_fma_f32 v15, v1, v6, -v5
	s_delay_alu instid0(VALU_DEP_2) | instskip(NEXT) | instid1(VALU_DEP_2)
	v_mul_f32_e32 v1, v16, v2
	v_mul_f32_e32 v2, v15, v2
	s_cbranch_execz .LBB147_55
	s_branch .LBB147_56
.LBB147_54:                             ;   in Loop: Header=BB147_41 Depth=1
                                        ; implicit-def: $vgpr2
.LBB147_55:                             ;   in Loop: Header=BB147_41 Depth=1
	v_div_scale_f32 v1, null, v7, v7, v8
	v_div_scale_f32 v16, vcc_lo, v8, v7, v8
	s_delay_alu instid0(VALU_DEP_2) | instskip(SKIP_2) | instid1(VALU_DEP_1)
	v_rcp_f32_e32 v2, v1
	s_waitcnt_depctr 0xfff
	v_fma_f32 v15, -v1, v2, 1.0
	v_fmac_f32_e32 v2, v15, v2
	s_delay_alu instid0(VALU_DEP_1) | instskip(NEXT) | instid1(VALU_DEP_1)
	v_mul_f32_e32 v15, v16, v2
	v_fma_f32 v17, -v1, v15, v16
	s_delay_alu instid0(VALU_DEP_1) | instskip(NEXT) | instid1(VALU_DEP_1)
	v_fmac_f32_e32 v15, v17, v2
	v_fma_f32 v1, -v1, v15, v16
	s_delay_alu instid0(VALU_DEP_1) | instskip(NEXT) | instid1(VALU_DEP_1)
	v_div_fmas_f32 v1, v1, v2, v15
	v_div_fixup_f32 v1, v1, v7, v8
	s_delay_alu instid0(VALU_DEP_1) | instskip(NEXT) | instid1(VALU_DEP_1)
	v_fmac_f32_e32 v7, v8, v1
	v_div_scale_f32 v2, null, v7, v7, 1.0
	v_div_scale_f32 v16, vcc_lo, 1.0, v7, 1.0
	s_delay_alu instid0(VALU_DEP_2) | instskip(SKIP_2) | instid1(VALU_DEP_1)
	v_rcp_f32_e32 v8, v2
	s_waitcnt_depctr 0xfff
	v_fma_f32 v15, -v2, v8, 1.0
	v_fmac_f32_e32 v8, v15, v8
	s_delay_alu instid0(VALU_DEP_1) | instskip(NEXT) | instid1(VALU_DEP_1)
	v_mul_f32_e32 v15, v16, v8
	v_fma_f32 v17, -v2, v15, v16
	s_delay_alu instid0(VALU_DEP_1) | instskip(NEXT) | instid1(VALU_DEP_1)
	v_fmac_f32_e32 v15, v17, v8
	v_fma_f32 v2, -v2, v15, v16
	s_delay_alu instid0(VALU_DEP_1) | instskip(SKIP_2) | instid1(VALU_DEP_3)
	v_div_fmas_f32 v2, v2, v8, v15
	v_fma_f32 v8, v1, v6, v5
	v_fma_f32 v5, -v1, v5, v6
	v_div_fixup_f32 v2, v2, v7, 1.0
	s_delay_alu instid0(VALU_DEP_1) | instskip(NEXT) | instid1(VALU_DEP_3)
	v_mul_f32_e32 v1, v8, v2
	v_mul_f32_e32 v2, v5, v2
.LBB147_56:                             ;   in Loop: Header=BB147_41 Depth=1
	s_add_i32 s6, s6, s5
	v_mov_b32_e32 v5, s9
	s_lshl_b32 s6, s6, 3
	v_mov_b32_e32 v15, s7
	v_mov_b32_e32 v17, s6
	ds_load_2addr_b64 v[5:8], v5 offset0:3 offset1:39
	ds_load_b64 v[15:16], v15 offset:24
	ds_load_b64 v[17:18], v17 offset:24
	ds_store_b64 v14, v[1:2]
	s_waitcnt lgkmcnt(3)
	v_cmp_gt_f32_e32 vcc_lo, 0, v7
	s_waitcnt lgkmcnt(2)
	v_mul_f32_e32 v20, v12, v16
	v_dual_mul_f32 v16, v11, v16 :: v_dual_mul_f32 v19, v10, v6
	v_mul_f32_e32 v6, v9, v6
	v_cndmask_b32_e64 v21, v7, -v7, vcc_lo
	v_cmp_gt_f32_e32 vcc_lo, 0, v8
	s_delay_alu instid0(VALU_DEP_4)
	v_fmac_f32_e32 v16, v12, v15
	v_fma_f32 v9, v9, v5, -v19
	s_waitcnt lgkmcnt(1)
	v_dual_fmac_f32 v6, v10, v5 :: v_dual_mul_f32 v5, v1, v18
	v_mul_f32_e32 v22, v2, v18
	v_fma_f32 v10, v11, v15, -v20
	s_delay_alu instid0(VALU_DEP_3) | instskip(NEXT) | instid1(VALU_DEP_4)
	v_dual_sub_f32 v3, v3, v9 :: v_dual_sub_f32 v4, v4, v6
	v_fmac_f32_e32 v5, v2, v17
	v_cndmask_b32_e64 v6, v8, -v8, vcc_lo
	v_fma_f32 v9, v1, v17, -v22
	s_delay_alu instid0(VALU_DEP_4) | instskip(NEXT) | instid1(VALU_DEP_3)
	v_dual_sub_f32 v3, v3, v10 :: v_dual_sub_f32 v4, v4, v16
	v_cmp_ngt_f32_e32 vcc_lo, v21, v6
	s_delay_alu instid0(VALU_DEP_2) | instskip(NEXT) | instid1(VALU_DEP_3)
	v_sub_f32_e32 v3, v3, v9
	v_sub_f32_e32 v4, v4, v5
	s_cbranch_vccz .LBB147_58
; %bb.57:                               ;   in Loop: Header=BB147_41 Depth=1
	v_div_scale_f32 v1, null, v8, v8, v7
	v_div_scale_f32 v6, vcc_lo, v7, v8, v7
	s_delay_alu instid0(VALU_DEP_2) | instskip(SKIP_2) | instid1(VALU_DEP_1)
	v_rcp_f32_e32 v2, v1
	s_waitcnt_depctr 0xfff
	v_fma_f32 v5, -v1, v2, 1.0
	v_fmac_f32_e32 v2, v5, v2
	s_delay_alu instid0(VALU_DEP_1) | instskip(NEXT) | instid1(VALU_DEP_1)
	v_mul_f32_e32 v5, v6, v2
	v_fma_f32 v9, -v1, v5, v6
	s_delay_alu instid0(VALU_DEP_1) | instskip(NEXT) | instid1(VALU_DEP_1)
	v_fmac_f32_e32 v5, v9, v2
	v_fma_f32 v1, -v1, v5, v6
	s_delay_alu instid0(VALU_DEP_1) | instskip(NEXT) | instid1(VALU_DEP_1)
	v_div_fmas_f32 v1, v1, v2, v5
	v_div_fixup_f32 v1, v1, v8, v7
	s_delay_alu instid0(VALU_DEP_1) | instskip(NEXT) | instid1(VALU_DEP_1)
	v_fma_f32 v2, v7, v1, v8
	v_div_scale_f32 v5, null, v2, v2, 1.0
	v_div_scale_f32 v10, vcc_lo, 1.0, v2, 1.0
	s_delay_alu instid0(VALU_DEP_2) | instskip(SKIP_2) | instid1(VALU_DEP_1)
	v_rcp_f32_e32 v6, v5
	s_waitcnt_depctr 0xfff
	v_fma_f32 v9, -v5, v6, 1.0
	v_fmac_f32_e32 v6, v9, v6
	s_delay_alu instid0(VALU_DEP_1) | instskip(NEXT) | instid1(VALU_DEP_1)
	v_mul_f32_e32 v9, v10, v6
	v_fma_f32 v11, -v5, v9, v10
	s_delay_alu instid0(VALU_DEP_1) | instskip(NEXT) | instid1(VALU_DEP_1)
	v_fmac_f32_e32 v9, v11, v6
	v_fma_f32 v5, -v5, v9, v10
	s_delay_alu instid0(VALU_DEP_1) | instskip(SKIP_1) | instid1(VALU_DEP_2)
	v_div_fmas_f32 v5, v5, v6, v9
	v_fma_f32 v6, v1, v3, v4
	v_div_fixup_f32 v2, v5, v2, 1.0
	v_fma_f32 v5, v1, v4, -v3
	s_delay_alu instid0(VALU_DEP_2) | instskip(NEXT) | instid1(VALU_DEP_2)
	v_mul_f32_e32 v1, v6, v2
	v_mul_f32_e32 v2, v5, v2
	s_cbranch_execz .LBB147_59
	s_branch .LBB147_60
.LBB147_58:                             ;   in Loop: Header=BB147_41 Depth=1
                                        ; implicit-def: $vgpr2
.LBB147_59:                             ;   in Loop: Header=BB147_41 Depth=1
	v_div_scale_f32 v1, null, v7, v7, v8
	v_div_scale_f32 v6, vcc_lo, v8, v7, v8
	s_delay_alu instid0(VALU_DEP_2) | instskip(SKIP_2) | instid1(VALU_DEP_1)
	v_rcp_f32_e32 v2, v1
	s_waitcnt_depctr 0xfff
	v_fma_f32 v5, -v1, v2, 1.0
	v_fmac_f32_e32 v2, v5, v2
	s_delay_alu instid0(VALU_DEP_1) | instskip(NEXT) | instid1(VALU_DEP_1)
	v_mul_f32_e32 v5, v6, v2
	v_fma_f32 v9, -v1, v5, v6
	s_delay_alu instid0(VALU_DEP_1) | instskip(NEXT) | instid1(VALU_DEP_1)
	v_fmac_f32_e32 v5, v9, v2
	v_fma_f32 v1, -v1, v5, v6
	s_delay_alu instid0(VALU_DEP_1) | instskip(NEXT) | instid1(VALU_DEP_1)
	v_div_fmas_f32 v1, v1, v2, v5
	v_div_fixup_f32 v1, v1, v7, v8
	s_delay_alu instid0(VALU_DEP_1) | instskip(NEXT) | instid1(VALU_DEP_1)
	v_fmac_f32_e32 v7, v8, v1
	v_div_scale_f32 v2, null, v7, v7, 1.0
	v_div_scale_f32 v8, vcc_lo, 1.0, v7, 1.0
	s_delay_alu instid0(VALU_DEP_2) | instskip(SKIP_2) | instid1(VALU_DEP_1)
	v_rcp_f32_e32 v5, v2
	s_waitcnt_depctr 0xfff
	v_fma_f32 v6, -v2, v5, 1.0
	v_fmac_f32_e32 v5, v6, v5
	s_delay_alu instid0(VALU_DEP_1) | instskip(NEXT) | instid1(VALU_DEP_1)
	v_mul_f32_e32 v6, v8, v5
	v_fma_f32 v9, -v2, v6, v8
	s_delay_alu instid0(VALU_DEP_1) | instskip(NEXT) | instid1(VALU_DEP_1)
	v_fmac_f32_e32 v6, v9, v5
	v_fma_f32 v2, -v2, v6, v8
	s_delay_alu instid0(VALU_DEP_1) | instskip(SKIP_2) | instid1(VALU_DEP_3)
	v_div_fmas_f32 v2, v2, v5, v6
	v_fma_f32 v5, v1, v4, v3
	v_fma_f32 v3, -v1, v3, v4
	v_div_fixup_f32 v2, v2, v7, 1.0
	s_delay_alu instid0(VALU_DEP_1) | instskip(NEXT) | instid1(VALU_DEP_3)
	v_mul_f32_e32 v1, v5, v2
	v_mul_f32_e32 v2, v3, v2
.LBB147_60:                             ;   in Loop: Header=BB147_41 Depth=1
	s_add_i32 s6, s5, 4
	s_add_i32 s5, s5, 7
	;; [unrolled: 1-line block ×3, first 2 shown]
	s_cmp_ge_i32 s5, s11
	ds_store_b64 v14, v[1:2] offset:96
	s_cbranch_scc1 .LBB147_62
; %bb.61:                               ;   in Loop: Header=BB147_41 Depth=1
	s_mov_b32 s5, s6
	s_branch .LBB147_41
.LBB147_62:
	s_cmp_ge_i32 s6, s11
	s_cbranch_scc1 .LBB147_77
; %bb.63:
	v_lshl_or_b32 v7, v0, 3, 0x480
	s_add_i32 s4, s6, -1
	s_lshl_b32 s5, s6, 3
	s_mov_b32 s7, 0
	s_mov_b32 s9, s6
	s_branch .LBB147_65
.LBB147_64:                             ;   in Loop: Header=BB147_65 Depth=1
	v_add_nc_u16 v1, s9, 1
	s_add_i32 s6, s6, 1
	s_add_i32 s7, s7, 1
	s_add_i32 s5, s5, 8
	s_cmp_ge_i32 s6, s11
	v_readfirstlane_b32 s9, v1
	ds_store_b64 v8, v[5:6]
	s_cbranch_scc1 .LBB147_77
.LBB147_65:                             ; =>This Loop Header: Depth=1
                                        ;     Child Loop BB147_68 Depth 2
                                        ;     Child Loop BB147_72 Depth 2
	s_mul_i32 s10, s6, 12
	s_cmp_eq_u32 s6, 0
	v_add_lshl_u32 v3, s10, v0, 3
	ds_load_b64 v[1:2], v3 offset:1152
	s_cbranch_scc1 .LBB147_73
; %bb.66:                               ;   in Loop: Header=BB147_65 Depth=1
	s_add_i32 s10, s4, s7
	s_delay_alu instid0(SALU_CYCLE_1)
	s_cmp_lt_u32 s10, 3
	s_cbranch_scc1 .LBB147_70
; %bb.67:                               ;   in Loop: Header=BB147_65 Depth=1
	v_mov_b32_e32 v4, v7
	s_and_b32 s10, s6, -4
	s_mov_b32 s14, 0
	s_mov_b32 s15, s5
	s_set_inst_prefetch_distance 0x1
	.p2align	6
.LBB147_68:                             ;   Parent Loop BB147_65 Depth=1
                                        ; =>  This Inner Loop Header: Depth=2
	v_mov_b32_e32 v5, s15
	s_add_i32 s14, s14, 4
	s_addk_i32 s15, 0x180
	s_cmp_eq_u32 s10, s14
	ds_load_2addr_b64 v[8:11], v4 offset1:12
	ds_load_2addr_b64 v[12:15], v5 offset1:12
	ds_load_2addr_b64 v[16:19], v4 offset0:24 offset1:36
	ds_load_2addr_b64 v[20:23], v5 offset0:24 offset1:36
	v_add_nc_u32_e32 v4, 0x180, v4
	s_waitcnt lgkmcnt(2)
	v_mul_f32_e32 v6, v12, v9
	v_mul_f32_e32 v5, v13, v9
	s_waitcnt lgkmcnt(0)
	v_dual_mul_f32 v9, v15, v11 :: v_dual_mul_f32 v24, v21, v17
	s_delay_alu instid0(VALU_DEP_3) | instskip(SKIP_2) | instid1(VALU_DEP_4)
	v_dual_mul_f32 v11, v14, v11 :: v_dual_fmac_f32 v6, v13, v8
	v_mul_f32_e32 v17, v20, v17
	v_fma_f32 v5, v12, v8, -v5
	v_fma_f32 v9, v14, v10, -v9
	v_mul_f32_e32 v8, v23, v19
	s_delay_alu instid0(VALU_DEP_4)
	v_dual_sub_f32 v2, v2, v6 :: v_dual_fmac_f32 v17, v21, v16
	v_fmac_f32_e32 v11, v15, v10
	v_sub_f32_e32 v1, v1, v5
	v_mul_f32_e32 v5, v22, v19
	v_fma_f32 v6, v20, v16, -v24
	v_fma_f32 v8, v22, v18, -v8
	s_delay_alu instid0(VALU_DEP_4) | instskip(NEXT) | instid1(VALU_DEP_1)
	v_dual_sub_f32 v2, v2, v11 :: v_dual_sub_f32 v1, v1, v9
	v_dual_fmac_f32 v5, v23, v18 :: v_dual_sub_f32 v2, v2, v17
	s_delay_alu instid0(VALU_DEP_1) | instskip(NEXT) | instid1(VALU_DEP_1)
	v_dual_sub_f32 v1, v1, v6 :: v_dual_sub_f32 v2, v2, v5
	v_sub_f32_e32 v1, v1, v8
	s_cbranch_scc0 .LBB147_68
; %bb.69:                               ;   in Loop: Header=BB147_65 Depth=1
	s_set_inst_prefetch_distance 0x2
	s_and_b32 s14, s6, 3
	s_delay_alu instid0(SALU_CYCLE_1)
	s_cmp_eq_u32 s14, 0
	s_cbranch_scc0 .LBB147_71
	s_branch .LBB147_73
.LBB147_70:                             ;   in Loop: Header=BB147_65 Depth=1
	s_mov_b32 s10, 0
	s_and_b32 s14, s6, 3
	s_delay_alu instid0(SALU_CYCLE_1)
	s_cmp_eq_u32 s14, 0
	s_cbranch_scc1 .LBB147_73
.LBB147_71:                             ;   in Loop: Header=BB147_65 Depth=1
	s_and_b32 s14, s9, 3
	s_mulk_i32 s10, 0x60
	.p2align	6
.LBB147_72:                             ;   Parent Loop BB147_65 Depth=1
                                        ; =>  This Inner Loop Header: Depth=2
	s_delay_alu instid0(SALU_CYCLE_1)
	s_add_i32 s15, s5, s10
	v_add_nc_u32_e32 v4, s10, v7
	v_mov_b32_e32 v6, s15
	s_add_i32 s14, s14, -1
	s_addk_i32 s10, 0x60
	s_cmp_lg_u32 s14, 0
	ds_load_b64 v[4:5], v4
	ds_load_b64 v[8:9], v6
	s_waitcnt lgkmcnt(0)
	v_mul_f32_e32 v6, v9, v5
	v_mul_f32_e32 v5, v8, v5
	s_delay_alu instid0(VALU_DEP_2) | instskip(NEXT) | instid1(VALU_DEP_2)
	v_fma_f32 v6, v8, v4, -v6
	v_fmac_f32_e32 v5, v9, v4
	s_delay_alu instid0(VALU_DEP_1)
	v_dual_sub_f32 v1, v1, v6 :: v_dual_sub_f32 v2, v2, v5
	s_cbranch_scc1 .LBB147_72
.LBB147_73:                             ;   in Loop: Header=BB147_65 Depth=1
	s_mul_i32 s10, s6, 0x68
	s_delay_alu instid0(SALU_CYCLE_1)
	v_dual_mov_b32 v3, s10 :: v_dual_add_nc_u32 v8, 0x480, v3
	ds_load_b64 v[3:4], v3
	s_waitcnt lgkmcnt(0)
	v_cmp_gt_f32_e32 vcc_lo, 0, v3
	v_cndmask_b32_e64 v5, v3, -v3, vcc_lo
	v_cmp_gt_f32_e32 vcc_lo, 0, v4
	v_cndmask_b32_e64 v6, v4, -v4, vcc_lo
	s_delay_alu instid0(VALU_DEP_1)
	v_cmp_ngt_f32_e32 vcc_lo, v5, v6
	s_cbranch_vccz .LBB147_75
; %bb.74:                               ;   in Loop: Header=BB147_65 Depth=1
	v_div_scale_f32 v5, null, v4, v4, v3
	v_div_scale_f32 v10, vcc_lo, v3, v4, v3
	s_delay_alu instid0(VALU_DEP_2) | instskip(SKIP_2) | instid1(VALU_DEP_1)
	v_rcp_f32_e32 v6, v5
	s_waitcnt_depctr 0xfff
	v_fma_f32 v9, -v5, v6, 1.0
	v_fmac_f32_e32 v6, v9, v6
	s_delay_alu instid0(VALU_DEP_1) | instskip(NEXT) | instid1(VALU_DEP_1)
	v_mul_f32_e32 v9, v10, v6
	v_fma_f32 v11, -v5, v9, v10
	s_delay_alu instid0(VALU_DEP_1) | instskip(NEXT) | instid1(VALU_DEP_1)
	v_fmac_f32_e32 v9, v11, v6
	v_fma_f32 v5, -v5, v9, v10
	s_delay_alu instid0(VALU_DEP_1) | instskip(NEXT) | instid1(VALU_DEP_1)
	v_div_fmas_f32 v5, v5, v6, v9
	v_div_fixup_f32 v5, v5, v4, v3
	s_delay_alu instid0(VALU_DEP_1) | instskip(NEXT) | instid1(VALU_DEP_1)
	v_fma_f32 v6, v3, v5, v4
	v_div_scale_f32 v9, null, v6, v6, 1.0
	v_div_scale_f32 v12, vcc_lo, 1.0, v6, 1.0
	s_delay_alu instid0(VALU_DEP_2) | instskip(SKIP_2) | instid1(VALU_DEP_1)
	v_rcp_f32_e32 v10, v9
	s_waitcnt_depctr 0xfff
	v_fma_f32 v11, -v9, v10, 1.0
	v_fmac_f32_e32 v10, v11, v10
	s_delay_alu instid0(VALU_DEP_1) | instskip(NEXT) | instid1(VALU_DEP_1)
	v_mul_f32_e32 v11, v12, v10
	v_fma_f32 v13, -v9, v11, v12
	s_delay_alu instid0(VALU_DEP_1) | instskip(NEXT) | instid1(VALU_DEP_1)
	v_fmac_f32_e32 v11, v13, v10
	v_fma_f32 v9, -v9, v11, v12
	s_delay_alu instid0(VALU_DEP_1) | instskip(SKIP_1) | instid1(VALU_DEP_2)
	v_div_fmas_f32 v9, v9, v10, v11
	v_fma_f32 v10, v1, v5, v2
	v_div_fixup_f32 v6, v9, v6, 1.0
	v_fma_f32 v9, v2, v5, -v1
	s_delay_alu instid0(VALU_DEP_2) | instskip(NEXT) | instid1(VALU_DEP_2)
	v_mul_f32_e32 v5, v10, v6
	v_mul_f32_e32 v6, v9, v6
	s_cbranch_execnz .LBB147_64
	s_branch .LBB147_76
.LBB147_75:                             ;   in Loop: Header=BB147_65 Depth=1
                                        ; implicit-def: $vgpr5
.LBB147_76:                             ;   in Loop: Header=BB147_65 Depth=1
	v_div_scale_f32 v5, null, v3, v3, v4
	v_div_scale_f32 v10, vcc_lo, v4, v3, v4
	s_delay_alu instid0(VALU_DEP_2) | instskip(SKIP_2) | instid1(VALU_DEP_1)
	v_rcp_f32_e32 v6, v5
	s_waitcnt_depctr 0xfff
	v_fma_f32 v9, -v5, v6, 1.0
	v_fmac_f32_e32 v6, v9, v6
	s_delay_alu instid0(VALU_DEP_1) | instskip(NEXT) | instid1(VALU_DEP_1)
	v_mul_f32_e32 v9, v10, v6
	v_fma_f32 v11, -v5, v9, v10
	s_delay_alu instid0(VALU_DEP_1) | instskip(NEXT) | instid1(VALU_DEP_1)
	v_fmac_f32_e32 v9, v11, v6
	v_fma_f32 v5, -v5, v9, v10
	s_delay_alu instid0(VALU_DEP_1) | instskip(NEXT) | instid1(VALU_DEP_1)
	v_div_fmas_f32 v5, v5, v6, v9
	v_div_fixup_f32 v5, v5, v3, v4
	s_delay_alu instid0(VALU_DEP_1) | instskip(NEXT) | instid1(VALU_DEP_1)
	v_fmac_f32_e32 v3, v4, v5
	v_div_scale_f32 v4, null, v3, v3, 1.0
	v_div_scale_f32 v10, vcc_lo, 1.0, v3, 1.0
	s_delay_alu instid0(VALU_DEP_2) | instskip(SKIP_2) | instid1(VALU_DEP_1)
	v_rcp_f32_e32 v6, v4
	s_waitcnt_depctr 0xfff
	v_fma_f32 v9, -v4, v6, 1.0
	v_fmac_f32_e32 v6, v9, v6
	s_delay_alu instid0(VALU_DEP_1) | instskip(NEXT) | instid1(VALU_DEP_1)
	v_mul_f32_e32 v9, v10, v6
	v_fma_f32 v11, -v4, v9, v10
	s_delay_alu instid0(VALU_DEP_1) | instskip(NEXT) | instid1(VALU_DEP_1)
	v_fmac_f32_e32 v9, v11, v6
	v_fma_f32 v4, -v4, v9, v10
	s_delay_alu instid0(VALU_DEP_1) | instskip(SKIP_2) | instid1(VALU_DEP_3)
	v_div_fmas_f32 v4, v4, v6, v9
	v_fma_f32 v6, v2, v5, v1
	v_fma_f32 v1, -v1, v5, v2
	v_div_fixup_f32 v3, v4, v3, 1.0
	s_delay_alu instid0(VALU_DEP_1) | instskip(NEXT) | instid1(VALU_DEP_3)
	v_mul_f32_e32 v5, v6, v3
	v_mul_f32_e32 v6, v1, v3
	s_branch .LBB147_64
.LBB147_77:
	s_mov_b32 s4, 0
.LBB147_78:
	s_delay_alu instid0(SALU_CYCLE_1)
	s_and_b32 vcc_lo, exec_lo, s4
	s_cbranch_vccz .LBB147_110
; %bb.79:
	s_and_not1_b32 vcc_lo, exec_lo, s1
	s_mov_b32 s6, s30
	s_cbranch_vccnz .LBB147_101
; %bb.80:
	v_lshlrev_b32_e32 v1, 3, v0
	s_mul_i32 s4, s11, 0x60
	s_mov_b32 s5, s30
	s_delay_alu instid0(VALU_DEP_1) | instskip(SKIP_1) | instid1(SALU_CYCLE_1)
	v_add3_u32 v13, s4, v1, 0x3c0
	s_mul_i32 s4, s11, 0x68
	s_addk_i32 s4, 0xff20
.LBB147_81:                             ; =>This Loop Header: Depth=1
                                        ;     Child Loop BB147_82 Depth 2
	s_mul_i32 s9, s5, 12
	s_delay_alu instid0(VALU_DEP_1)
	v_mov_b32_e32 v12, v13
	s_add_i32 s7, s9, -12
	v_add_lshl_u32 v5, s9, v0, 3
	s_sub_i32 s6, s9, 24
	v_add_lshl_u32 v11, s7, v0, 3
	v_add_lshl_u32 v6, s6, v0, 3
	s_cmp_le_i32 s30, s5
	ds_load_b64 v[9:10], v5 offset:1152
	ds_load_b64 v[7:8], v11 offset:1152
	ds_load_2addr_b64 v[1:4], v6 offset0:132 offset1:144
	s_mov_b32 s10, s4
	s_mov_b32 s14, s30
	s_cbranch_scc1 .LBB147_83
.LBB147_82:                             ;   Parent Loop BB147_81 Depth=1
                                        ; =>  This Inner Loop Header: Depth=2
	ds_load_2addr_b64 v[14:17], v12 offset1:12
	v_mov_b32_e32 v30, s10
	s_add_i32 s14, s14, -2
	s_addk_i32 s10, 0xff40
	s_cmp_le_i32 s14, s5
	ds_load_2addr_b64 v[18:21], v30 offset0:14 offset1:15
	ds_load_2addr_b64 v[22:25], v30 offset0:12 offset1:13
	;; [unrolled: 1-line block ×3, first 2 shown]
	ds_load_2addr_b64 v[30:33], v30 offset1:1
	s_waitcnt lgkmcnt(3)
	v_dual_mul_f32 v35, v20, v17 :: v_dual_add_nc_u32 v12, 0xffffff40, v12
	s_waitcnt lgkmcnt(2)
	v_mul_f32_e32 v37, v25, v17
	s_waitcnt lgkmcnt(1)
	v_dual_mul_f32 v38, v23, v17 :: v_dual_mul_f32 v39, v29, v15
	v_dual_mul_f32 v23, v23, v16 :: v_dual_mul_f32 v40, v28, v15
	;; [unrolled: 1-line block ×3, first 2 shown]
	v_mul_f32_e32 v41, v27, v15
	s_delay_alu instid0(VALU_DEP_3) | instskip(SKIP_3) | instid1(VALU_DEP_3)
	v_dual_fmac_f32 v23, v22, v17 :: v_dual_fmac_f32 v40, v29, v14
	v_fmac_f32_e32 v35, v21, v16
	s_waitcnt lgkmcnt(0)
	v_dual_mul_f32 v27, v27, v14 :: v_dual_mul_f32 v42, v33, v15
	v_dual_sub_f32 v2, v2, v23 :: v_dual_mul_f32 v33, v33, v14
	s_delay_alu instid0(VALU_DEP_3) | instskip(SKIP_1) | instid1(VALU_DEP_2)
	v_dual_sub_f32 v10, v10, v35 :: v_dual_fmac_f32 v25, v24, v17
	v_dual_mul_f32 v34, v21, v17 :: v_dual_mul_f32 v19, v19, v16
	v_dual_fmac_f32 v33, v32, v15 :: v_dual_sub_f32 v10, v10, v40
	s_delay_alu instid0(VALU_DEP_3) | instskip(NEXT) | instid1(VALU_DEP_3)
	v_dual_mul_f32 v43, v31, v15 :: v_dual_sub_f32 v4, v4, v25
	v_fma_f32 v20, v20, v16, -v34
	v_fma_f32 v21, v18, v16, -v36
	s_delay_alu instid0(VALU_DEP_3)
	v_dual_fmac_f32 v27, v26, v15 :: v_dual_sub_f32 v4, v4, v33
	v_fmac_f32_e32 v19, v18, v17
	v_mul_f32_e32 v31, v31, v14
	v_fma_f32 v18, v24, v16, -v37
	v_fma_f32 v16, v22, v16, -v38
	;; [unrolled: 1-line block ×3, first 2 shown]
	v_sub_f32_e32 v8, v8, v19
	v_fma_f32 v22, v26, v14, -v41
	v_fma_f32 v24, v32, v14, -v42
	;; [unrolled: 1-line block ×3, first 2 shown]
	v_fmac_f32_e32 v31, v30, v15
	v_sub_f32_e32 v9, v9, v20
	v_sub_f32_e32 v7, v7, v21
	;; [unrolled: 1-line block ×3, first 2 shown]
	s_delay_alu instid0(VALU_DEP_4) | instskip(NEXT) | instid1(VALU_DEP_4)
	v_dual_sub_f32 v1, v1, v16 :: v_dual_sub_f32 v2, v2, v31
	v_sub_f32_e32 v9, v9, v17
	s_delay_alu instid0(VALU_DEP_4) | instskip(NEXT) | instid1(VALU_DEP_4)
	v_dual_sub_f32 v7, v7, v22 :: v_dual_sub_f32 v8, v8, v27
	v_sub_f32_e32 v3, v3, v24
	s_delay_alu instid0(VALU_DEP_4)
	v_sub_f32_e32 v1, v1, v14
	s_cbranch_scc0 .LBB147_82
.LBB147_83:                             ;   in Loop: Header=BB147_81 Depth=1
	s_mul_i32 s10, s5, 0x68
	v_add_nc_u32_e32 v17, 0x480, v5
	v_dual_mov_b32 v5, s10 :: v_dual_add_nc_u32 v16, 0x480, v11
	v_add_nc_u32_e32 v15, 0x480, v6
	v_add_nc_u32_e32 v14, 0x420, v6
	ds_load_b64 v[11:12], v5
	s_waitcnt lgkmcnt(0)
	v_cmp_gt_f32_e32 vcc_lo, 0, v11
	v_cndmask_b32_e64 v5, v11, -v11, vcc_lo
	v_cmp_gt_f32_e32 vcc_lo, 0, v12
	v_cndmask_b32_e64 v6, v12, -v12, vcc_lo
	s_delay_alu instid0(VALU_DEP_1)
	v_cmp_ngt_f32_e32 vcc_lo, v5, v6
	s_cbranch_vccz .LBB147_85
; %bb.84:                               ;   in Loop: Header=BB147_81 Depth=1
	v_div_scale_f32 v5, null, v12, v12, v11
	v_div_scale_f32 v19, vcc_lo, v11, v12, v11
	s_delay_alu instid0(VALU_DEP_2) | instskip(SKIP_2) | instid1(VALU_DEP_1)
	v_rcp_f32_e32 v6, v5
	s_waitcnt_depctr 0xfff
	v_fma_f32 v18, -v5, v6, 1.0
	v_fmac_f32_e32 v6, v18, v6
	s_delay_alu instid0(VALU_DEP_1) | instskip(NEXT) | instid1(VALU_DEP_1)
	v_mul_f32_e32 v18, v19, v6
	v_fma_f32 v20, -v5, v18, v19
	s_delay_alu instid0(VALU_DEP_1) | instskip(NEXT) | instid1(VALU_DEP_1)
	v_fmac_f32_e32 v18, v20, v6
	v_fma_f32 v5, -v5, v18, v19
	s_delay_alu instid0(VALU_DEP_1) | instskip(NEXT) | instid1(VALU_DEP_1)
	v_div_fmas_f32 v5, v5, v6, v18
	v_div_fixup_f32 v5, v5, v12, v11
	s_delay_alu instid0(VALU_DEP_1) | instskip(NEXT) | instid1(VALU_DEP_1)
	v_fma_f32 v6, v11, v5, v12
	v_div_scale_f32 v18, null, v6, v6, 1.0
	v_div_scale_f32 v21, vcc_lo, 1.0, v6, 1.0
	s_delay_alu instid0(VALU_DEP_2) | instskip(SKIP_2) | instid1(VALU_DEP_1)
	v_rcp_f32_e32 v19, v18
	s_waitcnt_depctr 0xfff
	v_fma_f32 v20, -v18, v19, 1.0
	v_fmac_f32_e32 v19, v20, v19
	s_delay_alu instid0(VALU_DEP_1) | instskip(NEXT) | instid1(VALU_DEP_1)
	v_mul_f32_e32 v20, v21, v19
	v_fma_f32 v22, -v18, v20, v21
	s_delay_alu instid0(VALU_DEP_1) | instskip(NEXT) | instid1(VALU_DEP_1)
	v_fmac_f32_e32 v20, v22, v19
	v_fma_f32 v18, -v18, v20, v21
	s_delay_alu instid0(VALU_DEP_1) | instskip(SKIP_1) | instid1(VALU_DEP_2)
	v_div_fmas_f32 v18, v18, v19, v20
	v_fma_f32 v19, v9, v5, v10
	v_div_fixup_f32 v6, v18, v6, 1.0
	v_fma_f32 v18, v10, v5, -v9
	s_delay_alu instid0(VALU_DEP_2) | instskip(NEXT) | instid1(VALU_DEP_2)
	v_mul_f32_e32 v5, v19, v6
	v_mul_f32_e32 v6, v18, v6
	s_cbranch_execz .LBB147_86
	s_branch .LBB147_87
.LBB147_85:                             ;   in Loop: Header=BB147_81 Depth=1
                                        ; implicit-def: $vgpr6
.LBB147_86:                             ;   in Loop: Header=BB147_81 Depth=1
	v_div_scale_f32 v5, null, v11, v11, v12
	v_div_scale_f32 v19, vcc_lo, v12, v11, v12
	s_delay_alu instid0(VALU_DEP_2) | instskip(SKIP_2) | instid1(VALU_DEP_1)
	v_rcp_f32_e32 v6, v5
	s_waitcnt_depctr 0xfff
	v_fma_f32 v18, -v5, v6, 1.0
	v_fmac_f32_e32 v6, v18, v6
	s_delay_alu instid0(VALU_DEP_1) | instskip(NEXT) | instid1(VALU_DEP_1)
	v_mul_f32_e32 v18, v19, v6
	v_fma_f32 v20, -v5, v18, v19
	s_delay_alu instid0(VALU_DEP_1) | instskip(NEXT) | instid1(VALU_DEP_1)
	v_fmac_f32_e32 v18, v20, v6
	v_fma_f32 v5, -v5, v18, v19
	s_delay_alu instid0(VALU_DEP_1) | instskip(NEXT) | instid1(VALU_DEP_1)
	v_div_fmas_f32 v5, v5, v6, v18
	v_div_fixup_f32 v5, v5, v11, v12
	s_delay_alu instid0(VALU_DEP_1) | instskip(NEXT) | instid1(VALU_DEP_1)
	v_fmac_f32_e32 v11, v12, v5
	v_div_scale_f32 v6, null, v11, v11, 1.0
	v_div_scale_f32 v19, vcc_lo, 1.0, v11, 1.0
	s_delay_alu instid0(VALU_DEP_2) | instskip(SKIP_2) | instid1(VALU_DEP_1)
	v_rcp_f32_e32 v12, v6
	s_waitcnt_depctr 0xfff
	v_fma_f32 v18, -v6, v12, 1.0
	v_fmac_f32_e32 v12, v18, v12
	s_delay_alu instid0(VALU_DEP_1) | instskip(NEXT) | instid1(VALU_DEP_1)
	v_mul_f32_e32 v18, v19, v12
	v_fma_f32 v20, -v6, v18, v19
	s_delay_alu instid0(VALU_DEP_1) | instskip(NEXT) | instid1(VALU_DEP_1)
	v_fmac_f32_e32 v18, v20, v12
	v_fma_f32 v6, -v6, v18, v19
	s_delay_alu instid0(VALU_DEP_1) | instskip(SKIP_2) | instid1(VALU_DEP_3)
	v_div_fmas_f32 v6, v6, v12, v18
	v_fma_f32 v12, v10, v5, v9
	v_fma_f32 v9, -v9, v5, v10
	v_div_fixup_f32 v6, v6, v11, 1.0
	s_delay_alu instid0(VALU_DEP_1) | instskip(NEXT) | instid1(VALU_DEP_3)
	v_mul_f32_e32 v5, v12, v6
	v_mul_f32_e32 v6, v9, v6
.LBB147_87:                             ;   in Loop: Header=BB147_81 Depth=1
	s_add_i32 s14, s5, s9
	s_addk_i32 s10, 0xff98
	s_lshl_b32 s14, s14, 3
	v_mov_b32_e32 v10, s10
	s_add_i32 s14, s14, -8
	s_delay_alu instid0(SALU_CYCLE_1)
	v_mov_b32_e32 v9, s14
	ds_load_b64 v[11:12], v9
	ds_load_b64 v[9:10], v10
	ds_store_b64 v17, v[5:6]
	s_waitcnt lgkmcnt(2)
	v_mul_f32_e32 v18, v6, v12
	s_waitcnt lgkmcnt(1)
	v_cmp_gt_f32_e32 vcc_lo, 0, v9
	s_delay_alu instid0(VALU_DEP_2) | instskip(SKIP_4) | instid1(VALU_DEP_2)
	v_fma_f32 v18, v5, v11, -v18
	v_cndmask_b32_e64 v19, v9, -v9, vcc_lo
	v_cmp_gt_f32_e32 vcc_lo, 0, v10
	v_mul_f32_e32 v12, v5, v12
	v_cndmask_b32_e64 v20, v10, -v10, vcc_lo
	v_dual_fmac_f32 v12, v6, v11 :: v_dual_sub_f32 v11, v7, v18
	s_delay_alu instid0(VALU_DEP_2) | instskip(NEXT) | instid1(VALU_DEP_2)
	v_cmp_ngt_f32_e32 vcc_lo, v19, v20
	v_sub_f32_e32 v12, v8, v12
	s_cbranch_vccz .LBB147_89
; %bb.88:                               ;   in Loop: Header=BB147_81 Depth=1
	v_div_scale_f32 v7, null, v10, v10, v9
	v_div_scale_f32 v18, vcc_lo, v9, v10, v9
	s_delay_alu instid0(VALU_DEP_2) | instskip(SKIP_2) | instid1(VALU_DEP_1)
	v_rcp_f32_e32 v8, v7
	s_waitcnt_depctr 0xfff
	v_fma_f32 v17, -v7, v8, 1.0
	v_fmac_f32_e32 v8, v17, v8
	s_delay_alu instid0(VALU_DEP_1) | instskip(NEXT) | instid1(VALU_DEP_1)
	v_mul_f32_e32 v17, v18, v8
	v_fma_f32 v19, -v7, v17, v18
	s_delay_alu instid0(VALU_DEP_1) | instskip(NEXT) | instid1(VALU_DEP_1)
	v_fmac_f32_e32 v17, v19, v8
	v_fma_f32 v7, -v7, v17, v18
	s_delay_alu instid0(VALU_DEP_1) | instskip(NEXT) | instid1(VALU_DEP_1)
	v_div_fmas_f32 v7, v7, v8, v17
	v_div_fixup_f32 v7, v7, v10, v9
	s_delay_alu instid0(VALU_DEP_1) | instskip(NEXT) | instid1(VALU_DEP_1)
	v_fma_f32 v8, v9, v7, v10
	v_div_scale_f32 v17, null, v8, v8, 1.0
	v_div_scale_f32 v20, vcc_lo, 1.0, v8, 1.0
	s_delay_alu instid0(VALU_DEP_2) | instskip(SKIP_2) | instid1(VALU_DEP_1)
	v_rcp_f32_e32 v18, v17
	s_waitcnt_depctr 0xfff
	v_fma_f32 v19, -v17, v18, 1.0
	v_fmac_f32_e32 v18, v19, v18
	s_delay_alu instid0(VALU_DEP_1) | instskip(NEXT) | instid1(VALU_DEP_1)
	v_mul_f32_e32 v19, v20, v18
	v_fma_f32 v21, -v17, v19, v20
	s_delay_alu instid0(VALU_DEP_1) | instskip(NEXT) | instid1(VALU_DEP_1)
	v_fmac_f32_e32 v19, v21, v18
	v_fma_f32 v17, -v17, v19, v20
	s_delay_alu instid0(VALU_DEP_1) | instskip(SKIP_1) | instid1(VALU_DEP_2)
	v_div_fmas_f32 v17, v17, v18, v19
	v_fma_f32 v18, v7, v11, v12
	v_div_fixup_f32 v8, v17, v8, 1.0
	v_fma_f32 v17, v7, v12, -v11
	s_delay_alu instid0(VALU_DEP_2) | instskip(NEXT) | instid1(VALU_DEP_2)
	v_mul_f32_e32 v7, v18, v8
	v_mul_f32_e32 v8, v17, v8
	s_cbranch_execz .LBB147_90
	s_branch .LBB147_91
.LBB147_89:                             ;   in Loop: Header=BB147_81 Depth=1
                                        ; implicit-def: $vgpr8
.LBB147_90:                             ;   in Loop: Header=BB147_81 Depth=1
	v_div_scale_f32 v7, null, v9, v9, v10
	v_div_scale_f32 v18, vcc_lo, v10, v9, v10
	s_delay_alu instid0(VALU_DEP_2) | instskip(SKIP_2) | instid1(VALU_DEP_1)
	v_rcp_f32_e32 v8, v7
	s_waitcnt_depctr 0xfff
	v_fma_f32 v17, -v7, v8, 1.0
	v_fmac_f32_e32 v8, v17, v8
	s_delay_alu instid0(VALU_DEP_1) | instskip(NEXT) | instid1(VALU_DEP_1)
	v_mul_f32_e32 v17, v18, v8
	v_fma_f32 v19, -v7, v17, v18
	s_delay_alu instid0(VALU_DEP_1) | instskip(NEXT) | instid1(VALU_DEP_1)
	v_fmac_f32_e32 v17, v19, v8
	v_fma_f32 v7, -v7, v17, v18
	s_delay_alu instid0(VALU_DEP_1) | instskip(NEXT) | instid1(VALU_DEP_1)
	v_div_fmas_f32 v7, v7, v8, v17
	v_div_fixup_f32 v7, v7, v9, v10
	s_delay_alu instid0(VALU_DEP_1) | instskip(NEXT) | instid1(VALU_DEP_1)
	v_fmac_f32_e32 v9, v10, v7
	v_div_scale_f32 v8, null, v9, v9, 1.0
	v_div_scale_f32 v18, vcc_lo, 1.0, v9, 1.0
	s_delay_alu instid0(VALU_DEP_2) | instskip(SKIP_2) | instid1(VALU_DEP_1)
	v_rcp_f32_e32 v10, v8
	s_waitcnt_depctr 0xfff
	v_fma_f32 v17, -v8, v10, 1.0
	v_fmac_f32_e32 v10, v17, v10
	s_delay_alu instid0(VALU_DEP_1) | instskip(NEXT) | instid1(VALU_DEP_1)
	v_mul_f32_e32 v17, v18, v10
	v_fma_f32 v19, -v8, v17, v18
	s_delay_alu instid0(VALU_DEP_1) | instskip(NEXT) | instid1(VALU_DEP_1)
	v_fmac_f32_e32 v17, v19, v10
	v_fma_f32 v8, -v8, v17, v18
	s_delay_alu instid0(VALU_DEP_1) | instskip(SKIP_1) | instid1(VALU_DEP_2)
	v_div_fmas_f32 v8, v8, v10, v17
	v_fma_f32 v10, v7, v12, v11
	v_div_fixup_f32 v8, v8, v9, 1.0
	v_fma_f32 v9, -v7, v11, v12
	s_delay_alu instid0(VALU_DEP_2) | instskip(NEXT) | instid1(VALU_DEP_2)
	v_mul_f32_e32 v7, v10, v8
	v_mul_f32_e32 v8, v9, v8
.LBB147_91:                             ;   in Loop: Header=BB147_81 Depth=1
	s_add_i32 s14, s5, -2
	s_addk_i32 s10, 0xff98
	s_add_i32 s15, s9, s14
	s_add_i32 s14, s7, s14
	s_lshl_b32 s15, s15, 3
	s_lshl_b32 s14, s14, 3
	s_delay_alu instid0(SALU_CYCLE_1)
	v_dual_mov_b32 v9, s15 :: v_dual_mov_b32 v10, s14
	v_mov_b32_e32 v19, s10
	ds_load_b64 v[11:12], v9
	ds_load_b64 v[17:18], v10
	;; [unrolled: 1-line block ×3, first 2 shown]
	ds_store_b64 v16, v[7:8]
	s_waitcnt lgkmcnt(2)
	v_dual_mul_f32 v19, v6, v12 :: v_dual_mul_f32 v20, v8, v18
	s_waitcnt lgkmcnt(1)
	v_cmp_gt_f32_e32 vcc_lo, 0, v9
	v_mul_f32_e32 v12, v5, v12
	v_mul_f32_e32 v18, v7, v18
	v_fma_f32 v19, v5, v11, -v19
	v_fma_f32 v20, v7, v17, -v20
	v_cndmask_b32_e64 v21, v9, -v9, vcc_lo
	v_cmp_gt_f32_e32 vcc_lo, 0, v10
	s_delay_alu instid0(VALU_DEP_4) | instskip(SKIP_2) | instid1(VALU_DEP_3)
	v_dual_fmac_f32 v18, v8, v17 :: v_dual_sub_f32 v3, v3, v19
	v_fmac_f32_e32 v12, v6, v11
	v_cndmask_b32_e64 v11, v10, -v10, vcc_lo
	v_sub_f32_e32 v3, v3, v20
	s_delay_alu instid0(VALU_DEP_3) | instskip(NEXT) | instid1(VALU_DEP_3)
	v_sub_f32_e32 v4, v4, v12
	v_cmp_ngt_f32_e32 vcc_lo, v21, v11
	s_delay_alu instid0(VALU_DEP_2)
	v_sub_f32_e32 v4, v4, v18
	s_cbranch_vccz .LBB147_93
; %bb.92:                               ;   in Loop: Header=BB147_81 Depth=1
	v_div_scale_f32 v11, null, v10, v10, v9
	v_div_scale_f32 v17, vcc_lo, v9, v10, v9
	s_delay_alu instid0(VALU_DEP_2) | instskip(SKIP_2) | instid1(VALU_DEP_1)
	v_rcp_f32_e32 v12, v11
	s_waitcnt_depctr 0xfff
	v_fma_f32 v16, -v11, v12, 1.0
	v_fmac_f32_e32 v12, v16, v12
	s_delay_alu instid0(VALU_DEP_1) | instskip(NEXT) | instid1(VALU_DEP_1)
	v_mul_f32_e32 v16, v17, v12
	v_fma_f32 v18, -v11, v16, v17
	s_delay_alu instid0(VALU_DEP_1) | instskip(NEXT) | instid1(VALU_DEP_1)
	v_fmac_f32_e32 v16, v18, v12
	v_fma_f32 v11, -v11, v16, v17
	s_delay_alu instid0(VALU_DEP_1) | instskip(NEXT) | instid1(VALU_DEP_1)
	v_div_fmas_f32 v11, v11, v12, v16
	v_div_fixup_f32 v11, v11, v10, v9
	s_delay_alu instid0(VALU_DEP_1) | instskip(NEXT) | instid1(VALU_DEP_1)
	v_fma_f32 v12, v9, v11, v10
	v_div_scale_f32 v16, null, v12, v12, 1.0
	v_div_scale_f32 v19, vcc_lo, 1.0, v12, 1.0
	s_delay_alu instid0(VALU_DEP_2) | instskip(SKIP_2) | instid1(VALU_DEP_1)
	v_rcp_f32_e32 v17, v16
	s_waitcnt_depctr 0xfff
	v_fma_f32 v18, -v16, v17, 1.0
	v_fmac_f32_e32 v17, v18, v17
	s_delay_alu instid0(VALU_DEP_1) | instskip(NEXT) | instid1(VALU_DEP_1)
	v_mul_f32_e32 v18, v19, v17
	v_fma_f32 v20, -v16, v18, v19
	s_delay_alu instid0(VALU_DEP_1) | instskip(NEXT) | instid1(VALU_DEP_1)
	v_fmac_f32_e32 v18, v20, v17
	v_fma_f32 v16, -v16, v18, v19
	s_delay_alu instid0(VALU_DEP_1) | instskip(SKIP_1) | instid1(VALU_DEP_2)
	v_div_fmas_f32 v16, v16, v17, v18
	v_fma_f32 v17, v11, v3, v4
	v_div_fixup_f32 v12, v16, v12, 1.0
	v_fma_f32 v16, v11, v4, -v3
	s_delay_alu instid0(VALU_DEP_2) | instskip(NEXT) | instid1(VALU_DEP_2)
	v_mul_f32_e32 v11, v17, v12
	v_mul_f32_e32 v12, v16, v12
	s_cbranch_execz .LBB147_94
	s_branch .LBB147_95
.LBB147_93:                             ;   in Loop: Header=BB147_81 Depth=1
                                        ; implicit-def: $vgpr12
.LBB147_94:                             ;   in Loop: Header=BB147_81 Depth=1
	v_div_scale_f32 v11, null, v9, v9, v10
	v_div_scale_f32 v17, vcc_lo, v10, v9, v10
	s_delay_alu instid0(VALU_DEP_2) | instskip(SKIP_2) | instid1(VALU_DEP_1)
	v_rcp_f32_e32 v12, v11
	s_waitcnt_depctr 0xfff
	v_fma_f32 v16, -v11, v12, 1.0
	v_fmac_f32_e32 v12, v16, v12
	s_delay_alu instid0(VALU_DEP_1) | instskip(NEXT) | instid1(VALU_DEP_1)
	v_mul_f32_e32 v16, v17, v12
	v_fma_f32 v18, -v11, v16, v17
	s_delay_alu instid0(VALU_DEP_1) | instskip(NEXT) | instid1(VALU_DEP_1)
	v_fmac_f32_e32 v16, v18, v12
	v_fma_f32 v11, -v11, v16, v17
	s_delay_alu instid0(VALU_DEP_1) | instskip(NEXT) | instid1(VALU_DEP_1)
	v_div_fmas_f32 v11, v11, v12, v16
	v_div_fixup_f32 v11, v11, v9, v10
	s_delay_alu instid0(VALU_DEP_1) | instskip(NEXT) | instid1(VALU_DEP_1)
	v_fmac_f32_e32 v9, v10, v11
	v_div_scale_f32 v10, null, v9, v9, 1.0
	v_div_scale_f32 v17, vcc_lo, 1.0, v9, 1.0
	s_delay_alu instid0(VALU_DEP_2) | instskip(SKIP_2) | instid1(VALU_DEP_1)
	v_rcp_f32_e32 v12, v10
	s_waitcnt_depctr 0xfff
	v_fma_f32 v16, -v10, v12, 1.0
	v_fmac_f32_e32 v12, v16, v12
	s_delay_alu instid0(VALU_DEP_1) | instskip(NEXT) | instid1(VALU_DEP_1)
	v_mul_f32_e32 v16, v17, v12
	v_fma_f32 v18, -v10, v16, v17
	s_delay_alu instid0(VALU_DEP_1) | instskip(NEXT) | instid1(VALU_DEP_1)
	v_fmac_f32_e32 v16, v18, v12
	v_fma_f32 v10, -v10, v16, v17
	s_delay_alu instid0(VALU_DEP_1) | instskip(SKIP_2) | instid1(VALU_DEP_3)
	v_div_fmas_f32 v10, v10, v12, v16
	v_fma_f32 v12, v11, v4, v3
	v_fma_f32 v3, -v11, v3, v4
	v_div_fixup_f32 v9, v10, v9, 1.0
	s_delay_alu instid0(VALU_DEP_1) | instskip(NEXT) | instid1(VALU_DEP_3)
	v_mul_f32_e32 v11, v12, v9
	v_mul_f32_e32 v12, v3, v9
.LBB147_95:                             ;   in Loop: Header=BB147_81 Depth=1
	s_add_i32 s14, s5, -3
	s_delay_alu instid0(SALU_CYCLE_1) | instskip(SKIP_3) | instid1(SALU_CYCLE_1)
	s_add_i32 s9, s9, s14
	s_add_i32 s7, s7, s14
	s_lshl_b32 s9, s9, 3
	s_lshl_b32 s7, s7, 3
	v_dual_mov_b32 v3, s9 :: v_dual_mov_b32 v4, s7
	s_add_i32 s6, s6, s14
	s_delay_alu instid0(SALU_CYCLE_1) | instskip(SKIP_4) | instid1(SALU_CYCLE_1)
	s_lshl_b32 s6, s6, 3
	ds_load_b64 v[9:10], v3
	ds_load_b64 v[16:17], v4
	v_mov_b32_e32 v18, s6
	s_add_i32 s6, s10, 0xffffff98
	v_mov_b32_e32 v3, s6
	ds_load_b64 v[18:19], v18
	ds_load_b64 v[3:4], v3
	ds_store_b64 v15, v[11:12]
	s_waitcnt lgkmcnt(3)
	v_dual_mul_f32 v20, v6, v10 :: v_dual_mul_f32 v21, v8, v17
	v_dual_mul_f32 v10, v5, v10 :: v_dual_mul_f32 v17, v7, v17
	s_delay_alu instid0(VALU_DEP_2) | instskip(NEXT) | instid1(VALU_DEP_3)
	v_fma_f32 v5, v5, v9, -v20
	v_fma_f32 v7, v7, v16, -v21
	s_delay_alu instid0(VALU_DEP_3)
	v_fmac_f32_e32 v10, v6, v9
	s_waitcnt lgkmcnt(2)
	v_mul_f32_e32 v22, v12, v19
	s_waitcnt lgkmcnt(1)
	v_cmp_gt_f32_e32 vcc_lo, 0, v3
	v_sub_f32_e32 v1, v1, v5
	v_mul_f32_e32 v19, v11, v19
	v_dual_fmac_f32 v17, v8, v16 :: v_dual_sub_f32 v2, v2, v10
	v_cndmask_b32_e64 v6, v3, -v3, vcc_lo
	v_cmp_gt_f32_e32 vcc_lo, 0, v4
	v_fma_f32 v8, v11, v18, -v22
	s_delay_alu instid0(VALU_DEP_4) | instskip(SKIP_2) | instid1(VALU_DEP_1)
	v_dual_fmac_f32 v19, v12, v18 :: v_dual_sub_f32 v2, v2, v17
	v_sub_f32_e32 v1, v1, v7
	v_cndmask_b32_e64 v5, v4, -v4, vcc_lo
	v_cmp_ngt_f32_e32 vcc_lo, v6, v5
	s_delay_alu instid0(VALU_DEP_3)
	v_dual_sub_f32 v5, v1, v8 :: v_dual_sub_f32 v6, v2, v19
	s_cbranch_vccz .LBB147_97
; %bb.96:                               ;   in Loop: Header=BB147_81 Depth=1
	v_div_scale_f32 v1, null, v4, v4, v3
	v_div_scale_f32 v8, vcc_lo, v3, v4, v3
	s_delay_alu instid0(VALU_DEP_2) | instskip(SKIP_2) | instid1(VALU_DEP_1)
	v_rcp_f32_e32 v2, v1
	s_waitcnt_depctr 0xfff
	v_fma_f32 v7, -v1, v2, 1.0
	v_fmac_f32_e32 v2, v7, v2
	s_delay_alu instid0(VALU_DEP_1) | instskip(NEXT) | instid1(VALU_DEP_1)
	v_mul_f32_e32 v7, v8, v2
	v_fma_f32 v9, -v1, v7, v8
	s_delay_alu instid0(VALU_DEP_1) | instskip(NEXT) | instid1(VALU_DEP_1)
	v_fmac_f32_e32 v7, v9, v2
	v_fma_f32 v1, -v1, v7, v8
	s_delay_alu instid0(VALU_DEP_1) | instskip(NEXT) | instid1(VALU_DEP_1)
	v_div_fmas_f32 v1, v1, v2, v7
	v_div_fixup_f32 v1, v1, v4, v3
	s_delay_alu instid0(VALU_DEP_1) | instskip(NEXT) | instid1(VALU_DEP_1)
	v_fma_f32 v2, v3, v1, v4
	v_div_scale_f32 v7, null, v2, v2, 1.0
	v_div_scale_f32 v10, vcc_lo, 1.0, v2, 1.0
	s_delay_alu instid0(VALU_DEP_2) | instskip(SKIP_2) | instid1(VALU_DEP_1)
	v_rcp_f32_e32 v8, v7
	s_waitcnt_depctr 0xfff
	v_fma_f32 v9, -v7, v8, 1.0
	v_fmac_f32_e32 v8, v9, v8
	s_delay_alu instid0(VALU_DEP_1) | instskip(NEXT) | instid1(VALU_DEP_1)
	v_mul_f32_e32 v9, v10, v8
	v_fma_f32 v11, -v7, v9, v10
	s_delay_alu instid0(VALU_DEP_1) | instskip(NEXT) | instid1(VALU_DEP_1)
	v_fmac_f32_e32 v9, v11, v8
	v_fma_f32 v7, -v7, v9, v10
	s_delay_alu instid0(VALU_DEP_1) | instskip(SKIP_1) | instid1(VALU_DEP_2)
	v_div_fmas_f32 v7, v7, v8, v9
	v_fma_f32 v8, v1, v5, v6
	v_div_fixup_f32 v2, v7, v2, 1.0
	v_fma_f32 v7, v1, v6, -v5
	s_delay_alu instid0(VALU_DEP_2) | instskip(NEXT) | instid1(VALU_DEP_2)
	v_mul_f32_e32 v1, v8, v2
	v_mul_f32_e32 v2, v7, v2
	s_cbranch_execz .LBB147_98
	s_branch .LBB147_99
.LBB147_97:                             ;   in Loop: Header=BB147_81 Depth=1
                                        ; implicit-def: $vgpr2
.LBB147_98:                             ;   in Loop: Header=BB147_81 Depth=1
	v_div_scale_f32 v1, null, v3, v3, v4
	v_div_scale_f32 v8, vcc_lo, v4, v3, v4
	s_delay_alu instid0(VALU_DEP_2) | instskip(SKIP_2) | instid1(VALU_DEP_1)
	v_rcp_f32_e32 v2, v1
	s_waitcnt_depctr 0xfff
	v_fma_f32 v7, -v1, v2, 1.0
	v_fmac_f32_e32 v2, v7, v2
	s_delay_alu instid0(VALU_DEP_1) | instskip(NEXT) | instid1(VALU_DEP_1)
	v_mul_f32_e32 v7, v8, v2
	v_fma_f32 v9, -v1, v7, v8
	s_delay_alu instid0(VALU_DEP_1) | instskip(NEXT) | instid1(VALU_DEP_1)
	v_fmac_f32_e32 v7, v9, v2
	v_fma_f32 v1, -v1, v7, v8
	s_delay_alu instid0(VALU_DEP_1) | instskip(NEXT) | instid1(VALU_DEP_1)
	v_div_fmas_f32 v1, v1, v2, v7
	v_div_fixup_f32 v1, v1, v3, v4
	s_delay_alu instid0(VALU_DEP_1) | instskip(NEXT) | instid1(VALU_DEP_1)
	v_fmac_f32_e32 v3, v4, v1
	v_div_scale_f32 v2, null, v3, v3, 1.0
	v_div_scale_f32 v8, vcc_lo, 1.0, v3, 1.0
	s_delay_alu instid0(VALU_DEP_2) | instskip(SKIP_2) | instid1(VALU_DEP_1)
	v_rcp_f32_e32 v4, v2
	s_waitcnt_depctr 0xfff
	v_fma_f32 v7, -v2, v4, 1.0
	v_fmac_f32_e32 v4, v7, v4
	s_delay_alu instid0(VALU_DEP_1) | instskip(NEXT) | instid1(VALU_DEP_1)
	v_mul_f32_e32 v7, v8, v4
	v_fma_f32 v9, -v2, v7, v8
	s_delay_alu instid0(VALU_DEP_1) | instskip(NEXT) | instid1(VALU_DEP_1)
	v_fmac_f32_e32 v7, v9, v4
	v_fma_f32 v2, -v2, v7, v8
	s_delay_alu instid0(VALU_DEP_1) | instskip(SKIP_1) | instid1(VALU_DEP_2)
	v_div_fmas_f32 v2, v2, v4, v7
	v_fma_f32 v4, v1, v6, v5
	v_div_fixup_f32 v2, v2, v3, 1.0
	v_fma_f32 v3, -v1, v5, v6
	s_delay_alu instid0(VALU_DEP_2) | instskip(NEXT) | instid1(VALU_DEP_2)
	v_mul_f32_e32 v1, v4, v2
	v_mul_f32_e32 v2, v3, v2
.LBB147_99:                             ;   in Loop: Header=BB147_81 Depth=1
	s_add_i32 s6, s5, -4
	s_sub_i32 s4, s4, 32
	s_cmp_lt_i32 s5, 7
	ds_store_b64 v14, v[1:2]
	s_cbranch_scc1 .LBB147_101
; %bb.100:                              ;   in Loop: Header=BB147_81 Depth=1
	s_mov_b32 s5, s6
	s_branch .LBB147_81
.LBB147_101:
	s_cmp_lt_i32 s6, 0
	s_cbranch_scc1 .LBB147_110
; %bb.102:
	v_lshlrev_b32_e32 v1, 3, v0
	s_mul_i32 s4, s11, 0x60
	s_lshl_b32 s5, s6, 3
	s_delay_alu instid0(VALU_DEP_1) | instskip(SKIP_1) | instid1(SALU_CYCLE_1)
	v_add3_u32 v7, s4, v1, 0x420
	s_add_i32 s4, s4, s5
	s_addk_i32 s4, 0xffa0
	s_branch .LBB147_104
.LBB147_103:                            ;   in Loop: Header=BB147_104 Depth=1
	s_add_i32 s5, s6, -1
	s_add_i32 s4, s4, -8
	s_cmp_lt_i32 s6, 1
	s_mov_b32 s6, s5
	ds_store_b64 v8, v[5:6]
	s_cbranch_scc1 .LBB147_110
.LBB147_104:                            ; =>This Loop Header: Depth=1
                                        ;     Child Loop BB147_105 Depth 2
	s_mul_i32 s5, s6, 12
	v_mov_b32_e32 v4, v7
	v_add_lshl_u32 v3, s5, v0, 3
	s_cmp_le_i32 s30, s6
	s_mov_b32 s5, s4
	s_mov_b32 s7, s30
	ds_load_b64 v[1:2], v3 offset:1152
	s_cbranch_scc1 .LBB147_106
	.p2align	6
.LBB147_105:                            ;   Parent Loop BB147_104 Depth=1
                                        ; =>  This Inner Loop Header: Depth=2
	v_mov_b32_e32 v8, s5
	s_add_i32 s7, s7, -1
	s_addk_i32 s5, 0xffa0
	s_cmp_le_i32 s7, s6
	ds_load_b64 v[5:6], v4
	ds_load_b64 v[8:9], v8
	v_add_nc_u32_e32 v4, 0xffffffa0, v4
	s_waitcnt lgkmcnt(0)
	v_mul_f32_e32 v10, v9, v6
	v_mul_f32_e32 v6, v8, v6
	s_delay_alu instid0(VALU_DEP_2) | instskip(NEXT) | instid1(VALU_DEP_1)
	v_fma_f32 v8, v8, v5, -v10
	v_sub_f32_e32 v1, v1, v8
	s_delay_alu instid0(VALU_DEP_3) | instskip(NEXT) | instid1(VALU_DEP_1)
	v_fmac_f32_e32 v6, v9, v5
	v_sub_f32_e32 v2, v2, v6
	s_cbranch_scc0 .LBB147_105
.LBB147_106:                            ;   in Loop: Header=BB147_104 Depth=1
	s_mul_i32 s5, s6, 0x68
	s_delay_alu instid0(SALU_CYCLE_1)
	v_dual_mov_b32 v3, s5 :: v_dual_add_nc_u32 v8, 0x480, v3
	ds_load_b64 v[3:4], v3
	s_waitcnt lgkmcnt(0)
	v_cmp_gt_f32_e32 vcc_lo, 0, v3
	v_cndmask_b32_e64 v5, v3, -v3, vcc_lo
	v_cmp_gt_f32_e32 vcc_lo, 0, v4
	v_cndmask_b32_e64 v6, v4, -v4, vcc_lo
	s_delay_alu instid0(VALU_DEP_1)
	v_cmp_ngt_f32_e32 vcc_lo, v5, v6
	s_cbranch_vccz .LBB147_108
; %bb.107:                              ;   in Loop: Header=BB147_104 Depth=1
	v_div_scale_f32 v5, null, v4, v4, v3
	v_div_scale_f32 v10, vcc_lo, v3, v4, v3
	s_delay_alu instid0(VALU_DEP_2) | instskip(SKIP_2) | instid1(VALU_DEP_1)
	v_rcp_f32_e32 v6, v5
	s_waitcnt_depctr 0xfff
	v_fma_f32 v9, -v5, v6, 1.0
	v_fmac_f32_e32 v6, v9, v6
	s_delay_alu instid0(VALU_DEP_1) | instskip(NEXT) | instid1(VALU_DEP_1)
	v_mul_f32_e32 v9, v10, v6
	v_fma_f32 v11, -v5, v9, v10
	s_delay_alu instid0(VALU_DEP_1) | instskip(NEXT) | instid1(VALU_DEP_1)
	v_fmac_f32_e32 v9, v11, v6
	v_fma_f32 v5, -v5, v9, v10
	s_delay_alu instid0(VALU_DEP_1) | instskip(NEXT) | instid1(VALU_DEP_1)
	v_div_fmas_f32 v5, v5, v6, v9
	v_div_fixup_f32 v5, v5, v4, v3
	s_delay_alu instid0(VALU_DEP_1) | instskip(NEXT) | instid1(VALU_DEP_1)
	v_fma_f32 v6, v3, v5, v4
	v_div_scale_f32 v9, null, v6, v6, 1.0
	v_div_scale_f32 v12, vcc_lo, 1.0, v6, 1.0
	s_delay_alu instid0(VALU_DEP_2) | instskip(SKIP_2) | instid1(VALU_DEP_1)
	v_rcp_f32_e32 v10, v9
	s_waitcnt_depctr 0xfff
	v_fma_f32 v11, -v9, v10, 1.0
	v_fmac_f32_e32 v10, v11, v10
	s_delay_alu instid0(VALU_DEP_1) | instskip(NEXT) | instid1(VALU_DEP_1)
	v_mul_f32_e32 v11, v12, v10
	v_fma_f32 v13, -v9, v11, v12
	s_delay_alu instid0(VALU_DEP_1) | instskip(NEXT) | instid1(VALU_DEP_1)
	v_fmac_f32_e32 v11, v13, v10
	v_fma_f32 v9, -v9, v11, v12
	s_delay_alu instid0(VALU_DEP_1) | instskip(SKIP_1) | instid1(VALU_DEP_2)
	v_div_fmas_f32 v9, v9, v10, v11
	v_fma_f32 v10, v1, v5, v2
	v_div_fixup_f32 v6, v9, v6, 1.0
	v_fma_f32 v9, v2, v5, -v1
	s_delay_alu instid0(VALU_DEP_2) | instskip(NEXT) | instid1(VALU_DEP_2)
	v_mul_f32_e32 v5, v10, v6
	v_mul_f32_e32 v6, v9, v6
	s_cbranch_execnz .LBB147_103
	s_branch .LBB147_109
.LBB147_108:                            ;   in Loop: Header=BB147_104 Depth=1
                                        ; implicit-def: $vgpr5
.LBB147_109:                            ;   in Loop: Header=BB147_104 Depth=1
	v_div_scale_f32 v5, null, v3, v3, v4
	v_div_scale_f32 v10, vcc_lo, v4, v3, v4
	s_delay_alu instid0(VALU_DEP_2) | instskip(SKIP_2) | instid1(VALU_DEP_1)
	v_rcp_f32_e32 v6, v5
	s_waitcnt_depctr 0xfff
	v_fma_f32 v9, -v5, v6, 1.0
	v_fmac_f32_e32 v6, v9, v6
	s_delay_alu instid0(VALU_DEP_1) | instskip(NEXT) | instid1(VALU_DEP_1)
	v_mul_f32_e32 v9, v10, v6
	v_fma_f32 v11, -v5, v9, v10
	s_delay_alu instid0(VALU_DEP_1) | instskip(NEXT) | instid1(VALU_DEP_1)
	v_fmac_f32_e32 v9, v11, v6
	v_fma_f32 v5, -v5, v9, v10
	s_delay_alu instid0(VALU_DEP_1) | instskip(NEXT) | instid1(VALU_DEP_1)
	v_div_fmas_f32 v5, v5, v6, v9
	v_div_fixup_f32 v5, v5, v3, v4
	s_delay_alu instid0(VALU_DEP_1) | instskip(NEXT) | instid1(VALU_DEP_1)
	v_fmac_f32_e32 v3, v4, v5
	v_div_scale_f32 v4, null, v3, v3, 1.0
	v_div_scale_f32 v10, vcc_lo, 1.0, v3, 1.0
	s_delay_alu instid0(VALU_DEP_2) | instskip(SKIP_2) | instid1(VALU_DEP_1)
	v_rcp_f32_e32 v6, v4
	s_waitcnt_depctr 0xfff
	v_fma_f32 v9, -v4, v6, 1.0
	v_fmac_f32_e32 v6, v9, v6
	s_delay_alu instid0(VALU_DEP_1) | instskip(NEXT) | instid1(VALU_DEP_1)
	v_mul_f32_e32 v9, v10, v6
	v_fma_f32 v11, -v4, v9, v10
	s_delay_alu instid0(VALU_DEP_1) | instskip(NEXT) | instid1(VALU_DEP_1)
	v_fmac_f32_e32 v9, v11, v6
	v_fma_f32 v4, -v4, v9, v10
	s_delay_alu instid0(VALU_DEP_1) | instskip(SKIP_2) | instid1(VALU_DEP_3)
	v_div_fmas_f32 v4, v4, v6, v9
	v_fma_f32 v6, v2, v5, v1
	v_fma_f32 v1, -v1, v5, v2
	v_div_fixup_f32 v3, v4, v3, 1.0
	s_delay_alu instid0(VALU_DEP_1) | instskip(NEXT) | instid1(VALU_DEP_3)
	v_mul_f32_e32 v5, v6, v3
	v_mul_f32_e32 v6, v1, v3
	s_branch .LBB147_103
.LBB147_110:
	s_mov_b32 s4, 0
.LBB147_111:
	s_delay_alu instid0(SALU_CYCLE_1)
	s_and_not1_b32 vcc_lo, exec_lo, s4
	s_cbranch_vccnz .LBB147_143
; %bb.112:
	s_and_not1_b32 vcc_lo, exec_lo, s1
	s_mul_i32 s1, s11, 0x60
	s_mov_b32 s6, s30
	s_cbranch_vccnz .LBB147_134
; %bb.113:
	v_lshlrev_b32_e32 v1, 3, v0
	s_mul_i32 s4, s11, 0x68
	s_mov_b32 s5, s30
	s_addk_i32 s4, 0xfe70
	s_delay_alu instid0(VALU_DEP_1)
	v_add3_u32 v13, s1, v1, 0x3c0
.LBB147_114:                            ; =>This Loop Header: Depth=1
                                        ;     Child Loop BB147_115 Depth 2
	s_mul_i32 s6, s5, 12
	s_delay_alu instid0(VALU_DEP_1)
	v_mov_b32_e32 v14, v13
	s_add_i32 s9, s6, -12
	v_add_lshl_u32 v3, s6, v0, 3
	s_sub_i32 s7, s6, 24
	v_add_lshl_u32 v4, s9, v0, 3
	s_sub_i32 s6, s6, 36
	v_add_lshl_u32 v9, s7, v0, 3
	v_add_lshl_u32 v10, s6, v0, 3
	ds_load_b64 v[1:2], v3 offset:1152
	ds_load_b64 v[11:12], v4 offset:1152
	;; [unrolled: 1-line block ×4, first 2 shown]
	s_cmp_le_i32 s30, s5
	s_mov_b32 s9, s4
	s_mov_b32 s10, s30
	s_cbranch_scc1 .LBB147_116
.LBB147_115:                            ;   Parent Loop BB147_114 Depth=1
                                        ; =>  This Inner Loop Header: Depth=2
	v_mov_b32_e32 v31, s9
	ds_load_2addr_b64 v[15:18], v14 offset1:12
	v_add_nc_u32_e32 v14, 0xffffff40, v14
	s_add_i32 s10, s10, -2
	s_add_i32 s9, s9, -16
	ds_load_2addr_b64 v[19:22], v31 offset0:36 offset1:37
	ds_load_2addr_b64 v[23:26], v31 offset0:24 offset1:25
	;; [unrolled: 1-line block ×3, first 2 shown]
	ds_load_2addr_b64 v[31:34], v31 offset1:1
	s_cmp_le_i32 s10, s5
	s_waitcnt lgkmcnt(3)
	v_dual_mul_f32 v35, v22, v18 :: v_dual_mul_f32 v40, v20, v16
	v_dual_mul_f32 v36, v21, v18 :: v_dual_mul_f32 v41, v19, v16
	s_waitcnt lgkmcnt(2)
	v_dual_mul_f32 v37, v26, v18 :: v_dual_mul_f32 v42, v24, v16
	s_waitcnt lgkmcnt(1)
	v_dual_mul_f32 v26, v26, v17 :: v_dual_mul_f32 v43, v28, v16
	v_dual_mul_f32 v38, v30, v18 :: v_dual_fmac_f32 v41, v20, v15
	v_fma_f32 v21, v21, v17, -v35
	s_waitcnt lgkmcnt(0)
	v_dual_mul_f32 v39, v34, v18 :: v_dual_mul_f32 v24, v24, v15
	v_mul_f32_e32 v28, v28, v15
	v_fmac_f32_e32 v36, v22, v17
	v_fma_f32 v22, v25, v17, -v37
	v_mul_f32_e32 v30, v30, v17
	v_fma_f32 v20, v27, v15, -v43
	v_fmac_f32_e32 v26, v25, v18
	v_fma_f32 v25, v29, v17, -v38
	v_sub_f32_e32 v1, v1, v21
	v_mul_f32_e32 v34, v34, v17
	v_mul_f32_e32 v44, v32, v16
	v_fma_f32 v17, v33, v17, -v39
	v_dual_sub_f32 v7, v7, v25 :: v_dual_mul_f32 v32, v32, v15
	s_delay_alu instid0(VALU_DEP_4) | instskip(SKIP_1) | instid1(VALU_DEP_4)
	v_fmac_f32_e32 v34, v33, v18
	v_sub_f32_e32 v11, v11, v22
	v_sub_f32_e32 v5, v5, v17
	v_fmac_f32_e32 v30, v29, v18
	v_fma_f32 v18, v19, v15, -v40
	v_fma_f32 v19, v23, v15, -v42
	v_fmac_f32_e32 v28, v27, v16
	v_fma_f32 v15, v31, v15, -v44
	v_fmac_f32_e32 v24, v23, v16
	v_fmac_f32_e32 v32, v31, v16
	v_sub_f32_e32 v8, v8, v30
	s_delay_alu instid0(VALU_DEP_4) | instskip(SKIP_2) | instid1(VALU_DEP_4)
	v_dual_sub_f32 v6, v6, v34 :: v_dual_sub_f32 v5, v5, v15
	v_dual_sub_f32 v11, v11, v19 :: v_dual_sub_f32 v2, v2, v36
	v_dual_sub_f32 v7, v7, v20 :: v_dual_sub_f32 v12, v12, v26
	v_dual_sub_f32 v1, v1, v18 :: v_dual_sub_f32 v8, v8, v28
	s_delay_alu instid0(VALU_DEP_3) | instskip(SKIP_1) | instid1(VALU_DEP_4)
	v_sub_f32_e32 v2, v2, v41
	v_sub_f32_e32 v6, v6, v32
	;; [unrolled: 1-line block ×3, first 2 shown]
	s_cbranch_scc0 .LBB147_115
.LBB147_116:                            ;   in Loop: Header=BB147_114 Depth=1
	s_mul_i32 s9, s5, 0x68
	v_add_nc_u32_e32 v17, 0x480, v3
	v_dual_mov_b32 v3, s9 :: v_dual_add_nc_u32 v16, 0x480, v4
	v_add_nc_u32_e32 v15, 0x480, v9
	v_add_nc_u32_e32 v14, 0x480, v10
	ds_load_b64 v[3:4], v3
	s_waitcnt lgkmcnt(0)
	v_cmp_gt_f32_e32 vcc_lo, 0, v3
	v_cndmask_b32_e64 v9, v3, -v3, vcc_lo
	v_cmp_gt_f32_e32 vcc_lo, 0, v4
	v_cndmask_b32_e64 v10, v4, -v4, vcc_lo
	s_delay_alu instid0(VALU_DEP_1)
	v_cmp_ngt_f32_e32 vcc_lo, v9, v10
	s_cbranch_vccz .LBB147_118
; %bb.117:                              ;   in Loop: Header=BB147_114 Depth=1
	v_div_scale_f32 v9, null, v4, v4, v3
	v_div_scale_f32 v19, vcc_lo, v3, v4, v3
	s_delay_alu instid0(VALU_DEP_2) | instskip(SKIP_2) | instid1(VALU_DEP_1)
	v_rcp_f32_e32 v10, v9
	s_waitcnt_depctr 0xfff
	v_fma_f32 v18, -v9, v10, 1.0
	v_fmac_f32_e32 v10, v18, v10
	s_delay_alu instid0(VALU_DEP_1) | instskip(NEXT) | instid1(VALU_DEP_1)
	v_mul_f32_e32 v18, v19, v10
	v_fma_f32 v20, -v9, v18, v19
	s_delay_alu instid0(VALU_DEP_1) | instskip(NEXT) | instid1(VALU_DEP_1)
	v_fmac_f32_e32 v18, v20, v10
	v_fma_f32 v9, -v9, v18, v19
	s_delay_alu instid0(VALU_DEP_1) | instskip(NEXT) | instid1(VALU_DEP_1)
	v_div_fmas_f32 v9, v9, v10, v18
	v_div_fixup_f32 v9, v9, v4, v3
	s_delay_alu instid0(VALU_DEP_1) | instskip(NEXT) | instid1(VALU_DEP_1)
	v_fma_f32 v10, v3, v9, v4
	v_div_scale_f32 v18, null, v10, v10, 1.0
	v_div_scale_f32 v21, vcc_lo, 1.0, v10, 1.0
	s_delay_alu instid0(VALU_DEP_2) | instskip(SKIP_2) | instid1(VALU_DEP_1)
	v_rcp_f32_e32 v19, v18
	s_waitcnt_depctr 0xfff
	v_fma_f32 v20, -v18, v19, 1.0
	v_fmac_f32_e32 v19, v20, v19
	s_delay_alu instid0(VALU_DEP_1) | instskip(NEXT) | instid1(VALU_DEP_1)
	v_mul_f32_e32 v20, v21, v19
	v_fma_f32 v22, -v18, v20, v21
	s_delay_alu instid0(VALU_DEP_1) | instskip(NEXT) | instid1(VALU_DEP_1)
	v_fmac_f32_e32 v20, v22, v19
	v_fma_f32 v18, -v18, v20, v21
	s_delay_alu instid0(VALU_DEP_1) | instskip(SKIP_1) | instid1(VALU_DEP_2)
	v_div_fmas_f32 v18, v18, v19, v20
	v_fma_f32 v19, v1, v9, v2
	v_div_fixup_f32 v10, v18, v10, 1.0
	v_fma_f32 v18, v2, v9, -v1
	s_delay_alu instid0(VALU_DEP_2) | instskip(NEXT) | instid1(VALU_DEP_2)
	v_mul_f32_e32 v9, v19, v10
	v_mul_f32_e32 v10, v18, v10
	s_cbranch_execz .LBB147_119
	s_branch .LBB147_120
.LBB147_118:                            ;   in Loop: Header=BB147_114 Depth=1
                                        ; implicit-def: $vgpr10
.LBB147_119:                            ;   in Loop: Header=BB147_114 Depth=1
	v_div_scale_f32 v9, null, v3, v3, v4
	v_div_scale_f32 v19, vcc_lo, v4, v3, v4
	s_delay_alu instid0(VALU_DEP_2) | instskip(SKIP_2) | instid1(VALU_DEP_1)
	v_rcp_f32_e32 v10, v9
	s_waitcnt_depctr 0xfff
	v_fma_f32 v18, -v9, v10, 1.0
	v_fmac_f32_e32 v10, v18, v10
	s_delay_alu instid0(VALU_DEP_1) | instskip(NEXT) | instid1(VALU_DEP_1)
	v_mul_f32_e32 v18, v19, v10
	v_fma_f32 v20, -v9, v18, v19
	s_delay_alu instid0(VALU_DEP_1) | instskip(NEXT) | instid1(VALU_DEP_1)
	v_fmac_f32_e32 v18, v20, v10
	v_fma_f32 v9, -v9, v18, v19
	s_delay_alu instid0(VALU_DEP_1) | instskip(NEXT) | instid1(VALU_DEP_1)
	v_div_fmas_f32 v9, v9, v10, v18
	v_div_fixup_f32 v9, v9, v3, v4
	s_delay_alu instid0(VALU_DEP_1) | instskip(NEXT) | instid1(VALU_DEP_1)
	v_fmac_f32_e32 v3, v4, v9
	v_div_scale_f32 v4, null, v3, v3, 1.0
	v_div_scale_f32 v19, vcc_lo, 1.0, v3, 1.0
	s_delay_alu instid0(VALU_DEP_2) | instskip(SKIP_2) | instid1(VALU_DEP_1)
	v_rcp_f32_e32 v10, v4
	s_waitcnt_depctr 0xfff
	v_fma_f32 v18, -v4, v10, 1.0
	v_fmac_f32_e32 v10, v18, v10
	s_delay_alu instid0(VALU_DEP_1) | instskip(NEXT) | instid1(VALU_DEP_1)
	v_mul_f32_e32 v18, v19, v10
	v_fma_f32 v20, -v4, v18, v19
	s_delay_alu instid0(VALU_DEP_1) | instskip(NEXT) | instid1(VALU_DEP_1)
	v_fmac_f32_e32 v18, v20, v10
	v_fma_f32 v4, -v4, v18, v19
	s_delay_alu instid0(VALU_DEP_1) | instskip(SKIP_2) | instid1(VALU_DEP_3)
	v_div_fmas_f32 v4, v4, v10, v18
	v_fma_f32 v10, v2, v9, v1
	v_fma_f32 v1, -v1, v9, v2
	v_div_fixup_f32 v3, v4, v3, 1.0
	s_delay_alu instid0(VALU_DEP_1) | instskip(NEXT) | instid1(VALU_DEP_3)
	v_mul_f32_e32 v9, v10, v3
	v_mul_f32_e32 v10, v1, v3
.LBB147_120:                            ;   in Loop: Header=BB147_114 Depth=1
	s_addk_i32 s9, 0xff98
	ds_store_b64 v17, v[9:10]
	v_mov_b32_e32 v1, s9
	ds_load_2addr_b64 v[1:4], v1 offset1:1
	s_waitcnt lgkmcnt(0)
	v_mul_f32_e32 v18, v10, v4
	v_cmp_gt_f32_e32 vcc_lo, 0, v1
	s_delay_alu instid0(VALU_DEP_2) | instskip(SKIP_4) | instid1(VALU_DEP_2)
	v_fma_f32 v18, v9, v3, -v18
	v_cndmask_b32_e64 v19, v1, -v1, vcc_lo
	v_cmp_gt_f32_e32 vcc_lo, 0, v2
	v_mul_f32_e32 v4, v9, v4
	v_cndmask_b32_e64 v20, v2, -v2, vcc_lo
	v_dual_fmac_f32 v4, v10, v3 :: v_dual_sub_f32 v3, v11, v18
	s_delay_alu instid0(VALU_DEP_2) | instskip(NEXT) | instid1(VALU_DEP_2)
	v_cmp_ngt_f32_e32 vcc_lo, v19, v20
	v_sub_f32_e32 v4, v12, v4
	s_cbranch_vccz .LBB147_122
; %bb.121:                              ;   in Loop: Header=BB147_114 Depth=1
	v_div_scale_f32 v11, null, v2, v2, v1
	v_div_scale_f32 v18, vcc_lo, v1, v2, v1
	s_delay_alu instid0(VALU_DEP_2) | instskip(SKIP_2) | instid1(VALU_DEP_1)
	v_rcp_f32_e32 v12, v11
	s_waitcnt_depctr 0xfff
	v_fma_f32 v17, -v11, v12, 1.0
	v_fmac_f32_e32 v12, v17, v12
	s_delay_alu instid0(VALU_DEP_1) | instskip(NEXT) | instid1(VALU_DEP_1)
	v_mul_f32_e32 v17, v18, v12
	v_fma_f32 v19, -v11, v17, v18
	s_delay_alu instid0(VALU_DEP_1) | instskip(NEXT) | instid1(VALU_DEP_1)
	v_fmac_f32_e32 v17, v19, v12
	v_fma_f32 v11, -v11, v17, v18
	s_delay_alu instid0(VALU_DEP_1) | instskip(NEXT) | instid1(VALU_DEP_1)
	v_div_fmas_f32 v11, v11, v12, v17
	v_div_fixup_f32 v11, v11, v2, v1
	s_delay_alu instid0(VALU_DEP_1) | instskip(NEXT) | instid1(VALU_DEP_1)
	v_fma_f32 v12, v1, v11, v2
	v_div_scale_f32 v17, null, v12, v12, 1.0
	v_div_scale_f32 v20, vcc_lo, 1.0, v12, 1.0
	s_delay_alu instid0(VALU_DEP_2) | instskip(SKIP_2) | instid1(VALU_DEP_1)
	v_rcp_f32_e32 v18, v17
	s_waitcnt_depctr 0xfff
	v_fma_f32 v19, -v17, v18, 1.0
	v_fmac_f32_e32 v18, v19, v18
	s_delay_alu instid0(VALU_DEP_1) | instskip(NEXT) | instid1(VALU_DEP_1)
	v_mul_f32_e32 v19, v20, v18
	v_fma_f32 v21, -v17, v19, v20
	s_delay_alu instid0(VALU_DEP_1) | instskip(NEXT) | instid1(VALU_DEP_1)
	v_fmac_f32_e32 v19, v21, v18
	v_fma_f32 v17, -v17, v19, v20
	s_delay_alu instid0(VALU_DEP_1) | instskip(SKIP_1) | instid1(VALU_DEP_2)
	v_div_fmas_f32 v17, v17, v18, v19
	v_fma_f32 v18, v11, v3, v4
	v_div_fixup_f32 v12, v17, v12, 1.0
	v_fma_f32 v17, v11, v4, -v3
	s_delay_alu instid0(VALU_DEP_2) | instskip(NEXT) | instid1(VALU_DEP_2)
	v_mul_f32_e32 v11, v18, v12
	v_mul_f32_e32 v12, v17, v12
	s_cbranch_execz .LBB147_123
	s_branch .LBB147_124
.LBB147_122:                            ;   in Loop: Header=BB147_114 Depth=1
                                        ; implicit-def: $vgpr12
.LBB147_123:                            ;   in Loop: Header=BB147_114 Depth=1
	v_div_scale_f32 v11, null, v1, v1, v2
	v_div_scale_f32 v18, vcc_lo, v2, v1, v2
	s_delay_alu instid0(VALU_DEP_2) | instskip(SKIP_2) | instid1(VALU_DEP_1)
	v_rcp_f32_e32 v12, v11
	s_waitcnt_depctr 0xfff
	v_fma_f32 v17, -v11, v12, 1.0
	v_fmac_f32_e32 v12, v17, v12
	s_delay_alu instid0(VALU_DEP_1) | instskip(NEXT) | instid1(VALU_DEP_1)
	v_mul_f32_e32 v17, v18, v12
	v_fma_f32 v19, -v11, v17, v18
	s_delay_alu instid0(VALU_DEP_1) | instskip(NEXT) | instid1(VALU_DEP_1)
	v_fmac_f32_e32 v17, v19, v12
	v_fma_f32 v11, -v11, v17, v18
	s_delay_alu instid0(VALU_DEP_1) | instskip(NEXT) | instid1(VALU_DEP_1)
	v_div_fmas_f32 v11, v11, v12, v17
	v_div_fixup_f32 v11, v11, v1, v2
	s_delay_alu instid0(VALU_DEP_1) | instskip(NEXT) | instid1(VALU_DEP_1)
	v_fmac_f32_e32 v1, v2, v11
	v_div_scale_f32 v2, null, v1, v1, 1.0
	v_div_scale_f32 v18, vcc_lo, 1.0, v1, 1.0
	s_delay_alu instid0(VALU_DEP_2) | instskip(SKIP_2) | instid1(VALU_DEP_1)
	v_rcp_f32_e32 v12, v2
	s_waitcnt_depctr 0xfff
	v_fma_f32 v17, -v2, v12, 1.0
	v_fmac_f32_e32 v12, v17, v12
	s_delay_alu instid0(VALU_DEP_1) | instskip(NEXT) | instid1(VALU_DEP_1)
	v_mul_f32_e32 v17, v18, v12
	v_fma_f32 v19, -v2, v17, v18
	s_delay_alu instid0(VALU_DEP_1) | instskip(NEXT) | instid1(VALU_DEP_1)
	v_fmac_f32_e32 v17, v19, v12
	v_fma_f32 v2, -v2, v17, v18
	s_delay_alu instid0(VALU_DEP_1) | instskip(SKIP_1) | instid1(VALU_DEP_2)
	v_div_fmas_f32 v2, v2, v12, v17
	v_fma_f32 v12, v11, v4, v3
	v_div_fixup_f32 v1, v2, v1, 1.0
	v_fma_f32 v2, -v11, v3, v4
	s_delay_alu instid0(VALU_DEP_2) | instskip(NEXT) | instid1(VALU_DEP_2)
	v_mul_f32_e32 v11, v12, v1
	v_mul_f32_e32 v12, v2, v1
.LBB147_124:                            ;   in Loop: Header=BB147_114 Depth=1
	s_add_i32 s7, s7, s5
	s_delay_alu instid0(SALU_CYCLE_1) | instskip(SKIP_1) | instid1(SALU_CYCLE_1)
	s_lshl_b32 s10, s7, 3
	s_add_i32 s7, s9, 0xffffff98
	v_dual_mov_b32 v1, s10 :: v_dual_mov_b32 v2, s7
	ds_load_b64 v[17:18], v1
	ds_load_2addr_b64 v[1:4], v2 offset1:1
	ds_store_b64 v16, v[11:12]
	s_waitcnt lgkmcnt(1)
	v_dual_mul_f32 v19, v10, v18 :: v_dual_mul_f32 v20, v12, v4
	v_cmp_gt_f32_e32 vcc_lo, 0, v1
	v_mul_f32_e32 v4, v11, v4
	s_delay_alu instid0(VALU_DEP_3)
	v_fma_f32 v19, v9, v17, -v19
	v_mul_f32_e32 v18, v9, v18
	v_cndmask_b32_e64 v21, v1, -v1, vcc_lo
	v_cmp_gt_f32_e32 vcc_lo, 0, v2
	v_fma_f32 v20, v11, v3, -v20
	v_fmac_f32_e32 v4, v12, v3
	v_dual_sub_f32 v3, v7, v19 :: v_dual_fmac_f32 v18, v10, v17
	v_cndmask_b32_e64 v17, v2, -v2, vcc_lo
	s_delay_alu instid0(VALU_DEP_2) | instskip(NEXT) | instid1(VALU_DEP_3)
	v_sub_f32_e32 v3, v3, v20
	v_sub_f32_e32 v7, v8, v18
	s_delay_alu instid0(VALU_DEP_3) | instskip(NEXT) | instid1(VALU_DEP_2)
	v_cmp_ngt_f32_e32 vcc_lo, v21, v17
	v_sub_f32_e32 v4, v7, v4
	s_cbranch_vccz .LBB147_126
; %bb.125:                              ;   in Loop: Header=BB147_114 Depth=1
	v_div_scale_f32 v7, null, v2, v2, v1
	v_div_scale_f32 v17, vcc_lo, v1, v2, v1
	s_delay_alu instid0(VALU_DEP_2) | instskip(SKIP_2) | instid1(VALU_DEP_1)
	v_rcp_f32_e32 v8, v7
	s_waitcnt_depctr 0xfff
	v_fma_f32 v16, -v7, v8, 1.0
	v_fmac_f32_e32 v8, v16, v8
	s_delay_alu instid0(VALU_DEP_1) | instskip(NEXT) | instid1(VALU_DEP_1)
	v_mul_f32_e32 v16, v17, v8
	v_fma_f32 v18, -v7, v16, v17
	s_delay_alu instid0(VALU_DEP_1) | instskip(NEXT) | instid1(VALU_DEP_1)
	v_fmac_f32_e32 v16, v18, v8
	v_fma_f32 v7, -v7, v16, v17
	s_delay_alu instid0(VALU_DEP_1) | instskip(NEXT) | instid1(VALU_DEP_1)
	v_div_fmas_f32 v7, v7, v8, v16
	v_div_fixup_f32 v7, v7, v2, v1
	s_delay_alu instid0(VALU_DEP_1) | instskip(NEXT) | instid1(VALU_DEP_1)
	v_fma_f32 v8, v1, v7, v2
	v_div_scale_f32 v16, null, v8, v8, 1.0
	v_div_scale_f32 v19, vcc_lo, 1.0, v8, 1.0
	s_delay_alu instid0(VALU_DEP_2) | instskip(SKIP_2) | instid1(VALU_DEP_1)
	v_rcp_f32_e32 v17, v16
	s_waitcnt_depctr 0xfff
	v_fma_f32 v18, -v16, v17, 1.0
	v_fmac_f32_e32 v17, v18, v17
	s_delay_alu instid0(VALU_DEP_1) | instskip(NEXT) | instid1(VALU_DEP_1)
	v_mul_f32_e32 v18, v19, v17
	v_fma_f32 v20, -v16, v18, v19
	s_delay_alu instid0(VALU_DEP_1) | instskip(NEXT) | instid1(VALU_DEP_1)
	v_fmac_f32_e32 v18, v20, v17
	v_fma_f32 v16, -v16, v18, v19
	s_delay_alu instid0(VALU_DEP_1) | instskip(SKIP_1) | instid1(VALU_DEP_2)
	v_div_fmas_f32 v16, v16, v17, v18
	v_fma_f32 v17, v7, v3, v4
	v_div_fixup_f32 v8, v16, v8, 1.0
	v_fma_f32 v16, v7, v4, -v3
	s_delay_alu instid0(VALU_DEP_2) | instskip(NEXT) | instid1(VALU_DEP_2)
	v_mul_f32_e32 v7, v17, v8
	v_mul_f32_e32 v8, v16, v8
	s_cbranch_execz .LBB147_127
	s_branch .LBB147_128
.LBB147_126:                            ;   in Loop: Header=BB147_114 Depth=1
                                        ; implicit-def: $vgpr8
.LBB147_127:                            ;   in Loop: Header=BB147_114 Depth=1
	v_div_scale_f32 v7, null, v1, v1, v2
	v_div_scale_f32 v17, vcc_lo, v2, v1, v2
	s_delay_alu instid0(VALU_DEP_2) | instskip(SKIP_2) | instid1(VALU_DEP_1)
	v_rcp_f32_e32 v8, v7
	s_waitcnt_depctr 0xfff
	v_fma_f32 v16, -v7, v8, 1.0
	v_fmac_f32_e32 v8, v16, v8
	s_delay_alu instid0(VALU_DEP_1) | instskip(NEXT) | instid1(VALU_DEP_1)
	v_mul_f32_e32 v16, v17, v8
	v_fma_f32 v18, -v7, v16, v17
	s_delay_alu instid0(VALU_DEP_1) | instskip(NEXT) | instid1(VALU_DEP_1)
	v_fmac_f32_e32 v16, v18, v8
	v_fma_f32 v7, -v7, v16, v17
	s_delay_alu instid0(VALU_DEP_1) | instskip(NEXT) | instid1(VALU_DEP_1)
	v_div_fmas_f32 v7, v7, v8, v16
	v_div_fixup_f32 v7, v7, v1, v2
	s_delay_alu instid0(VALU_DEP_1) | instskip(NEXT) | instid1(VALU_DEP_1)
	v_fmac_f32_e32 v1, v2, v7
	v_div_scale_f32 v2, null, v1, v1, 1.0
	v_div_scale_f32 v17, vcc_lo, 1.0, v1, 1.0
	s_delay_alu instid0(VALU_DEP_2) | instskip(SKIP_2) | instid1(VALU_DEP_1)
	v_rcp_f32_e32 v8, v2
	s_waitcnt_depctr 0xfff
	v_fma_f32 v16, -v2, v8, 1.0
	v_fmac_f32_e32 v8, v16, v8
	s_delay_alu instid0(VALU_DEP_1) | instskip(NEXT) | instid1(VALU_DEP_1)
	v_mul_f32_e32 v16, v17, v8
	v_fma_f32 v18, -v2, v16, v17
	s_delay_alu instid0(VALU_DEP_1) | instskip(NEXT) | instid1(VALU_DEP_1)
	v_fmac_f32_e32 v16, v18, v8
	v_fma_f32 v2, -v2, v16, v17
	s_delay_alu instid0(VALU_DEP_1) | instskip(SKIP_1) | instid1(VALU_DEP_2)
	v_div_fmas_f32 v2, v2, v8, v16
	v_fma_f32 v8, v7, v4, v3
	v_div_fixup_f32 v1, v2, v1, 1.0
	v_fma_f32 v2, -v7, v3, v4
	s_delay_alu instid0(VALU_DEP_2) | instskip(NEXT) | instid1(VALU_DEP_2)
	v_mul_f32_e32 v7, v8, v1
	v_mul_f32_e32 v8, v2, v1
.LBB147_128:                            ;   in Loop: Header=BB147_114 Depth=1
	s_add_i32 s6, s5, s6
	s_delay_alu instid0(SALU_CYCLE_1) | instskip(NEXT) | instid1(SALU_CYCLE_1)
	s_lshl_b32 s6, s6, 3
	s_add_i32 s6, s6, -8
	s_delay_alu instid0(SALU_CYCLE_1) | instskip(SKIP_1) | instid1(SALU_CYCLE_1)
	v_mov_b32_e32 v1, s6
	s_add_i32 s6, s7, 0xffffff98
	v_mov_b32_e32 v2, s6
	ds_load_2addr_b64 v[16:19], v1 offset1:1
	ds_load_2addr_b64 v[1:4], v2 offset1:1
	ds_store_b64 v15, v[7:8]
	s_waitcnt lgkmcnt(2)
	v_dual_mul_f32 v20, v10, v19 :: v_dual_mul_f32 v21, v12, v17
	s_waitcnt lgkmcnt(1)
	v_dual_mul_f32 v19, v9, v19 :: v_dual_mul_f32 v22, v8, v4
	v_cmp_gt_f32_e32 vcc_lo, 0, v1
	v_mul_f32_e32 v4, v7, v4
	v_fma_f32 v9, v9, v18, -v20
	s_delay_alu instid0(VALU_DEP_4) | instskip(SKIP_4) | instid1(VALU_DEP_4)
	v_fmac_f32_e32 v19, v10, v18
	v_mul_f32_e32 v17, v11, v17
	v_cndmask_b32_e64 v10, v1, -v1, vcc_lo
	v_cmp_gt_f32_e32 vcc_lo, 0, v2
	v_fma_f32 v11, v11, v16, -v21
	v_dual_sub_f32 v6, v6, v19 :: v_dual_fmac_f32 v17, v12, v16
	v_dual_sub_f32 v5, v5, v9 :: v_dual_fmac_f32 v4, v8, v3
	v_cndmask_b32_e64 v9, v2, -v2, vcc_lo
	v_fma_f32 v12, v7, v3, -v22
	s_delay_alu instid0(VALU_DEP_3) | instskip(NEXT) | instid1(VALU_DEP_3)
	v_dual_sub_f32 v6, v6, v17 :: v_dual_sub_f32 v3, v5, v11
	v_cmp_ngt_f32_e32 vcc_lo, v10, v9
	s_delay_alu instid0(VALU_DEP_2) | instskip(NEXT) | instid1(VALU_DEP_3)
	v_sub_f32_e32 v6, v6, v4
	v_sub_f32_e32 v5, v3, v12
	s_cbranch_vccz .LBB147_130
; %bb.129:                              ;   in Loop: Header=BB147_114 Depth=1
	v_div_scale_f32 v3, null, v2, v2, v1
	v_div_scale_f32 v8, vcc_lo, v1, v2, v1
	s_delay_alu instid0(VALU_DEP_2) | instskip(SKIP_2) | instid1(VALU_DEP_1)
	v_rcp_f32_e32 v4, v3
	s_waitcnt_depctr 0xfff
	v_fma_f32 v7, -v3, v4, 1.0
	v_fmac_f32_e32 v4, v7, v4
	s_delay_alu instid0(VALU_DEP_1) | instskip(NEXT) | instid1(VALU_DEP_1)
	v_mul_f32_e32 v7, v8, v4
	v_fma_f32 v9, -v3, v7, v8
	s_delay_alu instid0(VALU_DEP_1) | instskip(NEXT) | instid1(VALU_DEP_1)
	v_fmac_f32_e32 v7, v9, v4
	v_fma_f32 v3, -v3, v7, v8
	s_delay_alu instid0(VALU_DEP_1) | instskip(NEXT) | instid1(VALU_DEP_1)
	v_div_fmas_f32 v3, v3, v4, v7
	v_div_fixup_f32 v3, v3, v2, v1
	s_delay_alu instid0(VALU_DEP_1) | instskip(NEXT) | instid1(VALU_DEP_1)
	v_fma_f32 v4, v1, v3, v2
	v_div_scale_f32 v7, null, v4, v4, 1.0
	v_div_scale_f32 v10, vcc_lo, 1.0, v4, 1.0
	s_delay_alu instid0(VALU_DEP_2) | instskip(SKIP_2) | instid1(VALU_DEP_1)
	v_rcp_f32_e32 v8, v7
	s_waitcnt_depctr 0xfff
	v_fma_f32 v9, -v7, v8, 1.0
	v_fmac_f32_e32 v8, v9, v8
	s_delay_alu instid0(VALU_DEP_1) | instskip(NEXT) | instid1(VALU_DEP_1)
	v_mul_f32_e32 v9, v10, v8
	v_fma_f32 v11, -v7, v9, v10
	s_delay_alu instid0(VALU_DEP_1) | instskip(NEXT) | instid1(VALU_DEP_1)
	v_fmac_f32_e32 v9, v11, v8
	v_fma_f32 v7, -v7, v9, v10
	s_delay_alu instid0(VALU_DEP_1) | instskip(SKIP_1) | instid1(VALU_DEP_2)
	v_div_fmas_f32 v7, v7, v8, v9
	v_fma_f32 v8, v3, v5, v6
	v_div_fixup_f32 v4, v7, v4, 1.0
	v_fma_f32 v7, v3, v6, -v5
	s_delay_alu instid0(VALU_DEP_2) | instskip(NEXT) | instid1(VALU_DEP_2)
	v_mul_f32_e32 v3, v8, v4
	v_mul_f32_e32 v4, v7, v4
	s_cbranch_execz .LBB147_131
	s_branch .LBB147_132
.LBB147_130:                            ;   in Loop: Header=BB147_114 Depth=1
                                        ; implicit-def: $vgpr4
.LBB147_131:                            ;   in Loop: Header=BB147_114 Depth=1
	v_div_scale_f32 v3, null, v1, v1, v2
	v_div_scale_f32 v8, vcc_lo, v2, v1, v2
	s_delay_alu instid0(VALU_DEP_2) | instskip(SKIP_2) | instid1(VALU_DEP_1)
	v_rcp_f32_e32 v4, v3
	s_waitcnt_depctr 0xfff
	v_fma_f32 v7, -v3, v4, 1.0
	v_fmac_f32_e32 v4, v7, v4
	s_delay_alu instid0(VALU_DEP_1) | instskip(NEXT) | instid1(VALU_DEP_1)
	v_mul_f32_e32 v7, v8, v4
	v_fma_f32 v9, -v3, v7, v8
	s_delay_alu instid0(VALU_DEP_1) | instskip(NEXT) | instid1(VALU_DEP_1)
	v_fmac_f32_e32 v7, v9, v4
	v_fma_f32 v3, -v3, v7, v8
	s_delay_alu instid0(VALU_DEP_1) | instskip(NEXT) | instid1(VALU_DEP_1)
	v_div_fmas_f32 v3, v3, v4, v7
	v_div_fixup_f32 v3, v3, v1, v2
	s_delay_alu instid0(VALU_DEP_1) | instskip(NEXT) | instid1(VALU_DEP_1)
	v_fmac_f32_e32 v1, v2, v3
	v_div_scale_f32 v2, null, v1, v1, 1.0
	v_div_scale_f32 v8, vcc_lo, 1.0, v1, 1.0
	s_delay_alu instid0(VALU_DEP_2) | instskip(SKIP_2) | instid1(VALU_DEP_1)
	v_rcp_f32_e32 v4, v2
	s_waitcnt_depctr 0xfff
	v_fma_f32 v7, -v2, v4, 1.0
	v_fmac_f32_e32 v4, v7, v4
	s_delay_alu instid0(VALU_DEP_1) | instskip(NEXT) | instid1(VALU_DEP_1)
	v_mul_f32_e32 v7, v8, v4
	v_fma_f32 v9, -v2, v7, v8
	s_delay_alu instid0(VALU_DEP_1) | instskip(NEXT) | instid1(VALU_DEP_1)
	v_fmac_f32_e32 v7, v9, v4
	v_fma_f32 v2, -v2, v7, v8
	s_delay_alu instid0(VALU_DEP_1) | instskip(SKIP_1) | instid1(VALU_DEP_2)
	v_div_fmas_f32 v2, v2, v4, v7
	v_fma_f32 v4, v3, v6, v5
	v_div_fixup_f32 v1, v2, v1, 1.0
	v_fma_f32 v2, -v3, v5, v6
	s_delay_alu instid0(VALU_DEP_2) | instskip(NEXT) | instid1(VALU_DEP_2)
	v_mul_f32_e32 v3, v4, v1
	v_mul_f32_e32 v4, v2, v1
.LBB147_132:                            ;   in Loop: Header=BB147_114 Depth=1
	s_add_i32 s6, s5, -4
	s_addk_i32 s4, 0xfe80
	s_cmp_lt_i32 s5, 7
	ds_store_b64 v14, v[3:4]
	s_cbranch_scc1 .LBB147_134
; %bb.133:                              ;   in Loop: Header=BB147_114 Depth=1
	s_mov_b32 s5, s6
	s_branch .LBB147_114
.LBB147_134:
	s_cmp_lt_i32 s6, 0
	s_cbranch_scc1 .LBB147_143
; %bb.135:
	v_lshlrev_b32_e32 v1, 3, v0
	s_mul_i32 s4, s6, 0x60
	s_lshl_b32 s5, s11, 3
	s_delay_alu instid0(VALU_DEP_1) | instskip(SKIP_1) | instid1(SALU_CYCLE_1)
	v_add3_u32 v7, s1, v1, 0x420
	s_add_i32 s1, s4, s5
	s_add_i32 s1, s1, -8
	s_branch .LBB147_137
.LBB147_136:                            ;   in Loop: Header=BB147_137 Depth=1
	s_add_i32 s4, s6, -1
	s_addk_i32 s1, 0xffa0
	s_cmp_lt_i32 s6, 1
	s_mov_b32 s6, s4
	ds_store_b64 v8, v[5:6]
	s_cbranch_scc1 .LBB147_143
.LBB147_137:                            ; =>This Loop Header: Depth=1
                                        ;     Child Loop BB147_138 Depth 2
	s_mul_i32 s4, s6, 12
	v_mov_b32_e32 v4, v7
	v_add_lshl_u32 v3, s4, v0, 3
	s_cmp_le_i32 s30, s6
	s_mov_b32 s4, s1
	s_mov_b32 s5, s30
	ds_load_b64 v[1:2], v3 offset:1152
	s_cbranch_scc1 .LBB147_139
	.p2align	6
.LBB147_138:                            ;   Parent Loop BB147_137 Depth=1
                                        ; =>  This Inner Loop Header: Depth=2
	v_mov_b32_e32 v8, s4
	s_add_i32 s5, s5, -1
	s_add_i32 s4, s4, -8
	s_cmp_le_i32 s5, s6
	ds_load_b64 v[5:6], v4
	ds_load_b64 v[8:9], v8
	v_add_nc_u32_e32 v4, 0xffffffa0, v4
	s_waitcnt lgkmcnt(0)
	v_mul_f32_e32 v10, v9, v6
	v_mul_f32_e32 v6, v8, v6
	s_delay_alu instid0(VALU_DEP_2) | instskip(NEXT) | instid1(VALU_DEP_1)
	v_fma_f32 v8, v8, v5, -v10
	v_sub_f32_e32 v1, v1, v8
	s_delay_alu instid0(VALU_DEP_3) | instskip(NEXT) | instid1(VALU_DEP_1)
	v_fmac_f32_e32 v6, v9, v5
	v_sub_f32_e32 v2, v2, v6
	s_cbranch_scc0 .LBB147_138
.LBB147_139:                            ;   in Loop: Header=BB147_137 Depth=1
	s_mul_i32 s4, s6, 0x68
	s_delay_alu instid0(SALU_CYCLE_1)
	v_dual_mov_b32 v3, s4 :: v_dual_add_nc_u32 v8, 0x480, v3
	ds_load_b64 v[3:4], v3
	s_waitcnt lgkmcnt(0)
	v_cmp_gt_f32_e32 vcc_lo, 0, v3
	v_cndmask_b32_e64 v5, v3, -v3, vcc_lo
	v_cmp_gt_f32_e32 vcc_lo, 0, v4
	v_cndmask_b32_e64 v6, v4, -v4, vcc_lo
	s_delay_alu instid0(VALU_DEP_1)
	v_cmp_ngt_f32_e32 vcc_lo, v5, v6
	s_cbranch_vccz .LBB147_141
; %bb.140:                              ;   in Loop: Header=BB147_137 Depth=1
	v_div_scale_f32 v5, null, v4, v4, v3
	v_div_scale_f32 v10, vcc_lo, v3, v4, v3
	s_delay_alu instid0(VALU_DEP_2) | instskip(SKIP_2) | instid1(VALU_DEP_1)
	v_rcp_f32_e32 v6, v5
	s_waitcnt_depctr 0xfff
	v_fma_f32 v9, -v5, v6, 1.0
	v_fmac_f32_e32 v6, v9, v6
	s_delay_alu instid0(VALU_DEP_1) | instskip(NEXT) | instid1(VALU_DEP_1)
	v_mul_f32_e32 v9, v10, v6
	v_fma_f32 v11, -v5, v9, v10
	s_delay_alu instid0(VALU_DEP_1) | instskip(NEXT) | instid1(VALU_DEP_1)
	v_fmac_f32_e32 v9, v11, v6
	v_fma_f32 v5, -v5, v9, v10
	s_delay_alu instid0(VALU_DEP_1) | instskip(NEXT) | instid1(VALU_DEP_1)
	v_div_fmas_f32 v5, v5, v6, v9
	v_div_fixup_f32 v5, v5, v4, v3
	s_delay_alu instid0(VALU_DEP_1) | instskip(NEXT) | instid1(VALU_DEP_1)
	v_fma_f32 v6, v3, v5, v4
	v_div_scale_f32 v9, null, v6, v6, 1.0
	v_div_scale_f32 v12, vcc_lo, 1.0, v6, 1.0
	s_delay_alu instid0(VALU_DEP_2) | instskip(SKIP_2) | instid1(VALU_DEP_1)
	v_rcp_f32_e32 v10, v9
	s_waitcnt_depctr 0xfff
	v_fma_f32 v11, -v9, v10, 1.0
	v_fmac_f32_e32 v10, v11, v10
	s_delay_alu instid0(VALU_DEP_1) | instskip(NEXT) | instid1(VALU_DEP_1)
	v_mul_f32_e32 v11, v12, v10
	v_fma_f32 v13, -v9, v11, v12
	s_delay_alu instid0(VALU_DEP_1) | instskip(NEXT) | instid1(VALU_DEP_1)
	v_fmac_f32_e32 v11, v13, v10
	v_fma_f32 v9, -v9, v11, v12
	s_delay_alu instid0(VALU_DEP_1) | instskip(SKIP_1) | instid1(VALU_DEP_2)
	v_div_fmas_f32 v9, v9, v10, v11
	v_fma_f32 v10, v1, v5, v2
	v_div_fixup_f32 v6, v9, v6, 1.0
	v_fma_f32 v9, v2, v5, -v1
	s_delay_alu instid0(VALU_DEP_2) | instskip(NEXT) | instid1(VALU_DEP_2)
	v_mul_f32_e32 v5, v10, v6
	v_mul_f32_e32 v6, v9, v6
	s_cbranch_execnz .LBB147_136
	s_branch .LBB147_142
.LBB147_141:                            ;   in Loop: Header=BB147_137 Depth=1
                                        ; implicit-def: $vgpr5
.LBB147_142:                            ;   in Loop: Header=BB147_137 Depth=1
	v_div_scale_f32 v5, null, v3, v3, v4
	v_div_scale_f32 v10, vcc_lo, v4, v3, v4
	s_delay_alu instid0(VALU_DEP_2) | instskip(SKIP_2) | instid1(VALU_DEP_1)
	v_rcp_f32_e32 v6, v5
	s_waitcnt_depctr 0xfff
	v_fma_f32 v9, -v5, v6, 1.0
	v_fmac_f32_e32 v6, v9, v6
	s_delay_alu instid0(VALU_DEP_1) | instskip(NEXT) | instid1(VALU_DEP_1)
	v_mul_f32_e32 v9, v10, v6
	v_fma_f32 v11, -v5, v9, v10
	s_delay_alu instid0(VALU_DEP_1) | instskip(NEXT) | instid1(VALU_DEP_1)
	v_fmac_f32_e32 v9, v11, v6
	v_fma_f32 v5, -v5, v9, v10
	s_delay_alu instid0(VALU_DEP_1) | instskip(NEXT) | instid1(VALU_DEP_1)
	v_div_fmas_f32 v5, v5, v6, v9
	v_div_fixup_f32 v5, v5, v3, v4
	s_delay_alu instid0(VALU_DEP_1) | instskip(NEXT) | instid1(VALU_DEP_1)
	v_fmac_f32_e32 v3, v4, v5
	v_div_scale_f32 v4, null, v3, v3, 1.0
	v_div_scale_f32 v10, vcc_lo, 1.0, v3, 1.0
	s_delay_alu instid0(VALU_DEP_2) | instskip(SKIP_2) | instid1(VALU_DEP_1)
	v_rcp_f32_e32 v6, v4
	s_waitcnt_depctr 0xfff
	v_fma_f32 v9, -v4, v6, 1.0
	v_fmac_f32_e32 v6, v9, v6
	s_delay_alu instid0(VALU_DEP_1) | instskip(NEXT) | instid1(VALU_DEP_1)
	v_mul_f32_e32 v9, v10, v6
	v_fma_f32 v11, -v4, v9, v10
	s_delay_alu instid0(VALU_DEP_1) | instskip(NEXT) | instid1(VALU_DEP_1)
	v_fmac_f32_e32 v9, v11, v6
	v_fma_f32 v4, -v4, v9, v10
	s_delay_alu instid0(VALU_DEP_1) | instskip(SKIP_2) | instid1(VALU_DEP_3)
	v_div_fmas_f32 v4, v4, v6, v9
	v_fma_f32 v6, v2, v5, v1
	v_fma_f32 v1, -v1, v5, v2
	v_div_fixup_f32 v3, v4, v3, 1.0
	s_delay_alu instid0(VALU_DEP_1) | instskip(NEXT) | instid1(VALU_DEP_3)
	v_mul_f32_e32 v5, v6, v3
	v_mul_f32_e32 v6, v1, v3
	s_branch .LBB147_136
.LBB147_143:
	s_mov_b32 s6, 0
.LBB147_144:
	s_delay_alu instid0(SALU_CYCLE_1)
	s_and_not1_b32 vcc_lo, exec_lo, s6
	s_cbranch_vccnz .LBB147_183
; %bb.145:
	s_cmp_lt_i32 s8, 4
	s_mov_b32 s5, 0
	s_cbranch_scc1 .LBB147_168
; %bb.146:
	v_lshl_or_b32 v13, v0, 3, 0x480
	s_mov_b32 s1, 0
	s_mov_b32 s4, 0
.LBB147_147:                            ; =>This Loop Header: Depth=1
                                        ;     Child Loop BB147_149 Depth 2
	s_delay_alu instid0(SALU_CYCLE_1) | instskip(NEXT) | instid1(SALU_CYCLE_1)
	s_mul_i32 s5, s4, 12
	s_add_i32 s7, s5, 12
	v_add_lshl_u32 v3, s5, v0, 3
	s_add_i32 s6, s5, 24
	v_add_lshl_u32 v4, s7, v0, 3
	s_add_i32 s5, s5, 36
	v_add_lshl_u32 v9, s6, v0, 3
	v_add_lshl_u32 v10, s5, v0, 3
	ds_load_b64 v[1:2], v3 offset:1152
	ds_load_b64 v[11:12], v4 offset:1152
	;; [unrolled: 1-line block ×4, first 2 shown]
	s_cmp_eq_u32 s4, 0
	s_cbranch_scc1 .LBB147_150
; %bb.148:                              ;   in Loop: Header=BB147_147 Depth=1
	v_mov_b32_e32 v14, v13
	s_mov_b32 s9, 0
	s_mov_b32 s10, s1
.LBB147_149:                            ;   Parent Loop BB147_147 Depth=1
                                        ; =>  This Inner Loop Header: Depth=2
	s_delay_alu instid0(SALU_CYCLE_1)
	v_mov_b32_e32 v31, s10
	ds_load_2addr_b64 v[15:18], v14 offset1:12
	v_add_nc_u32_e32 v14, 0xc0, v14
	s_add_i32 s9, s9, 2
	s_add_i32 s10, s10, 16
	ds_load_b128 v[19:22], v31
	ds_load_b128 v[23:26], v31 offset:96
	ds_load_b128 v[27:30], v31 offset:192
	;; [unrolled: 1-line block ×3, first 2 shown]
	s_cmp_ge_u32 s9, s4
	s_waitcnt lgkmcnt(3)
	v_dual_mul_f32 v35, v20, v16 :: v_dual_mul_f32 v40, v22, v18
	v_dual_mul_f32 v36, v19, v16 :: v_dual_mul_f32 v41, v21, v18
	s_waitcnt lgkmcnt(2)
	v_dual_mul_f32 v37, v24, v16 :: v_dual_mul_f32 v42, v26, v18
	s_waitcnt lgkmcnt(1)
	v_dual_mul_f32 v24, v24, v15 :: v_dual_mul_f32 v43, v30, v18
	v_dual_mul_f32 v38, v28, v16 :: v_dual_fmac_f32 v41, v22, v17
	s_waitcnt lgkmcnt(0)
	v_dual_mul_f32 v39, v32, v16 :: v_dual_mul_f32 v26, v26, v17
	v_fma_f32 v19, v19, v15, -v35
	v_mul_f32_e32 v30, v30, v17
	v_fmac_f32_e32 v36, v20, v15
	v_fma_f32 v20, v23, v15, -v37
	v_mul_f32_e32 v28, v28, v15
	v_fmac_f32_e32 v24, v23, v16
	v_fma_f32 v23, v27, v15, -v38
	v_dual_mul_f32 v44, v34, v18 :: v_dual_sub_f32 v1, v1, v19
	v_mul_f32_e32 v32, v32, v15
	v_fma_f32 v15, v31, v15, -v39
	v_mul_f32_e32 v34, v34, v17
	v_fma_f32 v22, v29, v17, -v43
	v_sub_f32_e32 v11, v11, v20
	s_delay_alu instid0(VALU_DEP_4)
	v_dual_fmac_f32 v28, v27, v16 :: v_dual_sub_f32 v5, v5, v15
	v_fmac_f32_e32 v32, v31, v16
	v_fma_f32 v16, v21, v17, -v40
	v_fma_f32 v21, v25, v17, -v42
	v_sub_f32_e32 v7, v7, v23
	v_fma_f32 v17, v33, v17, -v44
	v_fmac_f32_e32 v26, v25, v18
	v_fmac_f32_e32 v30, v29, v18
	;; [unrolled: 1-line block ×3, first 2 shown]
	v_sub_f32_e32 v8, v8, v28
	v_dual_sub_f32 v6, v6, v32 :: v_dual_sub_f32 v11, v11, v21
	v_dual_sub_f32 v2, v2, v36 :: v_dual_sub_f32 v7, v7, v22
	;; [unrolled: 1-line block ×3, first 2 shown]
	s_delay_alu instid0(VALU_DEP_2) | instskip(SKIP_2) | instid1(VALU_DEP_4)
	v_dual_sub_f32 v1, v1, v16 :: v_dual_sub_f32 v2, v2, v41
	v_sub_f32_e32 v8, v8, v30
	v_sub_f32_e32 v6, v6, v34
	;; [unrolled: 1-line block ×3, first 2 shown]
	s_cbranch_scc0 .LBB147_149
.LBB147_150:                            ;   in Loop: Header=BB147_147 Depth=1
	s_mul_i32 s9, s4, 0x68
	v_add_nc_u32_e32 v17, 0x480, v3
	v_dual_mov_b32 v3, s9 :: v_dual_add_nc_u32 v16, 0x480, v4
	v_add_nc_u32_e32 v15, 0x480, v9
	v_add_nc_u32_e32 v14, 0x480, v10
	ds_load_b64 v[3:4], v3
	s_waitcnt lgkmcnt(0)
	v_cmp_gt_f32_e32 vcc_lo, 0, v3
	v_cndmask_b32_e64 v9, v3, -v3, vcc_lo
	v_cmp_gt_f32_e32 vcc_lo, 0, v4
	v_cndmask_b32_e64 v10, v4, -v4, vcc_lo
	s_delay_alu instid0(VALU_DEP_1)
	v_cmp_ngt_f32_e32 vcc_lo, v9, v10
	s_cbranch_vccz .LBB147_152
; %bb.151:                              ;   in Loop: Header=BB147_147 Depth=1
	v_div_scale_f32 v9, null, v4, v4, v3
	v_div_scale_f32 v19, vcc_lo, v3, v4, v3
	s_delay_alu instid0(VALU_DEP_2) | instskip(SKIP_2) | instid1(VALU_DEP_1)
	v_rcp_f32_e32 v10, v9
	s_waitcnt_depctr 0xfff
	v_fma_f32 v18, -v9, v10, 1.0
	v_fmac_f32_e32 v10, v18, v10
	s_delay_alu instid0(VALU_DEP_1) | instskip(NEXT) | instid1(VALU_DEP_1)
	v_mul_f32_e32 v18, v19, v10
	v_fma_f32 v20, -v9, v18, v19
	s_delay_alu instid0(VALU_DEP_1) | instskip(NEXT) | instid1(VALU_DEP_1)
	v_fmac_f32_e32 v18, v20, v10
	v_fma_f32 v9, -v9, v18, v19
	s_delay_alu instid0(VALU_DEP_1) | instskip(NEXT) | instid1(VALU_DEP_1)
	v_div_fmas_f32 v9, v9, v10, v18
	v_div_fixup_f32 v9, v9, v4, v3
	s_delay_alu instid0(VALU_DEP_1) | instskip(NEXT) | instid1(VALU_DEP_1)
	v_fma_f32 v10, v3, v9, v4
	v_div_scale_f32 v18, null, v10, v10, 1.0
	v_div_scale_f32 v21, vcc_lo, 1.0, v10, 1.0
	s_delay_alu instid0(VALU_DEP_2) | instskip(SKIP_2) | instid1(VALU_DEP_1)
	v_rcp_f32_e32 v19, v18
	s_waitcnt_depctr 0xfff
	v_fma_f32 v20, -v18, v19, 1.0
	v_fmac_f32_e32 v19, v20, v19
	s_delay_alu instid0(VALU_DEP_1) | instskip(NEXT) | instid1(VALU_DEP_1)
	v_mul_f32_e32 v20, v21, v19
	v_fma_f32 v22, -v18, v20, v21
	s_delay_alu instid0(VALU_DEP_1) | instskip(NEXT) | instid1(VALU_DEP_1)
	v_fmac_f32_e32 v20, v22, v19
	v_fma_f32 v18, -v18, v20, v21
	s_delay_alu instid0(VALU_DEP_1) | instskip(SKIP_1) | instid1(VALU_DEP_2)
	v_div_fmas_f32 v18, v18, v19, v20
	v_fma_f32 v19, v1, v9, v2
	v_div_fixup_f32 v10, v18, v10, 1.0
	v_fma_f32 v18, v2, v9, -v1
	s_delay_alu instid0(VALU_DEP_2) | instskip(NEXT) | instid1(VALU_DEP_2)
	v_mul_f32_e32 v9, v19, v10
	v_mul_f32_e32 v10, v18, v10
	s_cbranch_execz .LBB147_153
	s_branch .LBB147_154
.LBB147_152:                            ;   in Loop: Header=BB147_147 Depth=1
                                        ; implicit-def: $vgpr10
.LBB147_153:                            ;   in Loop: Header=BB147_147 Depth=1
	v_div_scale_f32 v9, null, v3, v3, v4
	v_div_scale_f32 v19, vcc_lo, v4, v3, v4
	s_delay_alu instid0(VALU_DEP_2) | instskip(SKIP_2) | instid1(VALU_DEP_1)
	v_rcp_f32_e32 v10, v9
	s_waitcnt_depctr 0xfff
	v_fma_f32 v18, -v9, v10, 1.0
	v_fmac_f32_e32 v10, v18, v10
	s_delay_alu instid0(VALU_DEP_1) | instskip(NEXT) | instid1(VALU_DEP_1)
	v_mul_f32_e32 v18, v19, v10
	v_fma_f32 v20, -v9, v18, v19
	s_delay_alu instid0(VALU_DEP_1) | instskip(NEXT) | instid1(VALU_DEP_1)
	v_fmac_f32_e32 v18, v20, v10
	v_fma_f32 v9, -v9, v18, v19
	s_delay_alu instid0(VALU_DEP_1) | instskip(NEXT) | instid1(VALU_DEP_1)
	v_div_fmas_f32 v9, v9, v10, v18
	v_div_fixup_f32 v9, v9, v3, v4
	s_delay_alu instid0(VALU_DEP_1) | instskip(NEXT) | instid1(VALU_DEP_1)
	v_fmac_f32_e32 v3, v4, v9
	v_div_scale_f32 v4, null, v3, v3, 1.0
	v_div_scale_f32 v19, vcc_lo, 1.0, v3, 1.0
	s_delay_alu instid0(VALU_DEP_2) | instskip(SKIP_2) | instid1(VALU_DEP_1)
	v_rcp_f32_e32 v10, v4
	s_waitcnt_depctr 0xfff
	v_fma_f32 v18, -v4, v10, 1.0
	v_fmac_f32_e32 v10, v18, v10
	s_delay_alu instid0(VALU_DEP_1) | instskip(NEXT) | instid1(VALU_DEP_1)
	v_mul_f32_e32 v18, v19, v10
	v_fma_f32 v20, -v4, v18, v19
	s_delay_alu instid0(VALU_DEP_1) | instskip(NEXT) | instid1(VALU_DEP_1)
	v_fmac_f32_e32 v18, v20, v10
	v_fma_f32 v4, -v4, v18, v19
	s_delay_alu instid0(VALU_DEP_1) | instskip(SKIP_2) | instid1(VALU_DEP_3)
	v_div_fmas_f32 v4, v4, v10, v18
	v_fma_f32 v10, v2, v9, v1
	v_fma_f32 v1, -v1, v9, v2
	v_div_fixup_f32 v3, v4, v3, 1.0
	s_delay_alu instid0(VALU_DEP_1) | instskip(NEXT) | instid1(VALU_DEP_3)
	v_mul_f32_e32 v9, v10, v3
	v_mul_f32_e32 v10, v1, v3
.LBB147_154:                            ;   in Loop: Header=BB147_147 Depth=1
	s_add_i32 s7, s7, s4
	ds_store_b64 v17, v[9:10]
	s_lshl_b32 s7, s7, 3
	s_delay_alu instid0(SALU_CYCLE_1)
	v_mov_b32_e32 v1, s7
	ds_load_b128 v[1:4], v1
	s_waitcnt lgkmcnt(0)
	v_mul_f32_e32 v18, v10, v2
	v_cmp_gt_f32_e32 vcc_lo, 0, v3
	v_mul_f32_e32 v2, v9, v2
	s_delay_alu instid0(VALU_DEP_3) | instskip(SKIP_2) | instid1(VALU_DEP_3)
	v_fma_f32 v18, v9, v1, -v18
	v_cndmask_b32_e64 v19, v3, -v3, vcc_lo
	v_cmp_gt_f32_e32 vcc_lo, 0, v4
	v_dual_fmac_f32 v2, v10, v1 :: v_dual_sub_f32 v1, v11, v18
	v_cndmask_b32_e64 v20, v4, -v4, vcc_lo
	s_delay_alu instid0(VALU_DEP_2) | instskip(NEXT) | instid1(VALU_DEP_2)
	v_sub_f32_e32 v2, v12, v2
	v_cmp_ngt_f32_e32 vcc_lo, v19, v20
	s_cbranch_vccz .LBB147_156
; %bb.155:                              ;   in Loop: Header=BB147_147 Depth=1
	v_div_scale_f32 v11, null, v4, v4, v3
	v_div_scale_f32 v18, vcc_lo, v3, v4, v3
	s_delay_alu instid0(VALU_DEP_2) | instskip(SKIP_2) | instid1(VALU_DEP_1)
	v_rcp_f32_e32 v12, v11
	s_waitcnt_depctr 0xfff
	v_fma_f32 v17, -v11, v12, 1.0
	v_fmac_f32_e32 v12, v17, v12
	s_delay_alu instid0(VALU_DEP_1) | instskip(NEXT) | instid1(VALU_DEP_1)
	v_mul_f32_e32 v17, v18, v12
	v_fma_f32 v19, -v11, v17, v18
	s_delay_alu instid0(VALU_DEP_1) | instskip(NEXT) | instid1(VALU_DEP_1)
	v_fmac_f32_e32 v17, v19, v12
	v_fma_f32 v11, -v11, v17, v18
	s_delay_alu instid0(VALU_DEP_1) | instskip(NEXT) | instid1(VALU_DEP_1)
	v_div_fmas_f32 v11, v11, v12, v17
	v_div_fixup_f32 v11, v11, v4, v3
	s_delay_alu instid0(VALU_DEP_1) | instskip(NEXT) | instid1(VALU_DEP_1)
	v_fma_f32 v12, v3, v11, v4
	v_div_scale_f32 v17, null, v12, v12, 1.0
	v_div_scale_f32 v20, vcc_lo, 1.0, v12, 1.0
	s_delay_alu instid0(VALU_DEP_2) | instskip(SKIP_2) | instid1(VALU_DEP_1)
	v_rcp_f32_e32 v18, v17
	s_waitcnt_depctr 0xfff
	v_fma_f32 v19, -v17, v18, 1.0
	v_fmac_f32_e32 v18, v19, v18
	s_delay_alu instid0(VALU_DEP_1) | instskip(NEXT) | instid1(VALU_DEP_1)
	v_mul_f32_e32 v19, v20, v18
	v_fma_f32 v21, -v17, v19, v20
	s_delay_alu instid0(VALU_DEP_1) | instskip(NEXT) | instid1(VALU_DEP_1)
	v_fmac_f32_e32 v19, v21, v18
	v_fma_f32 v17, -v17, v19, v20
	s_delay_alu instid0(VALU_DEP_1) | instskip(SKIP_1) | instid1(VALU_DEP_2)
	v_div_fmas_f32 v17, v17, v18, v19
	v_fma_f32 v18, v11, v1, v2
	v_div_fixup_f32 v12, v17, v12, 1.0
	v_fma_f32 v17, v11, v2, -v1
	s_delay_alu instid0(VALU_DEP_2) | instskip(NEXT) | instid1(VALU_DEP_2)
	v_mul_f32_e32 v11, v18, v12
	v_mul_f32_e32 v12, v17, v12
	s_cbranch_execz .LBB147_157
	s_branch .LBB147_158
.LBB147_156:                            ;   in Loop: Header=BB147_147 Depth=1
                                        ; implicit-def: $vgpr12
.LBB147_157:                            ;   in Loop: Header=BB147_147 Depth=1
	v_div_scale_f32 v11, null, v3, v3, v4
	v_div_scale_f32 v18, vcc_lo, v4, v3, v4
	s_delay_alu instid0(VALU_DEP_2) | instskip(SKIP_2) | instid1(VALU_DEP_1)
	v_rcp_f32_e32 v12, v11
	s_waitcnt_depctr 0xfff
	v_fma_f32 v17, -v11, v12, 1.0
	v_fmac_f32_e32 v12, v17, v12
	s_delay_alu instid0(VALU_DEP_1) | instskip(NEXT) | instid1(VALU_DEP_1)
	v_mul_f32_e32 v17, v18, v12
	v_fma_f32 v19, -v11, v17, v18
	s_delay_alu instid0(VALU_DEP_1) | instskip(NEXT) | instid1(VALU_DEP_1)
	v_fmac_f32_e32 v17, v19, v12
	v_fma_f32 v11, -v11, v17, v18
	s_delay_alu instid0(VALU_DEP_1) | instskip(NEXT) | instid1(VALU_DEP_1)
	v_div_fmas_f32 v11, v11, v12, v17
	v_div_fixup_f32 v11, v11, v3, v4
	s_delay_alu instid0(VALU_DEP_1) | instskip(NEXT) | instid1(VALU_DEP_1)
	v_fmac_f32_e32 v3, v4, v11
	v_div_scale_f32 v4, null, v3, v3, 1.0
	v_div_scale_f32 v18, vcc_lo, 1.0, v3, 1.0
	s_delay_alu instid0(VALU_DEP_2) | instskip(SKIP_2) | instid1(VALU_DEP_1)
	v_rcp_f32_e32 v12, v4
	s_waitcnt_depctr 0xfff
	v_fma_f32 v17, -v4, v12, 1.0
	v_fmac_f32_e32 v12, v17, v12
	s_delay_alu instid0(VALU_DEP_1) | instskip(NEXT) | instid1(VALU_DEP_1)
	v_mul_f32_e32 v17, v18, v12
	v_fma_f32 v19, -v4, v17, v18
	s_delay_alu instid0(VALU_DEP_1) | instskip(NEXT) | instid1(VALU_DEP_1)
	v_fmac_f32_e32 v17, v19, v12
	v_fma_f32 v4, -v4, v17, v18
	s_delay_alu instid0(VALU_DEP_1) | instskip(SKIP_2) | instid1(VALU_DEP_3)
	v_div_fmas_f32 v4, v4, v12, v17
	v_fma_f32 v12, v11, v2, v1
	v_fma_f32 v1, -v11, v1, v2
	v_div_fixup_f32 v3, v4, v3, 1.0
	s_delay_alu instid0(VALU_DEP_1) | instskip(NEXT) | instid1(VALU_DEP_3)
	v_mul_f32_e32 v11, v12, v3
	v_mul_f32_e32 v12, v1, v3
.LBB147_158:                            ;   in Loop: Header=BB147_147 Depth=1
	s_add_i32 s6, s6, s4
	v_mov_b32_e32 v2, s9
	s_lshl_b32 s6, s6, 3
	s_delay_alu instid0(SALU_CYCLE_1)
	v_mov_b32_e32 v1, s6
	ds_load_b128 v[17:20], v1
	ds_load_b64 v[1:2], v2 offset:208
	ds_store_b64 v16, v[11:12]
	s_waitcnt lgkmcnt(2)
	v_mul_f32_e32 v3, v10, v18
	s_waitcnt lgkmcnt(1)
	v_cmp_gt_f32_e32 vcc_lo, 0, v1
	v_mul_f32_e32 v4, v9, v18
	v_mul_f32_e32 v18, v12, v20
	;; [unrolled: 1-line block ×3, first 2 shown]
	v_fma_f32 v3, v9, v17, -v3
	v_cndmask_b32_e64 v21, v1, -v1, vcc_lo
	v_cmp_gt_f32_e32 vcc_lo, 0, v2
	v_fma_f32 v18, v11, v19, -v18
	v_fmac_f32_e32 v20, v12, v19
	v_dual_sub_f32 v3, v7, v3 :: v_dual_fmac_f32 v4, v10, v17
	v_cndmask_b32_e64 v17, v2, -v2, vcc_lo
	s_delay_alu instid0(VALU_DEP_2) | instskip(NEXT) | instid1(VALU_DEP_2)
	v_dual_sub_f32 v3, v3, v18 :: v_dual_sub_f32 v4, v8, v4
	v_cmp_ngt_f32_e32 vcc_lo, v21, v17
	s_delay_alu instid0(VALU_DEP_2)
	v_sub_f32_e32 v4, v4, v20
	s_cbranch_vccz .LBB147_160
; %bb.159:                              ;   in Loop: Header=BB147_147 Depth=1
	v_div_scale_f32 v7, null, v2, v2, v1
	v_div_scale_f32 v17, vcc_lo, v1, v2, v1
	s_delay_alu instid0(VALU_DEP_2) | instskip(SKIP_2) | instid1(VALU_DEP_1)
	v_rcp_f32_e32 v8, v7
	s_waitcnt_depctr 0xfff
	v_fma_f32 v16, -v7, v8, 1.0
	v_fmac_f32_e32 v8, v16, v8
	s_delay_alu instid0(VALU_DEP_1) | instskip(NEXT) | instid1(VALU_DEP_1)
	v_mul_f32_e32 v16, v17, v8
	v_fma_f32 v18, -v7, v16, v17
	s_delay_alu instid0(VALU_DEP_1) | instskip(NEXT) | instid1(VALU_DEP_1)
	v_fmac_f32_e32 v16, v18, v8
	v_fma_f32 v7, -v7, v16, v17
	s_delay_alu instid0(VALU_DEP_1) | instskip(NEXT) | instid1(VALU_DEP_1)
	v_div_fmas_f32 v7, v7, v8, v16
	v_div_fixup_f32 v7, v7, v2, v1
	s_delay_alu instid0(VALU_DEP_1) | instskip(NEXT) | instid1(VALU_DEP_1)
	v_fma_f32 v8, v1, v7, v2
	v_div_scale_f32 v16, null, v8, v8, 1.0
	v_div_scale_f32 v19, vcc_lo, 1.0, v8, 1.0
	s_delay_alu instid0(VALU_DEP_2) | instskip(SKIP_2) | instid1(VALU_DEP_1)
	v_rcp_f32_e32 v17, v16
	s_waitcnt_depctr 0xfff
	v_fma_f32 v18, -v16, v17, 1.0
	v_fmac_f32_e32 v17, v18, v17
	s_delay_alu instid0(VALU_DEP_1) | instskip(NEXT) | instid1(VALU_DEP_1)
	v_mul_f32_e32 v18, v19, v17
	v_fma_f32 v20, -v16, v18, v19
	s_delay_alu instid0(VALU_DEP_1) | instskip(NEXT) | instid1(VALU_DEP_1)
	v_fmac_f32_e32 v18, v20, v17
	v_fma_f32 v16, -v16, v18, v19
	s_delay_alu instid0(VALU_DEP_1) | instskip(SKIP_1) | instid1(VALU_DEP_2)
	v_div_fmas_f32 v16, v16, v17, v18
	v_fma_f32 v17, v7, v3, v4
	v_div_fixup_f32 v8, v16, v8, 1.0
	v_fma_f32 v16, v7, v4, -v3
	s_delay_alu instid0(VALU_DEP_2) | instskip(NEXT) | instid1(VALU_DEP_2)
	v_mul_f32_e32 v7, v17, v8
	v_mul_f32_e32 v8, v16, v8
	s_cbranch_execz .LBB147_161
	s_branch .LBB147_162
.LBB147_160:                            ;   in Loop: Header=BB147_147 Depth=1
                                        ; implicit-def: $vgpr8
.LBB147_161:                            ;   in Loop: Header=BB147_147 Depth=1
	v_div_scale_f32 v7, null, v1, v1, v2
	v_div_scale_f32 v17, vcc_lo, v2, v1, v2
	s_delay_alu instid0(VALU_DEP_2) | instskip(SKIP_2) | instid1(VALU_DEP_1)
	v_rcp_f32_e32 v8, v7
	s_waitcnt_depctr 0xfff
	v_fma_f32 v16, -v7, v8, 1.0
	v_fmac_f32_e32 v8, v16, v8
	s_delay_alu instid0(VALU_DEP_1) | instskip(NEXT) | instid1(VALU_DEP_1)
	v_mul_f32_e32 v16, v17, v8
	v_fma_f32 v18, -v7, v16, v17
	s_delay_alu instid0(VALU_DEP_1) | instskip(NEXT) | instid1(VALU_DEP_1)
	v_fmac_f32_e32 v16, v18, v8
	v_fma_f32 v7, -v7, v16, v17
	s_delay_alu instid0(VALU_DEP_1) | instskip(NEXT) | instid1(VALU_DEP_1)
	v_div_fmas_f32 v7, v7, v8, v16
	v_div_fixup_f32 v7, v7, v1, v2
	s_delay_alu instid0(VALU_DEP_1) | instskip(NEXT) | instid1(VALU_DEP_1)
	v_fmac_f32_e32 v1, v2, v7
	v_div_scale_f32 v2, null, v1, v1, 1.0
	v_div_scale_f32 v17, vcc_lo, 1.0, v1, 1.0
	s_delay_alu instid0(VALU_DEP_2) | instskip(SKIP_2) | instid1(VALU_DEP_1)
	v_rcp_f32_e32 v8, v2
	s_waitcnt_depctr 0xfff
	v_fma_f32 v16, -v2, v8, 1.0
	v_fmac_f32_e32 v8, v16, v8
	s_delay_alu instid0(VALU_DEP_1) | instskip(NEXT) | instid1(VALU_DEP_1)
	v_mul_f32_e32 v16, v17, v8
	v_fma_f32 v18, -v2, v16, v17
	s_delay_alu instid0(VALU_DEP_1) | instskip(NEXT) | instid1(VALU_DEP_1)
	v_fmac_f32_e32 v16, v18, v8
	v_fma_f32 v2, -v2, v16, v17
	s_delay_alu instid0(VALU_DEP_1) | instskip(SKIP_1) | instid1(VALU_DEP_2)
	v_div_fmas_f32 v2, v2, v8, v16
	v_fma_f32 v8, v7, v4, v3
	v_div_fixup_f32 v1, v2, v1, 1.0
	v_fma_f32 v2, -v7, v3, v4
	s_delay_alu instid0(VALU_DEP_2) | instskip(NEXT) | instid1(VALU_DEP_2)
	v_mul_f32_e32 v7, v8, v1
	v_mul_f32_e32 v8, v2, v1
.LBB147_162:                            ;   in Loop: Header=BB147_147 Depth=1
	s_add_i32 s5, s5, s4
	s_delay_alu instid0(SALU_CYCLE_1) | instskip(NEXT) | instid1(SALU_CYCLE_1)
	s_lshl_b32 s5, s5, 3
	v_mov_b32_e32 v1, s5
	ds_load_b128 v[16:19], v1
	ds_load_b128 v[1:4], v1 offset:16
	ds_store_b64 v15, v[7:8]
	s_waitcnt lgkmcnt(2)
	v_mul_f32_e32 v20, v10, v17
	s_waitcnt lgkmcnt(1)
	v_dual_mul_f32 v17, v9, v17 :: v_dual_mul_f32 v22, v8, v2
	v_dual_mul_f32 v21, v12, v19 :: v_dual_mul_f32 v2, v7, v2
	v_cmp_gt_f32_e32 vcc_lo, 0, v3
	v_fma_f32 v9, v9, v16, -v20
	s_delay_alu instid0(VALU_DEP_3) | instskip(SKIP_2) | instid1(VALU_DEP_3)
	v_dual_fmac_f32 v17, v10, v16 :: v_dual_fmac_f32 v2, v8, v1
	v_mul_f32_e32 v19, v11, v19
	v_cndmask_b32_e64 v10, v3, -v3, vcc_lo
	v_sub_f32_e32 v6, v6, v17
	v_cmp_gt_f32_e32 vcc_lo, 0, v4
	v_fma_f32 v11, v11, v18, -v21
	v_fmac_f32_e32 v19, v12, v18
	v_sub_f32_e32 v5, v5, v9
	v_fma_f32 v12, v7, v1, -v22
	v_cndmask_b32_e64 v9, v4, -v4, vcc_lo
	s_delay_alu instid0(VALU_DEP_4) | instskip(NEXT) | instid1(VALU_DEP_4)
	v_sub_f32_e32 v6, v6, v19
	v_sub_f32_e32 v1, v5, v11
	s_delay_alu instid0(VALU_DEP_3) | instskip(NEXT) | instid1(VALU_DEP_2)
	v_cmp_ngt_f32_e32 vcc_lo, v10, v9
	v_dual_sub_f32 v6, v6, v2 :: v_dual_sub_f32 v5, v1, v12
	s_cbranch_vccz .LBB147_164
; %bb.163:                              ;   in Loop: Header=BB147_147 Depth=1
	v_div_scale_f32 v1, null, v4, v4, v3
	v_div_scale_f32 v8, vcc_lo, v3, v4, v3
	s_delay_alu instid0(VALU_DEP_2) | instskip(SKIP_2) | instid1(VALU_DEP_1)
	v_rcp_f32_e32 v2, v1
	s_waitcnt_depctr 0xfff
	v_fma_f32 v7, -v1, v2, 1.0
	v_fmac_f32_e32 v2, v7, v2
	s_delay_alu instid0(VALU_DEP_1) | instskip(NEXT) | instid1(VALU_DEP_1)
	v_mul_f32_e32 v7, v8, v2
	v_fma_f32 v9, -v1, v7, v8
	s_delay_alu instid0(VALU_DEP_1) | instskip(NEXT) | instid1(VALU_DEP_1)
	v_fmac_f32_e32 v7, v9, v2
	v_fma_f32 v1, -v1, v7, v8
	s_delay_alu instid0(VALU_DEP_1) | instskip(NEXT) | instid1(VALU_DEP_1)
	v_div_fmas_f32 v1, v1, v2, v7
	v_div_fixup_f32 v1, v1, v4, v3
	s_delay_alu instid0(VALU_DEP_1) | instskip(NEXT) | instid1(VALU_DEP_1)
	v_fma_f32 v2, v3, v1, v4
	v_div_scale_f32 v7, null, v2, v2, 1.0
	v_div_scale_f32 v10, vcc_lo, 1.0, v2, 1.0
	s_delay_alu instid0(VALU_DEP_2) | instskip(SKIP_2) | instid1(VALU_DEP_1)
	v_rcp_f32_e32 v8, v7
	s_waitcnt_depctr 0xfff
	v_fma_f32 v9, -v7, v8, 1.0
	v_fmac_f32_e32 v8, v9, v8
	s_delay_alu instid0(VALU_DEP_1) | instskip(NEXT) | instid1(VALU_DEP_1)
	v_mul_f32_e32 v9, v10, v8
	v_fma_f32 v11, -v7, v9, v10
	s_delay_alu instid0(VALU_DEP_1) | instskip(NEXT) | instid1(VALU_DEP_1)
	v_fmac_f32_e32 v9, v11, v8
	v_fma_f32 v7, -v7, v9, v10
	s_delay_alu instid0(VALU_DEP_1) | instskip(SKIP_1) | instid1(VALU_DEP_2)
	v_div_fmas_f32 v7, v7, v8, v9
	v_fma_f32 v8, v1, v5, v6
	v_div_fixup_f32 v2, v7, v2, 1.0
	v_fma_f32 v7, v1, v6, -v5
	s_delay_alu instid0(VALU_DEP_2) | instskip(NEXT) | instid1(VALU_DEP_2)
	v_mul_f32_e32 v1, v8, v2
	v_mul_f32_e32 v2, v7, v2
	s_cbranch_execz .LBB147_165
	s_branch .LBB147_166
.LBB147_164:                            ;   in Loop: Header=BB147_147 Depth=1
                                        ; implicit-def: $vgpr2
.LBB147_165:                            ;   in Loop: Header=BB147_147 Depth=1
	v_div_scale_f32 v1, null, v3, v3, v4
	v_div_scale_f32 v8, vcc_lo, v4, v3, v4
	s_delay_alu instid0(VALU_DEP_2) | instskip(SKIP_2) | instid1(VALU_DEP_1)
	v_rcp_f32_e32 v2, v1
	s_waitcnt_depctr 0xfff
	v_fma_f32 v7, -v1, v2, 1.0
	v_fmac_f32_e32 v2, v7, v2
	s_delay_alu instid0(VALU_DEP_1) | instskip(NEXT) | instid1(VALU_DEP_1)
	v_mul_f32_e32 v7, v8, v2
	v_fma_f32 v9, -v1, v7, v8
	s_delay_alu instid0(VALU_DEP_1) | instskip(NEXT) | instid1(VALU_DEP_1)
	v_fmac_f32_e32 v7, v9, v2
	v_fma_f32 v1, -v1, v7, v8
	s_delay_alu instid0(VALU_DEP_1) | instskip(NEXT) | instid1(VALU_DEP_1)
	v_div_fmas_f32 v1, v1, v2, v7
	v_div_fixup_f32 v1, v1, v3, v4
	s_delay_alu instid0(VALU_DEP_1) | instskip(NEXT) | instid1(VALU_DEP_1)
	v_fmac_f32_e32 v3, v4, v1
	v_div_scale_f32 v2, null, v3, v3, 1.0
	v_div_scale_f32 v8, vcc_lo, 1.0, v3, 1.0
	s_delay_alu instid0(VALU_DEP_2) | instskip(SKIP_2) | instid1(VALU_DEP_1)
	v_rcp_f32_e32 v4, v2
	s_waitcnt_depctr 0xfff
	v_fma_f32 v7, -v2, v4, 1.0
	v_fmac_f32_e32 v4, v7, v4
	s_delay_alu instid0(VALU_DEP_1) | instskip(NEXT) | instid1(VALU_DEP_1)
	v_mul_f32_e32 v7, v8, v4
	v_fma_f32 v9, -v2, v7, v8
	s_delay_alu instid0(VALU_DEP_1) | instskip(NEXT) | instid1(VALU_DEP_1)
	v_fmac_f32_e32 v7, v9, v4
	v_fma_f32 v2, -v2, v7, v8
	s_delay_alu instid0(VALU_DEP_1) | instskip(SKIP_1) | instid1(VALU_DEP_2)
	v_div_fmas_f32 v2, v2, v4, v7
	v_fma_f32 v4, v1, v6, v5
	v_div_fixup_f32 v2, v2, v3, 1.0
	v_fma_f32 v3, -v1, v5, v6
	s_delay_alu instid0(VALU_DEP_2) | instskip(NEXT) | instid1(VALU_DEP_2)
	v_mul_f32_e32 v1, v4, v2
	v_mul_f32_e32 v2, v3, v2
.LBB147_166:                            ;   in Loop: Header=BB147_147 Depth=1
	s_add_i32 s5, s4, 4
	s_add_i32 s4, s4, 7
	s_addk_i32 s1, 0x180
	s_cmp_ge_i32 s4, s11
	ds_store_b64 v14, v[1:2]
	s_cbranch_scc1 .LBB147_168
; %bb.167:                              ;   in Loop: Header=BB147_147 Depth=1
	s_mov_b32 s4, s5
	s_branch .LBB147_147
.LBB147_168:
	s_cmp_ge_i32 s5, s11
	s_cbranch_scc1 .LBB147_183
; %bb.169:
	v_lshl_or_b32 v1, v0, 3, 0x480
	s_add_i32 s1, s5, -1
	s_mul_i32 s4, s5, 0x60
	s_mov_b32 s6, 0
	s_mov_b32 s7, s5
	s_branch .LBB147_171
.LBB147_170:                            ;   in Loop: Header=BB147_171 Depth=1
	v_add_nc_u16 v2, s7, 1
	s_add_i32 s5, s5, 1
	s_add_i32 s6, s6, 1
	s_addk_i32 s4, 0x60
	s_cmp_ge_i32 s5, s11
	v_readfirstlane_b32 s7, v2
	ds_store_b64 v8, v[6:7]
	s_cbranch_scc1 .LBB147_183
.LBB147_171:                            ; =>This Loop Header: Depth=1
                                        ;     Child Loop BB147_174 Depth 2
                                        ;     Child Loop BB147_178 Depth 2
	s_mul_i32 s9, s5, 12
	s_cmp_eq_u32 s5, 0
	v_add_lshl_u32 v6, s9, v0, 3
	ds_load_b64 v[2:3], v6 offset:1152
	s_cbranch_scc1 .LBB147_179
; %bb.172:                              ;   in Loop: Header=BB147_171 Depth=1
	s_add_i32 s9, s1, s6
	s_delay_alu instid0(SALU_CYCLE_1)
	s_cmp_lt_u32 s9, 3
	s_cbranch_scc1 .LBB147_176
; %bb.173:                              ;   in Loop: Header=BB147_171 Depth=1
	v_mov_b32_e32 v4, v1
	s_and_b32 s9, s5, -4
	s_mov_b32 s10, 0
	s_mov_b32 s14, s4
	s_set_inst_prefetch_distance 0x1
	.p2align	6
.LBB147_174:                            ;   Parent Loop BB147_171 Depth=1
                                        ; =>  This Inner Loop Header: Depth=2
	v_mov_b32_e32 v5, s14
	s_add_i32 s10, s10, 4
	s_add_i32 s14, s14, 32
	s_cmp_eq_u32 s9, s10
	ds_load_2addr_b64 v[7:10], v4 offset1:12
	ds_load_b128 v[11:14], v5
	ds_load_2addr_b64 v[15:18], v4 offset0:24 offset1:36
	ds_load_b128 v[19:22], v5 offset:16
	v_add_nc_u32_e32 v4, 0x180, v4
	s_waitcnt lgkmcnt(2)
	v_mul_f32_e32 v5, v12, v8
	v_dual_mul_f32 v8, v11, v8 :: v_dual_mul_f32 v23, v14, v10
	s_waitcnt lgkmcnt(0)
	v_mul_f32_e32 v24, v20, v16
	v_mul_f32_e32 v10, v13, v10
	v_fma_f32 v5, v11, v7, -v5
	v_fmac_f32_e32 v8, v12, v7
	v_dual_mul_f32 v16, v19, v16 :: v_dual_mul_f32 v7, v22, v18
	v_fma_f32 v11, v13, v9, -v23
	s_delay_alu instid0(VALU_DEP_4) | instskip(NEXT) | instid1(VALU_DEP_4)
	v_dual_sub_f32 v2, v2, v5 :: v_dual_mul_f32 v5, v21, v18
	v_dual_fmac_f32 v10, v14, v9 :: v_dual_sub_f32 v3, v3, v8
	v_fma_f32 v8, v19, v15, -v24
	s_delay_alu instid0(VALU_DEP_3) | instskip(SKIP_1) | instid1(VALU_DEP_4)
	v_dual_fmac_f32 v16, v20, v15 :: v_dual_fmac_f32 v5, v22, v17
	v_fma_f32 v7, v21, v17, -v7
	v_dual_sub_f32 v3, v3, v10 :: v_dual_sub_f32 v2, v2, v11
	s_delay_alu instid0(VALU_DEP_1) | instskip(NEXT) | instid1(VALU_DEP_1)
	v_sub_f32_e32 v3, v3, v16
	v_dual_sub_f32 v2, v2, v8 :: v_dual_sub_f32 v3, v3, v5
	s_delay_alu instid0(VALU_DEP_1)
	v_sub_f32_e32 v2, v2, v7
	s_cbranch_scc0 .LBB147_174
; %bb.175:                              ;   in Loop: Header=BB147_171 Depth=1
	s_set_inst_prefetch_distance 0x2
	s_and_b32 s10, s5, 3
	s_delay_alu instid0(SALU_CYCLE_1)
	s_cmp_eq_u32 s10, 0
	s_cbranch_scc0 .LBB147_177
	s_branch .LBB147_179
.LBB147_176:                            ;   in Loop: Header=BB147_171 Depth=1
	s_mov_b32 s9, 0
	s_and_b32 s10, s5, 3
	s_delay_alu instid0(SALU_CYCLE_1)
	s_cmp_eq_u32 s10, 0
	s_cbranch_scc1 .LBB147_179
.LBB147_177:                            ;   in Loop: Header=BB147_171 Depth=1
	s_waitcnt lgkmcnt(0)
	v_mad_u64_u32 v[4:5], null, 0x60, s9, v[1:2]
	s_and_b32 s10, s7, 3
	s_lshl_b32 s9, s9, 3
	.p2align	6
.LBB147_178:                            ;   Parent Loop BB147_171 Depth=1
                                        ; =>  This Inner Loop Header: Depth=2
	s_delay_alu instid0(SALU_CYCLE_1)
	s_add_i32 s14, s4, s9
	s_add_i32 s10, s10, -1
	v_mov_b32_e32 v5, s14
	s_add_i32 s9, s9, 8
	s_cmp_lg_u32 s10, 0
	ds_load_b64 v[7:8], v4
	ds_load_b64 v[9:10], v5
	v_add_nc_u32_e32 v4, 0x60, v4
	s_waitcnt lgkmcnt(0)
	v_mul_f32_e32 v5, v10, v8
	v_mul_f32_e32 v8, v9, v8
	s_delay_alu instid0(VALU_DEP_2) | instskip(NEXT) | instid1(VALU_DEP_2)
	v_fma_f32 v5, v9, v7, -v5
	v_fmac_f32_e32 v8, v10, v7
	s_delay_alu instid0(VALU_DEP_1)
	v_dual_sub_f32 v2, v2, v5 :: v_dual_sub_f32 v3, v3, v8
	s_cbranch_scc1 .LBB147_178
.LBB147_179:                            ;   in Loop: Header=BB147_171 Depth=1
	s_mul_i32 s9, s5, 0x68
	v_add_nc_u32_e32 v8, 0x480, v6
	v_mov_b32_e32 v4, s9
	ds_load_b64 v[4:5], v4
	s_waitcnt lgkmcnt(0)
	v_cmp_gt_f32_e32 vcc_lo, 0, v4
	v_cndmask_b32_e64 v6, v4, -v4, vcc_lo
	v_cmp_gt_f32_e32 vcc_lo, 0, v5
	v_cndmask_b32_e64 v7, v5, -v5, vcc_lo
	s_delay_alu instid0(VALU_DEP_1)
	v_cmp_ngt_f32_e32 vcc_lo, v6, v7
	s_cbranch_vccz .LBB147_181
; %bb.180:                              ;   in Loop: Header=BB147_171 Depth=1
	v_div_scale_f32 v6, null, v5, v5, v4
	v_div_scale_f32 v10, vcc_lo, v4, v5, v4
	s_delay_alu instid0(VALU_DEP_2) | instskip(SKIP_2) | instid1(VALU_DEP_1)
	v_rcp_f32_e32 v7, v6
	s_waitcnt_depctr 0xfff
	v_fma_f32 v9, -v6, v7, 1.0
	v_fmac_f32_e32 v7, v9, v7
	s_delay_alu instid0(VALU_DEP_1) | instskip(NEXT) | instid1(VALU_DEP_1)
	v_mul_f32_e32 v9, v10, v7
	v_fma_f32 v11, -v6, v9, v10
	s_delay_alu instid0(VALU_DEP_1) | instskip(NEXT) | instid1(VALU_DEP_1)
	v_fmac_f32_e32 v9, v11, v7
	v_fma_f32 v6, -v6, v9, v10
	s_delay_alu instid0(VALU_DEP_1) | instskip(NEXT) | instid1(VALU_DEP_1)
	v_div_fmas_f32 v6, v6, v7, v9
	v_div_fixup_f32 v6, v6, v5, v4
	s_delay_alu instid0(VALU_DEP_1) | instskip(NEXT) | instid1(VALU_DEP_1)
	v_fma_f32 v7, v4, v6, v5
	v_div_scale_f32 v9, null, v7, v7, 1.0
	v_div_scale_f32 v12, vcc_lo, 1.0, v7, 1.0
	s_delay_alu instid0(VALU_DEP_2) | instskip(SKIP_2) | instid1(VALU_DEP_1)
	v_rcp_f32_e32 v10, v9
	s_waitcnt_depctr 0xfff
	v_fma_f32 v11, -v9, v10, 1.0
	v_fmac_f32_e32 v10, v11, v10
	s_delay_alu instid0(VALU_DEP_1) | instskip(NEXT) | instid1(VALU_DEP_1)
	v_mul_f32_e32 v11, v12, v10
	v_fma_f32 v13, -v9, v11, v12
	s_delay_alu instid0(VALU_DEP_1) | instskip(NEXT) | instid1(VALU_DEP_1)
	v_fmac_f32_e32 v11, v13, v10
	v_fma_f32 v9, -v9, v11, v12
	s_delay_alu instid0(VALU_DEP_1) | instskip(SKIP_1) | instid1(VALU_DEP_2)
	v_div_fmas_f32 v9, v9, v10, v11
	v_fma_f32 v10, v2, v6, v3
	v_div_fixup_f32 v7, v9, v7, 1.0
	v_fma_f32 v9, v3, v6, -v2
	s_delay_alu instid0(VALU_DEP_2) | instskip(NEXT) | instid1(VALU_DEP_2)
	v_mul_f32_e32 v6, v10, v7
	v_mul_f32_e32 v7, v9, v7
	s_cbranch_execnz .LBB147_170
	s_branch .LBB147_182
.LBB147_181:                            ;   in Loop: Header=BB147_171 Depth=1
                                        ; implicit-def: $vgpr6
.LBB147_182:                            ;   in Loop: Header=BB147_171 Depth=1
	v_div_scale_f32 v6, null, v4, v4, v5
	v_div_scale_f32 v10, vcc_lo, v5, v4, v5
	s_delay_alu instid0(VALU_DEP_2) | instskip(SKIP_2) | instid1(VALU_DEP_1)
	v_rcp_f32_e32 v7, v6
	s_waitcnt_depctr 0xfff
	v_fma_f32 v9, -v6, v7, 1.0
	v_fmac_f32_e32 v7, v9, v7
	s_delay_alu instid0(VALU_DEP_1) | instskip(NEXT) | instid1(VALU_DEP_1)
	v_mul_f32_e32 v9, v10, v7
	v_fma_f32 v11, -v6, v9, v10
	s_delay_alu instid0(VALU_DEP_1) | instskip(NEXT) | instid1(VALU_DEP_1)
	v_fmac_f32_e32 v9, v11, v7
	v_fma_f32 v6, -v6, v9, v10
	s_delay_alu instid0(VALU_DEP_1) | instskip(NEXT) | instid1(VALU_DEP_1)
	v_div_fmas_f32 v6, v6, v7, v9
	v_div_fixup_f32 v6, v6, v4, v5
	s_delay_alu instid0(VALU_DEP_1) | instskip(NEXT) | instid1(VALU_DEP_1)
	v_fmac_f32_e32 v4, v5, v6
	v_div_scale_f32 v5, null, v4, v4, 1.0
	v_div_scale_f32 v10, vcc_lo, 1.0, v4, 1.0
	s_delay_alu instid0(VALU_DEP_2) | instskip(SKIP_2) | instid1(VALU_DEP_1)
	v_rcp_f32_e32 v7, v5
	s_waitcnt_depctr 0xfff
	v_fma_f32 v9, -v5, v7, 1.0
	v_fmac_f32_e32 v7, v9, v7
	s_delay_alu instid0(VALU_DEP_1) | instskip(NEXT) | instid1(VALU_DEP_1)
	v_mul_f32_e32 v9, v10, v7
	v_fma_f32 v11, -v5, v9, v10
	s_delay_alu instid0(VALU_DEP_1) | instskip(NEXT) | instid1(VALU_DEP_1)
	v_fmac_f32_e32 v9, v11, v7
	v_fma_f32 v5, -v5, v9, v10
	s_delay_alu instid0(VALU_DEP_1) | instskip(SKIP_2) | instid1(VALU_DEP_3)
	v_div_fmas_f32 v5, v5, v7, v9
	v_fma_f32 v7, v3, v6, v2
	v_fma_f32 v2, -v2, v6, v3
	v_div_fixup_f32 v4, v5, v4, 1.0
	s_delay_alu instid0(VALU_DEP_1) | instskip(NEXT) | instid1(VALU_DEP_3)
	v_mul_f32_e32 v6, v7, v4
	v_mul_f32_e32 v7, v2, v4
	s_branch .LBB147_170
.LBB147_183:
	s_and_saveexec_b32 s1, s20
	s_cbranch_execz .LBB147_190
; %bb.184:
	v_lshlrev_b32_e32 v3, 3, v0
	s_ashr_i32 s1, s0, 31
	s_cmp_lt_u32 s8, 4
	s_mov_b32 s9, 0
	s_cbranch_scc1 .LBB147_187
; %bb.185:
	v_add_co_u32 v1, s4, s18, v3
	s_delay_alu instid0(VALU_DEP_1)
	v_add_co_ci_u32_e64 v2, null, s19, 0, s4
	v_lshl_or_b32 v0, v0, 3, 0x480
	s_and_b32 s9, s8, 0x7ffffffc
	s_mul_hi_i32 s14, s0, 24
	s_mul_i32 s15, s0, 24
	s_lshl_b64 s[4:5], s[0:1], 5
	s_lshl_b64 s[6:7], s[0:1], 4
	;; [unrolled: 1-line block ×3, first 2 shown]
	s_mov_b32 s18, 0
	.p2align	6
.LBB147_186:                            ; =>This Inner Loop Header: Depth=1
	ds_load_2addr_b64 v[4:7], v0 offset1:12
	ds_load_2addr_b64 v[8:11], v0 offset0:24 offset1:36
	v_add_co_u32 v12, vcc_lo, v1, s10
	v_add_co_ci_u32_e32 v13, vcc_lo, s11, v2, vcc_lo
	v_add_co_u32 v14, vcc_lo, v1, s6
	v_add_co_ci_u32_e32 v15, vcc_lo, s7, v2, vcc_lo
	;; [unrolled: 2-line block ×3, first 2 shown]
	v_add_nc_u32_e32 v0, 0x180, v0
	s_add_i32 s18, s18, 4
	s_delay_alu instid0(SALU_CYCLE_1)
	s_cmp_lg_u32 s9, s18
	s_waitcnt lgkmcnt(1)
	global_store_b64 v[1:2], v[4:5], off
	v_add_co_u32 v1, vcc_lo, v1, s4
	v_add_co_ci_u32_e32 v2, vcc_lo, s5, v2, vcc_lo
	global_store_b64 v[12:13], v[6:7], off
	s_waitcnt lgkmcnt(0)
	s_clause 0x1
	global_store_b64 v[14:15], v[8:9], off
	global_store_b64 v[16:17], v[10:11], off
	s_cbranch_scc1 .LBB147_186
.LBB147_187:
	s_and_b32 s4, s8, 3
	s_delay_alu instid0(SALU_CYCLE_1)
	s_cmp_eq_u32 s4, 0
	s_cbranch_scc1 .LBB147_190
; %bb.188:
	s_mul_hi_i32 s7, s0, s9
	s_mul_i32 s6, s0, s9
	s_mul_i32 s5, s9, 0x60
	s_lshl_b64 s[6:7], s[6:7], 3
	v_add3_u32 v2, s5, v3, 0x480
	s_add_u32 s6, s6, s16
	s_addc_u32 s7, s7, s17
	s_add_u32 s6, s6, s12
	s_addc_u32 s7, s7, s13
	;; [unrolled: 2-line block ×3, first 2 shown]
	v_add_co_u32 v0, s2, s2, v3
	s_delay_alu instid0(VALU_DEP_1)
	v_add_co_ci_u32_e64 v1, null, s3, 0, s2
	s_lshl_b64 s[0:1], s[0:1], 3
.LBB147_189:                            ; =>This Inner Loop Header: Depth=1
	ds_load_b64 v[3:4], v2
	v_add_nc_u32_e32 v2, 0x60, v2
	s_add_i32 s4, s4, -1
	s_delay_alu instid0(SALU_CYCLE_1)
	s_cmp_lg_u32 s4, 0
	s_waitcnt lgkmcnt(0)
	global_store_b64 v[0:1], v[3:4], off
	v_add_co_u32 v0, vcc_lo, v0, s0
	v_add_co_ci_u32_e32 v1, vcc_lo, s1, v1, vcc_lo
	s_cbranch_scc1 .LBB147_189
.LBB147_190:
	s_nop 0
	s_sendmsg sendmsg(MSG_DEALLOC_VGPRS)
	s_endpgm
	.section	.rodata,"a",@progbits
	.p2align	6, 0x0
	.amdhsa_kernel _ZL31rocblas_trsm_small_right_deviceI19rocblas_complex_numIfES1_PKPKS1_PKPS1_Li12EEv13rocblas_fill_18rocblas_operation_17rocblas_diagonal_iiT0_T1_lilT2_lili
		.amdhsa_group_segment_fixed_size 2304
		.amdhsa_private_segment_fixed_size 0
		.amdhsa_kernarg_size 360
		.amdhsa_user_sgpr_count 14
		.amdhsa_user_sgpr_dispatch_ptr 0
		.amdhsa_user_sgpr_queue_ptr 0
		.amdhsa_user_sgpr_kernarg_segment_ptr 1
		.amdhsa_user_sgpr_dispatch_id 0
		.amdhsa_user_sgpr_private_segment_size 0
		.amdhsa_wavefront_size32 1
		.amdhsa_uses_dynamic_stack 0
		.amdhsa_enable_private_segment 0
		.amdhsa_system_sgpr_workgroup_id_x 1
		.amdhsa_system_sgpr_workgroup_id_y 0
		.amdhsa_system_sgpr_workgroup_id_z 1
		.amdhsa_system_sgpr_workgroup_info 0
		.amdhsa_system_vgpr_workitem_id 0
		.amdhsa_next_free_vgpr 45
		.amdhsa_next_free_sgpr 36
		.amdhsa_reserve_vcc 1
		.amdhsa_float_round_mode_32 0
		.amdhsa_float_round_mode_16_64 0
		.amdhsa_float_denorm_mode_32 3
		.amdhsa_float_denorm_mode_16_64 3
		.amdhsa_dx10_clamp 1
		.amdhsa_ieee_mode 1
		.amdhsa_fp16_overflow 0
		.amdhsa_workgroup_processor_mode 1
		.amdhsa_memory_ordered 1
		.amdhsa_forward_progress 0
		.amdhsa_shared_vgpr_count 0
		.amdhsa_exception_fp_ieee_invalid_op 0
		.amdhsa_exception_fp_denorm_src 0
		.amdhsa_exception_fp_ieee_div_zero 0
		.amdhsa_exception_fp_ieee_overflow 0
		.amdhsa_exception_fp_ieee_underflow 0
		.amdhsa_exception_fp_ieee_inexact 0
		.amdhsa_exception_int_div_zero 0
	.end_amdhsa_kernel
	.section	.text._ZL31rocblas_trsm_small_right_deviceI19rocblas_complex_numIfES1_PKPKS1_PKPS1_Li12EEv13rocblas_fill_18rocblas_operation_17rocblas_diagonal_iiT0_T1_lilT2_lili,"axG",@progbits,_ZL31rocblas_trsm_small_right_deviceI19rocblas_complex_numIfES1_PKPKS1_PKPS1_Li12EEv13rocblas_fill_18rocblas_operation_17rocblas_diagonal_iiT0_T1_lilT2_lili,comdat
.Lfunc_end147:
	.size	_ZL31rocblas_trsm_small_right_deviceI19rocblas_complex_numIfES1_PKPKS1_PKPS1_Li12EEv13rocblas_fill_18rocblas_operation_17rocblas_diagonal_iiT0_T1_lilT2_lili, .Lfunc_end147-_ZL31rocblas_trsm_small_right_deviceI19rocblas_complex_numIfES1_PKPKS1_PKPS1_Li12EEv13rocblas_fill_18rocblas_operation_17rocblas_diagonal_iiT0_T1_lilT2_lili
                                        ; -- End function
	.section	.AMDGPU.csdata,"",@progbits
; Kernel info:
; codeLenInByte = 16936
; NumSgprs: 38
; NumVgprs: 45
; ScratchSize: 0
; MemoryBound: 0
; FloatMode: 240
; IeeeMode: 1
; LDSByteSize: 2304 bytes/workgroup (compile time only)
; SGPRBlocks: 4
; VGPRBlocks: 5
; NumSGPRsForWavesPerEU: 38
; NumVGPRsForWavesPerEU: 45
; Occupancy: 14
; WaveLimiterHint : 0
; COMPUTE_PGM_RSRC2:SCRATCH_EN: 0
; COMPUTE_PGM_RSRC2:USER_SGPR: 14
; COMPUTE_PGM_RSRC2:TRAP_HANDLER: 0
; COMPUTE_PGM_RSRC2:TGID_X_EN: 1
; COMPUTE_PGM_RSRC2:TGID_Y_EN: 0
; COMPUTE_PGM_RSRC2:TGID_Z_EN: 1
; COMPUTE_PGM_RSRC2:TIDIG_COMP_CNT: 0
	.section	.text._ZL38rocblas_trsm_small_left_device_sharedBILi16ELi16ELb0E19rocblas_complex_numIfES1_PKPKS1_PKPS1_Ev13rocblas_fill_18rocblas_operation_17rocblas_diagonal_iiT3_T4_lilT5_lili,"axG",@progbits,_ZL38rocblas_trsm_small_left_device_sharedBILi16ELi16ELb0E19rocblas_complex_numIfES1_PKPKS1_PKPS1_Ev13rocblas_fill_18rocblas_operation_17rocblas_diagonal_iiT3_T4_lilT5_lili,comdat
	.globl	_ZL38rocblas_trsm_small_left_device_sharedBILi16ELi16ELb0E19rocblas_complex_numIfES1_PKPKS1_PKPS1_Ev13rocblas_fill_18rocblas_operation_17rocblas_diagonal_iiT3_T4_lilT5_lili ; -- Begin function _ZL38rocblas_trsm_small_left_device_sharedBILi16ELi16ELb0E19rocblas_complex_numIfES1_PKPKS1_PKPS1_Ev13rocblas_fill_18rocblas_operation_17rocblas_diagonal_iiT3_T4_lilT5_lili
	.p2align	8
	.type	_ZL38rocblas_trsm_small_left_device_sharedBILi16ELi16ELb0E19rocblas_complex_numIfES1_PKPKS1_PKPS1_Ev13rocblas_fill_18rocblas_operation_17rocblas_diagonal_iiT3_T4_lilT5_lili,@function
_ZL38rocblas_trsm_small_left_device_sharedBILi16ELi16ELb0E19rocblas_complex_numIfES1_PKPKS1_PKPS1_Ev13rocblas_fill_18rocblas_operation_17rocblas_diagonal_iiT3_T4_lilT5_lili: ; @_ZL38rocblas_trsm_small_left_device_sharedBILi16ELi16ELb0E19rocblas_complex_numIfES1_PKPKS1_PKPS1_Ev13rocblas_fill_18rocblas_operation_17rocblas_diagonal_iiT3_T4_lilT5_lili
; %bb.0:
	s_clause 0x1
	s_load_b128 s[8:11], s[0:1], 0x40
	s_load_b128 s[4:7], s[0:1], 0x4
	s_mov_b32 s20, s15
	s_mov_b32 s21, 0
	s_load_b32 s15, s[0:1], 0x68
	s_lshl_b64 s[22:23], s[20:21], 3
	s_mov_b32 s29, exec_lo
	s_waitcnt lgkmcnt(0)
	s_add_u32 s2, s8, s22
	s_addc_u32 s3, s9, s23
	s_load_b64 s[12:13], s[0:1], 0x14
	s_load_b64 s[2:3], s[2:3], 0x0
	s_min_i32 s20, s6, 16
	s_delay_alu instid0(SALU_CYCLE_1)
	s_add_i32 s28, s20, -1
	v_cmpx_gt_i32_e64 s20, v0
	s_cbranch_execz .LBB148_35
; %bb.1:
	s_clause 0x1
	s_load_b32 s8, s[0:1], 0x30
	s_load_b128 s[16:19], s[0:1], 0x20
	s_waitcnt lgkmcnt(0)
	s_ashr_i32 s9, s8, 31
	s_cmpk_lg_i32 s4, 0x71
	s_cselect_b32 s30, -1, 0
	s_add_u32 s16, s16, s22
	s_addc_u32 s17, s17, s23
	v_cndmask_b32_e64 v7, 0, 1, s30
	s_load_b64 s[16:17], s[16:17], 0x0
	s_cmp_lt_u32 s28, 3
	s_cbranch_scc1 .LBB148_20
; %bb.2:
	v_lshlrev_b32_e32 v8, 3, v0
	s_lshl_b64 s[22:23], s[18:19], 3
	s_mul_hi_i32 s31, s8, 24
	s_waitcnt lgkmcnt(0)
	s_add_u32 s21, s16, s22
	s_addc_u32 s22, s17, s23
	v_add_co_u32 v1, s21, s21, v8
	s_delay_alu instid0(VALU_DEP_1)
	v_add_co_ci_u32_e64 v2, null, s22, 0, s21
	s_and_b32 s21, s20, -4
	s_mul_i32 s33, s8, 24
	s_lshl_b64 s[22:23], s[8:9], 5
	s_lshl_b64 s[24:25], s[8:9], 4
	;; [unrolled: 1-line block ×3, first 2 shown]
	s_mov_b32 s34, 0
	s_branch .LBB148_4
.LBB148_3:                              ;   in Loop: Header=BB148_4 Depth=1
	global_load_b32 v3, v[5:6], off
	v_add_co_u32 v1, vcc_lo, v1, s22
	v_add_co_ci_u32_e32 v2, vcc_lo, s23, v2, vcc_lo
	s_add_i32 s34, s34, 4
	s_delay_alu instid0(SALU_CYCLE_1)
	s_cmp_eq_u32 s21, s34
	s_waitcnt vmcnt(0)
	ds_store_b64 v8, v[3:4] offset:384
	v_add_nc_u32_e32 v8, 0x200, v8
	s_cbranch_scc1 .LBB148_20
.LBB148_4:                              ; =>This Inner Loop Header: Depth=1
	s_and_b32 vcc_lo, exec_lo, s30
	s_cbranch_vccz .LBB148_6
; %bb.5:                                ;   in Loop: Header=BB148_4 Depth=1
	global_load_b32 v4, v[1:2], off offset:4
	s_cbranch_execz .LBB148_7
	s_branch .LBB148_8
.LBB148_6:                              ;   in Loop: Header=BB148_4 Depth=1
                                        ; implicit-def: $vgpr4
.LBB148_7:                              ;   in Loop: Header=BB148_4 Depth=1
	global_load_b32 v3, v[1:2], off offset:4
	s_waitcnt vmcnt(0)
	v_xor_b32_e32 v4, 0x80000000, v3
.LBB148_8:                              ;   in Loop: Header=BB148_4 Depth=1
	global_load_b32 v3, v[1:2], off
	v_add_co_u32 v5, vcc_lo, v1, s26
	v_add_co_ci_u32_e32 v6, vcc_lo, s27, v2, vcc_lo
	s_and_not1_b32 vcc_lo, exec_lo, s30
	s_waitcnt vmcnt(0)
	ds_store_b64 v8, v[3:4]
	s_cbranch_vccnz .LBB148_10
; %bb.9:                                ;   in Loop: Header=BB148_4 Depth=1
	global_load_b32 v4, v[5:6], off offset:4
	s_cbranch_execz .LBB148_11
	s_branch .LBB148_12
.LBB148_10:                             ;   in Loop: Header=BB148_4 Depth=1
                                        ; implicit-def: $vgpr4
.LBB148_11:                             ;   in Loop: Header=BB148_4 Depth=1
	global_load_b32 v3, v[5:6], off offset:4
	s_waitcnt vmcnt(0)
	v_xor_b32_e32 v4, 0x80000000, v3
.LBB148_12:                             ;   in Loop: Header=BB148_4 Depth=1
	global_load_b32 v3, v[5:6], off
	v_add_co_u32 v5, vcc_lo, v1, s24
	v_add_co_ci_u32_e32 v6, vcc_lo, s25, v2, vcc_lo
	s_and_not1_b32 vcc_lo, exec_lo, s30
	s_waitcnt vmcnt(0)
	ds_store_b64 v8, v[3:4] offset:128
	s_cbranch_vccnz .LBB148_14
; %bb.13:                               ;   in Loop: Header=BB148_4 Depth=1
	global_load_b32 v4, v[5:6], off offset:4
	s_cbranch_execz .LBB148_15
	s_branch .LBB148_16
.LBB148_14:                             ;   in Loop: Header=BB148_4 Depth=1
                                        ; implicit-def: $vgpr4
.LBB148_15:                             ;   in Loop: Header=BB148_4 Depth=1
	global_load_b32 v3, v[5:6], off offset:4
	s_waitcnt vmcnt(0)
	v_xor_b32_e32 v4, 0x80000000, v3
.LBB148_16:                             ;   in Loop: Header=BB148_4 Depth=1
	global_load_b32 v3, v[5:6], off
	v_add_co_u32 v5, vcc_lo, v1, s33
	v_add_co_ci_u32_e32 v6, vcc_lo, s31, v2, vcc_lo
	s_and_not1_b32 vcc_lo, exec_lo, s30
	s_waitcnt vmcnt(0)
	ds_store_b64 v8, v[3:4] offset:256
	s_cbranch_vccnz .LBB148_18
; %bb.17:                               ;   in Loop: Header=BB148_4 Depth=1
	global_load_b32 v4, v[5:6], off offset:4
	s_cbranch_execnz .LBB148_3
	s_branch .LBB148_19
.LBB148_18:                             ;   in Loop: Header=BB148_4 Depth=1
                                        ; implicit-def: $vgpr4
.LBB148_19:                             ;   in Loop: Header=BB148_4 Depth=1
	global_load_b32 v3, v[5:6], off offset:4
	s_waitcnt vmcnt(0)
	v_xor_b32_e32 v4, 0x80000000, v3
	s_branch .LBB148_3
.LBB148_20:
	s_and_b32 s22, s20, 3
	s_delay_alu instid0(SALU_CYCLE_1)
	s_cmp_eq_u32 s22, 0
	s_cbranch_scc1 .LBB148_27
; %bb.21:
	s_mul_i32 s23, s9, s21
	s_mul_hi_u32 s25, s8, s21
	s_mul_i32 s24, s8, s21
	s_add_i32 s25, s25, s23
	s_lshl_b64 s[18:19], s[18:19], 3
	s_lshl_b64 s[24:25], s[24:25], 3
	v_lshlrev_b32_e32 v1, 3, v0
	s_add_u32 s18, s24, s18
	s_addc_u32 s19, s25, s19
	s_waitcnt lgkmcnt(0)
	s_add_u32 s16, s16, s18
	s_addc_u32 s17, s17, s19
	v_add_co_u32 v2, s16, s16, v1
	s_delay_alu instid0(VALU_DEP_1) | instskip(SKIP_1) | instid1(VALU_DEP_3)
	v_add_co_ci_u32_e64 v3, null, s17, 0, s16
	v_lshl_or_b32 v5, s21, 7, v1
	v_add_co_u32 v1, vcc_lo, v2, 4
	s_delay_alu instid0(VALU_DEP_3)
	v_add_co_ci_u32_e32 v2, vcc_lo, 0, v3, vcc_lo
	s_lshl_b64 s[8:9], s[8:9], 3
	s_set_inst_prefetch_distance 0x1
	s_branch .LBB148_23
	.p2align	6
.LBB148_22:                             ;   in Loop: Header=BB148_23 Depth=1
	global_load_b32 v3, v[1:2], off offset:-4
	v_add_co_u32 v1, vcc_lo, v1, s8
	v_add_co_ci_u32_e32 v2, vcc_lo, s9, v2, vcc_lo
	s_add_i32 s22, s22, -1
	s_delay_alu instid0(SALU_CYCLE_1)
	s_cmp_lg_u32 s22, 0
	s_waitcnt vmcnt(0)
	ds_store_b64 v5, v[3:4]
	v_add_nc_u32_e32 v5, 0x80, v5
	s_cbranch_scc0 .LBB148_27
.LBB148_23:                             ; =>This Inner Loop Header: Depth=1
	v_cmp_ne_u32_e32 vcc_lo, 1, v7
	s_mov_b32 s16, -1
                                        ; implicit-def: $vgpr4
	s_cbranch_vccnz .LBB148_25
; %bb.24:                               ;   in Loop: Header=BB148_23 Depth=1
	global_load_b32 v4, v[1:2], off
	s_mov_b32 s16, 0
.LBB148_25:                             ;   in Loop: Header=BB148_23 Depth=1
	s_delay_alu instid0(SALU_CYCLE_1)
	s_and_not1_b32 vcc_lo, exec_lo, s16
	s_cbranch_vccnz .LBB148_22
; %bb.26:                               ;   in Loop: Header=BB148_23 Depth=1
	global_load_b32 v3, v[1:2], off
	s_waitcnt vmcnt(0)
	v_xor_b32_e32 v4, 0x80000000, v3
	s_branch .LBB148_22
.LBB148_27:
	s_set_inst_prefetch_distance 0x2
	v_mul_u32_u24_e32 v1, 17, v0
	s_cmpk_lg_i32 s5, 0x84
	s_mov_b32 s5, -1
	s_delay_alu instid0(VALU_DEP_1)
	v_lshlrev_b32_e32 v5, 3, v1
	s_cbranch_scc0 .LBB148_33
; %bb.28:
	ds_load_b64 v[1:2], v5
	s_waitcnt lgkmcnt(0)
	v_cmp_gt_f32_e32 vcc_lo, 0, v1
	v_cndmask_b32_e64 v3, v1, -v1, vcc_lo
	v_cmp_gt_f32_e32 vcc_lo, 0, v2
	v_cndmask_b32_e64 v4, v2, -v2, vcc_lo
	s_delay_alu instid0(VALU_DEP_1) | instskip(SKIP_1) | instid1(SALU_CYCLE_1)
	v_cmp_ngt_f32_e32 vcc_lo, v3, v4
                                        ; implicit-def: $vgpr3
	s_and_saveexec_b32 s5, vcc_lo
	s_xor_b32 s5, exec_lo, s5
	s_cbranch_execz .LBB148_30
; %bb.29:
	v_div_scale_f32 v3, null, v2, v2, v1
	v_div_scale_f32 v7, vcc_lo, v1, v2, v1
	s_delay_alu instid0(VALU_DEP_2) | instskip(SKIP_2) | instid1(VALU_DEP_1)
	v_rcp_f32_e32 v4, v3
	s_waitcnt_depctr 0xfff
	v_fma_f32 v6, -v3, v4, 1.0
	v_fmac_f32_e32 v4, v6, v4
	s_delay_alu instid0(VALU_DEP_1) | instskip(NEXT) | instid1(VALU_DEP_1)
	v_mul_f32_e32 v6, v7, v4
	v_fma_f32 v8, -v3, v6, v7
	s_delay_alu instid0(VALU_DEP_1) | instskip(NEXT) | instid1(VALU_DEP_1)
	v_fmac_f32_e32 v6, v8, v4
	v_fma_f32 v3, -v3, v6, v7
	s_delay_alu instid0(VALU_DEP_1) | instskip(NEXT) | instid1(VALU_DEP_1)
	v_div_fmas_f32 v3, v3, v4, v6
	v_div_fixup_f32 v3, v3, v2, v1
	s_delay_alu instid0(VALU_DEP_1) | instskip(NEXT) | instid1(VALU_DEP_1)
	v_fmac_f32_e32 v2, v1, v3
	v_div_scale_f32 v1, null, v2, v2, 1.0
	v_div_scale_f32 v7, vcc_lo, 1.0, v2, 1.0
	s_delay_alu instid0(VALU_DEP_2) | instskip(SKIP_2) | instid1(VALU_DEP_1)
	v_rcp_f32_e32 v4, v1
	s_waitcnt_depctr 0xfff
	v_fma_f32 v6, -v1, v4, 1.0
	v_fmac_f32_e32 v4, v6, v4
	s_delay_alu instid0(VALU_DEP_1) | instskip(NEXT) | instid1(VALU_DEP_1)
	v_mul_f32_e32 v6, v7, v4
	v_fma_f32 v8, -v1, v6, v7
	s_delay_alu instid0(VALU_DEP_1) | instskip(NEXT) | instid1(VALU_DEP_1)
	v_fmac_f32_e32 v6, v8, v4
	v_fma_f32 v1, -v1, v6, v7
	s_delay_alu instid0(VALU_DEP_1) | instskip(SKIP_1) | instid1(VALU_DEP_2)
	v_div_fmas_f32 v1, v1, v4, v6
	v_add_f32_e32 v4, 0, v3
	v_div_fixup_f32 v1, v1, v2, 1.0
	v_fma_f32 v2, v3, 0, -1.0
	s_delay_alu instid0(VALU_DEP_2) | instskip(NEXT) | instid1(VALU_DEP_2)
	v_mul_f32_e32 v3, v4, v1
	v_mul_f32_e32 v4, v2, v1
                                        ; implicit-def: $vgpr1_vgpr2
.LBB148_30:
	s_and_not1_saveexec_b32 s5, s5
	s_cbranch_execz .LBB148_32
; %bb.31:
	v_div_scale_f32 v3, null, v1, v1, v2
	v_div_scale_f32 v7, vcc_lo, v2, v1, v2
	s_delay_alu instid0(VALU_DEP_2) | instskip(SKIP_2) | instid1(VALU_DEP_1)
	v_rcp_f32_e32 v4, v3
	s_waitcnt_depctr 0xfff
	v_fma_f32 v6, -v3, v4, 1.0
	v_fmac_f32_e32 v4, v6, v4
	s_delay_alu instid0(VALU_DEP_1) | instskip(NEXT) | instid1(VALU_DEP_1)
	v_mul_f32_e32 v6, v7, v4
	v_fma_f32 v8, -v3, v6, v7
	s_delay_alu instid0(VALU_DEP_1) | instskip(NEXT) | instid1(VALU_DEP_1)
	v_fmac_f32_e32 v6, v8, v4
	v_fma_f32 v3, -v3, v6, v7
	s_delay_alu instid0(VALU_DEP_1) | instskip(NEXT) | instid1(VALU_DEP_1)
	v_div_fmas_f32 v3, v3, v4, v6
	v_div_fixup_f32 v4, v3, v1, v2
	s_delay_alu instid0(VALU_DEP_1) | instskip(NEXT) | instid1(VALU_DEP_1)
	v_fmac_f32_e32 v1, v2, v4
	v_div_scale_f32 v2, null, v1, v1, 1.0
	v_div_scale_f32 v7, vcc_lo, 1.0, v1, 1.0
	s_delay_alu instid0(VALU_DEP_2) | instskip(SKIP_2) | instid1(VALU_DEP_1)
	v_rcp_f32_e32 v3, v2
	s_waitcnt_depctr 0xfff
	v_fma_f32 v6, -v2, v3, 1.0
	v_fmac_f32_e32 v3, v6, v3
	s_delay_alu instid0(VALU_DEP_1) | instskip(NEXT) | instid1(VALU_DEP_1)
	v_mul_f32_e32 v6, v7, v3
	v_fma_f32 v8, -v2, v6, v7
	s_delay_alu instid0(VALU_DEP_1) | instskip(NEXT) | instid1(VALU_DEP_1)
	v_fmac_f32_e32 v6, v8, v3
	v_fma_f32 v2, -v2, v6, v7
	s_delay_alu instid0(VALU_DEP_1) | instskip(SKIP_1) | instid1(VALU_DEP_2)
	v_div_fmas_f32 v2, v2, v3, v6
	v_fma_f32 v3, v4, 0, 1.0
	v_div_fixup_f32 v1, v2, v1, 1.0
	s_delay_alu instid0(VALU_DEP_1)
	v_mul_f32_e32 v3, v3, v1
	v_mul_f32_e64 v4, -v4, v1
.LBB148_32:
	s_or_b32 exec_lo, exec_lo, s5
	s_mov_b32 s5, 0
	ds_store_b64 v5, v[3:4]
.LBB148_33:
	s_and_b32 vcc_lo, exec_lo, s5
	s_cbranch_vccz .LBB148_35
; %bb.34:
	v_dual_mov_b32 v1, 1.0 :: v_dual_mov_b32 v2, 0
	ds_store_b64 v5, v[1:2]
.LBB148_35:
	s_or_b32 exec_lo, exec_lo, s29
	s_waitcnt lgkmcnt(0)
	s_load_b32 s16, s[0:1], 0x50
	s_lshl_b64 s[0:1], s[10:11], 3
	s_waitcnt lgkmcnt(0)
	s_ashr_i32 s17, s16, 31
	s_add_u32 s5, s2, s0
	s_addc_u32 s18, s3, s1
	s_lshl_b32 s8, s14, 4
	s_add_i32 s15, s15, -1
	s_sub_i32 s7, s7, s8
	s_mul_hi_i32 s11, s16, s8
	s_cmp_ge_u32 s14, s15
	s_mul_i32 s10, s16, s8
	s_cselect_b32 s14, s7, 16
	s_lshl_b64 s[10:11], s[10:11], 3
	s_ashr_i32 s9, s8, 31
	s_add_u32 s7, s5, s10
	s_addc_u32 s18, s18, s11
	v_cmp_gt_i32_e32 vcc_lo, s14, v0
	s_cmp_gt_i32 s6, 0
	s_mov_b32 s10, 0
	s_cselect_b32 s5, -1, 0
	s_delay_alu instid0(SALU_CYCLE_1) | instskip(NEXT) | instid1(SALU_CYCLE_1)
	s_and_b32 s19, vcc_lo, s5
	s_and_saveexec_b32 s5, s19
	s_cbranch_execz .LBB148_42
; %bb.36:
	s_cmp_lt_i32 s6, 8
	s_cbranch_scc1 .LBB148_39
; %bb.37:
	v_mad_i64_i32 v[1:2], null, s16, v0, 0
	v_lshl_or_b32 v3, v0, 3, 0x800
	s_lshl_b32 s10, s20, 3
	s_mov_b64 s[14:15], 0
	s_and_b32 s11, s10, 0xc0
	s_mov_b32 s10, 0
	s_delay_alu instid0(VALU_DEP_2) | instskip(NEXT) | instid1(VALU_DEP_1)
	v_lshlrev_b64 v[1:2], 3, v[1:2]
	v_add_co_u32 v1, vcc_lo, s7, v1
	s_delay_alu instid0(VALU_DEP_2)
	v_add_co_ci_u32_e32 v2, vcc_lo, s18, v2, vcc_lo
.LBB148_38:                             ; =>This Inner Loop Header: Depth=1
	s_delay_alu instid0(VALU_DEP_2) | instskip(NEXT) | instid1(VALU_DEP_2)
	v_add_co_u32 v16, vcc_lo, v1, s14
	v_add_co_ci_u32_e32 v17, vcc_lo, s15, v2, vcc_lo
	s_add_i32 s10, s10, 8
	s_add_u32 s14, s14, 64
	s_addc_u32 s15, s15, 0
	s_clause 0x3
	global_load_b128 v[4:7], v[16:17], off
	global_load_b128 v[8:11], v[16:17], off offset:16
	global_load_b128 v[12:15], v[16:17], off offset:32
	;; [unrolled: 1-line block ×3, first 2 shown]
	s_cmp_lg_u32 s11, s14
	s_waitcnt vmcnt(3)
	v_dual_mul_f32 v21, s13, v5 :: v_dual_mul_f32 v22, s13, v7
	v_dual_mul_f32 v20, s12, v5 :: v_dual_mul_f32 v5, s12, v7
	s_waitcnt vmcnt(2)
	v_dual_mul_f32 v23, s13, v9 :: v_dual_mul_f32 v24, s13, v11
	s_waitcnt vmcnt(1)
	v_dual_mul_f32 v7, s12, v9 :: v_dual_mul_f32 v26, s13, v15
	v_dual_mul_f32 v9, s12, v11 :: v_dual_fmac_f32 v20, s13, v4
	s_waitcnt vmcnt(0)
	v_dual_mul_f32 v25, s13, v13 :: v_dual_mul_f32 v28, s13, v19
	v_mul_f32_e32 v11, s12, v13
	v_mul_f32_e32 v13, s12, v15
	;; [unrolled: 1-line block ×5, first 2 shown]
	v_fma_f32 v19, s12, v4, -v21
	v_fma_f32 v4, s12, v6, -v22
	v_fmac_f32_e32 v5, s13, v6
	v_fma_f32 v6, s12, v8, -v23
	v_fmac_f32_e32 v7, s13, v8
	;; [unrolled: 2-line block ×7, first 2 shown]
	ds_store_2addr_b64 v3, v[19:20], v[4:5] offset1:16
	ds_store_2addr_b64 v3, v[6:7], v[8:9] offset0:32 offset1:48
	ds_store_2addr_b64 v3, v[10:11], v[12:13] offset0:64 offset1:80
	;; [unrolled: 1-line block ×3, first 2 shown]
	v_add_nc_u32_e32 v3, 0x400, v3
	s_cbranch_scc1 .LBB148_38
.LBB148_39:
	s_and_b32 s14, s20, 7
	s_mov_b32 s11, 0
	s_cmp_eq_u32 s14, 0
	s_cbranch_scc1 .LBB148_42
; %bb.40:
	v_lshlrev_b32_e32 v3, 3, v0
	s_lshl_b64 s[22:23], s[8:9], 3
	s_lshl_b64 s[24:25], s[10:11], 3
	s_delay_alu instid0(VALU_DEP_1) | instskip(NEXT) | instid1(VALU_DEP_1)
	v_add_co_u32 v4, s11, s22, v3
	v_add_co_ci_u32_e64 v5, null, s23, 0, s11
	s_add_u32 s11, s2, s24
	s_addc_u32 s15, s3, s25
	s_add_u32 s22, s11, s0
	s_addc_u32 s23, s15, s1
	v_mul_lo_u32 v5, v5, s16
	v_mad_u64_u32 v[1:2], null, v4, s16, s[22:23]
	v_mul_lo_u32 v4, v4, s17
	v_lshl_or_b32 v3, s10, 7, v3
	s_delay_alu instid0(VALU_DEP_1) | instskip(NEXT) | instid1(VALU_DEP_4)
	v_add_nc_u32_e32 v3, 0x800, v3
	v_add_co_u32 v1, vcc_lo, v1, 4
	s_delay_alu instid0(VALU_DEP_4) | instskip(NEXT) | instid1(VALU_DEP_1)
	v_add3_u32 v2, v5, v2, v4
	v_add_co_ci_u32_e32 v2, vcc_lo, 0, v2, vcc_lo
	.p2align	6
.LBB148_41:                             ; =>This Inner Loop Header: Depth=1
	global_load_b64 v[4:5], v[1:2], off offset:-4
	v_add_co_u32 v1, vcc_lo, v1, 8
	v_add_co_ci_u32_e32 v2, vcc_lo, 0, v2, vcc_lo
	s_add_i32 s14, s14, -1
	s_delay_alu instid0(SALU_CYCLE_1) | instskip(SKIP_2) | instid1(VALU_DEP_1)
	s_cmp_lg_u32 s14, 0
	s_waitcnt vmcnt(0)
	v_mul_f32_e32 v6, s12, v5
	v_dual_mul_f32 v7, s13, v5 :: v_dual_fmac_f32 v6, s13, v4
	s_delay_alu instid0(VALU_DEP_1)
	v_fma_f32 v5, s12, v4, -v7
	ds_store_b64 v3, v[5:6]
	v_add_nc_u32_e32 v3, 0x80, v3
	s_cbranch_scc1 .LBB148_41
.LBB148_42:
	s_or_b32 exec_lo, exec_lo, s5
	v_or_b32_e64 v3, 0, 4
	s_cmpk_eq_i32 s4, 0x6f
	s_mov_b32 s4, -1
	s_waitcnt vmcnt(0) lgkmcnt(0)
	s_waitcnt_vscnt null, 0x0
	; wave barrier
	s_waitcnt lgkmcnt(0)
	buffer_gl0_inv
	s_cbranch_scc1 .LBB148_64
; %bb.43:
	v_lshl_or_b32 v4, v0, 3, 0x800
	v_lshlrev_b32_e32 v5, 3, v0
	s_mov_b32 s5, 0
	s_delay_alu instid0(SALU_CYCLE_1)
	s_mov_b32 s4, s5
	s_mov_b32 s10, s5
	s_branch .LBB148_45
.LBB148_44:                             ;   in Loop: Header=BB148_45 Depth=1
	s_cmp_ge_i32 s10, s20
	s_cselect_b32 s11, -1, 0
	s_add_i32 s4, s4, 1
	s_delay_alu instid0(SALU_CYCLE_1) | instskip(SKIP_1) | instid1(SALU_CYCLE_1)
	s_cmp_eq_u32 s4, 3
	s_cselect_b32 s12, -1, 0
	s_or_b32 s11, s11, s12
	s_delay_alu instid0(SALU_CYCLE_1)
	s_and_not1_b32 vcc_lo, exec_lo, s11
	s_cbranch_vccz .LBB148_63
.LBB148_45:                             ; =>This Loop Header: Depth=1
                                        ;     Child Loop BB148_48 Depth 2
                                        ;       Child Loop BB148_49 Depth 3
                                        ;       Child Loop BB148_52 Depth 3
                                        ;         Child Loop BB148_53 Depth 4
                                        ;       Child Loop BB148_57 Depth 3
                                        ;         Child Loop BB148_59 Depth 4
	s_getpc_b64 s[12:13]
	s_add_u32 s12, s12, __const._ZL38rocblas_trsm_small_left_device_sharedBILi16ELi16ELb0E19rocblas_complex_numIfES1_PKPKS1_PKPS1_Ev13rocblas_fill_18rocblas_operation_17rocblas_diagonal_iiT3_T4_lilT5_lili.step_sizes@rel32@lo+4
	s_addc_u32 s13, s13, __const._ZL38rocblas_trsm_small_left_device_sharedBILi16ELi16ELb0E19rocblas_complex_numIfES1_PKPKS1_PKPS1_Ev13rocblas_fill_18rocblas_operation_17rocblas_diagonal_iiT3_T4_lilT5_lili.step_sizes@rel32@hi+12
	s_lshl_b64 s[14:15], s[4:5], 2
	s_delay_alu instid0(SALU_CYCLE_1) | instskip(SKIP_4) | instid1(SALU_CYCLE_1)
	s_add_u32 s12, s14, s12
	s_addc_u32 s13, s15, s13
	s_load_b32 s11, s[12:13], 0x0
	s_waitcnt lgkmcnt(0)
	s_add_i32 s12, s11, -1
	s_add_i32 s13, s12, s10
	s_delay_alu instid0(SALU_CYCLE_1)
	s_cmp_ge_i32 s13, s20
	s_cbranch_scc1 .LBB148_44
; %bb.46:                               ;   in Loop: Header=BB148_45 Depth=1
	s_lshl_b32 s13, s10, 7
	s_max_i32 s14, s11, 1
	v_add_nc_u32_e32 v6, s13, v4
	s_lshl_b32 s15, s11, 7
	s_mul_i32 s21, s10, 0x88
	s_mul_i32 s22, s11, 0x88
	s_branch .LBB148_48
.LBB148_47:                             ;   in Loop: Header=BB148_48 Depth=2
	s_add_i32 s10, s10, s11
	v_add_nc_u32_e32 v6, s15, v6
	s_add_i32 s23, s12, s10
	s_add_i32 s13, s13, s15
	;; [unrolled: 1-line block ×3, first 2 shown]
	s_cmp_ge_i32 s23, s20
	s_cbranch_scc1 .LBB148_44
.LBB148_48:                             ;   Parent Loop BB148_45 Depth=1
                                        ; =>  This Loop Header: Depth=2
                                        ;       Child Loop BB148_49 Depth 3
                                        ;       Child Loop BB148_52 Depth 3
                                        ;         Child Loop BB148_53 Depth 4
                                        ;       Child Loop BB148_57 Depth 3
                                        ;         Child Loop BB148_59 Depth 4
	v_dual_mov_b32 v1, 0 :: v_dual_mov_b32 v2, v6
	s_mov_b32 s23, s14
.LBB148_49:                             ;   Parent Loop BB148_45 Depth=1
                                        ;     Parent Loop BB148_48 Depth=2
                                        ; =>    This Inner Loop Header: Depth=3
	ds_load_b64 v[7:8], v2
	v_add_nc_u32_e32 v2, 0x80, v2
	s_add_i32 s23, s23, -1
	s_delay_alu instid0(SALU_CYCLE_1)
	s_cmp_eq_u32 s23, 0
	s_waitcnt lgkmcnt(0)
	scratch_store_b64 v1, v[7:8], off
	v_add_nc_u32_e32 v1, 8, v1
	s_cbranch_scc0 .LBB148_49
; %bb.50:                               ;   in Loop: Header=BB148_48 Depth=2
	s_cmp_lt_i32 s10, 1
	s_cbranch_scc1 .LBB148_55
; %bb.51:                               ;   in Loop: Header=BB148_48 Depth=2
	s_mov_b32 s23, 0
	s_mov_b32 s24, s13
	.p2align	6
.LBB148_52:                             ;   Parent Loop BB148_45 Depth=1
                                        ;     Parent Loop BB148_48 Depth=2
                                        ; =>    This Loop Header: Depth=3
                                        ;         Child Loop BB148_53 Depth 4
	v_lshl_or_b32 v1, s23, 7, v5
	v_mov_b32_e32 v7, v3
	s_mov_b32 s25, s24
	s_mov_b32 s26, s14
	ds_load_b64 v[1:2], v1 offset:2048
	.p2align	6
.LBB148_53:                             ;   Parent Loop BB148_45 Depth=1
                                        ;     Parent Loop BB148_48 Depth=2
                                        ;       Parent Loop BB148_52 Depth=3
                                        ; =>      This Inner Loop Header: Depth=4
	scratch_load_b64 v[8:9], v7, off offset:-4
	v_mov_b32_e32 v10, s25
	s_add_i32 s26, s26, -1
	s_addk_i32 s25, 0x80
	s_cmp_eq_u32 s26, 0
	ds_load_b64 v[10:11], v10
	s_waitcnt lgkmcnt(0)
	v_mul_f32_e32 v12, v11, v2
	v_mul_f32_e32 v11, v11, v1
	s_delay_alu instid0(VALU_DEP_1) | instskip(SKIP_1) | instid1(VALU_DEP_1)
	v_fmac_f32_e32 v11, v10, v2
	s_waitcnt vmcnt(0)
	v_sub_f32_e32 v9, v9, v11
	v_fma_f32 v12, v10, v1, -v12
	s_delay_alu instid0(VALU_DEP_1)
	v_sub_f32_e32 v8, v8, v12
	scratch_store_b64 v7, v[8:9], off offset:-4
	v_add_nc_u32_e32 v7, 8, v7
	s_cbranch_scc0 .LBB148_53
; %bb.54:                               ;   in Loop: Header=BB148_52 Depth=3
	s_add_i32 s23, s23, 1
	s_add_i32 s24, s24, 8
	s_cmp_ge_i32 s23, s10
	s_cbranch_scc0 .LBB148_52
.LBB148_55:                             ;   in Loop: Header=BB148_48 Depth=2
	s_lshl_b32 s23, s10, 4
	s_mov_b32 s24, 0
	s_mov_b32 s25, s21
	s_branch .LBB148_57
.LBB148_56:                             ;   in Loop: Header=BB148_57 Depth=3
	s_mulk_i32 s27, 0x88
	s_addk_i32 s25, 0x80
	v_mov_b32_e32 v7, s27
	s_lshl_b32 s27, s24, 3
	s_add_i32 s24, s24, 1
	ds_load_b64 v[7:8], v7
	s_waitcnt vmcnt(0) lgkmcnt(0)
	v_mul_f32_e32 v9, v8, v2
	v_mul_f32_e32 v10, v7, v2
	v_add_lshl_u32 v2, s26, v0, 3
	s_add_i32 s26, s27, 0
	s_cmp_eq_u32 s24, s14
	v_fma_f32 v9, v7, v1, -v9
	v_fmac_f32_e32 v10, v8, v1
	scratch_store_b64 off, v[9:10], s26
	ds_store_b64 v2, v[9:10] offset:2048
	s_cbranch_scc1 .LBB148_47
.LBB148_57:                             ;   Parent Loop BB148_45 Depth=1
                                        ;     Parent Loop BB148_48 Depth=2
                                        ; =>    This Loop Header: Depth=3
                                        ;         Child Loop BB148_59 Depth 4
	s_cmp_lg_u32 s24, 0
	s_cbranch_scc0 .LBB148_61
; %bb.58:                               ;   in Loop: Header=BB148_57 Depth=3
	s_lshl_b32 s26, s24, 3
	v_mov_b32_e32 v8, 0
	s_add_i32 s27, s26, 0
	v_add_nc_u32_e64 v7, s26, 0
	scratch_load_b64 v[1:2], off, s27
	s_add_i32 s27, s24, s10
	s_mov_b32 s29, 0
	s_lshl_b32 s26, s27, 4
	s_mov_b32 s30, s25
	.p2align	6
.LBB148_59:                             ;   Parent Loop BB148_45 Depth=1
                                        ;     Parent Loop BB148_48 Depth=2
                                        ;       Parent Loop BB148_57 Depth=3
                                        ; =>      This Inner Loop Header: Depth=4
	scratch_load_b64 v[9:10], v8, off
	v_mov_b32_e32 v11, s30
	s_add_i32 s29, s29, 1
	s_add_i32 s30, s30, 8
	s_cmp_ge_u32 s29, s24
	v_add_nc_u32_e32 v8, 8, v8
	ds_load_b64 v[11:12], v11
	s_waitcnt vmcnt(0) lgkmcnt(0)
	v_mul_f32_e32 v13, v12, v10
	v_mul_f32_e32 v10, v11, v10
	s_delay_alu instid0(VALU_DEP_2) | instskip(NEXT) | instid1(VALU_DEP_1)
	v_fma_f32 v11, v11, v9, -v13
	v_dual_sub_f32 v1, v1, v11 :: v_dual_fmac_f32 v10, v12, v9
	s_delay_alu instid0(VALU_DEP_1)
	v_sub_f32_e32 v2, v2, v10
	scratch_store_b64 v7, v[1:2], off
	s_cbranch_scc0 .LBB148_59
; %bb.60:                               ;   in Loop: Header=BB148_57 Depth=3
	s_branch .LBB148_56
.LBB148_61:                             ;   in Loop: Header=BB148_57 Depth=3
                                        ; implicit-def: $vgpr1
                                        ; implicit-def: $sgpr27
                                        ; implicit-def: $sgpr26
	s_cbranch_execz .LBB148_56
; %bb.62:                               ;   in Loop: Header=BB148_57 Depth=3
	scratch_load_b64 v[1:2], off, off
	s_mov_b32 s26, s23
	s_mov_b32 s27, s10
	s_branch .LBB148_56
.LBB148_63:
	s_mov_b32 s4, 0
.LBB148_64:
	s_delay_alu instid0(SALU_CYCLE_1)
	s_and_b32 vcc_lo, exec_lo, s4
	s_cbranch_vccz .LBB148_84
; %bb.65:
	v_lshl_or_b32 v4, v0, 3, 0x800
	v_lshlrev_b32_e32 v5, 3, v0
	s_lshl_b32 s10, s20, 7
	s_mov_b32 s5, 0
	s_addk_i32 s10, 0xff80
	s_mov_b32 s4, s5
	s_mov_b32 s11, s28
	s_branch .LBB148_67
.LBB148_66:                             ;   in Loop: Header=BB148_67 Depth=1
	s_cmp_lt_i32 s11, 0
	s_cselect_b32 s12, -1, 0
	s_add_i32 s4, s4, 1
	s_delay_alu instid0(SALU_CYCLE_1) | instskip(SKIP_1) | instid1(SALU_CYCLE_1)
	s_cmp_eq_u32 s4, 3
	s_cselect_b32 s13, -1, 0
	s_or_b32 s12, s12, s13
	s_delay_alu instid0(SALU_CYCLE_1)
	s_and_b32 vcc_lo, exec_lo, s12
	s_cbranch_vccnz .LBB148_84
.LBB148_67:                             ; =>This Loop Header: Depth=1
                                        ;     Child Loop BB148_70 Depth 2
                                        ;       Child Loop BB148_71 Depth 3
                                        ;       Child Loop BB148_73 Depth 3
                                        ;         Child Loop BB148_74 Depth 4
                                        ;       Child Loop BB148_78 Depth 3
                                        ;         Child Loop BB148_80 Depth 4
	s_getpc_b64 s[12:13]
	s_add_u32 s12, s12, __const._ZL38rocblas_trsm_small_left_device_sharedBILi16ELi16ELb0E19rocblas_complex_numIfES1_PKPKS1_PKPS1_Ev13rocblas_fill_18rocblas_operation_17rocblas_diagonal_iiT3_T4_lilT5_lili.step_sizes@rel32@lo+4
	s_addc_u32 s13, s13, __const._ZL38rocblas_trsm_small_left_device_sharedBILi16ELi16ELb0E19rocblas_complex_numIfES1_PKPKS1_PKPS1_Ev13rocblas_fill_18rocblas_operation_17rocblas_diagonal_iiT3_T4_lilT5_lili.step_sizes@rel32@hi+12
	s_lshl_b64 s[14:15], s[4:5], 2
	s_delay_alu instid0(SALU_CYCLE_1) | instskip(SKIP_4) | instid1(SALU_CYCLE_1)
	s_add_u32 s12, s14, s12
	s_addc_u32 s13, s15, s13
	s_load_b32 s12, s[12:13], 0x0
	s_waitcnt lgkmcnt(0)
	s_add_i32 s13, s12, -1
	s_cmp_lt_i32 s11, s13
	s_cbranch_scc1 .LBB148_66
; %bb.68:                               ;   in Loop: Header=BB148_67 Depth=1
	v_lshl_add_u32 v6, s11, 7, v4
	s_lshl_b32 s15, s12, 7
	s_lshl_b32 s21, s11, 3
	;; [unrolled: 1-line block ×3, first 2 shown]
	s_max_i32 s14, s12, 1
	s_sub_i32 s15, 0, s15
	s_add_i32 s21, s10, s21
	s_sub_i32 s22, 0, s22
	s_mul_i32 s23, s11, 0x88
	s_mul_i32 s24, s12, 0xffffff78
	s_branch .LBB148_70
.LBB148_69:                             ;   in Loop: Header=BB148_70 Depth=2
	v_add_nc_u32_e32 v6, s15, v6
	s_sub_i32 s11, s11, s12
	s_add_i32 s21, s21, s22
	s_add_i32 s23, s23, s24
	s_cmp_lt_i32 s11, s13
	s_cbranch_scc1 .LBB148_66
.LBB148_70:                             ;   Parent Loop BB148_67 Depth=1
                                        ; =>  This Loop Header: Depth=2
                                        ;       Child Loop BB148_71 Depth 3
                                        ;       Child Loop BB148_73 Depth 3
                                        ;         Child Loop BB148_74 Depth 4
                                        ;       Child Loop BB148_78 Depth 3
                                        ;         Child Loop BB148_80 Depth 4
	v_dual_mov_b32 v1, 0 :: v_dual_mov_b32 v2, v6
	s_mov_b32 s25, s14
.LBB148_71:                             ;   Parent Loop BB148_67 Depth=1
                                        ;     Parent Loop BB148_70 Depth=2
                                        ; =>    This Inner Loop Header: Depth=3
	ds_load_b64 v[7:8], v2
	v_add_nc_u32_e32 v2, 0xffffff80, v2
	s_add_i32 s25, s25, -1
	s_delay_alu instid0(SALU_CYCLE_1)
	s_cmp_eq_u32 s25, 0
	s_waitcnt lgkmcnt(0)
	scratch_store_b64 v1, v[7:8], off
	v_add_nc_u32_e32 v1, 8, v1
	s_cbranch_scc0 .LBB148_71
; %bb.72:                               ;   in Loop: Header=BB148_70 Depth=2
	s_cmp_le_i32 s28, s11
	s_mov_b32 s25, s21
	s_mov_b32 s26, s28
	s_cbranch_scc1 .LBB148_76
	.p2align	6
.LBB148_73:                             ;   Parent Loop BB148_67 Depth=1
                                        ;     Parent Loop BB148_70 Depth=2
                                        ; =>    This Loop Header: Depth=3
                                        ;         Child Loop BB148_74 Depth 4
	v_lshl_or_b32 v1, s26, 7, v5
	v_mov_b32_e32 v7, v3
	s_mov_b32 s27, s14
	s_mov_b32 s29, s25
	ds_load_b64 v[1:2], v1 offset:2048
	.p2align	6
.LBB148_74:                             ;   Parent Loop BB148_67 Depth=1
                                        ;     Parent Loop BB148_70 Depth=2
                                        ;       Parent Loop BB148_73 Depth=3
                                        ; =>      This Inner Loop Header: Depth=4
	scratch_load_b64 v[8:9], v7, off offset:-4
	v_mov_b32_e32 v10, s29
	s_add_i32 s27, s27, -1
	s_add_i32 s29, s29, -8
	s_cmp_eq_u32 s27, 0
	ds_load_b64 v[10:11], v10
	s_waitcnt lgkmcnt(0)
	v_mul_f32_e32 v12, v11, v2
	v_mul_f32_e32 v11, v11, v1
	s_delay_alu instid0(VALU_DEP_1) | instskip(SKIP_1) | instid1(VALU_DEP_1)
	v_fmac_f32_e32 v11, v10, v2
	s_waitcnt vmcnt(0)
	v_sub_f32_e32 v9, v9, v11
	v_fma_f32 v12, v10, v1, -v12
	s_delay_alu instid0(VALU_DEP_1)
	v_sub_f32_e32 v8, v8, v12
	scratch_store_b64 v7, v[8:9], off offset:-4
	v_add_nc_u32_e32 v7, 8, v7
	s_cbranch_scc0 .LBB148_74
; %bb.75:                               ;   in Loop: Header=BB148_73 Depth=3
	s_add_i32 s26, s26, -1
	s_addk_i32 s25, 0xff80
	s_cmp_le_i32 s26, s11
	s_cbranch_scc0 .LBB148_73
.LBB148_76:                             ;   in Loop: Header=BB148_70 Depth=2
	s_mov_b32 s25, 0
	s_mov_b32 s26, s23
	s_branch .LBB148_78
.LBB148_77:                             ;   in Loop: Header=BB148_78 Depth=3
	s_mul_i32 s29, s27, 0x88
	s_add_i32 s26, s26, -8
	v_mov_b32_e32 v7, s29
	s_lshl_b32 s29, s25, 3
	s_add_i32 s25, s25, 1
	ds_load_b64 v[7:8], v7
	s_waitcnt vmcnt(0) lgkmcnt(0)
	v_mul_f32_e32 v9, v8, v2
	v_mul_f32_e32 v10, v7, v2
	v_lshl_or_b32 v2, s27, 7, v5
	s_add_i32 s27, s29, 0
	s_cmp_eq_u32 s25, s14
	v_fma_f32 v9, v7, v1, -v9
	v_fmac_f32_e32 v10, v8, v1
	scratch_store_b64 off, v[9:10], s27
	ds_store_b64 v2, v[9:10] offset:2048
	s_cbranch_scc1 .LBB148_69
.LBB148_78:                             ;   Parent Loop BB148_67 Depth=1
                                        ;     Parent Loop BB148_70 Depth=2
                                        ; =>    This Loop Header: Depth=3
                                        ;         Child Loop BB148_80 Depth 4
	s_cmp_lg_u32 s25, 0
	s_cbranch_scc0 .LBB148_82
; %bb.79:                               ;   in Loop: Header=BB148_78 Depth=3
	s_lshl_b32 s27, s25, 3
	v_mov_b32_e32 v8, 0
	s_add_i32 s29, s27, 0
	v_add_nc_u32_e64 v7, s27, 0
	scratch_load_b64 v[1:2], off, s29
	s_sub_i32 s27, s11, s25
	s_mov_b32 s29, 0
	s_mov_b32 s30, s26
	.p2align	6
.LBB148_80:                             ;   Parent Loop BB148_67 Depth=1
                                        ;     Parent Loop BB148_70 Depth=2
                                        ;       Parent Loop BB148_78 Depth=3
                                        ; =>      This Inner Loop Header: Depth=4
	scratch_load_b64 v[9:10], v8, off
	v_mov_b32_e32 v11, s30
	s_add_i32 s29, s29, 1
	s_addk_i32 s30, 0xff80
	s_cmp_ge_u32 s29, s25
	v_add_nc_u32_e32 v8, 8, v8
	ds_load_b64 v[11:12], v11
	s_waitcnt vmcnt(0) lgkmcnt(0)
	v_mul_f32_e32 v13, v12, v10
	v_mul_f32_e32 v10, v11, v10
	s_delay_alu instid0(VALU_DEP_2) | instskip(NEXT) | instid1(VALU_DEP_1)
	v_fma_f32 v11, v11, v9, -v13
	v_dual_sub_f32 v1, v1, v11 :: v_dual_fmac_f32 v10, v12, v9
	s_delay_alu instid0(VALU_DEP_1)
	v_sub_f32_e32 v2, v2, v10
	scratch_store_b64 v7, v[1:2], off
	s_cbranch_scc0 .LBB148_80
; %bb.81:                               ;   in Loop: Header=BB148_78 Depth=3
	s_branch .LBB148_77
.LBB148_82:                             ;   in Loop: Header=BB148_78 Depth=3
                                        ; implicit-def: $vgpr1
                                        ; implicit-def: $sgpr27
	s_cbranch_execz .LBB148_77
; %bb.83:                               ;   in Loop: Header=BB148_78 Depth=3
	scratch_load_b64 v[1:2], off, off
	s_mov_b32 s27, s11
	s_branch .LBB148_77
.LBB148_84:
	s_waitcnt vmcnt(0) lgkmcnt(0)
	s_waitcnt_vscnt null, 0x0
	; wave barrier
	s_waitcnt lgkmcnt(0)
	s_waitcnt_vscnt null, 0x0
	buffer_gl0_inv
	s_and_saveexec_b32 s4, s19
	s_cbranch_execz .LBB148_91
; %bb.85:
	s_cmp_lt_i32 s6, 8
	s_mov_b32 s4, 0
	s_cbranch_scc1 .LBB148_88
; %bb.86:
	v_mad_i64_i32 v[1:2], null, s16, v0, 0
	v_lshl_or_b32 v3, v0, 3, 0x800
	s_lshl_b32 s4, s20, 3
	s_delay_alu instid0(SALU_CYCLE_1) | instskip(SKIP_1) | instid1(VALU_DEP_2)
	s_and_b32 s5, s4, 0xc0
	s_mov_b32 s4, 0
	v_lshlrev_b64 v[1:2], 3, v[1:2]
	s_delay_alu instid0(VALU_DEP_1) | instskip(NEXT) | instid1(VALU_DEP_2)
	v_add_co_u32 v1, vcc_lo, s7, v1
	v_add_co_ci_u32_e32 v2, vcc_lo, s18, v2, vcc_lo
	s_mov_b64 s[6:7], 0
	.p2align	6
.LBB148_87:                             ; =>This Inner Loop Header: Depth=1
	ds_load_2addr_b64 v[4:7], v3 offset1:16
	ds_load_2addr_b64 v[8:11], v3 offset0:32 offset1:48
	ds_load_2addr_b64 v[12:15], v3 offset0:64 offset1:80
	;; [unrolled: 1-line block ×3, first 2 shown]
	v_add_co_u32 v20, vcc_lo, v1, s6
	v_add_co_ci_u32_e32 v21, vcc_lo, s7, v2, vcc_lo
	s_add_i32 s4, s4, 8
	v_add_nc_u32_e32 v3, 0x400, v3
	s_add_u32 s6, s6, 64
	s_addc_u32 s7, s7, 0
	s_cmp_lg_u32 s5, s6
	s_waitcnt lgkmcnt(3)
	global_store_b128 v[20:21], v[4:7], off
	s_waitcnt lgkmcnt(2)
	global_store_b128 v[20:21], v[8:11], off offset:16
	s_waitcnt lgkmcnt(1)
	global_store_b128 v[20:21], v[12:15], off offset:32
	;; [unrolled: 2-line block ×3, first 2 shown]
	s_cbranch_scc1 .LBB148_87
.LBB148_88:
	s_and_b32 s6, s20, 7
	s_mov_b32 s5, 0
	s_cmp_eq_u32 s6, 0
	s_cbranch_scc1 .LBB148_91
; %bb.89:
	v_lshlrev_b32_e32 v2, 3, v0
	s_lshl_b64 s[8:9], s[8:9], 3
	s_lshl_b64 s[10:11], s[4:5], 3
	s_delay_alu instid0(SALU_CYCLE_1) | instskip(NEXT) | instid1(VALU_DEP_1)
	s_add_u32 s2, s2, s10
	v_add_co_u32 v3, s5, s8, v2
	s_delay_alu instid0(VALU_DEP_1) | instskip(SKIP_3) | instid1(VALU_DEP_1)
	v_add_co_ci_u32_e64 v4, null, s9, 0, s5
	s_addc_u32 s3, s3, s11
	s_add_u32 s0, s2, s0
	s_addc_u32 s1, s3, s1
	v_mul_lo_u32 v4, v4, s16
	v_mad_u64_u32 v[0:1], null, v3, s16, s[0:1]
	v_mul_lo_u32 v3, v3, s17
	v_lshl_or_b32 v2, s4, 7, v2
	s_delay_alu instid0(VALU_DEP_1) | instskip(NEXT) | instid1(VALU_DEP_3)
	v_add_nc_u32_e32 v2, 0x800, v2
	v_add3_u32 v1, v4, v1, v3
.LBB148_90:                             ; =>This Inner Loop Header: Depth=1
	ds_load_b64 v[3:4], v2
	v_add_nc_u32_e32 v2, 0x80, v2
	s_add_i32 s6, s6, -1
	s_delay_alu instid0(SALU_CYCLE_1)
	s_cmp_lg_u32 s6, 0
	s_waitcnt lgkmcnt(0)
	global_store_b64 v[0:1], v[3:4], off
	v_add_co_u32 v0, vcc_lo, v0, 8
	v_add_co_ci_u32_e32 v1, vcc_lo, 0, v1, vcc_lo
	s_cbranch_scc1 .LBB148_90
.LBB148_91:
	s_nop 0
	s_sendmsg sendmsg(MSG_DEALLOC_VGPRS)
	s_endpgm
	.section	.rodata,"a",@progbits
	.p2align	6, 0x0
	.amdhsa_kernel _ZL38rocblas_trsm_small_left_device_sharedBILi16ELi16ELb0E19rocblas_complex_numIfES1_PKPKS1_PKPS1_Ev13rocblas_fill_18rocblas_operation_17rocblas_diagonal_iiT3_T4_lilT5_lili
		.amdhsa_group_segment_fixed_size 4096
		.amdhsa_private_segment_fixed_size 144
		.amdhsa_kernarg_size 360
		.amdhsa_user_sgpr_count 14
		.amdhsa_user_sgpr_dispatch_ptr 0
		.amdhsa_user_sgpr_queue_ptr 0
		.amdhsa_user_sgpr_kernarg_segment_ptr 1
		.amdhsa_user_sgpr_dispatch_id 0
		.amdhsa_user_sgpr_private_segment_size 0
		.amdhsa_wavefront_size32 1
		.amdhsa_uses_dynamic_stack 0
		.amdhsa_enable_private_segment 1
		.amdhsa_system_sgpr_workgroup_id_x 1
		.amdhsa_system_sgpr_workgroup_id_y 0
		.amdhsa_system_sgpr_workgroup_id_z 1
		.amdhsa_system_sgpr_workgroup_info 0
		.amdhsa_system_vgpr_workitem_id 0
		.amdhsa_next_free_vgpr 29
		.amdhsa_next_free_sgpr 35
		.amdhsa_reserve_vcc 1
		.amdhsa_float_round_mode_32 0
		.amdhsa_float_round_mode_16_64 0
		.amdhsa_float_denorm_mode_32 3
		.amdhsa_float_denorm_mode_16_64 3
		.amdhsa_dx10_clamp 1
		.amdhsa_ieee_mode 1
		.amdhsa_fp16_overflow 0
		.amdhsa_workgroup_processor_mode 1
		.amdhsa_memory_ordered 1
		.amdhsa_forward_progress 0
		.amdhsa_shared_vgpr_count 0
		.amdhsa_exception_fp_ieee_invalid_op 0
		.amdhsa_exception_fp_denorm_src 0
		.amdhsa_exception_fp_ieee_div_zero 0
		.amdhsa_exception_fp_ieee_overflow 0
		.amdhsa_exception_fp_ieee_underflow 0
		.amdhsa_exception_fp_ieee_inexact 0
		.amdhsa_exception_int_div_zero 0
	.end_amdhsa_kernel
	.section	.text._ZL38rocblas_trsm_small_left_device_sharedBILi16ELi16ELb0E19rocblas_complex_numIfES1_PKPKS1_PKPS1_Ev13rocblas_fill_18rocblas_operation_17rocblas_diagonal_iiT3_T4_lilT5_lili,"axG",@progbits,_ZL38rocblas_trsm_small_left_device_sharedBILi16ELi16ELb0E19rocblas_complex_numIfES1_PKPKS1_PKPS1_Ev13rocblas_fill_18rocblas_operation_17rocblas_diagonal_iiT3_T4_lilT5_lili,comdat
.Lfunc_end148:
	.size	_ZL38rocblas_trsm_small_left_device_sharedBILi16ELi16ELb0E19rocblas_complex_numIfES1_PKPKS1_PKPS1_Ev13rocblas_fill_18rocblas_operation_17rocblas_diagonal_iiT3_T4_lilT5_lili, .Lfunc_end148-_ZL38rocblas_trsm_small_left_device_sharedBILi16ELi16ELb0E19rocblas_complex_numIfES1_PKPKS1_PKPS1_Ev13rocblas_fill_18rocblas_operation_17rocblas_diagonal_iiT3_T4_lilT5_lili
                                        ; -- End function
	.section	.AMDGPU.csdata,"",@progbits
; Kernel info:
; codeLenInByte = 3924
; NumSgprs: 37
; NumVgprs: 29
; ScratchSize: 144
; MemoryBound: 0
; FloatMode: 240
; IeeeMode: 1
; LDSByteSize: 4096 bytes/workgroup (compile time only)
; SGPRBlocks: 4
; VGPRBlocks: 3
; NumSGPRsForWavesPerEU: 37
; NumVGPRsForWavesPerEU: 29
; Occupancy: 8
; WaveLimiterHint : 1
; COMPUTE_PGM_RSRC2:SCRATCH_EN: 1
; COMPUTE_PGM_RSRC2:USER_SGPR: 14
; COMPUTE_PGM_RSRC2:TRAP_HANDLER: 0
; COMPUTE_PGM_RSRC2:TGID_X_EN: 1
; COMPUTE_PGM_RSRC2:TGID_Y_EN: 0
; COMPUTE_PGM_RSRC2:TGID_Z_EN: 1
; COMPUTE_PGM_RSRC2:TIDIG_COMP_CNT: 0
	.section	.text._ZL30rocblas_trsm_small_left_deviceILi16ELi16ELb0E19rocblas_complex_numIfES1_PKPKS1_PKPS1_Ev13rocblas_fill_18rocblas_operation_17rocblas_diagonal_iiT3_T4_lilT5_lili,"axG",@progbits,_ZL30rocblas_trsm_small_left_deviceILi16ELi16ELb0E19rocblas_complex_numIfES1_PKPKS1_PKPS1_Ev13rocblas_fill_18rocblas_operation_17rocblas_diagonal_iiT3_T4_lilT5_lili,comdat
	.globl	_ZL30rocblas_trsm_small_left_deviceILi16ELi16ELb0E19rocblas_complex_numIfES1_PKPKS1_PKPS1_Ev13rocblas_fill_18rocblas_operation_17rocblas_diagonal_iiT3_T4_lilT5_lili ; -- Begin function _ZL30rocblas_trsm_small_left_deviceILi16ELi16ELb0E19rocblas_complex_numIfES1_PKPKS1_PKPS1_Ev13rocblas_fill_18rocblas_operation_17rocblas_diagonal_iiT3_T4_lilT5_lili
	.p2align	8
	.type	_ZL30rocblas_trsm_small_left_deviceILi16ELi16ELb0E19rocblas_complex_numIfES1_PKPKS1_PKPS1_Ev13rocblas_fill_18rocblas_operation_17rocblas_diagonal_iiT3_T4_lilT5_lili,@function
_ZL30rocblas_trsm_small_left_deviceILi16ELi16ELb0E19rocblas_complex_numIfES1_PKPKS1_PKPS1_Ev13rocblas_fill_18rocblas_operation_17rocblas_diagonal_iiT3_T4_lilT5_lili: ; @_ZL30rocblas_trsm_small_left_deviceILi16ELi16ELb0E19rocblas_complex_numIfES1_PKPKS1_PKPS1_Ev13rocblas_fill_18rocblas_operation_17rocblas_diagonal_iiT3_T4_lilT5_lili
; %bb.0:
	s_clause 0x1
	s_load_b128 s[8:11], s[0:1], 0x40
	s_load_b128 s[4:7], s[0:1], 0x4
	s_mov_b32 s12, s15
	s_mov_b32 s13, 0
	s_load_b32 s15, s[0:1], 0x68
	s_lshl_b64 s[22:23], s[12:13], 3
	s_waitcnt lgkmcnt(0)
	s_add_u32 s8, s8, s22
	s_addc_u32 s9, s9, s23
	s_load_b64 s[2:3], s[0:1], 0x14
	s_load_b64 s[8:9], s[8:9], 0x0
	s_min_i32 s29, s6, 16
	s_mov_b32 s6, exec_lo
	s_add_i32 s28, s29, -1
	v_cmpx_gt_i32_e64 s29, v0
	s_cbranch_execz .LBB149_35
; %bb.1:
	s_clause 0x1
	s_load_b32 s20, s[0:1], 0x30
	s_load_b128 s[16:19], s[0:1], 0x20
	v_lshlrev_b32_e32 v8, 3, v0
	s_waitcnt lgkmcnt(0)
	s_ashr_i32 s21, s20, 31
	s_cmpk_lg_i32 s4, 0x71
	s_cselect_b32 s12, -1, 0
	s_add_u32 s16, s16, s22
	s_addc_u32 s17, s17, s23
	v_cndmask_b32_e64 v7, 0, 1, s12
	s_load_b64 s[16:17], s[16:17], 0x0
	s_cmp_lt_u32 s28, 3
	s_cbranch_scc1 .LBB149_20
; %bb.2:
	s_lshl_b64 s[22:23], s[18:19], 3
	v_mov_b32_e32 v9, v8
	s_waitcnt lgkmcnt(0)
	s_add_u32 s13, s16, s22
	s_addc_u32 s22, s17, s23
	v_add_co_u32 v1, s13, s13, v8
	s_delay_alu instid0(VALU_DEP_1)
	v_add_co_ci_u32_e64 v2, null, s22, 0, s13
	s_and_b32 s13, s29, -4
	s_mul_hi_i32 s30, s20, 24
	s_mul_i32 s31, s20, 24
	s_lshl_b64 s[22:23], s[20:21], 5
	s_lshl_b64 s[24:25], s[20:21], 4
	s_lshl_b64 s[26:27], s[20:21], 3
	s_mov_b32 s33, 0
	s_branch .LBB149_4
.LBB149_3:                              ;   in Loop: Header=BB149_4 Depth=1
	global_load_b32 v3, v[5:6], off
	v_add_co_u32 v1, vcc_lo, v1, s22
	v_add_co_ci_u32_e32 v2, vcc_lo, s23, v2, vcc_lo
	s_add_i32 s33, s33, 4
	s_delay_alu instid0(SALU_CYCLE_1)
	s_cmp_eq_u32 s13, s33
	s_waitcnt vmcnt(0)
	ds_store_b64 v9, v[3:4] offset:384
	v_add_nc_u32_e32 v9, 0x200, v9
	s_cbranch_scc1 .LBB149_20
.LBB149_4:                              ; =>This Inner Loop Header: Depth=1
	s_and_b32 vcc_lo, exec_lo, s12
	s_cbranch_vccz .LBB149_6
; %bb.5:                                ;   in Loop: Header=BB149_4 Depth=1
	global_load_b32 v4, v[1:2], off offset:4
	s_cbranch_execz .LBB149_7
	s_branch .LBB149_8
.LBB149_6:                              ;   in Loop: Header=BB149_4 Depth=1
                                        ; implicit-def: $vgpr4
.LBB149_7:                              ;   in Loop: Header=BB149_4 Depth=1
	global_load_b32 v3, v[1:2], off offset:4
	s_waitcnt vmcnt(0)
	v_xor_b32_e32 v4, 0x80000000, v3
.LBB149_8:                              ;   in Loop: Header=BB149_4 Depth=1
	global_load_b32 v3, v[1:2], off
	v_add_co_u32 v5, vcc_lo, v1, s26
	v_add_co_ci_u32_e32 v6, vcc_lo, s27, v2, vcc_lo
	s_and_not1_b32 vcc_lo, exec_lo, s12
	s_waitcnt vmcnt(0)
	ds_store_b64 v9, v[3:4]
	s_cbranch_vccnz .LBB149_10
; %bb.9:                                ;   in Loop: Header=BB149_4 Depth=1
	global_load_b32 v4, v[5:6], off offset:4
	s_cbranch_execz .LBB149_11
	s_branch .LBB149_12
.LBB149_10:                             ;   in Loop: Header=BB149_4 Depth=1
                                        ; implicit-def: $vgpr4
.LBB149_11:                             ;   in Loop: Header=BB149_4 Depth=1
	global_load_b32 v3, v[5:6], off offset:4
	s_waitcnt vmcnt(0)
	v_xor_b32_e32 v4, 0x80000000, v3
.LBB149_12:                             ;   in Loop: Header=BB149_4 Depth=1
	global_load_b32 v3, v[5:6], off
	v_add_co_u32 v5, vcc_lo, v1, s24
	v_add_co_ci_u32_e32 v6, vcc_lo, s25, v2, vcc_lo
	s_and_not1_b32 vcc_lo, exec_lo, s12
	s_waitcnt vmcnt(0)
	ds_store_b64 v9, v[3:4] offset:128
	s_cbranch_vccnz .LBB149_14
; %bb.13:                               ;   in Loop: Header=BB149_4 Depth=1
	global_load_b32 v4, v[5:6], off offset:4
	s_cbranch_execz .LBB149_15
	s_branch .LBB149_16
.LBB149_14:                             ;   in Loop: Header=BB149_4 Depth=1
                                        ; implicit-def: $vgpr4
.LBB149_15:                             ;   in Loop: Header=BB149_4 Depth=1
	global_load_b32 v3, v[5:6], off offset:4
	s_waitcnt vmcnt(0)
	v_xor_b32_e32 v4, 0x80000000, v3
.LBB149_16:                             ;   in Loop: Header=BB149_4 Depth=1
	global_load_b32 v3, v[5:6], off
	v_add_co_u32 v5, vcc_lo, v1, s31
	v_add_co_ci_u32_e32 v6, vcc_lo, s30, v2, vcc_lo
	s_and_not1_b32 vcc_lo, exec_lo, s12
	s_waitcnt vmcnt(0)
	ds_store_b64 v9, v[3:4] offset:256
	s_cbranch_vccnz .LBB149_18
; %bb.17:                               ;   in Loop: Header=BB149_4 Depth=1
	global_load_b32 v4, v[5:6], off offset:4
	s_cbranch_execnz .LBB149_3
	s_branch .LBB149_19
.LBB149_18:                             ;   in Loop: Header=BB149_4 Depth=1
                                        ; implicit-def: $vgpr4
.LBB149_19:                             ;   in Loop: Header=BB149_4 Depth=1
	global_load_b32 v3, v[5:6], off offset:4
	s_waitcnt vmcnt(0)
	v_xor_b32_e32 v4, 0x80000000, v3
	s_branch .LBB149_3
.LBB149_20:
	s_and_b32 s22, s29, 3
	s_delay_alu instid0(SALU_CYCLE_1)
	s_cmp_eq_u32 s22, 0
	s_cbranch_scc1 .LBB149_27
; %bb.21:
	s_mul_i32 s12, s21, s13
	s_mul_hi_u32 s23, s20, s13
	s_mul_i32 s24, s20, s13
	s_add_i32 s25, s23, s12
	s_lshl_b64 s[18:19], s[18:19], 3
	s_lshl_b64 s[24:25], s[24:25], 3
	v_lshl_or_b32 v5, s13, 7, v8
	s_add_u32 s12, s24, s18
	s_addc_u32 s18, s25, s19
	s_waitcnt lgkmcnt(0)
	s_add_u32 s12, s16, s12
	s_addc_u32 s16, s17, s18
	v_add_co_u32 v1, s12, s12, v8
	s_delay_alu instid0(VALU_DEP_1) | instskip(SKIP_1) | instid1(VALU_DEP_2)
	v_add_co_ci_u32_e64 v2, null, s16, 0, s12
	s_lshl_b64 s[12:13], s[20:21], 3
	v_add_co_u32 v1, vcc_lo, v1, 4
	s_delay_alu instid0(VALU_DEP_2)
	v_add_co_ci_u32_e32 v2, vcc_lo, 0, v2, vcc_lo
	s_set_inst_prefetch_distance 0x1
	s_branch .LBB149_23
	.p2align	6
.LBB149_22:                             ;   in Loop: Header=BB149_23 Depth=1
	global_load_b32 v3, v[1:2], off offset:-4
	v_add_co_u32 v1, vcc_lo, v1, s12
	v_add_co_ci_u32_e32 v2, vcc_lo, s13, v2, vcc_lo
	s_add_i32 s22, s22, -1
	s_delay_alu instid0(SALU_CYCLE_1)
	s_cmp_lg_u32 s22, 0
	s_waitcnt vmcnt(0)
	ds_store_b64 v5, v[3:4]
	v_add_nc_u32_e32 v5, 0x80, v5
	s_cbranch_scc0 .LBB149_27
.LBB149_23:                             ; =>This Inner Loop Header: Depth=1
	v_cmp_ne_u32_e32 vcc_lo, 1, v7
	s_mov_b32 s16, -1
                                        ; implicit-def: $vgpr4
	s_cbranch_vccnz .LBB149_25
; %bb.24:                               ;   in Loop: Header=BB149_23 Depth=1
	global_load_b32 v4, v[1:2], off
	s_mov_b32 s16, 0
.LBB149_25:                             ;   in Loop: Header=BB149_23 Depth=1
	s_delay_alu instid0(SALU_CYCLE_1)
	s_and_not1_b32 vcc_lo, exec_lo, s16
	s_cbranch_vccnz .LBB149_22
; %bb.26:                               ;   in Loop: Header=BB149_23 Depth=1
	global_load_b32 v3, v[1:2], off
	s_waitcnt vmcnt(0)
	v_xor_b32_e32 v4, 0x80000000, v3
	s_branch .LBB149_22
.LBB149_27:
	s_set_inst_prefetch_distance 0x2
	v_mul_u32_u24_e32 v1, 17, v0
	s_cmpk_lg_i32 s5, 0x84
	s_mov_b32 s5, -1
	s_delay_alu instid0(VALU_DEP_1)
	v_lshlrev_b32_e32 v5, 3, v1
	s_cbranch_scc0 .LBB149_33
; %bb.28:
	ds_load_b64 v[1:2], v5
	s_waitcnt lgkmcnt(0)
	v_cmp_gt_f32_e32 vcc_lo, 0, v1
	v_cndmask_b32_e64 v3, v1, -v1, vcc_lo
	v_cmp_gt_f32_e32 vcc_lo, 0, v2
	v_cndmask_b32_e64 v4, v2, -v2, vcc_lo
	s_delay_alu instid0(VALU_DEP_1) | instskip(SKIP_1) | instid1(SALU_CYCLE_1)
	v_cmp_ngt_f32_e32 vcc_lo, v3, v4
                                        ; implicit-def: $vgpr3
	s_and_saveexec_b32 s5, vcc_lo
	s_xor_b32 s5, exec_lo, s5
	s_cbranch_execz .LBB149_30
; %bb.29:
	v_div_scale_f32 v3, null, v2, v2, v1
	v_div_scale_f32 v7, vcc_lo, v1, v2, v1
	s_delay_alu instid0(VALU_DEP_2) | instskip(SKIP_2) | instid1(VALU_DEP_1)
	v_rcp_f32_e32 v4, v3
	s_waitcnt_depctr 0xfff
	v_fma_f32 v6, -v3, v4, 1.0
	v_fmac_f32_e32 v4, v6, v4
	s_delay_alu instid0(VALU_DEP_1) | instskip(NEXT) | instid1(VALU_DEP_1)
	v_mul_f32_e32 v6, v7, v4
	v_fma_f32 v8, -v3, v6, v7
	s_delay_alu instid0(VALU_DEP_1) | instskip(NEXT) | instid1(VALU_DEP_1)
	v_fmac_f32_e32 v6, v8, v4
	v_fma_f32 v3, -v3, v6, v7
	s_delay_alu instid0(VALU_DEP_1) | instskip(NEXT) | instid1(VALU_DEP_1)
	v_div_fmas_f32 v3, v3, v4, v6
	v_div_fixup_f32 v3, v3, v2, v1
	s_delay_alu instid0(VALU_DEP_1) | instskip(NEXT) | instid1(VALU_DEP_1)
	v_fmac_f32_e32 v2, v1, v3
	v_div_scale_f32 v1, null, v2, v2, 1.0
	v_div_scale_f32 v7, vcc_lo, 1.0, v2, 1.0
	s_delay_alu instid0(VALU_DEP_2) | instskip(SKIP_2) | instid1(VALU_DEP_1)
	v_rcp_f32_e32 v4, v1
	s_waitcnt_depctr 0xfff
	v_fma_f32 v6, -v1, v4, 1.0
	v_fmac_f32_e32 v4, v6, v4
	s_delay_alu instid0(VALU_DEP_1) | instskip(NEXT) | instid1(VALU_DEP_1)
	v_mul_f32_e32 v6, v7, v4
	v_fma_f32 v8, -v1, v6, v7
	s_delay_alu instid0(VALU_DEP_1) | instskip(NEXT) | instid1(VALU_DEP_1)
	v_fmac_f32_e32 v6, v8, v4
	v_fma_f32 v1, -v1, v6, v7
	s_delay_alu instid0(VALU_DEP_1) | instskip(SKIP_1) | instid1(VALU_DEP_2)
	v_div_fmas_f32 v1, v1, v4, v6
	v_add_f32_e32 v4, 0, v3
	v_div_fixup_f32 v1, v1, v2, 1.0
	v_fma_f32 v2, v3, 0, -1.0
	s_delay_alu instid0(VALU_DEP_2) | instskip(NEXT) | instid1(VALU_DEP_2)
	v_mul_f32_e32 v3, v4, v1
	v_mul_f32_e32 v4, v2, v1
                                        ; implicit-def: $vgpr1_vgpr2
.LBB149_30:
	s_and_not1_saveexec_b32 s5, s5
	s_cbranch_execz .LBB149_32
; %bb.31:
	v_div_scale_f32 v3, null, v1, v1, v2
	v_div_scale_f32 v7, vcc_lo, v2, v1, v2
	s_delay_alu instid0(VALU_DEP_2) | instskip(SKIP_2) | instid1(VALU_DEP_1)
	v_rcp_f32_e32 v4, v3
	s_waitcnt_depctr 0xfff
	v_fma_f32 v6, -v3, v4, 1.0
	v_fmac_f32_e32 v4, v6, v4
	s_delay_alu instid0(VALU_DEP_1) | instskip(NEXT) | instid1(VALU_DEP_1)
	v_mul_f32_e32 v6, v7, v4
	v_fma_f32 v8, -v3, v6, v7
	s_delay_alu instid0(VALU_DEP_1) | instskip(NEXT) | instid1(VALU_DEP_1)
	v_fmac_f32_e32 v6, v8, v4
	v_fma_f32 v3, -v3, v6, v7
	s_delay_alu instid0(VALU_DEP_1) | instskip(NEXT) | instid1(VALU_DEP_1)
	v_div_fmas_f32 v3, v3, v4, v6
	v_div_fixup_f32 v4, v3, v1, v2
	s_delay_alu instid0(VALU_DEP_1) | instskip(NEXT) | instid1(VALU_DEP_1)
	v_fmac_f32_e32 v1, v2, v4
	v_div_scale_f32 v2, null, v1, v1, 1.0
	v_div_scale_f32 v7, vcc_lo, 1.0, v1, 1.0
	s_delay_alu instid0(VALU_DEP_2) | instskip(SKIP_2) | instid1(VALU_DEP_1)
	v_rcp_f32_e32 v3, v2
	s_waitcnt_depctr 0xfff
	v_fma_f32 v6, -v2, v3, 1.0
	v_fmac_f32_e32 v3, v6, v3
	s_delay_alu instid0(VALU_DEP_1) | instskip(NEXT) | instid1(VALU_DEP_1)
	v_mul_f32_e32 v6, v7, v3
	v_fma_f32 v8, -v2, v6, v7
	s_delay_alu instid0(VALU_DEP_1) | instskip(NEXT) | instid1(VALU_DEP_1)
	v_fmac_f32_e32 v6, v8, v3
	v_fma_f32 v2, -v2, v6, v7
	s_delay_alu instid0(VALU_DEP_1) | instskip(SKIP_1) | instid1(VALU_DEP_2)
	v_div_fmas_f32 v2, v2, v3, v6
	v_fma_f32 v3, v4, 0, 1.0
	v_div_fixup_f32 v1, v2, v1, 1.0
	s_delay_alu instid0(VALU_DEP_1)
	v_mul_f32_e32 v3, v3, v1
	v_mul_f32_e64 v4, -v4, v1
.LBB149_32:
	s_or_b32 exec_lo, exec_lo, s5
	s_mov_b32 s5, 0
	ds_store_b64 v5, v[3:4]
.LBB149_33:
	s_and_b32 vcc_lo, exec_lo, s5
	s_cbranch_vccz .LBB149_35
; %bb.34:
	v_dual_mov_b32 v1, 1.0 :: v_dual_mov_b32 v2, 0
	ds_store_b64 v5, v[1:2]
.LBB149_35:
	s_or_b32 exec_lo, exec_lo, s6
	s_lshl_b32 s6, s14, 4
	s_add_i32 s15, s15, -1
	s_sub_i32 s5, s7, s6
	s_cmp_ge_u32 s14, s15
	s_waitcnt lgkmcnt(0)
	s_cselect_b32 s5, s5, 16
	; wave barrier
	buffer_gl0_inv
	v_cmp_gt_i32_e32 vcc_lo, s5, v0
	s_mov_b32 s5, -1
	s_and_saveexec_b32 s7, vcc_lo
	s_cbranch_execz .LBB149_78
; %bb.36:
	s_load_b32 s0, s[0:1], 0x50
	v_add_nc_u32_e32 v2, s6, v0
	v_or_b32_e64 v8, 0, 4
	s_waitcnt lgkmcnt(0)
	s_delay_alu instid0(VALU_DEP_2) | instskip(SKIP_1) | instid1(SALU_CYCLE_1)
	v_mad_i64_i32 v[0:1], null, s0, v2, 0
	s_lshl_b64 s[0:1], s[10:11], 3
	s_add_u32 s6, s8, s0
	s_addc_u32 s7, s9, s1
	s_cmpk_eq_i32 s4, 0x6f
	s_delay_alu instid0(VALU_DEP_1) | instskip(NEXT) | instid1(VALU_DEP_1)
	v_lshlrev_b64 v[0:1], 3, v[0:1]
	v_add_co_u32 v6, vcc_lo, s6, v0
	s_delay_alu instid0(VALU_DEP_2)
	v_add_co_ci_u32_e32 v7, vcc_lo, s7, v1, vcc_lo
	s_cbranch_scc1 .LBB149_58
; %bb.37:
	s_add_u32 s4, s8, s0
	s_addc_u32 s5, s9, s1
	v_add_co_u32 v2, vcc_lo, s4, v0
	v_add_co_ci_u32_e32 v3, vcc_lo, s5, v1, vcc_lo
	s_mov_b32 s5, 0
	s_delay_alu instid0(VALU_DEP_2) | instskip(NEXT) | instid1(VALU_DEP_2)
	v_add_co_u32 v9, vcc_lo, v2, 4
	v_add_co_ci_u32_e32 v10, vcc_lo, 0, v3, vcc_lo
	s_mov_b32 s6, s5
	s_mov_b32 s10, s5
	s_branch .LBB149_39
.LBB149_38:                             ;   in Loop: Header=BB149_39 Depth=1
	s_cmp_ge_i32 s10, s29
	s_cselect_b32 s4, -1, 0
	s_add_i32 s6, s6, 1
	s_delay_alu instid0(SALU_CYCLE_1) | instskip(SKIP_1) | instid1(SALU_CYCLE_1)
	s_cmp_eq_u32 s6, 3
	s_cselect_b32 s7, -1, 0
	s_or_b32 s4, s4, s7
	s_delay_alu instid0(SALU_CYCLE_1)
	s_and_not1_b32 vcc_lo, exec_lo, s4
	s_cbranch_vccz .LBB149_57
.LBB149_39:                             ; =>This Loop Header: Depth=1
                                        ;     Child Loop BB149_42 Depth 2
                                        ;       Child Loop BB149_43 Depth 3
                                        ;       Child Loop BB149_46 Depth 3
                                        ;         Child Loop BB149_47 Depth 4
                                        ;       Child Loop BB149_51 Depth 3
                                        ;         Child Loop BB149_53 Depth 4
	s_mov_b32 s7, s5
	s_getpc_b64 s[12:13]
	s_add_u32 s12, s12, __const._ZL30rocblas_trsm_small_left_deviceILi16ELi16ELb0E19rocblas_complex_numIfES1_PKPKS1_PKPS1_Ev13rocblas_fill_18rocblas_operation_17rocblas_diagonal_iiT3_T4_lilT5_lili.step_sizes@rel32@lo+4
	s_addc_u32 s13, s13, __const._ZL30rocblas_trsm_small_left_deviceILi16ELi16ELb0E19rocblas_complex_numIfES1_PKPKS1_PKPS1_Ev13rocblas_fill_18rocblas_operation_17rocblas_diagonal_iiT3_T4_lilT5_lili.step_sizes@rel32@hi+12
	s_lshl_b64 s[14:15], s[6:7], 2
	s_delay_alu instid0(SALU_CYCLE_1) | instskip(SKIP_4) | instid1(SALU_CYCLE_1)
	s_add_u32 s12, s14, s12
	s_addc_u32 s13, s15, s13
	s_load_b32 s12, s[12:13], 0x0
	s_waitcnt lgkmcnt(0)
	s_add_i32 s7, s12, -1
	s_add_i32 s4, s7, s10
	s_delay_alu instid0(SALU_CYCLE_1)
	s_cmp_ge_i32 s4, s29
	s_cbranch_scc1 .LBB149_38
; %bb.40:                               ;   in Loop: Header=BB149_39 Depth=1
	s_ashr_i32 s11, s10, 31
	s_ashr_i32 s13, s12, 31
	s_lshl_b64 s[14:15], s[10:11], 3
	s_max_i32 s18, s12, 1
	v_add_co_u32 v2, vcc_lo, v9, s14
	v_add_co_ci_u32_e32 v3, vcc_lo, s15, v10, vcc_lo
	s_lshl_b64 s[14:15], s[12:13], 3
	s_lshl_b32 s11, s10, 7
	s_lshl_b32 s13, s12, 7
	s_mul_i32 s19, s10, 0x88
	s_mul_i32 s20, s12, 0x88
	s_branch .LBB149_42
.LBB149_41:                             ;   in Loop: Header=BB149_42 Depth=2
	v_add_co_u32 v2, vcc_lo, v2, s14
	s_add_i32 s10, s10, s12
	v_add_co_ci_u32_e32 v3, vcc_lo, s15, v3, vcc_lo
	s_add_i32 s4, s7, s10
	s_add_i32 s11, s11, s13
	;; [unrolled: 1-line block ×3, first 2 shown]
	s_cmp_ge_i32 s4, s29
	s_cbranch_scc1 .LBB149_38
.LBB149_42:                             ;   Parent Loop BB149_39 Depth=1
                                        ; =>  This Loop Header: Depth=2
                                        ;       Child Loop BB149_43 Depth 3
                                        ;       Child Loop BB149_46 Depth 3
                                        ;         Child Loop BB149_47 Depth 4
                                        ;       Child Loop BB149_51 Depth 3
                                        ;         Child Loop BB149_53 Depth 4
	v_dual_mov_b32 v5, v3 :: v_dual_mov_b32 v4, v2
	s_mov_b32 s4, 4
	s_mov_b32 s16, s18
	.p2align	6
.LBB149_43:                             ;   Parent Loop BB149_39 Depth=1
                                        ;     Parent Loop BB149_42 Depth=2
                                        ; =>    This Inner Loop Header: Depth=3
	global_load_b64 v[11:12], v[4:5], off offset:-4
	v_add_co_u32 v4, vcc_lo, v4, 8
	v_add_co_ci_u32_e32 v5, vcc_lo, 0, v5, vcc_lo
	s_add_i32 s16, s16, -1
	s_add_i32 s17, s4, 0
	s_add_i32 s4, s4, 8
	s_cmp_eq_u32 s16, 0
	s_waitcnt vmcnt(0)
	v_mul_f32_e32 v13, s2, v12
	s_delay_alu instid0(VALU_DEP_1) | instskip(NEXT) | instid1(VALU_DEP_1)
	v_dual_mul_f32 v14, s3, v12 :: v_dual_fmac_f32 v13, s3, v11
	v_fma_f32 v12, v11, s2, -v14
	scratch_store_b64 off, v[12:13], s17 offset:-4
	s_cbranch_scc0 .LBB149_43
; %bb.44:                               ;   in Loop: Header=BB149_42 Depth=2
	s_cmp_lt_i32 s10, 1
	s_cbranch_scc1 .LBB149_49
; %bb.45:                               ;   in Loop: Header=BB149_42 Depth=2
	s_mov_b32 s4, 0
	s_mov_b32 s16, s11
	.p2align	6
.LBB149_46:                             ;   Parent Loop BB149_39 Depth=1
                                        ;     Parent Loop BB149_42 Depth=2
                                        ; =>    This Loop Header: Depth=3
                                        ;         Child Loop BB149_47 Depth 4
	s_lshl_b64 s[22:23], s[4:5], 3
	v_mov_b32_e32 v11, v8
	v_add_co_u32 v4, vcc_lo, v6, s22
	v_add_co_ci_u32_e32 v5, vcc_lo, s23, v7, vcc_lo
	s_mov_b32 s17, s16
	s_mov_b32 s21, s18
	global_load_b64 v[4:5], v[4:5], off
	.p2align	6
.LBB149_47:                             ;   Parent Loop BB149_39 Depth=1
                                        ;     Parent Loop BB149_42 Depth=2
                                        ;       Parent Loop BB149_46 Depth=3
                                        ; =>      This Inner Loop Header: Depth=4
	scratch_load_b64 v[12:13], v11, off offset:-4
	v_mov_b32_e32 v14, s17
	s_add_i32 s21, s21, -1
	s_addk_i32 s17, 0x80
	s_cmp_eq_u32 s21, 0
	ds_load_b64 v[14:15], v14
	s_waitcnt vmcnt(1) lgkmcnt(0)
	v_mul_f32_e32 v16, v15, v5
	v_mul_f32_e32 v15, v15, v4
	s_delay_alu instid0(VALU_DEP_1) | instskip(SKIP_1) | instid1(VALU_DEP_1)
	v_fmac_f32_e32 v15, v14, v5
	s_waitcnt vmcnt(0)
	v_sub_f32_e32 v13, v13, v15
	v_fma_f32 v16, v14, v4, -v16
	s_delay_alu instid0(VALU_DEP_1)
	v_sub_f32_e32 v12, v12, v16
	scratch_store_b64 v11, v[12:13], off offset:-4
	v_add_nc_u32_e32 v11, 8, v11
	s_cbranch_scc0 .LBB149_47
; %bb.48:                               ;   in Loop: Header=BB149_46 Depth=3
	s_add_i32 s4, s4, 1
	s_add_i32 s16, s16, 8
	s_cmp_ge_i32 s4, s10
	s_cbranch_scc0 .LBB149_46
.LBB149_49:                             ;   in Loop: Header=BB149_42 Depth=2
	s_mov_b32 s4, 0
	s_mov_b32 s21, s19
	s_branch .LBB149_51
.LBB149_50:                             ;   in Loop: Header=BB149_51 Depth=3
	s_mul_i32 s17, s16, 0x88
	s_lshl_b32 s22, s4, 3
	v_mov_b32_e32 v11, s17
	s_ashr_i32 s17, s16, 31
	s_add_i32 s4, s4, 1
	s_lshl_b64 s[16:17], s[16:17], 3
	s_addk_i32 s21, 0x80
	ds_load_b64 v[11:12], v11
	s_waitcnt vmcnt(0) lgkmcnt(0)
	v_mul_f32_e32 v13, v12, v5
	v_mul_f32_e32 v14, v11, v5
	s_delay_alu instid0(VALU_DEP_2) | instskip(NEXT) | instid1(VALU_DEP_2)
	v_fma_f32 v13, v11, v4, -v13
	v_fmac_f32_e32 v14, v12, v4
	v_add_co_u32 v4, vcc_lo, v6, s16
	v_add_co_ci_u32_e32 v5, vcc_lo, s17, v7, vcc_lo
	s_add_i32 s16, s22, 0
	s_cmp_eq_u32 s4, s18
	scratch_store_b64 off, v[13:14], s16
	global_store_b64 v[4:5], v[13:14], off
	s_cbranch_scc1 .LBB149_41
.LBB149_51:                             ;   Parent Loop BB149_39 Depth=1
                                        ;     Parent Loop BB149_42 Depth=2
                                        ; =>    This Loop Header: Depth=3
                                        ;         Child Loop BB149_53 Depth 4
	s_cmp_lg_u32 s4, 0
	s_cbranch_scc0 .LBB149_55
; %bb.52:                               ;   in Loop: Header=BB149_51 Depth=3
	s_lshl_b32 s16, s4, 3
	v_mov_b32_e32 v12, 0
	s_add_i32 s17, s16, 0
	v_add_nc_u32_e64 v11, s16, 0
	scratch_load_b64 v[4:5], off, s17
	s_add_i32 s16, s4, s10
	s_mov_b32 s17, 0
	s_mov_b32 s22, s21
	.p2align	6
.LBB149_53:                             ;   Parent Loop BB149_39 Depth=1
                                        ;     Parent Loop BB149_42 Depth=2
                                        ;       Parent Loop BB149_51 Depth=3
                                        ; =>      This Inner Loop Header: Depth=4
	scratch_load_b64 v[13:14], v12, off
	v_mov_b32_e32 v15, s22
	s_add_i32 s17, s17, 1
	s_add_i32 s22, s22, 8
	s_cmp_ge_u32 s17, s4
	v_add_nc_u32_e32 v12, 8, v12
	ds_load_b64 v[15:16], v15
	s_waitcnt vmcnt(0) lgkmcnt(0)
	v_mul_f32_e32 v17, v16, v14
	v_mul_f32_e32 v14, v15, v14
	s_delay_alu instid0(VALU_DEP_2) | instskip(NEXT) | instid1(VALU_DEP_2)
	v_fma_f32 v15, v15, v13, -v17
	v_fmac_f32_e32 v14, v16, v13
	s_delay_alu instid0(VALU_DEP_1)
	v_dual_sub_f32 v4, v4, v15 :: v_dual_sub_f32 v5, v5, v14
	scratch_store_b64 v11, v[4:5], off
	s_cbranch_scc0 .LBB149_53
; %bb.54:                               ;   in Loop: Header=BB149_51 Depth=3
	s_branch .LBB149_50
.LBB149_55:                             ;   in Loop: Header=BB149_51 Depth=3
                                        ; implicit-def: $vgpr4
                                        ; implicit-def: $sgpr16
	s_cbranch_execz .LBB149_50
; %bb.56:                               ;   in Loop: Header=BB149_51 Depth=3
	scratch_load_b64 v[4:5], off, off
	s_mov_b32 s16, s10
	s_branch .LBB149_50
.LBB149_57:
	s_mov_b32 s5, 0
.LBB149_58:
	s_delay_alu instid0(SALU_CYCLE_1)
	s_and_b32 vcc_lo, exec_lo, s5
	s_cbranch_vccz .LBB149_78
; %bb.59:
	s_add_u32 s0, s8, s0
	s_addc_u32 s1, s9, s1
	v_add_co_u32 v0, vcc_lo, s0, v0
	v_add_co_ci_u32_e32 v1, vcc_lo, s1, v1, vcc_lo
	s_lshl_b32 s10, s29, 7
	s_delay_alu instid0(VALU_DEP_2) | instskip(NEXT) | instid1(VALU_DEP_2)
	v_add_co_u32 v2, vcc_lo, v0, 4
	v_add_co_ci_u32_e32 v3, vcc_lo, 0, v1, vcc_lo
	s_mov_b32 s1, 0
	s_addk_i32 s10, 0xff80
	s_mov_b32 s4, s28
	s_mov_b32 s0, s1
	s_branch .LBB149_61
.LBB149_60:                             ;   in Loop: Header=BB149_61 Depth=1
	s_cmp_lt_i32 s4, 0
	s_cselect_b32 s5, -1, 0
	s_add_i32 s0, s0, 1
	s_delay_alu instid0(SALU_CYCLE_1) | instskip(SKIP_1) | instid1(SALU_CYCLE_1)
	s_cmp_eq_u32 s0, 3
	s_cselect_b32 s6, -1, 0
	s_or_b32 s5, s5, s6
	s_delay_alu instid0(SALU_CYCLE_1)
	s_and_b32 vcc_lo, exec_lo, s5
	s_cbranch_vccnz .LBB149_78
.LBB149_61:                             ; =>This Loop Header: Depth=1
                                        ;     Child Loop BB149_64 Depth 2
                                        ;       Child Loop BB149_65 Depth 3
                                        ;       Child Loop BB149_67 Depth 3
                                        ;         Child Loop BB149_68 Depth 4
                                        ;       Child Loop BB149_72 Depth 3
                                        ;         Child Loop BB149_74 Depth 4
	s_getpc_b64 s[6:7]
	s_add_u32 s6, s6, __const._ZL30rocblas_trsm_small_left_deviceILi16ELi16ELb0E19rocblas_complex_numIfES1_PKPKS1_PKPS1_Ev13rocblas_fill_18rocblas_operation_17rocblas_diagonal_iiT3_T4_lilT5_lili.step_sizes@rel32@lo+4
	s_addc_u32 s7, s7, __const._ZL30rocblas_trsm_small_left_deviceILi16ELi16ELb0E19rocblas_complex_numIfES1_PKPKS1_PKPS1_Ev13rocblas_fill_18rocblas_operation_17rocblas_diagonal_iiT3_T4_lilT5_lili.step_sizes@rel32@hi+12
	s_lshl_b64 s[8:9], s[0:1], 2
	s_delay_alu instid0(SALU_CYCLE_1) | instskip(SKIP_4) | instid1(SALU_CYCLE_1)
	s_add_u32 s6, s8, s6
	s_addc_u32 s7, s9, s7
	s_load_b32 s11, s[6:7], 0x0
	s_waitcnt lgkmcnt(0)
	s_add_i32 s12, s11, -1
	s_cmp_lt_i32 s4, s12
	s_cbranch_scc1 .LBB149_60
; %bb.62:                               ;   in Loop: Header=BB149_61 Depth=1
	s_lshl_b32 s5, s4, 3
	s_lshl_b32 s6, s11, 3
	s_max_i32 s13, s11, 1
	s_add_i32 s14, s10, s5
	s_sub_i32 s15, 0, s6
	s_mul_i32 s16, s4, 0x88
	s_mul_i32 s17, s11, 0xffffff78
	s_branch .LBB149_64
.LBB149_63:                             ;   in Loop: Header=BB149_64 Depth=2
	s_sub_i32 s4, s4, s11
	s_add_i32 s14, s14, s15
	s_add_i32 s16, s16, s17
	s_cmp_lt_i32 s4, s12
	s_cbranch_scc1 .LBB149_60
.LBB149_64:                             ;   Parent Loop BB149_61 Depth=1
                                        ; =>  This Loop Header: Depth=2
                                        ;       Child Loop BB149_65 Depth 3
                                        ;       Child Loop BB149_67 Depth 3
                                        ;         Child Loop BB149_68 Depth 4
                                        ;       Child Loop BB149_72 Depth 3
                                        ;         Child Loop BB149_74 Depth 4
	s_ashr_i32 s5, s4, 31
	s_delay_alu instid0(SALU_CYCLE_1) | instskip(NEXT) | instid1(SALU_CYCLE_1)
	s_lshl_b64 s[6:7], s[4:5], 3
	v_add_co_u32 v0, vcc_lo, v2, s6
	v_add_co_ci_u32_e32 v1, vcc_lo, s7, v3, vcc_lo
	s_mov_b32 s6, 4
	s_mov_b32 s7, s13
	.p2align	6
.LBB149_65:                             ;   Parent Loop BB149_61 Depth=1
                                        ;     Parent Loop BB149_64 Depth=2
                                        ; =>    This Inner Loop Header: Depth=3
	global_load_b64 v[4:5], v[0:1], off offset:-4
	v_add_co_u32 v0, vcc_lo, v0, -8
	v_add_co_ci_u32_e32 v1, vcc_lo, -1, v1, vcc_lo
	s_add_i32 s7, s7, -1
	s_add_i32 s8, s6, 0
	s_add_i32 s6, s6, 8
	s_cmp_eq_u32 s7, 0
	s_waitcnt vmcnt(0)
	v_mul_f32_e32 v10, s2, v5
	s_delay_alu instid0(VALU_DEP_1) | instskip(NEXT) | instid1(VALU_DEP_1)
	v_dual_mul_f32 v9, s3, v5 :: v_dual_fmac_f32 v10, s3, v4
	v_fma_f32 v9, v4, s2, -v9
	scratch_store_b64 off, v[9:10], s8 offset:-4
	s_cbranch_scc0 .LBB149_65
; %bb.66:                               ;   in Loop: Header=BB149_64 Depth=2
	s_cmp_le_i32 s28, s4
	s_mov_b32 s8, s14
	s_mov_b32 s6, s28
	s_cbranch_scc1 .LBB149_70
	.p2align	6
.LBB149_67:                             ;   Parent Loop BB149_61 Depth=1
                                        ;     Parent Loop BB149_64 Depth=2
                                        ; =>    This Loop Header: Depth=3
                                        ;         Child Loop BB149_68 Depth 4
	s_ashr_i32 s7, s6, 31
	v_mov_b32_e32 v4, v8
	s_lshl_b64 s[18:19], s[6:7], 3
	s_mov_b32 s7, s13
	v_add_co_u32 v0, vcc_lo, v6, s18
	v_add_co_ci_u32_e32 v1, vcc_lo, s19, v7, vcc_lo
	s_mov_b32 s9, s8
	global_load_b64 v[0:1], v[0:1], off
	.p2align	6
.LBB149_68:                             ;   Parent Loop BB149_61 Depth=1
                                        ;     Parent Loop BB149_64 Depth=2
                                        ;       Parent Loop BB149_67 Depth=3
                                        ; =>      This Inner Loop Header: Depth=4
	scratch_load_b64 v[9:10], v4, off offset:-4
	v_mov_b32_e32 v5, s9
	s_add_i32 s7, s7, -1
	s_add_i32 s9, s9, -8
	s_cmp_eq_u32 s7, 0
	ds_load_b64 v[11:12], v5
	s_waitcnt vmcnt(1) lgkmcnt(0)
	v_mul_f32_e32 v5, v12, v1
	v_mul_f32_e32 v12, v12, v0
	s_delay_alu instid0(VALU_DEP_1) | instskip(SKIP_1) | instid1(VALU_DEP_1)
	v_fmac_f32_e32 v12, v11, v1
	s_waitcnt vmcnt(0)
	v_sub_f32_e32 v10, v10, v12
	v_fma_f32 v5, v11, v0, -v5
	s_delay_alu instid0(VALU_DEP_1)
	v_sub_f32_e32 v9, v9, v5
	scratch_store_b64 v4, v[9:10], off offset:-4
	v_add_nc_u32_e32 v4, 8, v4
	s_cbranch_scc0 .LBB149_68
; %bb.69:                               ;   in Loop: Header=BB149_67 Depth=3
	s_add_i32 s6, s6, -1
	s_addk_i32 s8, 0xff80
	s_cmp_le_i32 s6, s4
	s_cbranch_scc0 .LBB149_67
.LBB149_70:                             ;   in Loop: Header=BB149_64 Depth=2
	s_mov_b32 s18, 0
	s_mov_b32 s19, s16
	s_branch .LBB149_72
.LBB149_71:                             ;   in Loop: Header=BB149_72 Depth=3
	s_mulk_i32 s8, 0x88
	s_lshl_b64 s[6:7], s[6:7], 3
	v_mov_b32_e32 v4, s8
	s_lshl_b32 s8, s18, 3
	s_add_i32 s18, s18, 1
	s_add_i32 s19, s19, -8
	ds_load_b64 v[4:5], v4
	s_waitcnt vmcnt(0) lgkmcnt(0)
	v_mul_f32_e32 v9, v5, v1
	v_mul_f32_e32 v10, v4, v1
	s_delay_alu instid0(VALU_DEP_2) | instskip(NEXT) | instid1(VALU_DEP_2)
	v_fma_f32 v9, v4, v0, -v9
	v_fmac_f32_e32 v10, v5, v0
	v_add_co_u32 v0, vcc_lo, v6, s6
	v_add_co_ci_u32_e32 v1, vcc_lo, s7, v7, vcc_lo
	s_add_i32 s6, s8, 0
	s_cmp_eq_u32 s18, s13
	scratch_store_b64 off, v[9:10], s6
	global_store_b64 v[0:1], v[9:10], off
	s_cbranch_scc1 .LBB149_63
.LBB149_72:                             ;   Parent Loop BB149_61 Depth=1
                                        ;     Parent Loop BB149_64 Depth=2
                                        ; =>    This Loop Header: Depth=3
                                        ;         Child Loop BB149_74 Depth 4
	s_cmp_lg_u32 s18, 0
	s_cbranch_scc0 .LBB149_76
; %bb.73:                               ;   in Loop: Header=BB149_72 Depth=3
	s_lshl_b32 s6, s18, 3
	v_mov_b32_e32 v5, 0
	s_add_i32 s7, s6, 0
	v_add_nc_u32_e64 v4, s6, 0
	scratch_load_b64 v[0:1], off, s7
	s_mov_b32 s6, 0
	s_mov_b32 s7, s19
	.p2align	6
.LBB149_74:                             ;   Parent Loop BB149_61 Depth=1
                                        ;     Parent Loop BB149_64 Depth=2
                                        ;       Parent Loop BB149_72 Depth=3
                                        ; =>      This Inner Loop Header: Depth=4
	scratch_load_b64 v[9:10], v5, off
	v_mov_b32_e32 v11, s7
	s_add_i32 s6, s6, 1
	s_addk_i32 s7, 0xff80
	s_cmp_ge_u32 s6, s18
	v_add_nc_u32_e32 v5, 8, v5
	ds_load_b64 v[11:12], v11
	s_waitcnt vmcnt(0) lgkmcnt(0)
	v_mul_f32_e32 v13, v12, v10
	v_mul_f32_e32 v10, v11, v10
	s_delay_alu instid0(VALU_DEP_2) | instskip(NEXT) | instid1(VALU_DEP_2)
	v_fma_f32 v11, v11, v9, -v13
	v_fmac_f32_e32 v10, v12, v9
	s_delay_alu instid0(VALU_DEP_1)
	v_dual_sub_f32 v0, v0, v11 :: v_dual_sub_f32 v1, v1, v10
	scratch_store_b64 v4, v[0:1], off
	s_cbranch_scc0 .LBB149_74
; %bb.75:                               ;   in Loop: Header=BB149_72 Depth=3
	s_sub_i32 s8, s4, s18
	s_delay_alu instid0(SALU_CYCLE_1) | instskip(NEXT) | instid1(SALU_CYCLE_1)
	s_ashr_i32 s9, s8, 31
	s_mov_b64 s[6:7], s[8:9]
	s_branch .LBB149_71
.LBB149_76:                             ;   in Loop: Header=BB149_72 Depth=3
                                        ; implicit-def: $vgpr0
                                        ; implicit-def: $sgpr8
                                        ; implicit-def: $sgpr6_sgpr7
	s_cbranch_execz .LBB149_71
; %bb.77:                               ;   in Loop: Header=BB149_72 Depth=3
	scratch_load_b64 v[0:1], off, off
	s_mov_b64 s[6:7], s[4:5]
	s_mov_b32 s8, s4
	s_branch .LBB149_71
.LBB149_78:
	s_endpgm
	.section	.rodata,"a",@progbits
	.p2align	6, 0x0
	.amdhsa_kernel _ZL30rocblas_trsm_small_left_deviceILi16ELi16ELb0E19rocblas_complex_numIfES1_PKPKS1_PKPS1_Ev13rocblas_fill_18rocblas_operation_17rocblas_diagonal_iiT3_T4_lilT5_lili
		.amdhsa_group_segment_fixed_size 2048
		.amdhsa_private_segment_fixed_size 144
		.amdhsa_kernarg_size 360
		.amdhsa_user_sgpr_count 14
		.amdhsa_user_sgpr_dispatch_ptr 0
		.amdhsa_user_sgpr_queue_ptr 0
		.amdhsa_user_sgpr_kernarg_segment_ptr 1
		.amdhsa_user_sgpr_dispatch_id 0
		.amdhsa_user_sgpr_private_segment_size 0
		.amdhsa_wavefront_size32 1
		.amdhsa_uses_dynamic_stack 0
		.amdhsa_enable_private_segment 1
		.amdhsa_system_sgpr_workgroup_id_x 1
		.amdhsa_system_sgpr_workgroup_id_y 0
		.amdhsa_system_sgpr_workgroup_id_z 1
		.amdhsa_system_sgpr_workgroup_info 0
		.amdhsa_system_vgpr_workitem_id 0
		.amdhsa_next_free_vgpr 18
		.amdhsa_next_free_sgpr 34
		.amdhsa_reserve_vcc 1
		.amdhsa_float_round_mode_32 0
		.amdhsa_float_round_mode_16_64 0
		.amdhsa_float_denorm_mode_32 3
		.amdhsa_float_denorm_mode_16_64 3
		.amdhsa_dx10_clamp 1
		.amdhsa_ieee_mode 1
		.amdhsa_fp16_overflow 0
		.amdhsa_workgroup_processor_mode 1
		.amdhsa_memory_ordered 1
		.amdhsa_forward_progress 0
		.amdhsa_shared_vgpr_count 0
		.amdhsa_exception_fp_ieee_invalid_op 0
		.amdhsa_exception_fp_denorm_src 0
		.amdhsa_exception_fp_ieee_div_zero 0
		.amdhsa_exception_fp_ieee_overflow 0
		.amdhsa_exception_fp_ieee_underflow 0
		.amdhsa_exception_fp_ieee_inexact 0
		.amdhsa_exception_int_div_zero 0
	.end_amdhsa_kernel
	.section	.text._ZL30rocblas_trsm_small_left_deviceILi16ELi16ELb0E19rocblas_complex_numIfES1_PKPKS1_PKPS1_Ev13rocblas_fill_18rocblas_operation_17rocblas_diagonal_iiT3_T4_lilT5_lili,"axG",@progbits,_ZL30rocblas_trsm_small_left_deviceILi16ELi16ELb0E19rocblas_complex_numIfES1_PKPKS1_PKPS1_Ev13rocblas_fill_18rocblas_operation_17rocblas_diagonal_iiT3_T4_lilT5_lili,comdat
.Lfunc_end149:
	.size	_ZL30rocblas_trsm_small_left_deviceILi16ELi16ELb0E19rocblas_complex_numIfES1_PKPKS1_PKPS1_Ev13rocblas_fill_18rocblas_operation_17rocblas_diagonal_iiT3_T4_lilT5_lili, .Lfunc_end149-_ZL30rocblas_trsm_small_left_deviceILi16ELi16ELb0E19rocblas_complex_numIfES1_PKPKS1_PKPS1_Ev13rocblas_fill_18rocblas_operation_17rocblas_diagonal_iiT3_T4_lilT5_lili
                                        ; -- End function
	.section	.AMDGPU.csdata,"",@progbits
; Kernel info:
; codeLenInByte = 3092
; NumSgprs: 36
; NumVgprs: 18
; ScratchSize: 144
; MemoryBound: 0
; FloatMode: 240
; IeeeMode: 1
; LDSByteSize: 2048 bytes/workgroup (compile time only)
; SGPRBlocks: 4
; VGPRBlocks: 2
; NumSGPRsForWavesPerEU: 36
; NumVGPRsForWavesPerEU: 18
; Occupancy: 16
; WaveLimiterHint : 1
; COMPUTE_PGM_RSRC2:SCRATCH_EN: 1
; COMPUTE_PGM_RSRC2:USER_SGPR: 14
; COMPUTE_PGM_RSRC2:TRAP_HANDLER: 0
; COMPUTE_PGM_RSRC2:TGID_X_EN: 1
; COMPUTE_PGM_RSRC2:TGID_Y_EN: 0
; COMPUTE_PGM_RSRC2:TGID_Z_EN: 1
; COMPUTE_PGM_RSRC2:TIDIG_COMP_CNT: 0
	.section	.text._ZL38rocblas_trsm_small_left_device_sharedBILi16ELi16ELb1E19rocblas_complex_numIfES1_PKPKS1_PKPS1_Ev13rocblas_fill_18rocblas_operation_17rocblas_diagonal_iiT3_T4_lilT5_lili,"axG",@progbits,_ZL38rocblas_trsm_small_left_device_sharedBILi16ELi16ELb1E19rocblas_complex_numIfES1_PKPKS1_PKPS1_Ev13rocblas_fill_18rocblas_operation_17rocblas_diagonal_iiT3_T4_lilT5_lili,comdat
	.globl	_ZL38rocblas_trsm_small_left_device_sharedBILi16ELi16ELb1E19rocblas_complex_numIfES1_PKPKS1_PKPS1_Ev13rocblas_fill_18rocblas_operation_17rocblas_diagonal_iiT3_T4_lilT5_lili ; -- Begin function _ZL38rocblas_trsm_small_left_device_sharedBILi16ELi16ELb1E19rocblas_complex_numIfES1_PKPKS1_PKPS1_Ev13rocblas_fill_18rocblas_operation_17rocblas_diagonal_iiT3_T4_lilT5_lili
	.p2align	8
	.type	_ZL38rocblas_trsm_small_left_device_sharedBILi16ELi16ELb1E19rocblas_complex_numIfES1_PKPKS1_PKPS1_Ev13rocblas_fill_18rocblas_operation_17rocblas_diagonal_iiT3_T4_lilT5_lili,@function
_ZL38rocblas_trsm_small_left_device_sharedBILi16ELi16ELb1E19rocblas_complex_numIfES1_PKPKS1_PKPS1_Ev13rocblas_fill_18rocblas_operation_17rocblas_diagonal_iiT3_T4_lilT5_lili: ; @_ZL38rocblas_trsm_small_left_device_sharedBILi16ELi16ELb1E19rocblas_complex_numIfES1_PKPKS1_PKPS1_Ev13rocblas_fill_18rocblas_operation_17rocblas_diagonal_iiT3_T4_lilT5_lili
; %bb.0:
	s_clause 0x1
	s_load_b128 s[8:11], s[0:1], 0x40
	s_load_b128 s[4:7], s[0:1], 0x4
	s_mov_b32 s20, s15
	s_mov_b32 s21, 0
	s_load_b32 s15, s[0:1], 0x68
	s_lshl_b64 s[22:23], s[20:21], 3
	s_mov_b32 s29, exec_lo
	s_waitcnt lgkmcnt(0)
	s_add_u32 s2, s8, s22
	s_addc_u32 s3, s9, s23
	s_load_b64 s[12:13], s[0:1], 0x14
	s_load_b64 s[2:3], s[2:3], 0x0
	s_min_i32 s20, s6, 16
	s_delay_alu instid0(SALU_CYCLE_1)
	s_add_i32 s28, s20, -1
	v_cmpx_gt_i32_e64 s20, v0
	s_cbranch_execz .LBB150_35
; %bb.1:
	s_clause 0x1
	s_load_b32 s8, s[0:1], 0x30
	s_load_b128 s[16:19], s[0:1], 0x20
	s_waitcnt lgkmcnt(0)
	s_ashr_i32 s9, s8, 31
	s_cmpk_lg_i32 s4, 0x71
	s_cselect_b32 s30, -1, 0
	s_add_u32 s16, s16, s22
	s_addc_u32 s17, s17, s23
	v_cndmask_b32_e64 v7, 0, 1, s30
	s_load_b64 s[16:17], s[16:17], 0x0
	s_cmp_lt_u32 s28, 3
	s_cbranch_scc1 .LBB150_20
; %bb.2:
	v_lshlrev_b32_e32 v8, 3, v0
	s_lshl_b64 s[22:23], s[18:19], 3
	s_mul_hi_i32 s31, s8, 24
	s_waitcnt lgkmcnt(0)
	s_add_u32 s21, s16, s22
	s_addc_u32 s22, s17, s23
	v_add_co_u32 v1, s21, s21, v8
	s_delay_alu instid0(VALU_DEP_1)
	v_add_co_ci_u32_e64 v2, null, s22, 0, s21
	s_and_b32 s21, s20, -4
	s_mul_i32 s33, s8, 24
	s_lshl_b64 s[22:23], s[8:9], 5
	s_lshl_b64 s[24:25], s[8:9], 4
	;; [unrolled: 1-line block ×3, first 2 shown]
	s_mov_b32 s34, 0
	s_branch .LBB150_4
.LBB150_3:                              ;   in Loop: Header=BB150_4 Depth=1
	global_load_b32 v3, v[5:6], off
	v_add_co_u32 v1, vcc_lo, v1, s22
	v_add_co_ci_u32_e32 v2, vcc_lo, s23, v2, vcc_lo
	s_add_i32 s34, s34, 4
	s_delay_alu instid0(SALU_CYCLE_1)
	s_cmp_eq_u32 s21, s34
	s_waitcnt vmcnt(0)
	ds_store_b64 v8, v[3:4] offset:384
	v_add_nc_u32_e32 v8, 0x200, v8
	s_cbranch_scc1 .LBB150_20
.LBB150_4:                              ; =>This Inner Loop Header: Depth=1
	s_and_b32 vcc_lo, exec_lo, s30
	s_cbranch_vccz .LBB150_6
; %bb.5:                                ;   in Loop: Header=BB150_4 Depth=1
	global_load_b32 v4, v[1:2], off offset:4
	s_cbranch_execz .LBB150_7
	s_branch .LBB150_8
.LBB150_6:                              ;   in Loop: Header=BB150_4 Depth=1
                                        ; implicit-def: $vgpr4
.LBB150_7:                              ;   in Loop: Header=BB150_4 Depth=1
	global_load_b32 v3, v[1:2], off offset:4
	s_waitcnt vmcnt(0)
	v_xor_b32_e32 v4, 0x80000000, v3
.LBB150_8:                              ;   in Loop: Header=BB150_4 Depth=1
	global_load_b32 v3, v[1:2], off
	v_add_co_u32 v5, vcc_lo, v1, s26
	v_add_co_ci_u32_e32 v6, vcc_lo, s27, v2, vcc_lo
	s_and_not1_b32 vcc_lo, exec_lo, s30
	s_waitcnt vmcnt(0)
	ds_store_b64 v8, v[3:4]
	s_cbranch_vccnz .LBB150_10
; %bb.9:                                ;   in Loop: Header=BB150_4 Depth=1
	global_load_b32 v4, v[5:6], off offset:4
	s_cbranch_execz .LBB150_11
	s_branch .LBB150_12
.LBB150_10:                             ;   in Loop: Header=BB150_4 Depth=1
                                        ; implicit-def: $vgpr4
.LBB150_11:                             ;   in Loop: Header=BB150_4 Depth=1
	global_load_b32 v3, v[5:6], off offset:4
	s_waitcnt vmcnt(0)
	v_xor_b32_e32 v4, 0x80000000, v3
.LBB150_12:                             ;   in Loop: Header=BB150_4 Depth=1
	global_load_b32 v3, v[5:6], off
	v_add_co_u32 v5, vcc_lo, v1, s24
	v_add_co_ci_u32_e32 v6, vcc_lo, s25, v2, vcc_lo
	s_and_not1_b32 vcc_lo, exec_lo, s30
	s_waitcnt vmcnt(0)
	ds_store_b64 v8, v[3:4] offset:128
	s_cbranch_vccnz .LBB150_14
; %bb.13:                               ;   in Loop: Header=BB150_4 Depth=1
	global_load_b32 v4, v[5:6], off offset:4
	s_cbranch_execz .LBB150_15
	s_branch .LBB150_16
.LBB150_14:                             ;   in Loop: Header=BB150_4 Depth=1
                                        ; implicit-def: $vgpr4
.LBB150_15:                             ;   in Loop: Header=BB150_4 Depth=1
	global_load_b32 v3, v[5:6], off offset:4
	s_waitcnt vmcnt(0)
	v_xor_b32_e32 v4, 0x80000000, v3
.LBB150_16:                             ;   in Loop: Header=BB150_4 Depth=1
	global_load_b32 v3, v[5:6], off
	v_add_co_u32 v5, vcc_lo, v1, s33
	v_add_co_ci_u32_e32 v6, vcc_lo, s31, v2, vcc_lo
	s_and_not1_b32 vcc_lo, exec_lo, s30
	s_waitcnt vmcnt(0)
	ds_store_b64 v8, v[3:4] offset:256
	s_cbranch_vccnz .LBB150_18
; %bb.17:                               ;   in Loop: Header=BB150_4 Depth=1
	global_load_b32 v4, v[5:6], off offset:4
	s_cbranch_execnz .LBB150_3
	s_branch .LBB150_19
.LBB150_18:                             ;   in Loop: Header=BB150_4 Depth=1
                                        ; implicit-def: $vgpr4
.LBB150_19:                             ;   in Loop: Header=BB150_4 Depth=1
	global_load_b32 v3, v[5:6], off offset:4
	s_waitcnt vmcnt(0)
	v_xor_b32_e32 v4, 0x80000000, v3
	s_branch .LBB150_3
.LBB150_20:
	s_and_b32 s22, s20, 3
	s_delay_alu instid0(SALU_CYCLE_1)
	s_cmp_eq_u32 s22, 0
	s_cbranch_scc1 .LBB150_27
; %bb.21:
	s_mul_i32 s23, s9, s21
	s_mul_hi_u32 s25, s8, s21
	s_mul_i32 s24, s8, s21
	s_add_i32 s25, s25, s23
	s_lshl_b64 s[18:19], s[18:19], 3
	s_lshl_b64 s[24:25], s[24:25], 3
	v_lshlrev_b32_e32 v1, 3, v0
	s_add_u32 s18, s24, s18
	s_addc_u32 s19, s25, s19
	s_waitcnt lgkmcnt(0)
	s_add_u32 s16, s16, s18
	s_addc_u32 s17, s17, s19
	v_add_co_u32 v2, s16, s16, v1
	s_delay_alu instid0(VALU_DEP_1) | instskip(SKIP_1) | instid1(VALU_DEP_3)
	v_add_co_ci_u32_e64 v3, null, s17, 0, s16
	v_lshl_or_b32 v5, s21, 7, v1
	v_add_co_u32 v1, vcc_lo, v2, 4
	s_delay_alu instid0(VALU_DEP_3)
	v_add_co_ci_u32_e32 v2, vcc_lo, 0, v3, vcc_lo
	s_lshl_b64 s[8:9], s[8:9], 3
	s_set_inst_prefetch_distance 0x1
	s_branch .LBB150_23
	.p2align	6
.LBB150_22:                             ;   in Loop: Header=BB150_23 Depth=1
	global_load_b32 v3, v[1:2], off offset:-4
	v_add_co_u32 v1, vcc_lo, v1, s8
	v_add_co_ci_u32_e32 v2, vcc_lo, s9, v2, vcc_lo
	s_add_i32 s22, s22, -1
	s_delay_alu instid0(SALU_CYCLE_1)
	s_cmp_lg_u32 s22, 0
	s_waitcnt vmcnt(0)
	ds_store_b64 v5, v[3:4]
	v_add_nc_u32_e32 v5, 0x80, v5
	s_cbranch_scc0 .LBB150_27
.LBB150_23:                             ; =>This Inner Loop Header: Depth=1
	v_cmp_ne_u32_e32 vcc_lo, 1, v7
	s_mov_b32 s16, -1
                                        ; implicit-def: $vgpr4
	s_cbranch_vccnz .LBB150_25
; %bb.24:                               ;   in Loop: Header=BB150_23 Depth=1
	global_load_b32 v4, v[1:2], off
	s_mov_b32 s16, 0
.LBB150_25:                             ;   in Loop: Header=BB150_23 Depth=1
	s_delay_alu instid0(SALU_CYCLE_1)
	s_and_not1_b32 vcc_lo, exec_lo, s16
	s_cbranch_vccnz .LBB150_22
; %bb.26:                               ;   in Loop: Header=BB150_23 Depth=1
	global_load_b32 v3, v[1:2], off
	s_waitcnt vmcnt(0)
	v_xor_b32_e32 v4, 0x80000000, v3
	s_branch .LBB150_22
.LBB150_27:
	s_set_inst_prefetch_distance 0x2
	v_mul_u32_u24_e32 v1, 17, v0
	s_cmpk_lg_i32 s5, 0x84
	s_mov_b32 s5, -1
	s_delay_alu instid0(VALU_DEP_1)
	v_lshlrev_b32_e32 v5, 3, v1
	s_cbranch_scc0 .LBB150_33
; %bb.28:
	ds_load_b64 v[1:2], v5
	s_waitcnt lgkmcnt(0)
	v_cmp_gt_f32_e32 vcc_lo, 0, v1
	v_cndmask_b32_e64 v3, v1, -v1, vcc_lo
	v_cmp_gt_f32_e32 vcc_lo, 0, v2
	v_cndmask_b32_e64 v4, v2, -v2, vcc_lo
	s_delay_alu instid0(VALU_DEP_1) | instskip(SKIP_1) | instid1(SALU_CYCLE_1)
	v_cmp_ngt_f32_e32 vcc_lo, v3, v4
                                        ; implicit-def: $vgpr3
	s_and_saveexec_b32 s5, vcc_lo
	s_xor_b32 s5, exec_lo, s5
	s_cbranch_execz .LBB150_30
; %bb.29:
	v_div_scale_f32 v3, null, v2, v2, v1
	v_div_scale_f32 v7, vcc_lo, v1, v2, v1
	s_delay_alu instid0(VALU_DEP_2) | instskip(SKIP_2) | instid1(VALU_DEP_1)
	v_rcp_f32_e32 v4, v3
	s_waitcnt_depctr 0xfff
	v_fma_f32 v6, -v3, v4, 1.0
	v_fmac_f32_e32 v4, v6, v4
	s_delay_alu instid0(VALU_DEP_1) | instskip(NEXT) | instid1(VALU_DEP_1)
	v_mul_f32_e32 v6, v7, v4
	v_fma_f32 v8, -v3, v6, v7
	s_delay_alu instid0(VALU_DEP_1) | instskip(NEXT) | instid1(VALU_DEP_1)
	v_fmac_f32_e32 v6, v8, v4
	v_fma_f32 v3, -v3, v6, v7
	s_delay_alu instid0(VALU_DEP_1) | instskip(NEXT) | instid1(VALU_DEP_1)
	v_div_fmas_f32 v3, v3, v4, v6
	v_div_fixup_f32 v3, v3, v2, v1
	s_delay_alu instid0(VALU_DEP_1) | instskip(NEXT) | instid1(VALU_DEP_1)
	v_fmac_f32_e32 v2, v1, v3
	v_div_scale_f32 v1, null, v2, v2, 1.0
	v_div_scale_f32 v7, vcc_lo, 1.0, v2, 1.0
	s_delay_alu instid0(VALU_DEP_2) | instskip(SKIP_2) | instid1(VALU_DEP_1)
	v_rcp_f32_e32 v4, v1
	s_waitcnt_depctr 0xfff
	v_fma_f32 v6, -v1, v4, 1.0
	v_fmac_f32_e32 v4, v6, v4
	s_delay_alu instid0(VALU_DEP_1) | instskip(NEXT) | instid1(VALU_DEP_1)
	v_mul_f32_e32 v6, v7, v4
	v_fma_f32 v8, -v1, v6, v7
	s_delay_alu instid0(VALU_DEP_1) | instskip(NEXT) | instid1(VALU_DEP_1)
	v_fmac_f32_e32 v6, v8, v4
	v_fma_f32 v1, -v1, v6, v7
	s_delay_alu instid0(VALU_DEP_1) | instskip(SKIP_1) | instid1(VALU_DEP_2)
	v_div_fmas_f32 v1, v1, v4, v6
	v_add_f32_e32 v4, 0, v3
	v_div_fixup_f32 v1, v1, v2, 1.0
	v_fma_f32 v2, v3, 0, -1.0
	s_delay_alu instid0(VALU_DEP_2) | instskip(NEXT) | instid1(VALU_DEP_2)
	v_mul_f32_e32 v3, v4, v1
	v_mul_f32_e32 v4, v2, v1
                                        ; implicit-def: $vgpr1_vgpr2
.LBB150_30:
	s_and_not1_saveexec_b32 s5, s5
	s_cbranch_execz .LBB150_32
; %bb.31:
	v_div_scale_f32 v3, null, v1, v1, v2
	v_div_scale_f32 v7, vcc_lo, v2, v1, v2
	s_delay_alu instid0(VALU_DEP_2) | instskip(SKIP_2) | instid1(VALU_DEP_1)
	v_rcp_f32_e32 v4, v3
	s_waitcnt_depctr 0xfff
	v_fma_f32 v6, -v3, v4, 1.0
	v_fmac_f32_e32 v4, v6, v4
	s_delay_alu instid0(VALU_DEP_1) | instskip(NEXT) | instid1(VALU_DEP_1)
	v_mul_f32_e32 v6, v7, v4
	v_fma_f32 v8, -v3, v6, v7
	s_delay_alu instid0(VALU_DEP_1) | instskip(NEXT) | instid1(VALU_DEP_1)
	v_fmac_f32_e32 v6, v8, v4
	v_fma_f32 v3, -v3, v6, v7
	s_delay_alu instid0(VALU_DEP_1) | instskip(NEXT) | instid1(VALU_DEP_1)
	v_div_fmas_f32 v3, v3, v4, v6
	v_div_fixup_f32 v4, v3, v1, v2
	s_delay_alu instid0(VALU_DEP_1) | instskip(NEXT) | instid1(VALU_DEP_1)
	v_fmac_f32_e32 v1, v2, v4
	v_div_scale_f32 v2, null, v1, v1, 1.0
	v_div_scale_f32 v7, vcc_lo, 1.0, v1, 1.0
	s_delay_alu instid0(VALU_DEP_2) | instskip(SKIP_2) | instid1(VALU_DEP_1)
	v_rcp_f32_e32 v3, v2
	s_waitcnt_depctr 0xfff
	v_fma_f32 v6, -v2, v3, 1.0
	v_fmac_f32_e32 v3, v6, v3
	s_delay_alu instid0(VALU_DEP_1) | instskip(NEXT) | instid1(VALU_DEP_1)
	v_mul_f32_e32 v6, v7, v3
	v_fma_f32 v8, -v2, v6, v7
	s_delay_alu instid0(VALU_DEP_1) | instskip(NEXT) | instid1(VALU_DEP_1)
	v_fmac_f32_e32 v6, v8, v3
	v_fma_f32 v2, -v2, v6, v7
	s_delay_alu instid0(VALU_DEP_1) | instskip(SKIP_1) | instid1(VALU_DEP_2)
	v_div_fmas_f32 v2, v2, v3, v6
	v_fma_f32 v3, v4, 0, 1.0
	v_div_fixup_f32 v1, v2, v1, 1.0
	s_delay_alu instid0(VALU_DEP_1)
	v_mul_f32_e32 v3, v3, v1
	v_mul_f32_e64 v4, -v4, v1
.LBB150_32:
	s_or_b32 exec_lo, exec_lo, s5
	s_mov_b32 s5, 0
	ds_store_b64 v5, v[3:4]
.LBB150_33:
	s_and_b32 vcc_lo, exec_lo, s5
	s_cbranch_vccz .LBB150_35
; %bb.34:
	v_dual_mov_b32 v1, 1.0 :: v_dual_mov_b32 v2, 0
	ds_store_b64 v5, v[1:2]
.LBB150_35:
	s_or_b32 exec_lo, exec_lo, s29
	s_waitcnt lgkmcnt(0)
	s_load_b32 s16, s[0:1], 0x50
	s_lshl_b64 s[0:1], s[10:11], 3
	s_waitcnt lgkmcnt(0)
	s_ashr_i32 s17, s16, 31
	s_add_u32 s5, s2, s0
	s_addc_u32 s18, s3, s1
	s_lshl_b32 s8, s14, 4
	s_add_i32 s15, s15, -1
	s_sub_i32 s7, s7, s8
	s_mul_hi_i32 s11, s16, s8
	s_cmp_ge_u32 s14, s15
	s_mul_i32 s10, s16, s8
	s_cselect_b32 s14, s7, 16
	s_lshl_b64 s[10:11], s[10:11], 3
	s_ashr_i32 s9, s8, 31
	s_add_u32 s7, s5, s10
	s_addc_u32 s18, s18, s11
	v_cmp_gt_i32_e32 vcc_lo, s14, v0
	s_cmp_gt_i32 s6, 0
	s_mov_b32 s10, 0
	s_cselect_b32 s5, -1, 0
	s_delay_alu instid0(SALU_CYCLE_1) | instskip(NEXT) | instid1(SALU_CYCLE_1)
	s_and_b32 s19, vcc_lo, s5
	s_and_saveexec_b32 s5, s19
	s_cbranch_execz .LBB150_42
; %bb.36:
	s_cmp_lt_i32 s6, 8
	s_cbranch_scc1 .LBB150_39
; %bb.37:
	v_mad_i64_i32 v[1:2], null, s16, v0, 0
	v_lshl_or_b32 v3, v0, 3, 0x800
	s_lshl_b32 s10, s20, 3
	s_mov_b64 s[14:15], 0
	s_and_b32 s11, s10, 0xc0
	s_mov_b32 s10, 0
	s_delay_alu instid0(VALU_DEP_2) | instskip(NEXT) | instid1(VALU_DEP_1)
	v_lshlrev_b64 v[1:2], 3, v[1:2]
	v_add_co_u32 v1, vcc_lo, s7, v1
	s_delay_alu instid0(VALU_DEP_2)
	v_add_co_ci_u32_e32 v2, vcc_lo, s18, v2, vcc_lo
.LBB150_38:                             ; =>This Inner Loop Header: Depth=1
	s_delay_alu instid0(VALU_DEP_2) | instskip(NEXT) | instid1(VALU_DEP_2)
	v_add_co_u32 v16, vcc_lo, v1, s14
	v_add_co_ci_u32_e32 v17, vcc_lo, s15, v2, vcc_lo
	s_add_i32 s10, s10, 8
	s_add_u32 s14, s14, 64
	s_addc_u32 s15, s15, 0
	s_clause 0x3
	global_load_b128 v[4:7], v[16:17], off
	global_load_b128 v[8:11], v[16:17], off offset:16
	global_load_b128 v[12:15], v[16:17], off offset:32
	;; [unrolled: 1-line block ×3, first 2 shown]
	s_cmp_lg_u32 s11, s14
	s_waitcnt vmcnt(3)
	v_dual_mul_f32 v21, s13, v5 :: v_dual_mul_f32 v22, s13, v7
	v_dual_mul_f32 v20, s12, v5 :: v_dual_mul_f32 v5, s12, v7
	s_waitcnt vmcnt(2)
	v_dual_mul_f32 v23, s13, v9 :: v_dual_mul_f32 v24, s13, v11
	s_waitcnt vmcnt(1)
	v_dual_mul_f32 v7, s12, v9 :: v_dual_mul_f32 v26, s13, v15
	v_dual_mul_f32 v9, s12, v11 :: v_dual_fmac_f32 v20, s13, v4
	s_waitcnt vmcnt(0)
	v_dual_mul_f32 v25, s13, v13 :: v_dual_mul_f32 v28, s13, v19
	v_mul_f32_e32 v11, s12, v13
	v_mul_f32_e32 v13, s12, v15
	;; [unrolled: 1-line block ×5, first 2 shown]
	v_fma_f32 v19, s12, v4, -v21
	v_fma_f32 v4, s12, v6, -v22
	v_fmac_f32_e32 v5, s13, v6
	v_fma_f32 v6, s12, v8, -v23
	v_fmac_f32_e32 v7, s13, v8
	;; [unrolled: 2-line block ×7, first 2 shown]
	ds_store_2addr_b64 v3, v[19:20], v[4:5] offset1:16
	ds_store_2addr_b64 v3, v[6:7], v[8:9] offset0:32 offset1:48
	ds_store_2addr_b64 v3, v[10:11], v[12:13] offset0:64 offset1:80
	;; [unrolled: 1-line block ×3, first 2 shown]
	v_add_nc_u32_e32 v3, 0x400, v3
	s_cbranch_scc1 .LBB150_38
.LBB150_39:
	s_and_b32 s14, s20, 7
	s_mov_b32 s11, 0
	s_cmp_eq_u32 s14, 0
	s_cbranch_scc1 .LBB150_42
; %bb.40:
	v_lshlrev_b32_e32 v3, 3, v0
	s_lshl_b64 s[22:23], s[8:9], 3
	s_lshl_b64 s[24:25], s[10:11], 3
	s_delay_alu instid0(VALU_DEP_1) | instskip(NEXT) | instid1(VALU_DEP_1)
	v_add_co_u32 v4, s11, s22, v3
	v_add_co_ci_u32_e64 v5, null, s23, 0, s11
	s_add_u32 s11, s2, s24
	s_addc_u32 s15, s3, s25
	s_add_u32 s22, s11, s0
	s_addc_u32 s23, s15, s1
	v_mul_lo_u32 v5, v5, s16
	v_mad_u64_u32 v[1:2], null, v4, s16, s[22:23]
	v_mul_lo_u32 v4, v4, s17
	v_lshl_or_b32 v3, s10, 7, v3
	s_delay_alu instid0(VALU_DEP_1) | instskip(NEXT) | instid1(VALU_DEP_4)
	v_add_nc_u32_e32 v3, 0x800, v3
	v_add_co_u32 v1, vcc_lo, v1, 4
	s_delay_alu instid0(VALU_DEP_4) | instskip(NEXT) | instid1(VALU_DEP_1)
	v_add3_u32 v2, v5, v2, v4
	v_add_co_ci_u32_e32 v2, vcc_lo, 0, v2, vcc_lo
	.p2align	6
.LBB150_41:                             ; =>This Inner Loop Header: Depth=1
	global_load_b64 v[4:5], v[1:2], off offset:-4
	v_add_co_u32 v1, vcc_lo, v1, 8
	v_add_co_ci_u32_e32 v2, vcc_lo, 0, v2, vcc_lo
	s_add_i32 s14, s14, -1
	s_delay_alu instid0(SALU_CYCLE_1) | instskip(SKIP_2) | instid1(VALU_DEP_1)
	s_cmp_lg_u32 s14, 0
	s_waitcnt vmcnt(0)
	v_mul_f32_e32 v6, s12, v5
	v_dual_mul_f32 v7, s13, v5 :: v_dual_fmac_f32 v6, s13, v4
	s_delay_alu instid0(VALU_DEP_1)
	v_fma_f32 v5, s12, v4, -v7
	ds_store_b64 v3, v[5:6]
	v_add_nc_u32_e32 v3, 0x80, v3
	s_cbranch_scc1 .LBB150_41
.LBB150_42:
	s_or_b32 exec_lo, exec_lo, s5
	v_or_b32_e64 v3, 0, 4
	s_cmpk_eq_i32 s4, 0x6f
	s_mov_b32 s4, -1
	s_waitcnt vmcnt(0) lgkmcnt(0)
	s_waitcnt_vscnt null, 0x0
	; wave barrier
	s_waitcnt lgkmcnt(0)
	buffer_gl0_inv
	s_cbranch_scc1 .LBB150_63
; %bb.43:
	v_lshl_or_b32 v4, v0, 3, 0x800
	v_lshlrev_b32_e32 v5, 3, v0
	s_lshl_b32 s10, s20, 3
	s_mov_b32 s5, 0
	s_add_i32 s10, s10, -8
	s_mov_b32 s4, s5
	s_mov_b32 s11, s28
	s_branch .LBB150_45
.LBB150_44:                             ;   in Loop: Header=BB150_45 Depth=1
	s_cmp_lt_i32 s11, 0
	s_cselect_b32 s12, -1, 0
	s_add_i32 s4, s4, 1
	s_delay_alu instid0(SALU_CYCLE_1) | instskip(SKIP_1) | instid1(SALU_CYCLE_1)
	s_cmp_eq_u32 s4, 3
	s_cselect_b32 s13, -1, 0
	s_or_b32 s12, s12, s13
	s_delay_alu instid0(SALU_CYCLE_1)
	s_and_not1_b32 vcc_lo, exec_lo, s12
	s_cbranch_vccz .LBB150_62
.LBB150_45:                             ; =>This Loop Header: Depth=1
                                        ;     Child Loop BB150_48 Depth 2
                                        ;       Child Loop BB150_49 Depth 3
                                        ;       Child Loop BB150_51 Depth 3
                                        ;         Child Loop BB150_52 Depth 4
                                        ;       Child Loop BB150_56 Depth 3
                                        ;         Child Loop BB150_58 Depth 4
	s_getpc_b64 s[12:13]
	s_add_u32 s12, s12, __const._ZL38rocblas_trsm_small_left_device_sharedBILi16ELi16ELb1E19rocblas_complex_numIfES1_PKPKS1_PKPS1_Ev13rocblas_fill_18rocblas_operation_17rocblas_diagonal_iiT3_T4_lilT5_lili.step_sizes@rel32@lo+4
	s_addc_u32 s13, s13, __const._ZL38rocblas_trsm_small_left_device_sharedBILi16ELi16ELb1E19rocblas_complex_numIfES1_PKPKS1_PKPS1_Ev13rocblas_fill_18rocblas_operation_17rocblas_diagonal_iiT3_T4_lilT5_lili.step_sizes@rel32@hi+12
	s_lshl_b64 s[14:15], s[4:5], 2
	s_delay_alu instid0(SALU_CYCLE_1) | instskip(SKIP_4) | instid1(SALU_CYCLE_1)
	s_add_u32 s12, s14, s12
	s_addc_u32 s13, s15, s13
	s_load_b32 s12, s[12:13], 0x0
	s_waitcnt lgkmcnt(0)
	s_add_i32 s13, s12, -1
	s_cmp_lt_i32 s11, s13
	s_cbranch_scc1 .LBB150_44
; %bb.46:                               ;   in Loop: Header=BB150_45 Depth=1
	s_lshl_b32 s21, s11, 7
	s_lshl_b32 s15, s12, 7
	v_add_nc_u32_e32 v6, s21, v4
	s_max_i32 s14, s12, 1
	s_sub_i32 s15, 0, s15
	s_add_i32 s21, s10, s21
	s_mul_i32 s22, s11, 0x88
	s_mul_i32 s23, s12, 0xffffff78
	s_branch .LBB150_48
.LBB150_47:                             ;   in Loop: Header=BB150_48 Depth=2
	v_add_nc_u32_e32 v6, s15, v6
	s_sub_i32 s11, s11, s12
	s_add_i32 s21, s21, s15
	s_add_i32 s22, s22, s23
	s_cmp_lt_i32 s11, s13
	s_cbranch_scc1 .LBB150_44
.LBB150_48:                             ;   Parent Loop BB150_45 Depth=1
                                        ; =>  This Loop Header: Depth=2
                                        ;       Child Loop BB150_49 Depth 3
                                        ;       Child Loop BB150_51 Depth 3
                                        ;         Child Loop BB150_52 Depth 4
                                        ;       Child Loop BB150_56 Depth 3
                                        ;         Child Loop BB150_58 Depth 4
	v_dual_mov_b32 v1, 0 :: v_dual_mov_b32 v2, v6
	s_mov_b32 s24, s14
.LBB150_49:                             ;   Parent Loop BB150_45 Depth=1
                                        ;     Parent Loop BB150_48 Depth=2
                                        ; =>    This Inner Loop Header: Depth=3
	ds_load_b64 v[7:8], v2
	v_add_nc_u32_e32 v2, 0xffffff80, v2
	s_add_i32 s24, s24, -1
	s_delay_alu instid0(SALU_CYCLE_1)
	s_cmp_eq_u32 s24, 0
	s_waitcnt lgkmcnt(0)
	scratch_store_b64 v1, v[7:8], off
	v_add_nc_u32_e32 v1, 8, v1
	s_cbranch_scc0 .LBB150_49
; %bb.50:                               ;   in Loop: Header=BB150_48 Depth=2
	s_cmp_le_i32 s28, s11
	s_mov_b32 s24, s21
	s_mov_b32 s25, s28
	s_cbranch_scc1 .LBB150_54
	.p2align	6
.LBB150_51:                             ;   Parent Loop BB150_45 Depth=1
                                        ;     Parent Loop BB150_48 Depth=2
                                        ; =>    This Loop Header: Depth=3
                                        ;         Child Loop BB150_52 Depth 4
	v_lshl_or_b32 v1, s25, 7, v5
	v_mov_b32_e32 v7, v3
	s_mov_b32 s26, s24
	s_mov_b32 s27, s14
	ds_load_b64 v[1:2], v1 offset:2048
	.p2align	6
.LBB150_52:                             ;   Parent Loop BB150_45 Depth=1
                                        ;     Parent Loop BB150_48 Depth=2
                                        ;       Parent Loop BB150_51 Depth=3
                                        ; =>      This Inner Loop Header: Depth=4
	scratch_load_b64 v[8:9], v7, off offset:-4
	v_mov_b32_e32 v10, s26
	s_add_i32 s27, s27, -1
	s_addk_i32 s26, 0xff80
	s_cmp_eq_u32 s27, 0
	ds_load_b64 v[10:11], v10
	s_waitcnt lgkmcnt(0)
	v_mul_f32_e32 v12, v11, v2
	v_mul_f32_e32 v11, v11, v1
	s_delay_alu instid0(VALU_DEP_1) | instskip(SKIP_1) | instid1(VALU_DEP_1)
	v_fmac_f32_e32 v11, v10, v2
	s_waitcnt vmcnt(0)
	v_sub_f32_e32 v9, v9, v11
	v_fma_f32 v12, v10, v1, -v12
	s_delay_alu instid0(VALU_DEP_1)
	v_sub_f32_e32 v8, v8, v12
	scratch_store_b64 v7, v[8:9], off offset:-4
	v_add_nc_u32_e32 v7, 8, v7
	s_cbranch_scc0 .LBB150_52
; %bb.53:                               ;   in Loop: Header=BB150_51 Depth=3
	s_add_i32 s25, s25, -1
	s_add_i32 s24, s24, -8
	s_cmp_le_i32 s25, s11
	s_cbranch_scc0 .LBB150_51
.LBB150_54:                             ;   in Loop: Header=BB150_48 Depth=2
	s_lshl_b32 s24, s11, 4
	s_mov_b32 s25, 0
	s_mov_b32 s26, s22
	s_branch .LBB150_56
.LBB150_55:                             ;   in Loop: Header=BB150_56 Depth=3
	s_mulk_i32 s29, 0x88
	s_addk_i32 s26, 0xff80
	v_mov_b32_e32 v7, s29
	s_lshl_b32 s29, s25, 3
	s_add_i32 s25, s25, 1
	ds_load_b64 v[7:8], v7
	s_waitcnt vmcnt(0) lgkmcnt(0)
	v_mul_f32_e32 v9, v8, v2
	v_mul_f32_e32 v10, v7, v2
	v_add_lshl_u32 v2, s27, v0, 3
	s_add_i32 s27, s29, 0
	s_cmp_eq_u32 s25, s14
	v_fma_f32 v9, v7, v1, -v9
	v_fmac_f32_e32 v10, v8, v1
	scratch_store_b64 off, v[9:10], s27
	ds_store_b64 v2, v[9:10] offset:2048
	s_cbranch_scc1 .LBB150_47
.LBB150_56:                             ;   Parent Loop BB150_45 Depth=1
                                        ;     Parent Loop BB150_48 Depth=2
                                        ; =>    This Loop Header: Depth=3
                                        ;         Child Loop BB150_58 Depth 4
	s_cmp_lg_u32 s25, 0
	s_cbranch_scc0 .LBB150_60
; %bb.57:                               ;   in Loop: Header=BB150_56 Depth=3
	s_lshl_b32 s27, s25, 3
	v_mov_b32_e32 v8, 0
	s_add_i32 s29, s27, 0
	v_add_nc_u32_e64 v7, s27, 0
	scratch_load_b64 v[1:2], off, s29
	s_sub_i32 s29, s11, s25
	s_mov_b32 s30, 0
	s_lshl_b32 s27, s29, 4
	s_mov_b32 s31, s26
	.p2align	6
.LBB150_58:                             ;   Parent Loop BB150_45 Depth=1
                                        ;     Parent Loop BB150_48 Depth=2
                                        ;       Parent Loop BB150_56 Depth=3
                                        ; =>      This Inner Loop Header: Depth=4
	scratch_load_b64 v[9:10], v8, off
	v_mov_b32_e32 v11, s31
	s_add_i32 s30, s30, 1
	s_add_i32 s31, s31, -8
	s_cmp_ge_u32 s30, s25
	v_add_nc_u32_e32 v8, 8, v8
	ds_load_b64 v[11:12], v11
	s_waitcnt vmcnt(0) lgkmcnt(0)
	v_mul_f32_e32 v13, v12, v10
	v_mul_f32_e32 v10, v11, v10
	s_delay_alu instid0(VALU_DEP_2) | instskip(NEXT) | instid1(VALU_DEP_1)
	v_fma_f32 v11, v11, v9, -v13
	v_dual_sub_f32 v1, v1, v11 :: v_dual_fmac_f32 v10, v12, v9
	s_delay_alu instid0(VALU_DEP_1)
	v_sub_f32_e32 v2, v2, v10
	scratch_store_b64 v7, v[1:2], off
	s_cbranch_scc0 .LBB150_58
; %bb.59:                               ;   in Loop: Header=BB150_56 Depth=3
	s_branch .LBB150_55
.LBB150_60:                             ;   in Loop: Header=BB150_56 Depth=3
                                        ; implicit-def: $vgpr1
                                        ; implicit-def: $sgpr29
                                        ; implicit-def: $sgpr27
	s_cbranch_execz .LBB150_55
; %bb.61:                               ;   in Loop: Header=BB150_56 Depth=3
	scratch_load_b64 v[1:2], off, off
	s_mov_b32 s27, s24
	s_mov_b32 s29, s11
	s_branch .LBB150_55
.LBB150_62:
	s_mov_b32 s4, 0
.LBB150_63:
	s_delay_alu instid0(SALU_CYCLE_1)
	s_and_b32 vcc_lo, exec_lo, s4
	s_cbranch_vccz .LBB150_84
; %bb.64:
	v_lshl_or_b32 v4, v0, 3, 0x800
	v_lshlrev_b32_e32 v5, 3, v0
	s_mov_b32 s5, 0
	s_delay_alu instid0(SALU_CYCLE_1)
	s_mov_b32 s4, s5
	s_mov_b32 s10, s5
	s_branch .LBB150_66
.LBB150_65:                             ;   in Loop: Header=BB150_66 Depth=1
	s_cmp_ge_i32 s10, s20
	s_cselect_b32 s11, -1, 0
	s_add_i32 s4, s4, 1
	s_delay_alu instid0(SALU_CYCLE_1) | instskip(SKIP_1) | instid1(SALU_CYCLE_1)
	s_cmp_eq_u32 s4, 3
	s_cselect_b32 s12, -1, 0
	s_or_b32 s11, s11, s12
	s_delay_alu instid0(SALU_CYCLE_1)
	s_and_b32 vcc_lo, exec_lo, s11
	s_cbranch_vccnz .LBB150_84
.LBB150_66:                             ; =>This Loop Header: Depth=1
                                        ;     Child Loop BB150_69 Depth 2
                                        ;       Child Loop BB150_70 Depth 3
                                        ;       Child Loop BB150_73 Depth 3
                                        ;         Child Loop BB150_74 Depth 4
                                        ;       Child Loop BB150_78 Depth 3
                                        ;         Child Loop BB150_80 Depth 4
	s_getpc_b64 s[12:13]
	s_add_u32 s12, s12, __const._ZL38rocblas_trsm_small_left_device_sharedBILi16ELi16ELb1E19rocblas_complex_numIfES1_PKPKS1_PKPS1_Ev13rocblas_fill_18rocblas_operation_17rocblas_diagonal_iiT3_T4_lilT5_lili.step_sizes@rel32@lo+4
	s_addc_u32 s13, s13, __const._ZL38rocblas_trsm_small_left_device_sharedBILi16ELi16ELb1E19rocblas_complex_numIfES1_PKPKS1_PKPS1_Ev13rocblas_fill_18rocblas_operation_17rocblas_diagonal_iiT3_T4_lilT5_lili.step_sizes@rel32@hi+12
	s_lshl_b64 s[14:15], s[4:5], 2
	s_delay_alu instid0(SALU_CYCLE_1) | instskip(SKIP_4) | instid1(SALU_CYCLE_1)
	s_add_u32 s12, s14, s12
	s_addc_u32 s13, s15, s13
	s_load_b32 s11, s[12:13], 0x0
	s_waitcnt lgkmcnt(0)
	s_add_i32 s12, s11, -1
	s_add_i32 s13, s12, s10
	s_delay_alu instid0(SALU_CYCLE_1)
	s_cmp_ge_i32 s13, s20
	s_cbranch_scc1 .LBB150_65
; %bb.67:                               ;   in Loop: Header=BB150_66 Depth=1
	v_lshl_add_u32 v6, s10, 7, v4
	s_max_i32 s13, s11, 1
	s_lshl_b32 s14, s11, 7
	s_lshl_b32 s15, s10, 3
	;; [unrolled: 1-line block ×3, first 2 shown]
	s_mul_i32 s22, s10, 0x88
	s_mul_i32 s23, s11, 0x88
	s_branch .LBB150_69
.LBB150_68:                             ;   in Loop: Header=BB150_69 Depth=2
	s_add_i32 s10, s10, s11
	v_add_nc_u32_e32 v6, s14, v6
	s_add_i32 s24, s12, s10
	s_add_i32 s15, s15, s21
	s_add_i32 s22, s22, s23
	s_cmp_ge_i32 s24, s20
	s_cbranch_scc1 .LBB150_65
.LBB150_69:                             ;   Parent Loop BB150_66 Depth=1
                                        ; =>  This Loop Header: Depth=2
                                        ;       Child Loop BB150_70 Depth 3
                                        ;       Child Loop BB150_73 Depth 3
                                        ;         Child Loop BB150_74 Depth 4
                                        ;       Child Loop BB150_78 Depth 3
                                        ;         Child Loop BB150_80 Depth 4
	v_dual_mov_b32 v1, 0 :: v_dual_mov_b32 v2, v6
	s_mov_b32 s24, s13
.LBB150_70:                             ;   Parent Loop BB150_66 Depth=1
                                        ;     Parent Loop BB150_69 Depth=2
                                        ; =>    This Inner Loop Header: Depth=3
	ds_load_b64 v[7:8], v2
	v_add_nc_u32_e32 v2, 0x80, v2
	s_add_i32 s24, s24, -1
	s_delay_alu instid0(SALU_CYCLE_1)
	s_cmp_eq_u32 s24, 0
	s_waitcnt lgkmcnt(0)
	scratch_store_b64 v1, v[7:8], off
	v_add_nc_u32_e32 v1, 8, v1
	s_cbranch_scc0 .LBB150_70
; %bb.71:                               ;   in Loop: Header=BB150_69 Depth=2
	s_cmp_lt_i32 s10, 1
	s_cbranch_scc1 .LBB150_76
; %bb.72:                               ;   in Loop: Header=BB150_69 Depth=2
	s_mov_b32 s24, 0
	s_mov_b32 s25, s15
	.p2align	6
.LBB150_73:                             ;   Parent Loop BB150_66 Depth=1
                                        ;     Parent Loop BB150_69 Depth=2
                                        ; =>    This Loop Header: Depth=3
                                        ;         Child Loop BB150_74 Depth 4
	v_lshl_or_b32 v1, s24, 7, v5
	v_mov_b32_e32 v7, v3
	s_mov_b32 s26, s25
	s_mov_b32 s27, s13
	ds_load_b64 v[1:2], v1 offset:2048
	.p2align	6
.LBB150_74:                             ;   Parent Loop BB150_66 Depth=1
                                        ;     Parent Loop BB150_69 Depth=2
                                        ;       Parent Loop BB150_73 Depth=3
                                        ; =>      This Inner Loop Header: Depth=4
	scratch_load_b64 v[8:9], v7, off offset:-4
	v_mov_b32_e32 v10, s26
	s_add_i32 s27, s27, -1
	s_add_i32 s26, s26, 8
	s_cmp_eq_u32 s27, 0
	ds_load_b64 v[10:11], v10
	s_waitcnt lgkmcnt(0)
	v_mul_f32_e32 v12, v11, v2
	v_mul_f32_e32 v11, v11, v1
	s_delay_alu instid0(VALU_DEP_1) | instskip(SKIP_1) | instid1(VALU_DEP_1)
	v_fmac_f32_e32 v11, v10, v2
	s_waitcnt vmcnt(0)
	v_sub_f32_e32 v9, v9, v11
	v_fma_f32 v12, v10, v1, -v12
	s_delay_alu instid0(VALU_DEP_1)
	v_sub_f32_e32 v8, v8, v12
	scratch_store_b64 v7, v[8:9], off offset:-4
	v_add_nc_u32_e32 v7, 8, v7
	s_cbranch_scc0 .LBB150_74
; %bb.75:                               ;   in Loop: Header=BB150_73 Depth=3
	s_add_i32 s24, s24, 1
	s_addk_i32 s25, 0x80
	s_cmp_ge_i32 s24, s10
	s_cbranch_scc0 .LBB150_73
.LBB150_76:                             ;   in Loop: Header=BB150_69 Depth=2
	s_mov_b32 s24, 0
	s_mov_b32 s25, s22
	s_branch .LBB150_78
.LBB150_77:                             ;   in Loop: Header=BB150_78 Depth=3
	s_mul_i32 s27, s26, 0x88
	s_add_i32 s25, s25, 8
	v_mov_b32_e32 v7, s27
	s_lshl_b32 s27, s24, 3
	s_add_i32 s24, s24, 1
	ds_load_b64 v[7:8], v7
	s_waitcnt vmcnt(0) lgkmcnt(0)
	v_mul_f32_e32 v9, v8, v2
	v_mul_f32_e32 v10, v7, v2
	v_lshl_or_b32 v2, s26, 7, v5
	s_add_i32 s26, s27, 0
	s_cmp_eq_u32 s24, s13
	v_fma_f32 v9, v7, v1, -v9
	v_fmac_f32_e32 v10, v8, v1
	scratch_store_b64 off, v[9:10], s26
	ds_store_b64 v2, v[9:10] offset:2048
	s_cbranch_scc1 .LBB150_68
.LBB150_78:                             ;   Parent Loop BB150_66 Depth=1
                                        ;     Parent Loop BB150_69 Depth=2
                                        ; =>    This Loop Header: Depth=3
                                        ;         Child Loop BB150_80 Depth 4
	s_cmp_lg_u32 s24, 0
	s_cbranch_scc0 .LBB150_82
; %bb.79:                               ;   in Loop: Header=BB150_78 Depth=3
	s_lshl_b32 s26, s24, 3
	v_mov_b32_e32 v8, 0
	s_add_i32 s27, s26, 0
	v_add_nc_u32_e64 v7, s26, 0
	scratch_load_b64 v[1:2], off, s27
	s_add_i32 s26, s24, s10
	s_mov_b32 s27, 0
	s_mov_b32 s28, s25
	.p2align	6
.LBB150_80:                             ;   Parent Loop BB150_66 Depth=1
                                        ;     Parent Loop BB150_69 Depth=2
                                        ;       Parent Loop BB150_78 Depth=3
                                        ; =>      This Inner Loop Header: Depth=4
	scratch_load_b64 v[9:10], v8, off
	v_mov_b32_e32 v11, s28
	s_add_i32 s27, s27, 1
	s_addk_i32 s28, 0x80
	s_cmp_ge_u32 s27, s24
	v_add_nc_u32_e32 v8, 8, v8
	ds_load_b64 v[11:12], v11
	s_waitcnt vmcnt(0) lgkmcnt(0)
	v_mul_f32_e32 v13, v12, v10
	v_mul_f32_e32 v10, v11, v10
	s_delay_alu instid0(VALU_DEP_2) | instskip(NEXT) | instid1(VALU_DEP_1)
	v_fma_f32 v11, v11, v9, -v13
	v_dual_sub_f32 v1, v1, v11 :: v_dual_fmac_f32 v10, v12, v9
	s_delay_alu instid0(VALU_DEP_1)
	v_sub_f32_e32 v2, v2, v10
	scratch_store_b64 v7, v[1:2], off
	s_cbranch_scc0 .LBB150_80
; %bb.81:                               ;   in Loop: Header=BB150_78 Depth=3
	s_branch .LBB150_77
.LBB150_82:                             ;   in Loop: Header=BB150_78 Depth=3
                                        ; implicit-def: $vgpr1
                                        ; implicit-def: $sgpr26
	s_cbranch_execz .LBB150_77
; %bb.83:                               ;   in Loop: Header=BB150_78 Depth=3
	scratch_load_b64 v[1:2], off, off
	s_mov_b32 s26, s10
	s_branch .LBB150_77
.LBB150_84:
	s_waitcnt vmcnt(0) lgkmcnt(0)
	s_waitcnt_vscnt null, 0x0
	; wave barrier
	s_waitcnt lgkmcnt(0)
	s_waitcnt_vscnt null, 0x0
	buffer_gl0_inv
	s_and_saveexec_b32 s4, s19
	s_cbranch_execz .LBB150_91
; %bb.85:
	s_cmp_lt_i32 s6, 8
	s_mov_b32 s4, 0
	s_cbranch_scc1 .LBB150_88
; %bb.86:
	v_mad_i64_i32 v[1:2], null, s16, v0, 0
	v_lshl_or_b32 v3, v0, 3, 0x800
	s_lshl_b32 s4, s20, 3
	s_delay_alu instid0(SALU_CYCLE_1) | instskip(SKIP_1) | instid1(VALU_DEP_2)
	s_and_b32 s5, s4, 0xc0
	s_mov_b32 s4, 0
	v_lshlrev_b64 v[1:2], 3, v[1:2]
	s_delay_alu instid0(VALU_DEP_1) | instskip(NEXT) | instid1(VALU_DEP_2)
	v_add_co_u32 v1, vcc_lo, s7, v1
	v_add_co_ci_u32_e32 v2, vcc_lo, s18, v2, vcc_lo
	s_mov_b64 s[6:7], 0
	.p2align	6
.LBB150_87:                             ; =>This Inner Loop Header: Depth=1
	ds_load_2addr_b64 v[4:7], v3 offset1:16
	ds_load_2addr_b64 v[8:11], v3 offset0:32 offset1:48
	ds_load_2addr_b64 v[12:15], v3 offset0:64 offset1:80
	;; [unrolled: 1-line block ×3, first 2 shown]
	v_add_co_u32 v20, vcc_lo, v1, s6
	v_add_co_ci_u32_e32 v21, vcc_lo, s7, v2, vcc_lo
	s_add_i32 s4, s4, 8
	v_add_nc_u32_e32 v3, 0x400, v3
	s_add_u32 s6, s6, 64
	s_addc_u32 s7, s7, 0
	s_cmp_lg_u32 s5, s6
	s_waitcnt lgkmcnt(3)
	global_store_b128 v[20:21], v[4:7], off
	s_waitcnt lgkmcnt(2)
	global_store_b128 v[20:21], v[8:11], off offset:16
	s_waitcnt lgkmcnt(1)
	global_store_b128 v[20:21], v[12:15], off offset:32
	;; [unrolled: 2-line block ×3, first 2 shown]
	s_cbranch_scc1 .LBB150_87
.LBB150_88:
	s_and_b32 s6, s20, 7
	s_mov_b32 s5, 0
	s_cmp_eq_u32 s6, 0
	s_cbranch_scc1 .LBB150_91
; %bb.89:
	v_lshlrev_b32_e32 v2, 3, v0
	s_lshl_b64 s[8:9], s[8:9], 3
	s_lshl_b64 s[10:11], s[4:5], 3
	s_delay_alu instid0(SALU_CYCLE_1) | instskip(NEXT) | instid1(VALU_DEP_1)
	s_add_u32 s2, s2, s10
	v_add_co_u32 v3, s5, s8, v2
	s_delay_alu instid0(VALU_DEP_1) | instskip(SKIP_3) | instid1(VALU_DEP_1)
	v_add_co_ci_u32_e64 v4, null, s9, 0, s5
	s_addc_u32 s3, s3, s11
	s_add_u32 s0, s2, s0
	s_addc_u32 s1, s3, s1
	v_mul_lo_u32 v4, v4, s16
	v_mad_u64_u32 v[0:1], null, v3, s16, s[0:1]
	v_mul_lo_u32 v3, v3, s17
	v_lshl_or_b32 v2, s4, 7, v2
	s_delay_alu instid0(VALU_DEP_1) | instskip(NEXT) | instid1(VALU_DEP_3)
	v_add_nc_u32_e32 v2, 0x800, v2
	v_add3_u32 v1, v4, v1, v3
.LBB150_90:                             ; =>This Inner Loop Header: Depth=1
	ds_load_b64 v[3:4], v2
	v_add_nc_u32_e32 v2, 0x80, v2
	s_add_i32 s6, s6, -1
	s_delay_alu instid0(SALU_CYCLE_1)
	s_cmp_lg_u32 s6, 0
	s_waitcnt lgkmcnt(0)
	global_store_b64 v[0:1], v[3:4], off
	v_add_co_u32 v0, vcc_lo, v0, 8
	v_add_co_ci_u32_e32 v1, vcc_lo, 0, v1, vcc_lo
	s_cbranch_scc1 .LBB150_90
.LBB150_91:
	s_nop 0
	s_sendmsg sendmsg(MSG_DEALLOC_VGPRS)
	s_endpgm
	.section	.rodata,"a",@progbits
	.p2align	6, 0x0
	.amdhsa_kernel _ZL38rocblas_trsm_small_left_device_sharedBILi16ELi16ELb1E19rocblas_complex_numIfES1_PKPKS1_PKPS1_Ev13rocblas_fill_18rocblas_operation_17rocblas_diagonal_iiT3_T4_lilT5_lili
		.amdhsa_group_segment_fixed_size 4096
		.amdhsa_private_segment_fixed_size 144
		.amdhsa_kernarg_size 360
		.amdhsa_user_sgpr_count 14
		.amdhsa_user_sgpr_dispatch_ptr 0
		.amdhsa_user_sgpr_queue_ptr 0
		.amdhsa_user_sgpr_kernarg_segment_ptr 1
		.amdhsa_user_sgpr_dispatch_id 0
		.amdhsa_user_sgpr_private_segment_size 0
		.amdhsa_wavefront_size32 1
		.amdhsa_uses_dynamic_stack 0
		.amdhsa_enable_private_segment 1
		.amdhsa_system_sgpr_workgroup_id_x 1
		.amdhsa_system_sgpr_workgroup_id_y 0
		.amdhsa_system_sgpr_workgroup_id_z 1
		.amdhsa_system_sgpr_workgroup_info 0
		.amdhsa_system_vgpr_workitem_id 0
		.amdhsa_next_free_vgpr 29
		.amdhsa_next_free_sgpr 35
		.amdhsa_reserve_vcc 1
		.amdhsa_float_round_mode_32 0
		.amdhsa_float_round_mode_16_64 0
		.amdhsa_float_denorm_mode_32 3
		.amdhsa_float_denorm_mode_16_64 3
		.amdhsa_dx10_clamp 1
		.amdhsa_ieee_mode 1
		.amdhsa_fp16_overflow 0
		.amdhsa_workgroup_processor_mode 1
		.amdhsa_memory_ordered 1
		.amdhsa_forward_progress 0
		.amdhsa_shared_vgpr_count 0
		.amdhsa_exception_fp_ieee_invalid_op 0
		.amdhsa_exception_fp_denorm_src 0
		.amdhsa_exception_fp_ieee_div_zero 0
		.amdhsa_exception_fp_ieee_overflow 0
		.amdhsa_exception_fp_ieee_underflow 0
		.amdhsa_exception_fp_ieee_inexact 0
		.amdhsa_exception_int_div_zero 0
	.end_amdhsa_kernel
	.section	.text._ZL38rocblas_trsm_small_left_device_sharedBILi16ELi16ELb1E19rocblas_complex_numIfES1_PKPKS1_PKPS1_Ev13rocblas_fill_18rocblas_operation_17rocblas_diagonal_iiT3_T4_lilT5_lili,"axG",@progbits,_ZL38rocblas_trsm_small_left_device_sharedBILi16ELi16ELb1E19rocblas_complex_numIfES1_PKPKS1_PKPS1_Ev13rocblas_fill_18rocblas_operation_17rocblas_diagonal_iiT3_T4_lilT5_lili,comdat
.Lfunc_end150:
	.size	_ZL38rocblas_trsm_small_left_device_sharedBILi16ELi16ELb1E19rocblas_complex_numIfES1_PKPKS1_PKPS1_Ev13rocblas_fill_18rocblas_operation_17rocblas_diagonal_iiT3_T4_lilT5_lili, .Lfunc_end150-_ZL38rocblas_trsm_small_left_device_sharedBILi16ELi16ELb1E19rocblas_complex_numIfES1_PKPKS1_PKPS1_Ev13rocblas_fill_18rocblas_operation_17rocblas_diagonal_iiT3_T4_lilT5_lili
                                        ; -- End function
	.section	.AMDGPU.csdata,"",@progbits
; Kernel info:
; codeLenInByte = 3920
; NumSgprs: 37
; NumVgprs: 29
; ScratchSize: 144
; MemoryBound: 0
; FloatMode: 240
; IeeeMode: 1
; LDSByteSize: 4096 bytes/workgroup (compile time only)
; SGPRBlocks: 4
; VGPRBlocks: 3
; NumSGPRsForWavesPerEU: 37
; NumVGPRsForWavesPerEU: 29
; Occupancy: 8
; WaveLimiterHint : 1
; COMPUTE_PGM_RSRC2:SCRATCH_EN: 1
; COMPUTE_PGM_RSRC2:USER_SGPR: 14
; COMPUTE_PGM_RSRC2:TRAP_HANDLER: 0
; COMPUTE_PGM_RSRC2:TGID_X_EN: 1
; COMPUTE_PGM_RSRC2:TGID_Y_EN: 0
; COMPUTE_PGM_RSRC2:TGID_Z_EN: 1
; COMPUTE_PGM_RSRC2:TIDIG_COMP_CNT: 0
	.section	.text._ZL30rocblas_trsm_small_left_deviceILi16ELi16ELb1E19rocblas_complex_numIfES1_PKPKS1_PKPS1_Ev13rocblas_fill_18rocblas_operation_17rocblas_diagonal_iiT3_T4_lilT5_lili,"axG",@progbits,_ZL30rocblas_trsm_small_left_deviceILi16ELi16ELb1E19rocblas_complex_numIfES1_PKPKS1_PKPS1_Ev13rocblas_fill_18rocblas_operation_17rocblas_diagonal_iiT3_T4_lilT5_lili,comdat
	.globl	_ZL30rocblas_trsm_small_left_deviceILi16ELi16ELb1E19rocblas_complex_numIfES1_PKPKS1_PKPS1_Ev13rocblas_fill_18rocblas_operation_17rocblas_diagonal_iiT3_T4_lilT5_lili ; -- Begin function _ZL30rocblas_trsm_small_left_deviceILi16ELi16ELb1E19rocblas_complex_numIfES1_PKPKS1_PKPS1_Ev13rocblas_fill_18rocblas_operation_17rocblas_diagonal_iiT3_T4_lilT5_lili
	.p2align	8
	.type	_ZL30rocblas_trsm_small_left_deviceILi16ELi16ELb1E19rocblas_complex_numIfES1_PKPKS1_PKPS1_Ev13rocblas_fill_18rocblas_operation_17rocblas_diagonal_iiT3_T4_lilT5_lili,@function
_ZL30rocblas_trsm_small_left_deviceILi16ELi16ELb1E19rocblas_complex_numIfES1_PKPKS1_PKPS1_Ev13rocblas_fill_18rocblas_operation_17rocblas_diagonal_iiT3_T4_lilT5_lili: ; @_ZL30rocblas_trsm_small_left_deviceILi16ELi16ELb1E19rocblas_complex_numIfES1_PKPKS1_PKPS1_Ev13rocblas_fill_18rocblas_operation_17rocblas_diagonal_iiT3_T4_lilT5_lili
; %bb.0:
	s_clause 0x1
	s_load_b128 s[8:11], s[0:1], 0x40
	s_load_b128 s[4:7], s[0:1], 0x4
	s_mov_b32 s12, s15
	s_mov_b32 s13, 0
	s_load_b32 s29, s[0:1], 0x68
	s_lshl_b64 s[22:23], s[12:13], 3
	s_waitcnt lgkmcnt(0)
	s_add_u32 s8, s8, s22
	s_addc_u32 s9, s9, s23
	s_load_b64 s[2:3], s[0:1], 0x14
	s_load_b64 s[8:9], s[8:9], 0x0
	s_min_i32 s15, s6, 16
	s_mov_b32 s6, exec_lo
	s_add_i32 s28, s15, -1
	v_cmpx_gt_i32_e64 s15, v0
	s_cbranch_execz .LBB151_35
; %bb.1:
	s_clause 0x1
	s_load_b32 s20, s[0:1], 0x30
	s_load_b128 s[16:19], s[0:1], 0x20
	v_lshlrev_b32_e32 v8, 3, v0
	s_waitcnt lgkmcnt(0)
	s_ashr_i32 s21, s20, 31
	s_cmpk_lg_i32 s4, 0x71
	s_cselect_b32 s12, -1, 0
	s_add_u32 s16, s16, s22
	s_addc_u32 s17, s17, s23
	v_cndmask_b32_e64 v7, 0, 1, s12
	s_load_b64 s[16:17], s[16:17], 0x0
	s_cmp_lt_u32 s28, 3
	s_cbranch_scc1 .LBB151_20
; %bb.2:
	s_lshl_b64 s[22:23], s[18:19], 3
	v_mov_b32_e32 v9, v8
	s_waitcnt lgkmcnt(0)
	s_add_u32 s13, s16, s22
	s_addc_u32 s22, s17, s23
	v_add_co_u32 v1, s13, s13, v8
	s_delay_alu instid0(VALU_DEP_1)
	v_add_co_ci_u32_e64 v2, null, s22, 0, s13
	s_and_b32 s13, s15, -4
	s_mul_hi_i32 s30, s20, 24
	s_mul_i32 s31, s20, 24
	s_lshl_b64 s[22:23], s[20:21], 5
	s_lshl_b64 s[24:25], s[20:21], 4
	;; [unrolled: 1-line block ×3, first 2 shown]
	s_mov_b32 s33, 0
	s_branch .LBB151_4
.LBB151_3:                              ;   in Loop: Header=BB151_4 Depth=1
	global_load_b32 v3, v[5:6], off
	v_add_co_u32 v1, vcc_lo, v1, s22
	v_add_co_ci_u32_e32 v2, vcc_lo, s23, v2, vcc_lo
	s_add_i32 s33, s33, 4
	s_delay_alu instid0(SALU_CYCLE_1)
	s_cmp_eq_u32 s13, s33
	s_waitcnt vmcnt(0)
	ds_store_b64 v9, v[3:4] offset:384
	v_add_nc_u32_e32 v9, 0x200, v9
	s_cbranch_scc1 .LBB151_20
.LBB151_4:                              ; =>This Inner Loop Header: Depth=1
	s_and_b32 vcc_lo, exec_lo, s12
	s_cbranch_vccz .LBB151_6
; %bb.5:                                ;   in Loop: Header=BB151_4 Depth=1
	global_load_b32 v4, v[1:2], off offset:4
	s_cbranch_execz .LBB151_7
	s_branch .LBB151_8
.LBB151_6:                              ;   in Loop: Header=BB151_4 Depth=1
                                        ; implicit-def: $vgpr4
.LBB151_7:                              ;   in Loop: Header=BB151_4 Depth=1
	global_load_b32 v3, v[1:2], off offset:4
	s_waitcnt vmcnt(0)
	v_xor_b32_e32 v4, 0x80000000, v3
.LBB151_8:                              ;   in Loop: Header=BB151_4 Depth=1
	global_load_b32 v3, v[1:2], off
	v_add_co_u32 v5, vcc_lo, v1, s26
	v_add_co_ci_u32_e32 v6, vcc_lo, s27, v2, vcc_lo
	s_and_not1_b32 vcc_lo, exec_lo, s12
	s_waitcnt vmcnt(0)
	ds_store_b64 v9, v[3:4]
	s_cbranch_vccnz .LBB151_10
; %bb.9:                                ;   in Loop: Header=BB151_4 Depth=1
	global_load_b32 v4, v[5:6], off offset:4
	s_cbranch_execz .LBB151_11
	s_branch .LBB151_12
.LBB151_10:                             ;   in Loop: Header=BB151_4 Depth=1
                                        ; implicit-def: $vgpr4
.LBB151_11:                             ;   in Loop: Header=BB151_4 Depth=1
	global_load_b32 v3, v[5:6], off offset:4
	s_waitcnt vmcnt(0)
	v_xor_b32_e32 v4, 0x80000000, v3
.LBB151_12:                             ;   in Loop: Header=BB151_4 Depth=1
	global_load_b32 v3, v[5:6], off
	v_add_co_u32 v5, vcc_lo, v1, s24
	v_add_co_ci_u32_e32 v6, vcc_lo, s25, v2, vcc_lo
	s_and_not1_b32 vcc_lo, exec_lo, s12
	s_waitcnt vmcnt(0)
	ds_store_b64 v9, v[3:4] offset:128
	s_cbranch_vccnz .LBB151_14
; %bb.13:                               ;   in Loop: Header=BB151_4 Depth=1
	global_load_b32 v4, v[5:6], off offset:4
	s_cbranch_execz .LBB151_15
	s_branch .LBB151_16
.LBB151_14:                             ;   in Loop: Header=BB151_4 Depth=1
                                        ; implicit-def: $vgpr4
.LBB151_15:                             ;   in Loop: Header=BB151_4 Depth=1
	global_load_b32 v3, v[5:6], off offset:4
	s_waitcnt vmcnt(0)
	v_xor_b32_e32 v4, 0x80000000, v3
.LBB151_16:                             ;   in Loop: Header=BB151_4 Depth=1
	global_load_b32 v3, v[5:6], off
	v_add_co_u32 v5, vcc_lo, v1, s31
	v_add_co_ci_u32_e32 v6, vcc_lo, s30, v2, vcc_lo
	s_and_not1_b32 vcc_lo, exec_lo, s12
	s_waitcnt vmcnt(0)
	ds_store_b64 v9, v[3:4] offset:256
	s_cbranch_vccnz .LBB151_18
; %bb.17:                               ;   in Loop: Header=BB151_4 Depth=1
	global_load_b32 v4, v[5:6], off offset:4
	s_cbranch_execnz .LBB151_3
	s_branch .LBB151_19
.LBB151_18:                             ;   in Loop: Header=BB151_4 Depth=1
                                        ; implicit-def: $vgpr4
.LBB151_19:                             ;   in Loop: Header=BB151_4 Depth=1
	global_load_b32 v3, v[5:6], off offset:4
	s_waitcnt vmcnt(0)
	v_xor_b32_e32 v4, 0x80000000, v3
	s_branch .LBB151_3
.LBB151_20:
	s_and_b32 s22, s15, 3
	s_delay_alu instid0(SALU_CYCLE_1)
	s_cmp_eq_u32 s22, 0
	s_cbranch_scc1 .LBB151_27
; %bb.21:
	s_mul_i32 s12, s21, s13
	s_mul_hi_u32 s23, s20, s13
	s_mul_i32 s24, s20, s13
	s_add_i32 s25, s23, s12
	s_lshl_b64 s[18:19], s[18:19], 3
	s_lshl_b64 s[24:25], s[24:25], 3
	v_lshl_or_b32 v5, s13, 7, v8
	s_add_u32 s12, s24, s18
	s_addc_u32 s18, s25, s19
	s_waitcnt lgkmcnt(0)
	s_add_u32 s12, s16, s12
	s_addc_u32 s16, s17, s18
	v_add_co_u32 v1, s12, s12, v8
	s_delay_alu instid0(VALU_DEP_1) | instskip(SKIP_1) | instid1(VALU_DEP_2)
	v_add_co_ci_u32_e64 v2, null, s16, 0, s12
	s_lshl_b64 s[12:13], s[20:21], 3
	v_add_co_u32 v1, vcc_lo, v1, 4
	s_delay_alu instid0(VALU_DEP_2)
	v_add_co_ci_u32_e32 v2, vcc_lo, 0, v2, vcc_lo
	s_set_inst_prefetch_distance 0x1
	s_branch .LBB151_23
	.p2align	6
.LBB151_22:                             ;   in Loop: Header=BB151_23 Depth=1
	global_load_b32 v3, v[1:2], off offset:-4
	v_add_co_u32 v1, vcc_lo, v1, s12
	v_add_co_ci_u32_e32 v2, vcc_lo, s13, v2, vcc_lo
	s_add_i32 s22, s22, -1
	s_delay_alu instid0(SALU_CYCLE_1)
	s_cmp_lg_u32 s22, 0
	s_waitcnt vmcnt(0)
	ds_store_b64 v5, v[3:4]
	v_add_nc_u32_e32 v5, 0x80, v5
	s_cbranch_scc0 .LBB151_27
.LBB151_23:                             ; =>This Inner Loop Header: Depth=1
	v_cmp_ne_u32_e32 vcc_lo, 1, v7
	s_mov_b32 s16, -1
                                        ; implicit-def: $vgpr4
	s_cbranch_vccnz .LBB151_25
; %bb.24:                               ;   in Loop: Header=BB151_23 Depth=1
	global_load_b32 v4, v[1:2], off
	s_mov_b32 s16, 0
.LBB151_25:                             ;   in Loop: Header=BB151_23 Depth=1
	s_delay_alu instid0(SALU_CYCLE_1)
	s_and_not1_b32 vcc_lo, exec_lo, s16
	s_cbranch_vccnz .LBB151_22
; %bb.26:                               ;   in Loop: Header=BB151_23 Depth=1
	global_load_b32 v3, v[1:2], off
	s_waitcnt vmcnt(0)
	v_xor_b32_e32 v4, 0x80000000, v3
	s_branch .LBB151_22
.LBB151_27:
	s_set_inst_prefetch_distance 0x2
	v_mul_u32_u24_e32 v1, 17, v0
	s_cmpk_lg_i32 s5, 0x84
	s_mov_b32 s5, -1
	s_delay_alu instid0(VALU_DEP_1)
	v_lshlrev_b32_e32 v5, 3, v1
	s_cbranch_scc0 .LBB151_33
; %bb.28:
	ds_load_b64 v[1:2], v5
	s_waitcnt lgkmcnt(0)
	v_cmp_gt_f32_e32 vcc_lo, 0, v1
	v_cndmask_b32_e64 v3, v1, -v1, vcc_lo
	v_cmp_gt_f32_e32 vcc_lo, 0, v2
	v_cndmask_b32_e64 v4, v2, -v2, vcc_lo
	s_delay_alu instid0(VALU_DEP_1) | instskip(SKIP_1) | instid1(SALU_CYCLE_1)
	v_cmp_ngt_f32_e32 vcc_lo, v3, v4
                                        ; implicit-def: $vgpr3
	s_and_saveexec_b32 s5, vcc_lo
	s_xor_b32 s5, exec_lo, s5
	s_cbranch_execz .LBB151_30
; %bb.29:
	v_div_scale_f32 v3, null, v2, v2, v1
	v_div_scale_f32 v7, vcc_lo, v1, v2, v1
	s_delay_alu instid0(VALU_DEP_2) | instskip(SKIP_2) | instid1(VALU_DEP_1)
	v_rcp_f32_e32 v4, v3
	s_waitcnt_depctr 0xfff
	v_fma_f32 v6, -v3, v4, 1.0
	v_fmac_f32_e32 v4, v6, v4
	s_delay_alu instid0(VALU_DEP_1) | instskip(NEXT) | instid1(VALU_DEP_1)
	v_mul_f32_e32 v6, v7, v4
	v_fma_f32 v8, -v3, v6, v7
	s_delay_alu instid0(VALU_DEP_1) | instskip(NEXT) | instid1(VALU_DEP_1)
	v_fmac_f32_e32 v6, v8, v4
	v_fma_f32 v3, -v3, v6, v7
	s_delay_alu instid0(VALU_DEP_1) | instskip(NEXT) | instid1(VALU_DEP_1)
	v_div_fmas_f32 v3, v3, v4, v6
	v_div_fixup_f32 v3, v3, v2, v1
	s_delay_alu instid0(VALU_DEP_1) | instskip(NEXT) | instid1(VALU_DEP_1)
	v_fmac_f32_e32 v2, v1, v3
	v_div_scale_f32 v1, null, v2, v2, 1.0
	v_div_scale_f32 v7, vcc_lo, 1.0, v2, 1.0
	s_delay_alu instid0(VALU_DEP_2) | instskip(SKIP_2) | instid1(VALU_DEP_1)
	v_rcp_f32_e32 v4, v1
	s_waitcnt_depctr 0xfff
	v_fma_f32 v6, -v1, v4, 1.0
	v_fmac_f32_e32 v4, v6, v4
	s_delay_alu instid0(VALU_DEP_1) | instskip(NEXT) | instid1(VALU_DEP_1)
	v_mul_f32_e32 v6, v7, v4
	v_fma_f32 v8, -v1, v6, v7
	s_delay_alu instid0(VALU_DEP_1) | instskip(NEXT) | instid1(VALU_DEP_1)
	v_fmac_f32_e32 v6, v8, v4
	v_fma_f32 v1, -v1, v6, v7
	s_delay_alu instid0(VALU_DEP_1) | instskip(SKIP_1) | instid1(VALU_DEP_2)
	v_div_fmas_f32 v1, v1, v4, v6
	v_add_f32_e32 v4, 0, v3
	v_div_fixup_f32 v1, v1, v2, 1.0
	v_fma_f32 v2, v3, 0, -1.0
	s_delay_alu instid0(VALU_DEP_2) | instskip(NEXT) | instid1(VALU_DEP_2)
	v_mul_f32_e32 v3, v4, v1
	v_mul_f32_e32 v4, v2, v1
                                        ; implicit-def: $vgpr1_vgpr2
.LBB151_30:
	s_and_not1_saveexec_b32 s5, s5
	s_cbranch_execz .LBB151_32
; %bb.31:
	v_div_scale_f32 v3, null, v1, v1, v2
	v_div_scale_f32 v7, vcc_lo, v2, v1, v2
	s_delay_alu instid0(VALU_DEP_2) | instskip(SKIP_2) | instid1(VALU_DEP_1)
	v_rcp_f32_e32 v4, v3
	s_waitcnt_depctr 0xfff
	v_fma_f32 v6, -v3, v4, 1.0
	v_fmac_f32_e32 v4, v6, v4
	s_delay_alu instid0(VALU_DEP_1) | instskip(NEXT) | instid1(VALU_DEP_1)
	v_mul_f32_e32 v6, v7, v4
	v_fma_f32 v8, -v3, v6, v7
	s_delay_alu instid0(VALU_DEP_1) | instskip(NEXT) | instid1(VALU_DEP_1)
	v_fmac_f32_e32 v6, v8, v4
	v_fma_f32 v3, -v3, v6, v7
	s_delay_alu instid0(VALU_DEP_1) | instskip(NEXT) | instid1(VALU_DEP_1)
	v_div_fmas_f32 v3, v3, v4, v6
	v_div_fixup_f32 v4, v3, v1, v2
	s_delay_alu instid0(VALU_DEP_1) | instskip(NEXT) | instid1(VALU_DEP_1)
	v_fmac_f32_e32 v1, v2, v4
	v_div_scale_f32 v2, null, v1, v1, 1.0
	v_div_scale_f32 v7, vcc_lo, 1.0, v1, 1.0
	s_delay_alu instid0(VALU_DEP_2) | instskip(SKIP_2) | instid1(VALU_DEP_1)
	v_rcp_f32_e32 v3, v2
	s_waitcnt_depctr 0xfff
	v_fma_f32 v6, -v2, v3, 1.0
	v_fmac_f32_e32 v3, v6, v3
	s_delay_alu instid0(VALU_DEP_1) | instskip(NEXT) | instid1(VALU_DEP_1)
	v_mul_f32_e32 v6, v7, v3
	v_fma_f32 v8, -v2, v6, v7
	s_delay_alu instid0(VALU_DEP_1) | instskip(NEXT) | instid1(VALU_DEP_1)
	v_fmac_f32_e32 v6, v8, v3
	v_fma_f32 v2, -v2, v6, v7
	s_delay_alu instid0(VALU_DEP_1) | instskip(SKIP_1) | instid1(VALU_DEP_2)
	v_div_fmas_f32 v2, v2, v3, v6
	v_fma_f32 v3, v4, 0, 1.0
	v_div_fixup_f32 v1, v2, v1, 1.0
	s_delay_alu instid0(VALU_DEP_1)
	v_mul_f32_e32 v3, v3, v1
	v_mul_f32_e64 v4, -v4, v1
.LBB151_32:
	s_or_b32 exec_lo, exec_lo, s5
	s_mov_b32 s5, 0
	ds_store_b64 v5, v[3:4]
.LBB151_33:
	s_and_b32 vcc_lo, exec_lo, s5
	s_cbranch_vccz .LBB151_35
; %bb.34:
	v_dual_mov_b32 v1, 1.0 :: v_dual_mov_b32 v2, 0
	ds_store_b64 v5, v[1:2]
.LBB151_35:
	s_or_b32 exec_lo, exec_lo, s6
	s_lshl_b32 s6, s14, 4
	s_add_i32 s29, s29, -1
	s_sub_i32 s5, s7, s6
	s_cmp_ge_u32 s14, s29
	s_waitcnt lgkmcnt(0)
	s_cselect_b32 s5, s5, 16
	; wave barrier
	buffer_gl0_inv
	v_cmp_gt_i32_e32 vcc_lo, s5, v0
	s_mov_b32 s5, -1
	s_and_saveexec_b32 s7, vcc_lo
	s_cbranch_execz .LBB151_78
; %bb.36:
	s_load_b32 s0, s[0:1], 0x50
	v_add_nc_u32_e32 v2, s6, v0
	v_or_b32_e64 v6, 0, 4
	s_waitcnt lgkmcnt(0)
	s_delay_alu instid0(VALU_DEP_2) | instskip(SKIP_1) | instid1(SALU_CYCLE_1)
	v_mad_i64_i32 v[0:1], null, s0, v2, 0
	s_lshl_b64 s[0:1], s[10:11], 3
	s_add_u32 s6, s8, s0
	s_addc_u32 s7, s9, s1
	s_cmpk_eq_i32 s4, 0x6f
	s_delay_alu instid0(VALU_DEP_1) | instskip(NEXT) | instid1(VALU_DEP_1)
	v_lshlrev_b64 v[0:1], 3, v[0:1]
	v_add_co_u32 v4, vcc_lo, s6, v0
	s_delay_alu instid0(VALU_DEP_2)
	v_add_co_ci_u32_e32 v5, vcc_lo, s7, v1, vcc_lo
	s_cbranch_scc1 .LBB151_57
; %bb.37:
	s_add_u32 s4, s8, s0
	s_addc_u32 s5, s9, s1
	v_add_co_u32 v2, vcc_lo, s4, v0
	v_add_co_ci_u32_e32 v3, vcc_lo, s5, v1, vcc_lo
	s_lshl_b32 s14, s15, 3
	s_delay_alu instid0(VALU_DEP_2) | instskip(NEXT) | instid1(VALU_DEP_2)
	v_add_co_u32 v7, vcc_lo, v2, 4
	v_add_co_ci_u32_e32 v8, vcc_lo, 0, v3, vcc_lo
	s_mov_b32 s5, 0
	s_add_i32 s14, s14, -8
	s_mov_b32 s4, s5
	s_mov_b32 s6, s28
	s_branch .LBB151_39
.LBB151_38:                             ;   in Loop: Header=BB151_39 Depth=1
	s_cmp_lt_i32 s6, 0
	s_cselect_b32 s7, -1, 0
	s_add_i32 s4, s4, 1
	s_delay_alu instid0(SALU_CYCLE_1) | instskip(SKIP_1) | instid1(SALU_CYCLE_1)
	s_cmp_eq_u32 s4, 3
	s_cselect_b32 s10, -1, 0
	s_or_b32 s7, s7, s10
	s_delay_alu instid0(SALU_CYCLE_1)
	s_and_not1_b32 vcc_lo, exec_lo, s7
	s_cbranch_vccz .LBB151_56
.LBB151_39:                             ; =>This Loop Header: Depth=1
                                        ;     Child Loop BB151_42 Depth 2
                                        ;       Child Loop BB151_43 Depth 3
                                        ;       Child Loop BB151_45 Depth 3
                                        ;         Child Loop BB151_46 Depth 4
                                        ;       Child Loop BB151_50 Depth 3
                                        ;         Child Loop BB151_52 Depth 4
	s_getpc_b64 s[10:11]
	s_add_u32 s10, s10, __const._ZL30rocblas_trsm_small_left_deviceILi16ELi16ELb1E19rocblas_complex_numIfES1_PKPKS1_PKPS1_Ev13rocblas_fill_18rocblas_operation_17rocblas_diagonal_iiT3_T4_lilT5_lili.step_sizes@rel32@lo+4
	s_addc_u32 s11, s11, __const._ZL30rocblas_trsm_small_left_deviceILi16ELi16ELb1E19rocblas_complex_numIfES1_PKPKS1_PKPS1_Ev13rocblas_fill_18rocblas_operation_17rocblas_diagonal_iiT3_T4_lilT5_lili.step_sizes@rel32@hi+12
	s_lshl_b64 s[12:13], s[4:5], 2
	s_delay_alu instid0(SALU_CYCLE_1) | instskip(SKIP_4) | instid1(SALU_CYCLE_1)
	s_add_u32 s10, s12, s10
	s_addc_u32 s11, s13, s11
	s_load_b32 s16, s[10:11], 0x0
	s_waitcnt lgkmcnt(0)
	s_add_i32 s17, s16, -1
	s_cmp_lt_i32 s6, s17
	s_cbranch_scc1 .LBB151_38
; %bb.40:                               ;   in Loop: Header=BB151_39 Depth=1
	s_lshl_b32 s7, s6, 7
	s_lshl_b32 s10, s16, 7
	s_max_i32 s18, s16, 1
	s_add_i32 s19, s14, s7
	s_sub_i32 s20, 0, s10
	s_mul_i32 s21, s6, 0x88
	s_mul_i32 s22, s16, 0xffffff78
	s_branch .LBB151_42
.LBB151_41:                             ;   in Loop: Header=BB151_42 Depth=2
	s_sub_i32 s6, s6, s16
	s_add_i32 s19, s19, s20
	s_add_i32 s21, s21, s22
	s_cmp_lt_i32 s6, s17
	s_cbranch_scc1 .LBB151_38
.LBB151_42:                             ;   Parent Loop BB151_39 Depth=1
                                        ; =>  This Loop Header: Depth=2
                                        ;       Child Loop BB151_43 Depth 3
                                        ;       Child Loop BB151_45 Depth 3
                                        ;         Child Loop BB151_46 Depth 4
                                        ;       Child Loop BB151_50 Depth 3
                                        ;         Child Loop BB151_52 Depth 4
	s_ashr_i32 s7, s6, 31
	s_delay_alu instid0(SALU_CYCLE_1) | instskip(NEXT) | instid1(SALU_CYCLE_1)
	s_lshl_b64 s[10:11], s[6:7], 3
	v_add_co_u32 v2, vcc_lo, v7, s10
	v_add_co_ci_u32_e32 v3, vcc_lo, s11, v8, vcc_lo
	s_mov_b32 s10, 4
	s_mov_b32 s11, s18
	.p2align	6
.LBB151_43:                             ;   Parent Loop BB151_39 Depth=1
                                        ;     Parent Loop BB151_42 Depth=2
                                        ; =>    This Inner Loop Header: Depth=3
	global_load_b64 v[9:10], v[2:3], off offset:-4
	v_add_co_u32 v2, vcc_lo, v2, -8
	v_add_co_ci_u32_e32 v3, vcc_lo, -1, v3, vcc_lo
	s_add_i32 s11, s11, -1
	s_add_i32 s12, s10, 0
	s_add_i32 s10, s10, 8
	s_cmp_eq_u32 s11, 0
	s_waitcnt vmcnt(0)
	v_mul_f32_e32 v11, s2, v10
	s_delay_alu instid0(VALU_DEP_1) | instskip(NEXT) | instid1(VALU_DEP_1)
	v_dual_mul_f32 v12, s3, v10 :: v_dual_fmac_f32 v11, s3, v9
	v_fma_f32 v10, v9, s2, -v12
	scratch_store_b64 off, v[10:11], s12 offset:-4
	s_cbranch_scc0 .LBB151_43
; %bb.44:                               ;   in Loop: Header=BB151_42 Depth=2
	s_cmp_le_i32 s28, s6
	s_mov_b32 s12, s19
	s_mov_b32 s10, s28
	s_cbranch_scc1 .LBB151_48
	.p2align	6
.LBB151_45:                             ;   Parent Loop BB151_39 Depth=1
                                        ;     Parent Loop BB151_42 Depth=2
                                        ; =>    This Loop Header: Depth=3
                                        ;         Child Loop BB151_46 Depth 4
	s_ashr_i32 s11, s10, 31
	v_mov_b32_e32 v9, v6
	s_lshl_b64 s[24:25], s[10:11], 3
	s_mov_b32 s11, s12
	v_add_co_u32 v2, vcc_lo, v4, s24
	v_add_co_ci_u32_e32 v3, vcc_lo, s25, v5, vcc_lo
	s_mov_b32 s13, s18
	global_load_b64 v[2:3], v[2:3], off
	.p2align	6
.LBB151_46:                             ;   Parent Loop BB151_39 Depth=1
                                        ;     Parent Loop BB151_42 Depth=2
                                        ;       Parent Loop BB151_45 Depth=3
                                        ; =>      This Inner Loop Header: Depth=4
	scratch_load_b64 v[10:11], v9, off offset:-4
	v_mov_b32_e32 v12, s11
	s_add_i32 s13, s13, -1
	s_addk_i32 s11, 0xff80
	s_cmp_eq_u32 s13, 0
	ds_load_b64 v[12:13], v12
	s_waitcnt vmcnt(1) lgkmcnt(0)
	v_mul_f32_e32 v14, v13, v3
	v_mul_f32_e32 v13, v13, v2
	s_delay_alu instid0(VALU_DEP_1) | instskip(SKIP_1) | instid1(VALU_DEP_1)
	v_fmac_f32_e32 v13, v12, v3
	s_waitcnt vmcnt(0)
	v_sub_f32_e32 v11, v11, v13
	v_fma_f32 v14, v12, v2, -v14
	s_delay_alu instid0(VALU_DEP_1)
	v_sub_f32_e32 v10, v10, v14
	scratch_store_b64 v9, v[10:11], off offset:-4
	v_add_nc_u32_e32 v9, 8, v9
	s_cbranch_scc0 .LBB151_46
; %bb.47:                               ;   in Loop: Header=BB151_45 Depth=3
	s_add_i32 s10, s10, -1
	s_add_i32 s12, s12, -8
	s_cmp_le_i32 s10, s6
	s_cbranch_scc0 .LBB151_45
.LBB151_48:                             ;   in Loop: Header=BB151_42 Depth=2
	s_mov_b32 s23, 0
	s_mov_b32 s24, s21
	s_branch .LBB151_50
.LBB151_49:                             ;   in Loop: Header=BB151_50 Depth=3
	s_mulk_i32 s12, 0x88
	s_lshl_b64 s[10:11], s[10:11], 3
	v_mov_b32_e32 v9, s12
	s_lshl_b32 s12, s23, 3
	s_add_i32 s23, s23, 1
	s_addk_i32 s24, 0xff80
	ds_load_b64 v[9:10], v9
	s_waitcnt vmcnt(0) lgkmcnt(0)
	v_mul_f32_e32 v11, v10, v3
	v_mul_f32_e32 v12, v9, v3
	s_delay_alu instid0(VALU_DEP_2) | instskip(NEXT) | instid1(VALU_DEP_2)
	v_fma_f32 v11, v9, v2, -v11
	v_fmac_f32_e32 v12, v10, v2
	v_add_co_u32 v2, vcc_lo, v4, s10
	v_add_co_ci_u32_e32 v3, vcc_lo, s11, v5, vcc_lo
	s_add_i32 s10, s12, 0
	s_cmp_eq_u32 s23, s18
	scratch_store_b64 off, v[11:12], s10
	global_store_b64 v[2:3], v[11:12], off
	s_cbranch_scc1 .LBB151_41
.LBB151_50:                             ;   Parent Loop BB151_39 Depth=1
                                        ;     Parent Loop BB151_42 Depth=2
                                        ; =>    This Loop Header: Depth=3
                                        ;         Child Loop BB151_52 Depth 4
	s_cmp_lg_u32 s23, 0
	s_cbranch_scc0 .LBB151_54
; %bb.51:                               ;   in Loop: Header=BB151_50 Depth=3
	s_lshl_b32 s10, s23, 3
	v_mov_b32_e32 v10, 0
	s_add_i32 s11, s10, 0
	v_add_nc_u32_e64 v9, s10, 0
	scratch_load_b64 v[2:3], off, s11
	s_mov_b32 s10, 0
	s_mov_b32 s11, s24
	.p2align	6
.LBB151_52:                             ;   Parent Loop BB151_39 Depth=1
                                        ;     Parent Loop BB151_42 Depth=2
                                        ;       Parent Loop BB151_50 Depth=3
                                        ; =>      This Inner Loop Header: Depth=4
	scratch_load_b64 v[11:12], v10, off
	v_mov_b32_e32 v13, s11
	s_add_i32 s10, s10, 1
	s_add_i32 s11, s11, -8
	s_cmp_ge_u32 s10, s23
	v_add_nc_u32_e32 v10, 8, v10
	ds_load_b64 v[13:14], v13
	s_waitcnt vmcnt(0) lgkmcnt(0)
	v_mul_f32_e32 v15, v14, v12
	v_mul_f32_e32 v12, v13, v12
	s_delay_alu instid0(VALU_DEP_2) | instskip(NEXT) | instid1(VALU_DEP_2)
	v_fma_f32 v13, v13, v11, -v15
	v_fmac_f32_e32 v12, v14, v11
	s_delay_alu instid0(VALU_DEP_1)
	v_dual_sub_f32 v2, v2, v13 :: v_dual_sub_f32 v3, v3, v12
	scratch_store_b64 v9, v[2:3], off
	s_cbranch_scc0 .LBB151_52
; %bb.53:                               ;   in Loop: Header=BB151_50 Depth=3
	s_sub_i32 s12, s6, s23
	s_delay_alu instid0(SALU_CYCLE_1) | instskip(NEXT) | instid1(SALU_CYCLE_1)
	s_ashr_i32 s13, s12, 31
	s_mov_b64 s[10:11], s[12:13]
	s_branch .LBB151_49
.LBB151_54:                             ;   in Loop: Header=BB151_50 Depth=3
                                        ; implicit-def: $vgpr2
                                        ; implicit-def: $sgpr12
                                        ; implicit-def: $sgpr10_sgpr11
	s_cbranch_execz .LBB151_49
; %bb.55:                               ;   in Loop: Header=BB151_50 Depth=3
	scratch_load_b64 v[2:3], off, off
	s_mov_b64 s[10:11], s[6:7]
	s_mov_b32 s12, s6
	s_branch .LBB151_49
.LBB151_56:
	s_mov_b32 s5, 0
.LBB151_57:
	s_delay_alu instid0(SALU_CYCLE_1)
	s_and_b32 vcc_lo, exec_lo, s5
	s_cbranch_vccz .LBB151_78
; %bb.58:
	s_add_u32 s0, s8, s0
	s_addc_u32 s1, s9, s1
	v_add_co_u32 v0, vcc_lo, s0, v0
	v_add_co_ci_u32_e32 v1, vcc_lo, s1, v1, vcc_lo
	s_mov_b32 s1, 0
	s_delay_alu instid0(VALU_DEP_2) | instskip(NEXT) | instid1(VALU_DEP_2)
	v_add_co_u32 v7, vcc_lo, v0, 4
	v_add_co_ci_u32_e32 v8, vcc_lo, 0, v1, vcc_lo
	s_mov_b32 s4, s1
	s_mov_b32 s6, s1
	s_branch .LBB151_60
.LBB151_59:                             ;   in Loop: Header=BB151_60 Depth=1
	s_cmp_ge_i32 s4, s15
	s_cselect_b32 s0, -1, 0
	s_add_i32 s6, s6, 1
	s_delay_alu instid0(SALU_CYCLE_1) | instskip(SKIP_1) | instid1(SALU_CYCLE_1)
	s_cmp_eq_u32 s6, 3
	s_cselect_b32 s5, -1, 0
	s_or_b32 s0, s0, s5
	s_delay_alu instid0(SALU_CYCLE_1)
	s_and_b32 vcc_lo, exec_lo, s0
	s_cbranch_vccnz .LBB151_78
.LBB151_60:                             ; =>This Loop Header: Depth=1
                                        ;     Child Loop BB151_63 Depth 2
                                        ;       Child Loop BB151_64 Depth 3
                                        ;       Child Loop BB151_67 Depth 3
                                        ;         Child Loop BB151_68 Depth 4
                                        ;       Child Loop BB151_72 Depth 3
                                        ;         Child Loop BB151_74 Depth 4
	s_mov_b32 s7, s1
	s_getpc_b64 s[8:9]
	s_add_u32 s8, s8, __const._ZL30rocblas_trsm_small_left_deviceILi16ELi16ELb1E19rocblas_complex_numIfES1_PKPKS1_PKPS1_Ev13rocblas_fill_18rocblas_operation_17rocblas_diagonal_iiT3_T4_lilT5_lili.step_sizes@rel32@lo+4
	s_addc_u32 s9, s9, __const._ZL30rocblas_trsm_small_left_deviceILi16ELi16ELb1E19rocblas_complex_numIfES1_PKPKS1_PKPS1_Ev13rocblas_fill_18rocblas_operation_17rocblas_diagonal_iiT3_T4_lilT5_lili.step_sizes@rel32@hi+12
	s_lshl_b64 s[10:11], s[6:7], 2
	s_delay_alu instid0(SALU_CYCLE_1) | instskip(SKIP_4) | instid1(SALU_CYCLE_1)
	s_add_u32 s8, s10, s8
	s_addc_u32 s9, s11, s9
	s_load_b32 s8, s[8:9], 0x0
	s_waitcnt lgkmcnt(0)
	s_add_i32 s7, s8, -1
	s_add_i32 s0, s7, s4
	s_delay_alu instid0(SALU_CYCLE_1)
	s_cmp_ge_i32 s0, s15
	s_cbranch_scc1 .LBB151_59
; %bb.61:                               ;   in Loop: Header=BB151_60 Depth=1
	s_ashr_i32 s5, s4, 31
	s_ashr_i32 s9, s8, 31
	s_lshl_b64 s[10:11], s[4:5], 3
	s_max_i32 s14, s8, 1
	v_add_co_u32 v0, vcc_lo, v7, s10
	v_add_co_ci_u32_e32 v1, vcc_lo, s11, v8, vcc_lo
	s_lshl_b64 s[10:11], s[8:9], 3
	s_lshl_b32 s5, s4, 3
	s_lshl_b32 s9, s8, 3
	s_mul_i32 s16, s4, 0x88
	s_mul_i32 s17, s8, 0x88
	s_branch .LBB151_63
.LBB151_62:                             ;   in Loop: Header=BB151_63 Depth=2
	v_add_co_u32 v0, vcc_lo, v0, s10
	s_add_i32 s4, s4, s8
	v_add_co_ci_u32_e32 v1, vcc_lo, s11, v1, vcc_lo
	s_add_i32 s0, s7, s4
	s_add_i32 s5, s5, s9
	;; [unrolled: 1-line block ×3, first 2 shown]
	s_cmp_ge_i32 s0, s15
	s_cbranch_scc1 .LBB151_59
.LBB151_63:                             ;   Parent Loop BB151_60 Depth=1
                                        ; =>  This Loop Header: Depth=2
                                        ;       Child Loop BB151_64 Depth 3
                                        ;       Child Loop BB151_67 Depth 3
                                        ;         Child Loop BB151_68 Depth 4
                                        ;       Child Loop BB151_72 Depth 3
                                        ;         Child Loop BB151_74 Depth 4
	v_dual_mov_b32 v3, v1 :: v_dual_mov_b32 v2, v0
	s_mov_b32 s0, 4
	s_mov_b32 s12, s14
	.p2align	6
.LBB151_64:                             ;   Parent Loop BB151_60 Depth=1
                                        ;     Parent Loop BB151_63 Depth=2
                                        ; =>    This Inner Loop Header: Depth=3
	global_load_b64 v[9:10], v[2:3], off offset:-4
	v_add_co_u32 v2, vcc_lo, v2, 8
	v_add_co_ci_u32_e32 v3, vcc_lo, 0, v3, vcc_lo
	s_add_i32 s12, s12, -1
	s_add_i32 s13, s0, 0
	s_add_i32 s0, s0, 8
	s_cmp_eq_u32 s12, 0
	s_waitcnt vmcnt(0)
	v_mul_f32_e32 v11, s2, v10
	s_delay_alu instid0(VALU_DEP_1) | instskip(NEXT) | instid1(VALU_DEP_1)
	v_dual_mul_f32 v12, s3, v10 :: v_dual_fmac_f32 v11, s3, v9
	v_fma_f32 v10, v9, s2, -v12
	scratch_store_b64 off, v[10:11], s13 offset:-4
	s_cbranch_scc0 .LBB151_64
; %bb.65:                               ;   in Loop: Header=BB151_63 Depth=2
	s_cmp_lt_i32 s4, 1
	s_cbranch_scc1 .LBB151_70
; %bb.66:                               ;   in Loop: Header=BB151_63 Depth=2
	s_mov_b32 s0, 0
	s_mov_b32 s12, s5
	.p2align	6
.LBB151_67:                             ;   Parent Loop BB151_60 Depth=1
                                        ;     Parent Loop BB151_63 Depth=2
                                        ; =>    This Loop Header: Depth=3
                                        ;         Child Loop BB151_68 Depth 4
	s_lshl_b64 s[18:19], s[0:1], 3
	v_mov_b32_e32 v9, v6
	v_add_co_u32 v2, vcc_lo, v4, s18
	v_add_co_ci_u32_e32 v3, vcc_lo, s19, v5, vcc_lo
	s_mov_b32 s13, s12
	s_mov_b32 s18, s14
	global_load_b64 v[2:3], v[2:3], off
	.p2align	6
.LBB151_68:                             ;   Parent Loop BB151_60 Depth=1
                                        ;     Parent Loop BB151_63 Depth=2
                                        ;       Parent Loop BB151_67 Depth=3
                                        ; =>      This Inner Loop Header: Depth=4
	scratch_load_b64 v[10:11], v9, off offset:-4
	v_mov_b32_e32 v12, s13
	s_add_i32 s18, s18, -1
	s_add_i32 s13, s13, 8
	s_cmp_eq_u32 s18, 0
	ds_load_b64 v[12:13], v12
	s_waitcnt vmcnt(1) lgkmcnt(0)
	v_mul_f32_e32 v14, v13, v3
	v_mul_f32_e32 v13, v13, v2
	s_delay_alu instid0(VALU_DEP_1) | instskip(SKIP_1) | instid1(VALU_DEP_1)
	v_fmac_f32_e32 v13, v12, v3
	s_waitcnt vmcnt(0)
	v_sub_f32_e32 v11, v11, v13
	v_fma_f32 v14, v12, v2, -v14
	s_delay_alu instid0(VALU_DEP_1)
	v_sub_f32_e32 v10, v10, v14
	scratch_store_b64 v9, v[10:11], off offset:-4
	v_add_nc_u32_e32 v9, 8, v9
	s_cbranch_scc0 .LBB151_68
; %bb.69:                               ;   in Loop: Header=BB151_67 Depth=3
	s_add_i32 s0, s0, 1
	s_addk_i32 s12, 0x80
	s_cmp_ge_i32 s0, s4
	s_cbranch_scc0 .LBB151_67
.LBB151_70:                             ;   in Loop: Header=BB151_63 Depth=2
	s_mov_b32 s0, 0
	s_mov_b32 s18, s16
	s_branch .LBB151_72
.LBB151_71:                             ;   in Loop: Header=BB151_72 Depth=3
	s_mul_i32 s13, s12, 0x88
	s_lshl_b32 s19, s0, 3
	v_mov_b32_e32 v9, s13
	s_ashr_i32 s13, s12, 31
	s_add_i32 s0, s0, 1
	s_lshl_b64 s[12:13], s[12:13], 3
	s_add_i32 s18, s18, 8
	ds_load_b64 v[9:10], v9
	s_waitcnt vmcnt(0) lgkmcnt(0)
	v_mul_f32_e32 v11, v10, v3
	v_mul_f32_e32 v12, v9, v3
	s_delay_alu instid0(VALU_DEP_2) | instskip(NEXT) | instid1(VALU_DEP_2)
	v_fma_f32 v11, v9, v2, -v11
	v_fmac_f32_e32 v12, v10, v2
	v_add_co_u32 v2, vcc_lo, v4, s12
	v_add_co_ci_u32_e32 v3, vcc_lo, s13, v5, vcc_lo
	s_add_i32 s12, s19, 0
	s_cmp_eq_u32 s0, s14
	scratch_store_b64 off, v[11:12], s12
	global_store_b64 v[2:3], v[11:12], off
	s_cbranch_scc1 .LBB151_62
.LBB151_72:                             ;   Parent Loop BB151_60 Depth=1
                                        ;     Parent Loop BB151_63 Depth=2
                                        ; =>    This Loop Header: Depth=3
                                        ;         Child Loop BB151_74 Depth 4
	s_cmp_lg_u32 s0, 0
	s_cbranch_scc0 .LBB151_76
; %bb.73:                               ;   in Loop: Header=BB151_72 Depth=3
	s_lshl_b32 s12, s0, 3
	v_mov_b32_e32 v10, 0
	s_add_i32 s13, s12, 0
	v_add_nc_u32_e64 v9, s12, 0
	scratch_load_b64 v[2:3], off, s13
	s_add_i32 s12, s0, s4
	s_mov_b32 s13, 0
	s_mov_b32 s19, s18
	.p2align	6
.LBB151_74:                             ;   Parent Loop BB151_60 Depth=1
                                        ;     Parent Loop BB151_63 Depth=2
                                        ;       Parent Loop BB151_72 Depth=3
                                        ; =>      This Inner Loop Header: Depth=4
	scratch_load_b64 v[11:12], v10, off
	v_mov_b32_e32 v13, s19
	s_add_i32 s13, s13, 1
	s_addk_i32 s19, 0x80
	s_cmp_ge_u32 s13, s0
	v_add_nc_u32_e32 v10, 8, v10
	ds_load_b64 v[13:14], v13
	s_waitcnt vmcnt(0) lgkmcnt(0)
	v_mul_f32_e32 v15, v14, v12
	v_mul_f32_e32 v12, v13, v12
	s_delay_alu instid0(VALU_DEP_2) | instskip(NEXT) | instid1(VALU_DEP_2)
	v_fma_f32 v13, v13, v11, -v15
	v_fmac_f32_e32 v12, v14, v11
	s_delay_alu instid0(VALU_DEP_1)
	v_dual_sub_f32 v2, v2, v13 :: v_dual_sub_f32 v3, v3, v12
	scratch_store_b64 v9, v[2:3], off
	s_cbranch_scc0 .LBB151_74
; %bb.75:                               ;   in Loop: Header=BB151_72 Depth=3
	s_branch .LBB151_71
.LBB151_76:                             ;   in Loop: Header=BB151_72 Depth=3
                                        ; implicit-def: $vgpr2
                                        ; implicit-def: $sgpr12
	s_cbranch_execz .LBB151_71
; %bb.77:                               ;   in Loop: Header=BB151_72 Depth=3
	scratch_load_b64 v[2:3], off, off
	s_mov_b32 s12, s4
	s_branch .LBB151_71
.LBB151_78:
	s_endpgm
	.section	.rodata,"a",@progbits
	.p2align	6, 0x0
	.amdhsa_kernel _ZL30rocblas_trsm_small_left_deviceILi16ELi16ELb1E19rocblas_complex_numIfES1_PKPKS1_PKPS1_Ev13rocblas_fill_18rocblas_operation_17rocblas_diagonal_iiT3_T4_lilT5_lili
		.amdhsa_group_segment_fixed_size 2048
		.amdhsa_private_segment_fixed_size 144
		.amdhsa_kernarg_size 360
		.amdhsa_user_sgpr_count 14
		.amdhsa_user_sgpr_dispatch_ptr 0
		.amdhsa_user_sgpr_queue_ptr 0
		.amdhsa_user_sgpr_kernarg_segment_ptr 1
		.amdhsa_user_sgpr_dispatch_id 0
		.amdhsa_user_sgpr_private_segment_size 0
		.amdhsa_wavefront_size32 1
		.amdhsa_uses_dynamic_stack 0
		.amdhsa_enable_private_segment 1
		.amdhsa_system_sgpr_workgroup_id_x 1
		.amdhsa_system_sgpr_workgroup_id_y 0
		.amdhsa_system_sgpr_workgroup_id_z 1
		.amdhsa_system_sgpr_workgroup_info 0
		.amdhsa_system_vgpr_workitem_id 0
		.amdhsa_next_free_vgpr 16
		.amdhsa_next_free_sgpr 34
		.amdhsa_reserve_vcc 1
		.amdhsa_float_round_mode_32 0
		.amdhsa_float_round_mode_16_64 0
		.amdhsa_float_denorm_mode_32 3
		.amdhsa_float_denorm_mode_16_64 3
		.amdhsa_dx10_clamp 1
		.amdhsa_ieee_mode 1
		.amdhsa_fp16_overflow 0
		.amdhsa_workgroup_processor_mode 1
		.amdhsa_memory_ordered 1
		.amdhsa_forward_progress 0
		.amdhsa_shared_vgpr_count 0
		.amdhsa_exception_fp_ieee_invalid_op 0
		.amdhsa_exception_fp_denorm_src 0
		.amdhsa_exception_fp_ieee_div_zero 0
		.amdhsa_exception_fp_ieee_overflow 0
		.amdhsa_exception_fp_ieee_underflow 0
		.amdhsa_exception_fp_ieee_inexact 0
		.amdhsa_exception_int_div_zero 0
	.end_amdhsa_kernel
	.section	.text._ZL30rocblas_trsm_small_left_deviceILi16ELi16ELb1E19rocblas_complex_numIfES1_PKPKS1_PKPS1_Ev13rocblas_fill_18rocblas_operation_17rocblas_diagonal_iiT3_T4_lilT5_lili,"axG",@progbits,_ZL30rocblas_trsm_small_left_deviceILi16ELi16ELb1E19rocblas_complex_numIfES1_PKPKS1_PKPS1_Ev13rocblas_fill_18rocblas_operation_17rocblas_diagonal_iiT3_T4_lilT5_lili,comdat
.Lfunc_end151:
	.size	_ZL30rocblas_trsm_small_left_deviceILi16ELi16ELb1E19rocblas_complex_numIfES1_PKPKS1_PKPS1_Ev13rocblas_fill_18rocblas_operation_17rocblas_diagonal_iiT3_T4_lilT5_lili, .Lfunc_end151-_ZL30rocblas_trsm_small_left_deviceILi16ELi16ELb1E19rocblas_complex_numIfES1_PKPKS1_PKPS1_Ev13rocblas_fill_18rocblas_operation_17rocblas_diagonal_iiT3_T4_lilT5_lili
                                        ; -- End function
	.section	.AMDGPU.csdata,"",@progbits
; Kernel info:
; codeLenInByte = 3092
; NumSgprs: 36
; NumVgprs: 16
; ScratchSize: 144
; MemoryBound: 0
; FloatMode: 240
; IeeeMode: 1
; LDSByteSize: 2048 bytes/workgroup (compile time only)
; SGPRBlocks: 4
; VGPRBlocks: 1
; NumSGPRsForWavesPerEU: 36
; NumVGPRsForWavesPerEU: 16
; Occupancy: 16
; WaveLimiterHint : 1
; COMPUTE_PGM_RSRC2:SCRATCH_EN: 1
; COMPUTE_PGM_RSRC2:USER_SGPR: 14
; COMPUTE_PGM_RSRC2:TRAP_HANDLER: 0
; COMPUTE_PGM_RSRC2:TGID_X_EN: 1
; COMPUTE_PGM_RSRC2:TGID_Y_EN: 0
; COMPUTE_PGM_RSRC2:TGID_Z_EN: 1
; COMPUTE_PGM_RSRC2:TIDIG_COMP_CNT: 0
	.section	.text._ZL31rocblas_trsm_small_right_deviceI19rocblas_complex_numIfES1_PKPKS1_PKPS1_Li16EEv13rocblas_fill_18rocblas_operation_17rocblas_diagonal_iiT0_T1_lilT2_lili,"axG",@progbits,_ZL31rocblas_trsm_small_right_deviceI19rocblas_complex_numIfES1_PKPKS1_PKPS1_Li16EEv13rocblas_fill_18rocblas_operation_17rocblas_diagonal_iiT0_T1_lilT2_lili,comdat
	.globl	_ZL31rocblas_trsm_small_right_deviceI19rocblas_complex_numIfES1_PKPKS1_PKPS1_Li16EEv13rocblas_fill_18rocblas_operation_17rocblas_diagonal_iiT0_T1_lilT2_lili ; -- Begin function _ZL31rocblas_trsm_small_right_deviceI19rocblas_complex_numIfES1_PKPKS1_PKPS1_Li16EEv13rocblas_fill_18rocblas_operation_17rocblas_diagonal_iiT0_T1_lilT2_lili
	.p2align	8
	.type	_ZL31rocblas_trsm_small_right_deviceI19rocblas_complex_numIfES1_PKPKS1_PKPS1_Li16EEv13rocblas_fill_18rocblas_operation_17rocblas_diagonal_iiT0_T1_lilT2_lili,@function
_ZL31rocblas_trsm_small_right_deviceI19rocblas_complex_numIfES1_PKPKS1_PKPS1_Li16EEv13rocblas_fill_18rocblas_operation_17rocblas_diagonal_iiT0_T1_lilT2_lili: ; @_ZL31rocblas_trsm_small_right_deviceI19rocblas_complex_numIfES1_PKPKS1_PKPS1_Li16EEv13rocblas_fill_18rocblas_operation_17rocblas_diagonal_iiT0_T1_lilT2_lili
; %bb.0:
	s_clause 0x1
	s_load_b128 s[16:19], s[0:1], 0x40
	s_load_b256 s[4:11], s[0:1], 0x0
	s_mov_b32 s12, s15
	s_mov_b32 s13, 0
	s_load_b32 s15, s[0:1], 0x68
	s_lshl_b64 s[24:25], s[12:13], 3
	s_mov_b32 s31, exec_lo
	s_waitcnt lgkmcnt(0)
	s_add_u32 s2, s16, s24
	s_addc_u32 s3, s17, s25
	s_min_i32 s11, s8, 16
	s_load_b64 s[2:3], s[2:3], 0x0
	s_add_i32 s30, s11, -1
	v_cmpx_gt_i32_e64 s11, v0
	s_cbranch_execz .LBB152_29
; %bb.1:
	s_clause 0x1
	s_load_b32 s16, s[0:1], 0x30
	s_load_b128 s[20:23], s[0:1], 0x20
	s_waitcnt lgkmcnt(0)
	s_ashr_i32 s17, s16, 31
	s_cmpk_lg_i32 s5, 0x71
	s_cselect_b32 s12, -1, 0
	s_add_u32 s20, s20, s24
	s_addc_u32 s21, s21, s25
	v_cndmask_b32_e64 v7, 0, 1, s12
	s_load_b64 s[20:21], s[20:21], 0x0
	s_cmp_lt_u32 s30, 3
	s_cbranch_scc1 .LBB152_20
; %bb.2:
	v_lshlrev_b32_e32 v8, 3, v0
	s_lshl_b64 s[24:25], s[22:23], 3
	s_mul_hi_i32 s33, s16, 24
	s_waitcnt lgkmcnt(0)
	s_add_u32 s13, s20, s24
	s_addc_u32 s24, s21, s25
	v_add_co_u32 v1, s13, s13, v8
	s_delay_alu instid0(VALU_DEP_1)
	v_add_co_ci_u32_e64 v2, null, s24, 0, s13
	s_and_b32 s13, s11, -4
	s_mul_i32 s34, s16, 24
	s_lshl_b64 s[24:25], s[16:17], 5
	s_lshl_b64 s[26:27], s[16:17], 4
	;; [unrolled: 1-line block ×3, first 2 shown]
	s_mov_b32 s35, 0
	s_branch .LBB152_4
.LBB152_3:                              ;   in Loop: Header=BB152_4 Depth=1
	global_load_b32 v3, v[5:6], off
	v_add_co_u32 v1, vcc_lo, v1, s24
	v_add_co_ci_u32_e32 v2, vcc_lo, s25, v2, vcc_lo
	s_add_i32 s35, s35, 4
	s_delay_alu instid0(SALU_CYCLE_1)
	s_cmp_eq_u32 s13, s35
	s_waitcnt vmcnt(0)
	ds_store_b64 v8, v[3:4] offset:384
	v_add_nc_u32_e32 v8, 0x200, v8
	s_cbranch_scc1 .LBB152_20
.LBB152_4:                              ; =>This Inner Loop Header: Depth=1
	s_and_b32 vcc_lo, exec_lo, s12
	s_cbranch_vccz .LBB152_6
; %bb.5:                                ;   in Loop: Header=BB152_4 Depth=1
	global_load_b32 v4, v[1:2], off offset:4
	s_cbranch_execz .LBB152_7
	s_branch .LBB152_8
.LBB152_6:                              ;   in Loop: Header=BB152_4 Depth=1
                                        ; implicit-def: $vgpr4
.LBB152_7:                              ;   in Loop: Header=BB152_4 Depth=1
	global_load_b32 v3, v[1:2], off offset:4
	s_waitcnt vmcnt(0)
	v_xor_b32_e32 v4, 0x80000000, v3
.LBB152_8:                              ;   in Loop: Header=BB152_4 Depth=1
	global_load_b32 v3, v[1:2], off
	v_add_co_u32 v5, vcc_lo, v1, s28
	v_add_co_ci_u32_e32 v6, vcc_lo, s29, v2, vcc_lo
	s_and_not1_b32 vcc_lo, exec_lo, s12
	s_waitcnt vmcnt(0)
	ds_store_b64 v8, v[3:4]
	s_cbranch_vccnz .LBB152_10
; %bb.9:                                ;   in Loop: Header=BB152_4 Depth=1
	global_load_b32 v4, v[5:6], off offset:4
	s_cbranch_execz .LBB152_11
	s_branch .LBB152_12
.LBB152_10:                             ;   in Loop: Header=BB152_4 Depth=1
                                        ; implicit-def: $vgpr4
.LBB152_11:                             ;   in Loop: Header=BB152_4 Depth=1
	global_load_b32 v3, v[5:6], off offset:4
	s_waitcnt vmcnt(0)
	v_xor_b32_e32 v4, 0x80000000, v3
.LBB152_12:                             ;   in Loop: Header=BB152_4 Depth=1
	global_load_b32 v3, v[5:6], off
	v_add_co_u32 v5, vcc_lo, v1, s26
	v_add_co_ci_u32_e32 v6, vcc_lo, s27, v2, vcc_lo
	s_and_not1_b32 vcc_lo, exec_lo, s12
	s_waitcnt vmcnt(0)
	ds_store_b64 v8, v[3:4] offset:128
	s_cbranch_vccnz .LBB152_14
; %bb.13:                               ;   in Loop: Header=BB152_4 Depth=1
	global_load_b32 v4, v[5:6], off offset:4
	s_cbranch_execz .LBB152_15
	s_branch .LBB152_16
.LBB152_14:                             ;   in Loop: Header=BB152_4 Depth=1
                                        ; implicit-def: $vgpr4
.LBB152_15:                             ;   in Loop: Header=BB152_4 Depth=1
	global_load_b32 v3, v[5:6], off offset:4
	s_waitcnt vmcnt(0)
	v_xor_b32_e32 v4, 0x80000000, v3
.LBB152_16:                             ;   in Loop: Header=BB152_4 Depth=1
	global_load_b32 v3, v[5:6], off
	v_add_co_u32 v5, vcc_lo, v1, s34
	v_add_co_ci_u32_e32 v6, vcc_lo, s33, v2, vcc_lo
	s_and_not1_b32 vcc_lo, exec_lo, s12
	s_waitcnt vmcnt(0)
	ds_store_b64 v8, v[3:4] offset:256
	s_cbranch_vccnz .LBB152_18
; %bb.17:                               ;   in Loop: Header=BB152_4 Depth=1
	global_load_b32 v4, v[5:6], off offset:4
	s_cbranch_execnz .LBB152_3
	s_branch .LBB152_19
.LBB152_18:                             ;   in Loop: Header=BB152_4 Depth=1
                                        ; implicit-def: $vgpr4
.LBB152_19:                             ;   in Loop: Header=BB152_4 Depth=1
	global_load_b32 v3, v[5:6], off offset:4
	s_waitcnt vmcnt(0)
	v_xor_b32_e32 v4, 0x80000000, v3
	s_branch .LBB152_3
.LBB152_20:
	s_and_b32 s24, s11, 3
	s_delay_alu instid0(SALU_CYCLE_1)
	s_cmp_eq_u32 s24, 0
	s_cbranch_scc1 .LBB152_27
; %bb.21:
	s_mul_i32 s12, s17, s13
	s_mul_hi_u32 s25, s16, s13
	s_mul_i32 s26, s16, s13
	s_add_i32 s27, s25, s12
	s_lshl_b64 s[22:23], s[22:23], 3
	s_lshl_b64 s[26:27], s[26:27], 3
	v_lshlrev_b32_e32 v1, 3, v0
	s_add_u32 s12, s26, s22
	s_addc_u32 s22, s27, s23
	s_waitcnt lgkmcnt(0)
	s_add_u32 s12, s20, s12
	s_addc_u32 s20, s21, s22
	v_add_co_u32 v2, s12, s12, v1
	s_delay_alu instid0(VALU_DEP_1) | instskip(SKIP_1) | instid1(VALU_DEP_3)
	v_add_co_ci_u32_e64 v3, null, s20, 0, s12
	v_lshl_or_b32 v5, s13, 7, v1
	v_add_co_u32 v1, vcc_lo, v2, 4
	s_delay_alu instid0(VALU_DEP_3)
	v_add_co_ci_u32_e32 v2, vcc_lo, 0, v3, vcc_lo
	s_lshl_b64 s[12:13], s[16:17], 3
	s_set_inst_prefetch_distance 0x1
	s_branch .LBB152_23
	.p2align	6
.LBB152_22:                             ;   in Loop: Header=BB152_23 Depth=1
	global_load_b32 v3, v[1:2], off offset:-4
	v_add_co_u32 v1, vcc_lo, v1, s12
	v_add_co_ci_u32_e32 v2, vcc_lo, s13, v2, vcc_lo
	s_add_i32 s24, s24, -1
	s_delay_alu instid0(SALU_CYCLE_1)
	s_cmp_lg_u32 s24, 0
	s_waitcnt vmcnt(0)
	ds_store_b64 v5, v[3:4]
	v_add_nc_u32_e32 v5, 0x80, v5
	s_cbranch_scc0 .LBB152_27
.LBB152_23:                             ; =>This Inner Loop Header: Depth=1
	v_cmp_ne_u32_e32 vcc_lo, 1, v7
	s_mov_b32 s16, -1
                                        ; implicit-def: $vgpr4
	s_cbranch_vccnz .LBB152_25
; %bb.24:                               ;   in Loop: Header=BB152_23 Depth=1
	global_load_b32 v4, v[1:2], off
	s_mov_b32 s16, 0
.LBB152_25:                             ;   in Loop: Header=BB152_23 Depth=1
	s_delay_alu instid0(SALU_CYCLE_1)
	s_and_not1_b32 vcc_lo, exec_lo, s16
	s_cbranch_vccnz .LBB152_22
; %bb.26:                               ;   in Loop: Header=BB152_23 Depth=1
	global_load_b32 v3, v[1:2], off
	s_waitcnt vmcnt(0)
	v_xor_b32_e32 v4, 0x80000000, v3
	s_branch .LBB152_22
.LBB152_27:
	s_set_inst_prefetch_distance 0x2
	s_cmpk_eq_i32 s6, 0x84
	s_cbranch_scc0 .LBB152_29
; %bb.28:
	v_mul_u32_u24_e32 v2, 17, v0
	v_mov_b32_e32 v1, 1.0
	s_delay_alu instid0(VALU_DEP_2)
	v_dual_mov_b32 v2, 0 :: v_dual_lshlrev_b32 v3, 3, v2
	ds_store_b64 v3, v[1:2]
.LBB152_29:
	s_or_b32 exec_lo, exec_lo, s31
	s_lshl_b64 s[12:13], s[18:19], 3
	s_load_b32 s0, s[0:1], 0x50
	s_waitcnt lgkmcnt(0)
	s_add_u32 s1, s2, s12
	s_addc_u32 s16, s3, s13
	s_lshl_b32 s6, s14, 4
	s_add_i32 s15, s15, -1
	s_sub_i32 s6, s7, s6
	s_cmp_ge_u32 s14, s15
	s_mov_b32 s22, 0
	s_cselect_b32 s17, s6, 16
	s_ashr_i32 s15, s14, 31
	v_cmp_gt_i32_e32 vcc_lo, s17, v0
	s_lshl_b64 s[6:7], s[14:15], 7
	s_delay_alu instid0(SALU_CYCLE_1) | instskip(SKIP_3) | instid1(SALU_CYCLE_1)
	s_add_u32 s18, s1, s6
	s_addc_u32 s19, s16, s7
	s_cmp_gt_i32 s8, 0
	s_cselect_b32 s1, -1, 0
	s_and_b32 s20, vcc_lo, s1
	s_delay_alu instid0(SALU_CYCLE_1)
	s_and_saveexec_b32 s21, s20
	s_cbranch_execz .LBB152_36
; %bb.30:
	s_ashr_i32 s1, s0, 31
	s_cmp_lt_u32 s8, 4
	s_cbranch_scc1 .LBB152_33
; %bb.31:
	v_lshlrev_b32_e32 v1, 3, v0
	v_lshl_or_b32 v3, v0, 3, 0x800
	s_and_b32 s22, s8, 0x7ffffffc
	s_lshl_b64 s[16:17], s[0:1], 3
	s_mov_b32 s23, 0
	v_add_co_u32 v1, s14, s18, v1
	s_delay_alu instid0(VALU_DEP_1)
	v_add_co_ci_u32_e64 v2, null, s19, 0, s14
	s_lshl_b64 s[14:15], s[0:1], 5
.LBB152_32:                             ; =>This Inner Loop Header: Depth=1
	s_delay_alu instid0(VALU_DEP_2) | instskip(NEXT) | instid1(VALU_DEP_2)
	v_add_co_u32 v4, vcc_lo, v1, s16
	v_add_co_ci_u32_e32 v5, vcc_lo, s17, v2, vcc_lo
	global_load_b64 v[6:7], v[1:2], off
	v_add_co_u32 v8, vcc_lo, v4, s16
	v_add_co_ci_u32_e32 v9, vcc_lo, s17, v5, vcc_lo
	global_load_b64 v[4:5], v[4:5], off
	v_add_co_u32 v10, vcc_lo, v8, s16
	v_add_co_ci_u32_e32 v11, vcc_lo, s17, v9, vcc_lo
	v_add_co_u32 v1, vcc_lo, v1, s14
	s_clause 0x1
	global_load_b64 v[8:9], v[8:9], off
	global_load_b64 v[10:11], v[10:11], off
	v_add_co_ci_u32_e32 v2, vcc_lo, s15, v2, vcc_lo
	s_add_i32 s23, s23, 4
	s_delay_alu instid0(SALU_CYCLE_1)
	s_cmp_lg_u32 s22, s23
	s_waitcnt vmcnt(3)
	v_mul_f32_e32 v12, s10, v7
	s_waitcnt vmcnt(2)
	v_dual_mul_f32 v13, s9, v7 :: v_dual_mul_f32 v14, s10, v5
	v_mul_f32_e32 v7, s9, v5
	s_delay_alu instid0(VALU_DEP_3) | instskip(NEXT) | instid1(VALU_DEP_3)
	v_fma_f32 v12, s9, v6, -v12
	v_fmac_f32_e32 v13, s10, v6
	s_delay_alu instid0(VALU_DEP_4)
	v_fma_f32 v6, s9, v4, -v14
	s_waitcnt vmcnt(0)
	v_dual_fmac_f32 v7, s10, v4 :: v_dual_mul_f32 v14, s10, v11
	v_mul_f32_e32 v4, s10, v9
	v_mul_f32_e32 v5, s9, v9
	;; [unrolled: 1-line block ×3, first 2 shown]
	s_delay_alu instid0(VALU_DEP_3) | instskip(NEXT) | instid1(VALU_DEP_3)
	v_fma_f32 v4, s9, v8, -v4
	v_fmac_f32_e32 v5, s10, v8
	v_fma_f32 v8, s9, v10, -v14
	s_delay_alu instid0(VALU_DEP_4)
	v_fmac_f32_e32 v9, s10, v10
	ds_store_2addr_b64 v3, v[12:13], v[6:7] offset1:16
	ds_store_2addr_b64 v3, v[4:5], v[8:9] offset0:32 offset1:48
	v_add_nc_u32_e32 v3, 0x200, v3
	s_cbranch_scc1 .LBB152_32
.LBB152_33:
	s_and_b32 s16, s8, 3
	s_delay_alu instid0(SALU_CYCLE_1)
	s_cmp_eq_u32 s16, 0
	s_cbranch_scc1 .LBB152_36
; %bb.34:
	s_mul_hi_i32 s15, s0, s22
	s_mul_i32 s14, s0, s22
	v_lshlrev_b32_e32 v1, 3, v0
	s_lshl_b64 s[14:15], s[14:15], 3
	s_delay_alu instid0(SALU_CYCLE_1)
	s_add_u32 s14, s14, s6
	s_addc_u32 s15, s15, s7
	s_add_u32 s14, s14, s12
	s_addc_u32 s15, s15, s13
	s_add_u32 s14, s2, s14
	v_lshl_or_b32 v2, s22, 7, v1
	s_addc_u32 s15, s3, s15
	v_add_co_u32 v1, s14, s14, v1
	s_delay_alu instid0(VALU_DEP_1) | instskip(NEXT) | instid1(VALU_DEP_3)
	v_add_co_ci_u32_e64 v4, null, s15, 0, s14
	v_add_nc_u32_e32 v3, 0x800, v2
	s_delay_alu instid0(VALU_DEP_3) | instskip(NEXT) | instid1(VALU_DEP_3)
	v_add_co_u32 v1, vcc_lo, v1, 4
	v_add_co_ci_u32_e32 v2, vcc_lo, 0, v4, vcc_lo
	s_lshl_b64 s[14:15], s[0:1], 3
	.p2align	6
.LBB152_35:                             ; =>This Inner Loop Header: Depth=1
	global_load_b64 v[4:5], v[1:2], off offset:-4
	v_add_co_u32 v1, vcc_lo, v1, s14
	v_add_co_ci_u32_e32 v2, vcc_lo, s15, v2, vcc_lo
	s_add_i32 s16, s16, -1
	s_delay_alu instid0(SALU_CYCLE_1) | instskip(SKIP_2) | instid1(VALU_DEP_1)
	s_cmp_lg_u32 s16, 0
	s_waitcnt vmcnt(0)
	v_mul_f32_e32 v6, s9, v5
	v_dual_mul_f32 v7, s10, v5 :: v_dual_fmac_f32 v6, s10, v4
	s_delay_alu instid0(VALU_DEP_1)
	v_fma_f32 v5, s9, v4, -v7
	ds_store_b64 v3, v[5:6]
	v_add_nc_u32_e32 v3, 0x80, v3
	s_cbranch_scc1 .LBB152_35
.LBB152_36:
	s_or_b32 exec_lo, exec_lo, s21
	s_cmpk_eq_i32 s5, 0x6f
	s_waitcnt lgkmcnt(0)
	s_cselect_b32 s1, -1, 0
	s_cmpk_eq_i32 s4, 0x79
	; wave barrier
	buffer_gl0_inv
	s_cselect_b32 s9, -1, 0
	s_cmpk_lg_i32 s4, 0x79
	s_cselect_b32 s5, -1, 0
	s_and_b32 s9, s9, s1
	s_delay_alu instid0(SALU_CYCLE_1)
	s_and_not1_b32 vcc_lo, exec_lo, s9
	s_mov_b32 s9, -1
	s_cbranch_vccz .LBB152_144
; %bb.37:
	s_cmpk_lg_i32 s4, 0x7a
	s_cselect_b32 s4, -1, 0
	s_xor_b32 s1, s1, -1
	s_delay_alu instid0(SALU_CYCLE_1)
	s_or_b32 s4, s4, s1
	s_cmp_gt_i32 s8, 3
	s_cselect_b32 s1, -1, 0
	s_and_b32 vcc_lo, exec_lo, s4
	s_mov_b32 s4, -1
	s_cbranch_vccz .LBB152_111
; %bb.38:
	s_and_not1_b32 vcc_lo, exec_lo, s5
	s_cbranch_vccnz .LBB152_78
; %bb.39:
	s_and_not1_b32 vcc_lo, exec_lo, s1
	s_mov_b32 s9, 0
	s_cbranch_vccnz .LBB152_62
; %bb.40:
	v_lshl_or_b32 v13, v0, 3, 0x800
	s_mov_b32 s4, 0
	s_mov_b32 s5, 0
.LBB152_41:                             ; =>This Loop Header: Depth=1
                                        ;     Child Loop BB152_43 Depth 2
	s_delay_alu instid0(SALU_CYCLE_1)
	s_lshl_b32 s9, s5, 4
	s_lshl_b32 s14, s5, 7
	s_or_b32 s10, s9, 16
	v_or_b32_e32 v1, s9, v0
	s_or_b32 s9, s9, 32
	v_or_b32_e32 v2, s10, v0
	v_or_b32_e32 v5, s9, v0
	v_lshl_or_b32 v10, v0, 3, s14
	v_lshlrev_b32_e32 v3, 3, v1
	s_cmp_eq_u32 s5, 0
	v_lshlrev_b32_e32 v4, 3, v2
	v_lshlrev_b32_e32 v9, 3, v5
	ds_load_b64 v[1:2], v3 offset:2048
	ds_load_b64 v[11:12], v4 offset:2048
	;; [unrolled: 1-line block ×4, first 2 shown]
	s_cbranch_scc1 .LBB152_44
; %bb.42:                               ;   in Loop: Header=BB152_41 Depth=1
	v_mov_b32_e32 v14, v13
	s_mov_b32 s14, 0
	s_mov_b32 s15, s4
.LBB152_43:                             ;   Parent Loop BB152_41 Depth=1
                                        ; =>  This Inner Loop Header: Depth=2
	s_delay_alu instid0(SALU_CYCLE_1)
	v_mov_b32_e32 v31, s15
	ds_load_2addr_b64 v[15:18], v14 offset1:16
	v_add_nc_u32_e32 v14, 0x100, v14
	s_add_i32 s14, s14, 2
	s_addk_i32 s15, 0x100
	ds_load_b128 v[19:22], v31
	ds_load_b128 v[23:26], v31 offset:16
	ds_load_b128 v[27:30], v31 offset:128
	;; [unrolled: 1-line block ×3, first 2 shown]
	s_cmp_ge_u32 s14, s5
	s_waitcnt lgkmcnt(3)
	v_mul_f32_e32 v36, v19, v16
	v_mul_f32_e32 v37, v22, v16
	v_dual_mul_f32 v35, v20, v16 :: v_dual_mul_f32 v22, v22, v15
	s_waitcnt lgkmcnt(1)
	v_dual_mul_f32 v38, v24, v16 :: v_dual_mul_f32 v41, v27, v18
	v_dual_mul_f32 v24, v24, v15 :: v_dual_mul_f32 v39, v26, v16
	v_mul_f32_e32 v40, v28, v18
	s_waitcnt lgkmcnt(0)
	v_mul_f32_e32 v43, v32, v18
	v_fmac_f32_e32 v36, v20, v15
	v_fma_f32 v20, v21, v15, -v37
	v_dual_mul_f32 v26, v26, v15 :: v_dual_fmac_f32 v41, v28, v17
	v_fma_f32 v19, v19, v15, -v35
	v_mul_f32_e32 v42, v30, v18
	s_delay_alu instid0(VALU_DEP_4)
	v_dual_mul_f32 v30, v30, v17 :: v_dual_sub_f32 v11, v11, v20
	v_fmac_f32_e32 v22, v21, v16
	v_fma_f32 v21, v23, v15, -v38
	v_mul_f32_e32 v44, v34, v18
	v_fma_f32 v15, v25, v15, -v39
	v_mul_f32_e32 v32, v32, v17
	v_fmac_f32_e32 v26, v25, v16
	v_fma_f32 v25, v31, v17, -v43
	v_sub_f32_e32 v1, v1, v19
	v_dual_sub_f32 v5, v5, v15 :: v_dual_fmac_f32 v24, v23, v16
	v_fma_f32 v16, v27, v17, -v40
	v_mul_f32_e32 v34, v34, v17
	v_fma_f32 v23, v29, v17, -v42
	v_sub_f32_e32 v7, v7, v21
	v_fma_f32 v17, v33, v17, -v44
	v_sub_f32_e32 v1, v1, v16
	v_fmac_f32_e32 v30, v29, v18
	v_fmac_f32_e32 v32, v31, v18
	;; [unrolled: 1-line block ×3, first 2 shown]
	v_dual_sub_f32 v6, v6, v26 :: v_dual_sub_f32 v11, v11, v23
	v_dual_sub_f32 v12, v12, v22 :: v_dual_sub_f32 v7, v7, v25
	v_dual_sub_f32 v2, v2, v36 :: v_dual_sub_f32 v5, v5, v17
	v_sub_f32_e32 v8, v8, v24
	s_delay_alu instid0(VALU_DEP_3) | instskip(SKIP_1) | instid1(VALU_DEP_4)
	v_sub_f32_e32 v12, v12, v30
	v_sub_f32_e32 v6, v6, v34
	;; [unrolled: 1-line block ×3, first 2 shown]
	s_delay_alu instid0(VALU_DEP_4)
	v_sub_f32_e32 v8, v8, v32
	s_cbranch_scc0 .LBB152_43
.LBB152_44:                             ;   in Loop: Header=BB152_41 Depth=1
	s_mul_i32 s14, s5, 0x88
	v_add_nc_u32_e32 v17, 0x800, v3
	v_dual_mov_b32 v3, s14 :: v_dual_add_nc_u32 v16, 0x800, v4
	v_add_nc_u32_e32 v15, 0x800, v9
	v_add_nc_u32_e32 v14, 0x980, v10
	ds_load_b64 v[3:4], v3
	s_waitcnt lgkmcnt(0)
	v_cmp_gt_f32_e32 vcc_lo, 0, v3
	v_cndmask_b32_e64 v9, v3, -v3, vcc_lo
	v_cmp_gt_f32_e32 vcc_lo, 0, v4
	v_cndmask_b32_e64 v10, v4, -v4, vcc_lo
	s_delay_alu instid0(VALU_DEP_1)
	v_cmp_ngt_f32_e32 vcc_lo, v9, v10
	s_cbranch_vccz .LBB152_46
; %bb.45:                               ;   in Loop: Header=BB152_41 Depth=1
	v_div_scale_f32 v9, null, v4, v4, v3
	v_div_scale_f32 v19, vcc_lo, v3, v4, v3
	s_delay_alu instid0(VALU_DEP_2) | instskip(SKIP_2) | instid1(VALU_DEP_1)
	v_rcp_f32_e32 v10, v9
	s_waitcnt_depctr 0xfff
	v_fma_f32 v18, -v9, v10, 1.0
	v_fmac_f32_e32 v10, v18, v10
	s_delay_alu instid0(VALU_DEP_1) | instskip(NEXT) | instid1(VALU_DEP_1)
	v_mul_f32_e32 v18, v19, v10
	v_fma_f32 v20, -v9, v18, v19
	s_delay_alu instid0(VALU_DEP_1) | instskip(NEXT) | instid1(VALU_DEP_1)
	v_fmac_f32_e32 v18, v20, v10
	v_fma_f32 v9, -v9, v18, v19
	s_delay_alu instid0(VALU_DEP_1) | instskip(NEXT) | instid1(VALU_DEP_1)
	v_div_fmas_f32 v9, v9, v10, v18
	v_div_fixup_f32 v9, v9, v4, v3
	s_delay_alu instid0(VALU_DEP_1) | instskip(NEXT) | instid1(VALU_DEP_1)
	v_fma_f32 v10, v3, v9, v4
	v_div_scale_f32 v18, null, v10, v10, 1.0
	v_div_scale_f32 v21, vcc_lo, 1.0, v10, 1.0
	s_delay_alu instid0(VALU_DEP_2) | instskip(SKIP_2) | instid1(VALU_DEP_1)
	v_rcp_f32_e32 v19, v18
	s_waitcnt_depctr 0xfff
	v_fma_f32 v20, -v18, v19, 1.0
	v_fmac_f32_e32 v19, v20, v19
	s_delay_alu instid0(VALU_DEP_1) | instskip(NEXT) | instid1(VALU_DEP_1)
	v_mul_f32_e32 v20, v21, v19
	v_fma_f32 v22, -v18, v20, v21
	s_delay_alu instid0(VALU_DEP_1) | instskip(NEXT) | instid1(VALU_DEP_1)
	v_fmac_f32_e32 v20, v22, v19
	v_fma_f32 v18, -v18, v20, v21
	s_delay_alu instid0(VALU_DEP_1) | instskip(SKIP_1) | instid1(VALU_DEP_2)
	v_div_fmas_f32 v18, v18, v19, v20
	v_fma_f32 v19, v1, v9, v2
	v_div_fixup_f32 v10, v18, v10, 1.0
	v_fma_f32 v18, v2, v9, -v1
	s_delay_alu instid0(VALU_DEP_2) | instskip(NEXT) | instid1(VALU_DEP_2)
	v_mul_f32_e32 v9, v19, v10
	v_mul_f32_e32 v10, v18, v10
	s_cbranch_execz .LBB152_47
	s_branch .LBB152_48
.LBB152_46:                             ;   in Loop: Header=BB152_41 Depth=1
                                        ; implicit-def: $vgpr10
.LBB152_47:                             ;   in Loop: Header=BB152_41 Depth=1
	v_div_scale_f32 v9, null, v3, v3, v4
	v_div_scale_f32 v19, vcc_lo, v4, v3, v4
	s_delay_alu instid0(VALU_DEP_2) | instskip(SKIP_2) | instid1(VALU_DEP_1)
	v_rcp_f32_e32 v10, v9
	s_waitcnt_depctr 0xfff
	v_fma_f32 v18, -v9, v10, 1.0
	v_fmac_f32_e32 v10, v18, v10
	s_delay_alu instid0(VALU_DEP_1) | instskip(NEXT) | instid1(VALU_DEP_1)
	v_mul_f32_e32 v18, v19, v10
	v_fma_f32 v20, -v9, v18, v19
	s_delay_alu instid0(VALU_DEP_1) | instskip(NEXT) | instid1(VALU_DEP_1)
	v_fmac_f32_e32 v18, v20, v10
	v_fma_f32 v9, -v9, v18, v19
	s_delay_alu instid0(VALU_DEP_1) | instskip(NEXT) | instid1(VALU_DEP_1)
	v_div_fmas_f32 v9, v9, v10, v18
	v_div_fixup_f32 v9, v9, v3, v4
	s_delay_alu instid0(VALU_DEP_1) | instskip(NEXT) | instid1(VALU_DEP_1)
	v_fmac_f32_e32 v3, v4, v9
	v_div_scale_f32 v4, null, v3, v3, 1.0
	v_div_scale_f32 v19, vcc_lo, 1.0, v3, 1.0
	s_delay_alu instid0(VALU_DEP_2) | instskip(SKIP_2) | instid1(VALU_DEP_1)
	v_rcp_f32_e32 v10, v4
	s_waitcnt_depctr 0xfff
	v_fma_f32 v18, -v4, v10, 1.0
	v_fmac_f32_e32 v10, v18, v10
	s_delay_alu instid0(VALU_DEP_1) | instskip(NEXT) | instid1(VALU_DEP_1)
	v_mul_f32_e32 v18, v19, v10
	v_fma_f32 v20, -v4, v18, v19
	s_delay_alu instid0(VALU_DEP_1) | instskip(NEXT) | instid1(VALU_DEP_1)
	v_fmac_f32_e32 v18, v20, v10
	v_fma_f32 v4, -v4, v18, v19
	s_delay_alu instid0(VALU_DEP_1) | instskip(SKIP_2) | instid1(VALU_DEP_3)
	v_div_fmas_f32 v4, v4, v10, v18
	v_fma_f32 v10, v2, v9, v1
	v_fma_f32 v1, -v1, v9, v2
	v_div_fixup_f32 v3, v4, v3, 1.0
	s_delay_alu instid0(VALU_DEP_1) | instskip(NEXT) | instid1(VALU_DEP_3)
	v_mul_f32_e32 v9, v10, v3
	v_mul_f32_e32 v10, v1, v3
.LBB152_48:                             ;   in Loop: Header=BB152_41 Depth=1
	v_mov_b32_e32 v1, s14
	ds_store_b64 v17, v[9:10]
	ds_load_2addr_b64 v[1:4], v1 offset0:1 offset1:17
	s_waitcnt lgkmcnt(0)
	v_mul_f32_e32 v18, v10, v2
	v_cmp_gt_f32_e32 vcc_lo, 0, v3
	v_mul_f32_e32 v2, v9, v2
	s_delay_alu instid0(VALU_DEP_3) | instskip(SKIP_2) | instid1(VALU_DEP_3)
	v_fma_f32 v18, v9, v1, -v18
	v_cndmask_b32_e64 v19, v3, -v3, vcc_lo
	v_cmp_gt_f32_e32 vcc_lo, 0, v4
	v_dual_fmac_f32 v2, v10, v1 :: v_dual_sub_f32 v1, v11, v18
	v_cndmask_b32_e64 v20, v4, -v4, vcc_lo
	s_delay_alu instid0(VALU_DEP_2) | instskip(NEXT) | instid1(VALU_DEP_2)
	v_sub_f32_e32 v2, v12, v2
	v_cmp_ngt_f32_e32 vcc_lo, v19, v20
	s_cbranch_vccz .LBB152_50
; %bb.49:                               ;   in Loop: Header=BB152_41 Depth=1
	v_div_scale_f32 v11, null, v4, v4, v3
	v_div_scale_f32 v18, vcc_lo, v3, v4, v3
	s_delay_alu instid0(VALU_DEP_2) | instskip(SKIP_2) | instid1(VALU_DEP_1)
	v_rcp_f32_e32 v12, v11
	s_waitcnt_depctr 0xfff
	v_fma_f32 v17, -v11, v12, 1.0
	v_fmac_f32_e32 v12, v17, v12
	s_delay_alu instid0(VALU_DEP_1) | instskip(NEXT) | instid1(VALU_DEP_1)
	v_mul_f32_e32 v17, v18, v12
	v_fma_f32 v19, -v11, v17, v18
	s_delay_alu instid0(VALU_DEP_1) | instskip(NEXT) | instid1(VALU_DEP_1)
	v_fmac_f32_e32 v17, v19, v12
	v_fma_f32 v11, -v11, v17, v18
	s_delay_alu instid0(VALU_DEP_1) | instskip(NEXT) | instid1(VALU_DEP_1)
	v_div_fmas_f32 v11, v11, v12, v17
	v_div_fixup_f32 v11, v11, v4, v3
	s_delay_alu instid0(VALU_DEP_1) | instskip(NEXT) | instid1(VALU_DEP_1)
	v_fma_f32 v12, v3, v11, v4
	v_div_scale_f32 v17, null, v12, v12, 1.0
	v_div_scale_f32 v20, vcc_lo, 1.0, v12, 1.0
	s_delay_alu instid0(VALU_DEP_2) | instskip(SKIP_2) | instid1(VALU_DEP_1)
	v_rcp_f32_e32 v18, v17
	s_waitcnt_depctr 0xfff
	v_fma_f32 v19, -v17, v18, 1.0
	v_fmac_f32_e32 v18, v19, v18
	s_delay_alu instid0(VALU_DEP_1) | instskip(NEXT) | instid1(VALU_DEP_1)
	v_mul_f32_e32 v19, v20, v18
	v_fma_f32 v21, -v17, v19, v20
	s_delay_alu instid0(VALU_DEP_1) | instskip(NEXT) | instid1(VALU_DEP_1)
	v_fmac_f32_e32 v19, v21, v18
	v_fma_f32 v17, -v17, v19, v20
	s_delay_alu instid0(VALU_DEP_1) | instskip(SKIP_1) | instid1(VALU_DEP_2)
	v_div_fmas_f32 v17, v17, v18, v19
	v_fma_f32 v18, v11, v1, v2
	v_div_fixup_f32 v12, v17, v12, 1.0
	v_fma_f32 v17, v11, v2, -v1
	s_delay_alu instid0(VALU_DEP_2) | instskip(NEXT) | instid1(VALU_DEP_2)
	v_mul_f32_e32 v11, v18, v12
	v_mul_f32_e32 v12, v17, v12
	s_cbranch_execz .LBB152_51
	s_branch .LBB152_52
.LBB152_50:                             ;   in Loop: Header=BB152_41 Depth=1
                                        ; implicit-def: $vgpr12
.LBB152_51:                             ;   in Loop: Header=BB152_41 Depth=1
	v_div_scale_f32 v11, null, v3, v3, v4
	v_div_scale_f32 v18, vcc_lo, v4, v3, v4
	s_delay_alu instid0(VALU_DEP_2) | instskip(SKIP_2) | instid1(VALU_DEP_1)
	v_rcp_f32_e32 v12, v11
	s_waitcnt_depctr 0xfff
	v_fma_f32 v17, -v11, v12, 1.0
	v_fmac_f32_e32 v12, v17, v12
	s_delay_alu instid0(VALU_DEP_1) | instskip(NEXT) | instid1(VALU_DEP_1)
	v_mul_f32_e32 v17, v18, v12
	v_fma_f32 v19, -v11, v17, v18
	s_delay_alu instid0(VALU_DEP_1) | instskip(NEXT) | instid1(VALU_DEP_1)
	v_fmac_f32_e32 v17, v19, v12
	v_fma_f32 v11, -v11, v17, v18
	s_delay_alu instid0(VALU_DEP_1) | instskip(NEXT) | instid1(VALU_DEP_1)
	v_div_fmas_f32 v11, v11, v12, v17
	v_div_fixup_f32 v11, v11, v3, v4
	s_delay_alu instid0(VALU_DEP_1) | instskip(NEXT) | instid1(VALU_DEP_1)
	v_fmac_f32_e32 v3, v4, v11
	v_div_scale_f32 v4, null, v3, v3, 1.0
	v_div_scale_f32 v18, vcc_lo, 1.0, v3, 1.0
	s_delay_alu instid0(VALU_DEP_2) | instskip(SKIP_2) | instid1(VALU_DEP_1)
	v_rcp_f32_e32 v12, v4
	s_waitcnt_depctr 0xfff
	v_fma_f32 v17, -v4, v12, 1.0
	v_fmac_f32_e32 v12, v17, v12
	s_delay_alu instid0(VALU_DEP_1) | instskip(NEXT) | instid1(VALU_DEP_1)
	v_mul_f32_e32 v17, v18, v12
	v_fma_f32 v19, -v4, v17, v18
	s_delay_alu instid0(VALU_DEP_1) | instskip(NEXT) | instid1(VALU_DEP_1)
	v_fmac_f32_e32 v17, v19, v12
	v_fma_f32 v4, -v4, v17, v18
	s_delay_alu instid0(VALU_DEP_1) | instskip(SKIP_2) | instid1(VALU_DEP_3)
	v_div_fmas_f32 v4, v4, v12, v17
	v_fma_f32 v12, v11, v2, v1
	v_fma_f32 v1, -v11, v1, v2
	v_div_fixup_f32 v3, v4, v3, 1.0
	s_delay_alu instid0(VALU_DEP_1) | instskip(NEXT) | instid1(VALU_DEP_3)
	v_mul_f32_e32 v11, v12, v3
	v_mul_f32_e32 v12, v1, v3
.LBB152_52:                             ;   in Loop: Header=BB152_41 Depth=1
	s_add_i32 s10, s10, s5
	v_mov_b32_e32 v1, s14
	s_lshl_b32 s10, s10, 3
	s_delay_alu instid0(SALU_CYCLE_1)
	v_mov_b32_e32 v17, s10
	ds_load_2addr_b64 v[1:4], v1 offset0:2 offset1:34
	ds_load_b64 v[17:18], v17 offset:16
	ds_store_b64 v16, v[11:12]
	s_waitcnt lgkmcnt(2)
	v_cmp_gt_f32_e32 vcc_lo, 0, v3
	s_waitcnt lgkmcnt(1)
	v_mul_f32_e32 v21, v12, v18
	v_mul_f32_e32 v18, v11, v18
	;; [unrolled: 1-line block ×4, first 2 shown]
	v_cndmask_b32_e64 v20, v3, -v3, vcc_lo
	v_cmp_gt_f32_e32 vcc_lo, 0, v4
	v_fmac_f32_e32 v18, v12, v17
	v_fma_f32 v19, v9, v1, -v19
	v_fmac_f32_e32 v2, v10, v1
	v_fma_f32 v21, v11, v17, -v21
	v_cndmask_b32_e64 v1, v4, -v4, vcc_lo
	s_delay_alu instid0(VALU_DEP_3) | instskip(NEXT) | instid1(VALU_DEP_2)
	v_dual_sub_f32 v7, v7, v19 :: v_dual_sub_f32 v2, v8, v2
	v_cmp_ngt_f32_e32 vcc_lo, v20, v1
	s_delay_alu instid0(VALU_DEP_2)
	v_dual_sub_f32 v1, v7, v21 :: v_dual_sub_f32 v2, v2, v18
	s_cbranch_vccz .LBB152_54
; %bb.53:                               ;   in Loop: Header=BB152_41 Depth=1
	v_div_scale_f32 v7, null, v4, v4, v3
	v_div_scale_f32 v17, vcc_lo, v3, v4, v3
	s_delay_alu instid0(VALU_DEP_2) | instskip(SKIP_2) | instid1(VALU_DEP_1)
	v_rcp_f32_e32 v8, v7
	s_waitcnt_depctr 0xfff
	v_fma_f32 v16, -v7, v8, 1.0
	v_fmac_f32_e32 v8, v16, v8
	s_delay_alu instid0(VALU_DEP_1) | instskip(NEXT) | instid1(VALU_DEP_1)
	v_mul_f32_e32 v16, v17, v8
	v_fma_f32 v18, -v7, v16, v17
	s_delay_alu instid0(VALU_DEP_1) | instskip(NEXT) | instid1(VALU_DEP_1)
	v_fmac_f32_e32 v16, v18, v8
	v_fma_f32 v7, -v7, v16, v17
	s_delay_alu instid0(VALU_DEP_1) | instskip(NEXT) | instid1(VALU_DEP_1)
	v_div_fmas_f32 v7, v7, v8, v16
	v_div_fixup_f32 v7, v7, v4, v3
	s_delay_alu instid0(VALU_DEP_1) | instskip(NEXT) | instid1(VALU_DEP_1)
	v_fma_f32 v8, v3, v7, v4
	v_div_scale_f32 v16, null, v8, v8, 1.0
	v_div_scale_f32 v19, vcc_lo, 1.0, v8, 1.0
	s_delay_alu instid0(VALU_DEP_2) | instskip(SKIP_2) | instid1(VALU_DEP_1)
	v_rcp_f32_e32 v17, v16
	s_waitcnt_depctr 0xfff
	v_fma_f32 v18, -v16, v17, 1.0
	v_fmac_f32_e32 v17, v18, v17
	s_delay_alu instid0(VALU_DEP_1) | instskip(NEXT) | instid1(VALU_DEP_1)
	v_mul_f32_e32 v18, v19, v17
	v_fma_f32 v20, -v16, v18, v19
	s_delay_alu instid0(VALU_DEP_1) | instskip(NEXT) | instid1(VALU_DEP_1)
	v_fmac_f32_e32 v18, v20, v17
	v_fma_f32 v16, -v16, v18, v19
	s_delay_alu instid0(VALU_DEP_1) | instskip(SKIP_1) | instid1(VALU_DEP_2)
	v_div_fmas_f32 v16, v16, v17, v18
	v_fma_f32 v17, v7, v1, v2
	v_div_fixup_f32 v8, v16, v8, 1.0
	v_fma_f32 v16, v7, v2, -v1
	s_delay_alu instid0(VALU_DEP_2) | instskip(NEXT) | instid1(VALU_DEP_2)
	v_mul_f32_e32 v7, v17, v8
	v_mul_f32_e32 v8, v16, v8
	s_cbranch_execz .LBB152_55
	s_branch .LBB152_56
.LBB152_54:                             ;   in Loop: Header=BB152_41 Depth=1
                                        ; implicit-def: $vgpr8
.LBB152_55:                             ;   in Loop: Header=BB152_41 Depth=1
	v_div_scale_f32 v7, null, v3, v3, v4
	v_div_scale_f32 v17, vcc_lo, v4, v3, v4
	s_delay_alu instid0(VALU_DEP_2) | instskip(SKIP_2) | instid1(VALU_DEP_1)
	v_rcp_f32_e32 v8, v7
	s_waitcnt_depctr 0xfff
	v_fma_f32 v16, -v7, v8, 1.0
	v_fmac_f32_e32 v8, v16, v8
	s_delay_alu instid0(VALU_DEP_1) | instskip(NEXT) | instid1(VALU_DEP_1)
	v_mul_f32_e32 v16, v17, v8
	v_fma_f32 v18, -v7, v16, v17
	s_delay_alu instid0(VALU_DEP_1) | instskip(NEXT) | instid1(VALU_DEP_1)
	v_fmac_f32_e32 v16, v18, v8
	v_fma_f32 v7, -v7, v16, v17
	s_delay_alu instid0(VALU_DEP_1) | instskip(NEXT) | instid1(VALU_DEP_1)
	v_div_fmas_f32 v7, v7, v8, v16
	v_div_fixup_f32 v7, v7, v3, v4
	s_delay_alu instid0(VALU_DEP_1) | instskip(NEXT) | instid1(VALU_DEP_1)
	v_fmac_f32_e32 v3, v4, v7
	v_div_scale_f32 v4, null, v3, v3, 1.0
	v_div_scale_f32 v17, vcc_lo, 1.0, v3, 1.0
	s_delay_alu instid0(VALU_DEP_2) | instskip(SKIP_2) | instid1(VALU_DEP_1)
	v_rcp_f32_e32 v8, v4
	s_waitcnt_depctr 0xfff
	v_fma_f32 v16, -v4, v8, 1.0
	v_fmac_f32_e32 v8, v16, v8
	s_delay_alu instid0(VALU_DEP_1) | instskip(NEXT) | instid1(VALU_DEP_1)
	v_mul_f32_e32 v16, v17, v8
	v_fma_f32 v18, -v4, v16, v17
	s_delay_alu instid0(VALU_DEP_1) | instskip(NEXT) | instid1(VALU_DEP_1)
	v_fmac_f32_e32 v16, v18, v8
	v_fma_f32 v4, -v4, v16, v17
	s_delay_alu instid0(VALU_DEP_1) | instskip(SKIP_2) | instid1(VALU_DEP_3)
	v_div_fmas_f32 v4, v4, v8, v16
	v_fma_f32 v8, v7, v2, v1
	v_fma_f32 v1, -v7, v1, v2
	v_div_fixup_f32 v3, v4, v3, 1.0
	s_delay_alu instid0(VALU_DEP_1) | instskip(NEXT) | instid1(VALU_DEP_3)
	v_mul_f32_e32 v7, v8, v3
	v_mul_f32_e32 v8, v1, v3
.LBB152_56:                             ;   in Loop: Header=BB152_41 Depth=1
	v_dual_mov_b32 v1, s14 :: v_dual_mov_b32 v16, s10
	s_add_i32 s9, s9, s5
	s_delay_alu instid0(SALU_CYCLE_1)
	s_lshl_b32 s9, s9, 3
	ds_load_2addr_b64 v[1:4], v1 offset0:3 offset1:51
	v_mov_b32_e32 v18, s9
	ds_load_b64 v[16:17], v16 offset:24
	ds_load_b64 v[18:19], v18 offset:24
	ds_store_b64 v15, v[7:8]
	s_waitcnt lgkmcnt(3)
	v_mul_f32_e32 v20, v10, v2
	v_mul_f32_e32 v2, v9, v2
	v_cmp_gt_f32_e32 vcc_lo, 0, v3
	s_waitcnt lgkmcnt(2)
	v_mul_f32_e32 v21, v12, v17
	s_waitcnt lgkmcnt(1)
	v_mul_f32_e32 v23, v8, v19
	v_mul_f32_e32 v17, v11, v17
	v_fma_f32 v9, v9, v1, -v20
	v_dual_fmac_f32 v2, v10, v1 :: v_dual_mul_f32 v1, v7, v19
	v_cndmask_b32_e64 v22, v3, -v3, vcc_lo
	v_cmp_gt_f32_e32 vcc_lo, 0, v4
	v_fma_f32 v10, v11, v16, -v21
	s_delay_alu instid0(VALU_DEP_4) | instskip(SKIP_3) | instid1(VALU_DEP_4)
	v_dual_fmac_f32 v17, v12, v16 :: v_dual_sub_f32 v2, v6, v2
	v_sub_f32_e32 v5, v5, v9
	v_cndmask_b32_e64 v6, v4, -v4, vcc_lo
	v_fma_f32 v9, v7, v18, -v23
	v_dual_fmac_f32 v1, v8, v18 :: v_dual_sub_f32 v2, v2, v17
	s_delay_alu instid0(VALU_DEP_4) | instskip(NEXT) | instid1(VALU_DEP_4)
	v_sub_f32_e32 v5, v5, v10
	v_cmp_ngt_f32_e32 vcc_lo, v22, v6
	s_delay_alu instid0(VALU_DEP_3) | instskip(NEXT) | instid1(VALU_DEP_3)
	v_sub_f32_e32 v6, v2, v1
	v_sub_f32_e32 v5, v5, v9
	s_cbranch_vccz .LBB152_58
; %bb.57:                               ;   in Loop: Header=BB152_41 Depth=1
	v_div_scale_f32 v1, null, v4, v4, v3
	v_div_scale_f32 v8, vcc_lo, v3, v4, v3
	s_delay_alu instid0(VALU_DEP_2) | instskip(SKIP_2) | instid1(VALU_DEP_1)
	v_rcp_f32_e32 v2, v1
	s_waitcnt_depctr 0xfff
	v_fma_f32 v7, -v1, v2, 1.0
	v_fmac_f32_e32 v2, v7, v2
	s_delay_alu instid0(VALU_DEP_1) | instskip(NEXT) | instid1(VALU_DEP_1)
	v_mul_f32_e32 v7, v8, v2
	v_fma_f32 v9, -v1, v7, v8
	s_delay_alu instid0(VALU_DEP_1) | instskip(NEXT) | instid1(VALU_DEP_1)
	v_fmac_f32_e32 v7, v9, v2
	v_fma_f32 v1, -v1, v7, v8
	s_delay_alu instid0(VALU_DEP_1) | instskip(NEXT) | instid1(VALU_DEP_1)
	v_div_fmas_f32 v1, v1, v2, v7
	v_div_fixup_f32 v1, v1, v4, v3
	s_delay_alu instid0(VALU_DEP_1) | instskip(NEXT) | instid1(VALU_DEP_1)
	v_fma_f32 v2, v3, v1, v4
	v_div_scale_f32 v7, null, v2, v2, 1.0
	v_div_scale_f32 v10, vcc_lo, 1.0, v2, 1.0
	s_delay_alu instid0(VALU_DEP_2) | instskip(SKIP_2) | instid1(VALU_DEP_1)
	v_rcp_f32_e32 v8, v7
	s_waitcnt_depctr 0xfff
	v_fma_f32 v9, -v7, v8, 1.0
	v_fmac_f32_e32 v8, v9, v8
	s_delay_alu instid0(VALU_DEP_1) | instskip(NEXT) | instid1(VALU_DEP_1)
	v_mul_f32_e32 v9, v10, v8
	v_fma_f32 v11, -v7, v9, v10
	s_delay_alu instid0(VALU_DEP_1) | instskip(NEXT) | instid1(VALU_DEP_1)
	v_fmac_f32_e32 v9, v11, v8
	v_fma_f32 v7, -v7, v9, v10
	s_delay_alu instid0(VALU_DEP_1) | instskip(SKIP_1) | instid1(VALU_DEP_2)
	v_div_fmas_f32 v7, v7, v8, v9
	v_fma_f32 v8, v1, v5, v6
	v_div_fixup_f32 v2, v7, v2, 1.0
	v_fma_f32 v7, v1, v6, -v5
	s_delay_alu instid0(VALU_DEP_2) | instskip(NEXT) | instid1(VALU_DEP_2)
	v_mul_f32_e32 v1, v8, v2
	v_mul_f32_e32 v2, v7, v2
	s_cbranch_execz .LBB152_59
	s_branch .LBB152_60
.LBB152_58:                             ;   in Loop: Header=BB152_41 Depth=1
                                        ; implicit-def: $vgpr2
.LBB152_59:                             ;   in Loop: Header=BB152_41 Depth=1
	v_div_scale_f32 v1, null, v3, v3, v4
	v_div_scale_f32 v8, vcc_lo, v4, v3, v4
	s_delay_alu instid0(VALU_DEP_2) | instskip(SKIP_2) | instid1(VALU_DEP_1)
	v_rcp_f32_e32 v2, v1
	s_waitcnt_depctr 0xfff
	v_fma_f32 v7, -v1, v2, 1.0
	v_fmac_f32_e32 v2, v7, v2
	s_delay_alu instid0(VALU_DEP_1) | instskip(NEXT) | instid1(VALU_DEP_1)
	v_mul_f32_e32 v7, v8, v2
	v_fma_f32 v9, -v1, v7, v8
	s_delay_alu instid0(VALU_DEP_1) | instskip(NEXT) | instid1(VALU_DEP_1)
	v_fmac_f32_e32 v7, v9, v2
	v_fma_f32 v1, -v1, v7, v8
	s_delay_alu instid0(VALU_DEP_1) | instskip(NEXT) | instid1(VALU_DEP_1)
	v_div_fmas_f32 v1, v1, v2, v7
	v_div_fixup_f32 v1, v1, v3, v4
	s_delay_alu instid0(VALU_DEP_1) | instskip(NEXT) | instid1(VALU_DEP_1)
	v_fmac_f32_e32 v3, v4, v1
	v_div_scale_f32 v2, null, v3, v3, 1.0
	v_div_scale_f32 v8, vcc_lo, 1.0, v3, 1.0
	s_delay_alu instid0(VALU_DEP_2) | instskip(SKIP_2) | instid1(VALU_DEP_1)
	v_rcp_f32_e32 v4, v2
	s_waitcnt_depctr 0xfff
	v_fma_f32 v7, -v2, v4, 1.0
	v_fmac_f32_e32 v4, v7, v4
	s_delay_alu instid0(VALU_DEP_1) | instskip(NEXT) | instid1(VALU_DEP_1)
	v_mul_f32_e32 v7, v8, v4
	v_fma_f32 v9, -v2, v7, v8
	s_delay_alu instid0(VALU_DEP_1) | instskip(NEXT) | instid1(VALU_DEP_1)
	v_fmac_f32_e32 v7, v9, v4
	v_fma_f32 v2, -v2, v7, v8
	s_delay_alu instid0(VALU_DEP_1) | instskip(SKIP_1) | instid1(VALU_DEP_2)
	v_div_fmas_f32 v2, v2, v4, v7
	v_fma_f32 v4, v1, v6, v5
	v_div_fixup_f32 v2, v2, v3, 1.0
	v_fma_f32 v3, -v1, v5, v6
	s_delay_alu instid0(VALU_DEP_2) | instskip(NEXT) | instid1(VALU_DEP_2)
	v_mul_f32_e32 v1, v4, v2
	v_mul_f32_e32 v2, v3, v2
.LBB152_60:                             ;   in Loop: Header=BB152_41 Depth=1
	s_add_i32 s9, s5, 4
	s_add_i32 s5, s5, 7
	;; [unrolled: 1-line block ×3, first 2 shown]
	s_cmp_ge_i32 s5, s11
	ds_store_b64 v14, v[1:2]
	s_cbranch_scc1 .LBB152_62
; %bb.61:                               ;   in Loop: Header=BB152_41 Depth=1
	s_mov_b32 s5, s9
	s_branch .LBB152_41
.LBB152_62:
	s_cmp_ge_i32 s9, s11
	s_cbranch_scc1 .LBB152_77
; %bb.63:
	v_lshl_or_b32 v7, v0, 3, 0x800
	v_lshlrev_b32_e32 v8, 3, v0
	s_add_i32 s4, s9, -1
	s_lshl_b32 s5, s9, 3
	s_mov_b32 s10, 0
	s_mov_b32 s14, s9
	s_branch .LBB152_65
.LBB152_64:                             ;   in Loop: Header=BB152_65 Depth=1
	v_add_nc_u16 v1, s14, 1
	s_add_i32 s9, s9, 1
	s_add_i32 s10, s10, 1
	;; [unrolled: 1-line block ×3, first 2 shown]
	s_cmp_ge_i32 s9, s11
	v_readfirstlane_b32 s14, v1
	ds_store_b64 v9, v[5:6]
	s_cbranch_scc1 .LBB152_77
.LBB152_65:                             ; =>This Loop Header: Depth=1
                                        ;     Child Loop BB152_68 Depth 2
                                        ;     Child Loop BB152_72 Depth 2
	v_lshl_or_b32 v3, s9, 7, v8
	s_cmp_eq_u32 s9, 0
	ds_load_b64 v[1:2], v3 offset:2048
	s_cbranch_scc1 .LBB152_73
; %bb.66:                               ;   in Loop: Header=BB152_65 Depth=1
	s_add_i32 s15, s4, s10
	s_delay_alu instid0(SALU_CYCLE_1)
	s_cmp_lt_u32 s15, 7
	s_cbranch_scc1 .LBB152_70
; %bb.67:                               ;   in Loop: Header=BB152_65 Depth=1
	v_mov_b32_e32 v4, v7
	s_and_b32 s15, s9, -8
	s_mov_b32 s16, 0
	s_mov_b32 s17, s5
.LBB152_68:                             ;   Parent Loop BB152_65 Depth=1
                                        ; =>  This Inner Loop Header: Depth=2
	s_delay_alu instid0(SALU_CYCLE_1)
	v_mov_b32_e32 v5, s17
	ds_load_2addr_b64 v[9:12], v4 offset1:16
	ds_load_2addr_b64 v[13:16], v4 offset0:32 offset1:48
	ds_load_2addr_b64 v[17:20], v4 offset0:64 offset1:80
	;; [unrolled: 1-line block ×3, first 2 shown]
	ds_load_2addr_b64 v[25:28], v5 offset1:16
	ds_load_2addr_b64 v[29:32], v5 offset0:32 offset1:48
	ds_load_2addr_b64 v[33:36], v5 offset0:64 offset1:80
	;; [unrolled: 1-line block ×3, first 2 shown]
	v_add_nc_u32_e32 v4, 0x400, v4
	s_add_i32 s16, s16, 8
	s_addk_i32 s17, 0x400
	s_cmp_eq_u32 s15, s16
	s_waitcnt lgkmcnt(3)
	v_mul_f32_e32 v6, v25, v10
	v_dual_mul_f32 v5, v26, v10 :: v_dual_mul_f32 v10, v28, v12
	s_waitcnt lgkmcnt(2)
	v_dual_mul_f32 v12, v27, v12 :: v_dual_mul_f32 v41, v30, v14
	s_waitcnt lgkmcnt(1)
	v_dual_mul_f32 v42, v32, v16 :: v_dual_mul_f32 v43, v34, v18
	v_fma_f32 v5, v25, v9, -v5
	v_mul_f32_e32 v16, v31, v16
	v_fma_f32 v10, v27, v11, -v10
	v_mul_f32_e32 v14, v29, v14
	v_mul_f32_e32 v18, v33, v18
	v_sub_f32_e32 v1, v1, v5
	v_dual_mul_f32 v5, v35, v20 :: v_dual_fmac_f32 v6, v26, v9
	s_delay_alu instid0(VALU_DEP_4) | instskip(NEXT) | instid1(VALU_DEP_3)
	v_dual_mul_f32 v9, v36, v20 :: v_dual_fmac_f32 v14, v30, v13
	v_sub_f32_e32 v1, v1, v10
	s_delay_alu instid0(VALU_DEP_3) | instskip(SKIP_4) | instid1(VALU_DEP_4)
	v_dual_fmac_f32 v5, v36, v19 :: v_dual_sub_f32 v2, v2, v6
	v_fma_f32 v6, v29, v13, -v41
	v_fmac_f32_e32 v12, v28, v11
	v_fma_f32 v11, v31, v15, -v42
	v_fma_f32 v9, v35, v19, -v9
	v_sub_f32_e32 v1, v1, v6
	s_waitcnt lgkmcnt(0)
	v_mul_f32_e32 v6, v37, v22
	s_delay_alu instid0(VALU_DEP_2) | instskip(SKIP_2) | instid1(VALU_DEP_2)
	v_dual_sub_f32 v1, v1, v11 :: v_dual_sub_f32 v2, v2, v12
	v_fma_f32 v12, v33, v17, -v43
	v_dual_mul_f32 v10, v38, v22 :: v_dual_mul_f32 v11, v40, v24
	v_dual_fmac_f32 v6, v38, v21 :: v_dual_sub_f32 v1, v1, v12
	v_fmac_f32_e32 v16, v32, v15
	s_delay_alu instid0(VALU_DEP_3) | instskip(NEXT) | instid1(VALU_DEP_3)
	v_fma_f32 v10, v37, v21, -v10
	v_dual_mul_f32 v12, v39, v24 :: v_dual_sub_f32 v1, v1, v9
	v_fmac_f32_e32 v18, v34, v17
	s_delay_alu instid0(VALU_DEP_2) | instskip(SKIP_1) | instid1(VALU_DEP_1)
	v_dual_fmac_f32 v12, v40, v23 :: v_dual_sub_f32 v1, v1, v10
	v_sub_f32_e32 v2, v2, v14
	v_sub_f32_e32 v2, v2, v16
	s_delay_alu instid0(VALU_DEP_1) | instskip(NEXT) | instid1(VALU_DEP_1)
	v_sub_f32_e32 v2, v2, v18
	v_sub_f32_e32 v2, v2, v5
	v_fma_f32 v5, v39, v23, -v11
	s_delay_alu instid0(VALU_DEP_1) | instskip(NEXT) | instid1(VALU_DEP_1)
	v_dual_sub_f32 v2, v2, v6 :: v_dual_sub_f32 v1, v1, v5
	v_sub_f32_e32 v2, v2, v12
	s_cbranch_scc0 .LBB152_68
; %bb.69:                               ;   in Loop: Header=BB152_65 Depth=1
	s_and_b32 s16, s9, 7
	s_delay_alu instid0(SALU_CYCLE_1)
	s_cmp_eq_u32 s16, 0
	s_cbranch_scc0 .LBB152_71
	s_branch .LBB152_73
.LBB152_70:                             ;   in Loop: Header=BB152_65 Depth=1
	s_mov_b32 s15, 0
	s_and_b32 s16, s9, 7
	s_delay_alu instid0(SALU_CYCLE_1)
	s_cmp_eq_u32 s16, 0
	s_cbranch_scc1 .LBB152_73
.LBB152_71:                             ;   in Loop: Header=BB152_65 Depth=1
	s_and_b32 s16, s14, 7
	s_lshl_b32 s15, s15, 7
	.p2align	6
.LBB152_72:                             ;   Parent Loop BB152_65 Depth=1
                                        ; =>  This Inner Loop Header: Depth=2
	s_delay_alu instid0(SALU_CYCLE_1)
	s_add_i32 s17, s5, s15
	v_add_nc_u32_e32 v4, s15, v7
	v_mov_b32_e32 v6, s17
	s_add_i32 s16, s16, -1
	s_addk_i32 s15, 0x80
	s_cmp_lg_u32 s16, 0
	ds_load_b64 v[4:5], v4
	ds_load_b64 v[9:10], v6
	s_waitcnt lgkmcnt(0)
	v_mul_f32_e32 v6, v10, v5
	v_mul_f32_e32 v5, v9, v5
	s_delay_alu instid0(VALU_DEP_2) | instskip(NEXT) | instid1(VALU_DEP_2)
	v_fma_f32 v6, v9, v4, -v6
	v_fmac_f32_e32 v5, v10, v4
	s_delay_alu instid0(VALU_DEP_1)
	v_dual_sub_f32 v1, v1, v6 :: v_dual_sub_f32 v2, v2, v5
	s_cbranch_scc1 .LBB152_72
.LBB152_73:                             ;   in Loop: Header=BB152_65 Depth=1
	s_mul_i32 s15, s9, 0x88
	v_add_nc_u32_e32 v9, 0x800, v3
	v_mov_b32_e32 v3, s15
	ds_load_b64 v[3:4], v3
	s_waitcnt lgkmcnt(0)
	v_cmp_gt_f32_e32 vcc_lo, 0, v3
	v_cndmask_b32_e64 v5, v3, -v3, vcc_lo
	v_cmp_gt_f32_e32 vcc_lo, 0, v4
	v_cndmask_b32_e64 v6, v4, -v4, vcc_lo
	s_delay_alu instid0(VALU_DEP_1)
	v_cmp_ngt_f32_e32 vcc_lo, v5, v6
	s_cbranch_vccz .LBB152_75
; %bb.74:                               ;   in Loop: Header=BB152_65 Depth=1
	v_div_scale_f32 v5, null, v4, v4, v3
	v_div_scale_f32 v11, vcc_lo, v3, v4, v3
	s_delay_alu instid0(VALU_DEP_2) | instskip(SKIP_2) | instid1(VALU_DEP_1)
	v_rcp_f32_e32 v6, v5
	s_waitcnt_depctr 0xfff
	v_fma_f32 v10, -v5, v6, 1.0
	v_fmac_f32_e32 v6, v10, v6
	s_delay_alu instid0(VALU_DEP_1) | instskip(NEXT) | instid1(VALU_DEP_1)
	v_mul_f32_e32 v10, v11, v6
	v_fma_f32 v12, -v5, v10, v11
	s_delay_alu instid0(VALU_DEP_1) | instskip(NEXT) | instid1(VALU_DEP_1)
	v_fmac_f32_e32 v10, v12, v6
	v_fma_f32 v5, -v5, v10, v11
	s_delay_alu instid0(VALU_DEP_1) | instskip(NEXT) | instid1(VALU_DEP_1)
	v_div_fmas_f32 v5, v5, v6, v10
	v_div_fixup_f32 v5, v5, v4, v3
	s_delay_alu instid0(VALU_DEP_1) | instskip(NEXT) | instid1(VALU_DEP_1)
	v_fma_f32 v6, v3, v5, v4
	v_div_scale_f32 v10, null, v6, v6, 1.0
	v_div_scale_f32 v13, vcc_lo, 1.0, v6, 1.0
	s_delay_alu instid0(VALU_DEP_2) | instskip(SKIP_2) | instid1(VALU_DEP_1)
	v_rcp_f32_e32 v11, v10
	s_waitcnt_depctr 0xfff
	v_fma_f32 v12, -v10, v11, 1.0
	v_fmac_f32_e32 v11, v12, v11
	s_delay_alu instid0(VALU_DEP_1) | instskip(NEXT) | instid1(VALU_DEP_1)
	v_mul_f32_e32 v12, v13, v11
	v_fma_f32 v14, -v10, v12, v13
	s_delay_alu instid0(VALU_DEP_1) | instskip(NEXT) | instid1(VALU_DEP_1)
	v_fmac_f32_e32 v12, v14, v11
	v_fma_f32 v10, -v10, v12, v13
	s_delay_alu instid0(VALU_DEP_1) | instskip(SKIP_1) | instid1(VALU_DEP_2)
	v_div_fmas_f32 v10, v10, v11, v12
	v_fma_f32 v11, v1, v5, v2
	v_div_fixup_f32 v6, v10, v6, 1.0
	v_fma_f32 v10, v2, v5, -v1
	s_delay_alu instid0(VALU_DEP_2) | instskip(NEXT) | instid1(VALU_DEP_2)
	v_mul_f32_e32 v5, v11, v6
	v_mul_f32_e32 v6, v10, v6
	s_cbranch_execnz .LBB152_64
	s_branch .LBB152_76
.LBB152_75:                             ;   in Loop: Header=BB152_65 Depth=1
                                        ; implicit-def: $vgpr5
.LBB152_76:                             ;   in Loop: Header=BB152_65 Depth=1
	v_div_scale_f32 v5, null, v3, v3, v4
	v_div_scale_f32 v11, vcc_lo, v4, v3, v4
	s_delay_alu instid0(VALU_DEP_2) | instskip(SKIP_2) | instid1(VALU_DEP_1)
	v_rcp_f32_e32 v6, v5
	s_waitcnt_depctr 0xfff
	v_fma_f32 v10, -v5, v6, 1.0
	v_fmac_f32_e32 v6, v10, v6
	s_delay_alu instid0(VALU_DEP_1) | instskip(NEXT) | instid1(VALU_DEP_1)
	v_mul_f32_e32 v10, v11, v6
	v_fma_f32 v12, -v5, v10, v11
	s_delay_alu instid0(VALU_DEP_1) | instskip(NEXT) | instid1(VALU_DEP_1)
	v_fmac_f32_e32 v10, v12, v6
	v_fma_f32 v5, -v5, v10, v11
	s_delay_alu instid0(VALU_DEP_1) | instskip(NEXT) | instid1(VALU_DEP_1)
	v_div_fmas_f32 v5, v5, v6, v10
	v_div_fixup_f32 v5, v5, v3, v4
	s_delay_alu instid0(VALU_DEP_1) | instskip(NEXT) | instid1(VALU_DEP_1)
	v_fmac_f32_e32 v3, v4, v5
	v_div_scale_f32 v4, null, v3, v3, 1.0
	v_div_scale_f32 v11, vcc_lo, 1.0, v3, 1.0
	s_delay_alu instid0(VALU_DEP_2) | instskip(SKIP_2) | instid1(VALU_DEP_1)
	v_rcp_f32_e32 v6, v4
	s_waitcnt_depctr 0xfff
	v_fma_f32 v10, -v4, v6, 1.0
	v_fmac_f32_e32 v6, v10, v6
	s_delay_alu instid0(VALU_DEP_1) | instskip(NEXT) | instid1(VALU_DEP_1)
	v_mul_f32_e32 v10, v11, v6
	v_fma_f32 v12, -v4, v10, v11
	s_delay_alu instid0(VALU_DEP_1) | instskip(NEXT) | instid1(VALU_DEP_1)
	v_fmac_f32_e32 v10, v12, v6
	v_fma_f32 v4, -v4, v10, v11
	s_delay_alu instid0(VALU_DEP_1) | instskip(SKIP_2) | instid1(VALU_DEP_3)
	v_div_fmas_f32 v4, v4, v6, v10
	v_fma_f32 v6, v2, v5, v1
	v_fma_f32 v1, -v1, v5, v2
	v_div_fixup_f32 v3, v4, v3, 1.0
	s_delay_alu instid0(VALU_DEP_1) | instskip(NEXT) | instid1(VALU_DEP_3)
	v_mul_f32_e32 v5, v6, v3
	v_mul_f32_e32 v6, v1, v3
	s_branch .LBB152_64
.LBB152_77:
	s_mov_b32 s4, 0
.LBB152_78:
	s_delay_alu instid0(SALU_CYCLE_1)
	s_and_b32 vcc_lo, exec_lo, s4
	s_cbranch_vccz .LBB152_110
; %bb.79:
	s_and_not1_b32 vcc_lo, exec_lo, s1
	s_mov_b32 s9, s30
	s_cbranch_vccnz .LBB152_101
; %bb.80:
	v_lshlrev_b32_e32 v13, 3, v0
	s_mul_i32 s4, s11, 0x88
	s_mov_b32 s5, s30
	s_addk_i32 s4, 0xfee0
	s_delay_alu instid0(VALU_DEP_1) | instskip(NEXT) | instid1(VALU_DEP_1)
	v_lshl_or_b32 v1, s11, 7, v13
	v_add_nc_u32_e32 v14, 0x700, v1
.LBB152_81:                             ; =>This Loop Header: Depth=1
                                        ;     Child Loop BB152_82 Depth 2
	s_add_i32 s17, s5, -1
	s_lshl_b32 s14, s5, 4
	s_add_i32 s16, s5, -2
	s_lshl_b32 s10, s17, 4
	v_or_b32_e32 v1, s14, v0
	s_lshl_b32 s9, s16, 4
	v_or_b32_e32 v2, s10, v0
	v_or_b32_e32 v3, s9, v0
	s_add_i32 s15, s5, -3
	v_lshlrev_b32_e32 v5, 3, v1
	v_lshl_or_b32 v12, s15, 7, v13
	v_dual_mov_b32 v15, v14 :: v_dual_lshlrev_b32 v6, 3, v2
	v_lshlrev_b32_e32 v11, 3, v3
	ds_load_b64 v[9:10], v5 offset:2048
	ds_load_b64 v[7:8], v6 offset:2048
	ds_load_b64 v[3:4], v11 offset:2048
	ds_load_b64 v[1:2], v12 offset:2048
	s_cmp_le_i32 s30, s5
	s_mov_b32 s21, s4
	s_mov_b32 s22, s30
	s_cbranch_scc1 .LBB152_83
.LBB152_82:                             ;   Parent Loop BB152_81 Depth=1
                                        ; =>  This Inner Loop Header: Depth=2
	v_mov_b32_e32 v32, s21
	ds_load_2addr_b64 v[16:19], v15 offset1:16
	v_add_nc_u32_e32 v15, 0xffffff00, v15
	s_add_i32 s22, s22, -2
	s_addk_i32 s21, 0xff00
	ds_load_2addr_b64 v[20:23], v32 offset0:18 offset1:19
	ds_load_2addr_b64 v[24:27], v32 offset0:16 offset1:17
	ds_load_2addr_b64 v[28:31], v32 offset0:2 offset1:3
	ds_load_2addr_b64 v[32:35], v32 offset1:1
	s_cmp_le_i32 s22, s5
	s_waitcnt lgkmcnt(3)
	v_mul_f32_e32 v36, v23, v19
	v_mul_f32_e32 v38, v21, v19
	;; [unrolled: 1-line block ×3, first 2 shown]
	s_waitcnt lgkmcnt(0)
	v_dual_mul_f32 v37, v22, v19 :: v_dual_mul_f32 v44, v35, v17
	v_dual_mul_f32 v39, v27, v19 :: v_dual_mul_f32 v42, v30, v17
	s_delay_alu instid0(VALU_DEP_3) | instskip(SKIP_2) | instid1(VALU_DEP_4)
	v_fmac_f32_e32 v21, v20, v19
	v_dual_mul_f32 v27, v27, v18 :: v_dual_mul_f32 v40, v25, v19
	v_mul_f32_e32 v41, v31, v17
	v_dual_mul_f32 v25, v25, v18 :: v_dual_fmac_f32 v42, v31, v16
	s_delay_alu instid0(VALU_DEP_4)
	v_dual_mul_f32 v35, v35, v16 :: v_dual_sub_f32 v8, v8, v21
	v_fmac_f32_e32 v37, v23, v18
	v_fma_f32 v22, v22, v18, -v36
	v_fma_f32 v23, v20, v18, -v38
	;; [unrolled: 1-line block ×3, first 2 shown]
	v_fmac_f32_e32 v27, v26, v19
	v_mul_f32_e32 v43, v29, v17
	v_dual_mul_f32 v29, v29, v16 :: v_dual_sub_f32 v10, v10, v37
	v_mul_f32_e32 v45, v33, v17
	v_fma_f32 v18, v24, v18, -v40
	v_fmac_f32_e32 v25, v24, v19
	v_mul_f32_e32 v33, v33, v16
	v_fma_f32 v19, v30, v16, -v41
	v_fmac_f32_e32 v29, v28, v17
	v_fma_f32 v26, v34, v16, -v44
	v_sub_f32_e32 v2, v2, v25
	v_fmac_f32_e32 v35, v34, v17
	v_fmac_f32_e32 v33, v32, v17
	v_sub_f32_e32 v7, v7, v23
	v_dual_sub_f32 v3, v3, v20 :: v_dual_sub_f32 v4, v4, v27
	v_fma_f32 v24, v28, v16, -v43
	v_sub_f32_e32 v9, v9, v22
	v_sub_f32_e32 v1, v1, v18
	;; [unrolled: 1-line block ×4, first 2 shown]
	v_fma_f32 v16, v32, v16, -v45
	v_sub_f32_e32 v9, v9, v19
	v_dual_sub_f32 v7, v7, v24 :: v_dual_sub_f32 v8, v8, v29
	v_sub_f32_e32 v3, v3, v26
	s_delay_alu instid0(VALU_DEP_4)
	v_dual_sub_f32 v1, v1, v16 :: v_dual_sub_f32 v2, v2, v33
	s_cbranch_scc0 .LBB152_82
.LBB152_83:                             ;   in Loop: Header=BB152_81 Depth=1
	s_mul_i32 s21, s5, 0x88
	s_delay_alu instid0(SALU_CYCLE_1)
	v_dual_mov_b32 v5, s21 :: v_dual_add_nc_u32 v18, 0x800, v5
	v_add_nc_u32_e32 v16, 0x800, v11
	v_add_nc_u32_e32 v15, 0x800, v12
	;; [unrolled: 1-line block ×3, first 2 shown]
	ds_load_b64 v[11:12], v5
	s_waitcnt lgkmcnt(0)
	v_cmp_gt_f32_e32 vcc_lo, 0, v11
	v_cndmask_b32_e64 v5, v11, -v11, vcc_lo
	v_cmp_gt_f32_e32 vcc_lo, 0, v12
	v_cndmask_b32_e64 v6, v12, -v12, vcc_lo
	s_delay_alu instid0(VALU_DEP_1)
	v_cmp_ngt_f32_e32 vcc_lo, v5, v6
	s_cbranch_vccz .LBB152_85
; %bb.84:                               ;   in Loop: Header=BB152_81 Depth=1
	v_div_scale_f32 v5, null, v12, v12, v11
	v_div_scale_f32 v20, vcc_lo, v11, v12, v11
	s_delay_alu instid0(VALU_DEP_2) | instskip(SKIP_2) | instid1(VALU_DEP_1)
	v_rcp_f32_e32 v6, v5
	s_waitcnt_depctr 0xfff
	v_fma_f32 v19, -v5, v6, 1.0
	v_fmac_f32_e32 v6, v19, v6
	s_delay_alu instid0(VALU_DEP_1) | instskip(NEXT) | instid1(VALU_DEP_1)
	v_mul_f32_e32 v19, v20, v6
	v_fma_f32 v21, -v5, v19, v20
	s_delay_alu instid0(VALU_DEP_1) | instskip(NEXT) | instid1(VALU_DEP_1)
	v_fmac_f32_e32 v19, v21, v6
	v_fma_f32 v5, -v5, v19, v20
	s_delay_alu instid0(VALU_DEP_1) | instskip(NEXT) | instid1(VALU_DEP_1)
	v_div_fmas_f32 v5, v5, v6, v19
	v_div_fixup_f32 v5, v5, v12, v11
	s_delay_alu instid0(VALU_DEP_1) | instskip(NEXT) | instid1(VALU_DEP_1)
	v_fma_f32 v6, v11, v5, v12
	v_div_scale_f32 v19, null, v6, v6, 1.0
	v_div_scale_f32 v22, vcc_lo, 1.0, v6, 1.0
	s_delay_alu instid0(VALU_DEP_2) | instskip(SKIP_2) | instid1(VALU_DEP_1)
	v_rcp_f32_e32 v20, v19
	s_waitcnt_depctr 0xfff
	v_fma_f32 v21, -v19, v20, 1.0
	v_fmac_f32_e32 v20, v21, v20
	s_delay_alu instid0(VALU_DEP_1) | instskip(NEXT) | instid1(VALU_DEP_1)
	v_mul_f32_e32 v21, v22, v20
	v_fma_f32 v23, -v19, v21, v22
	s_delay_alu instid0(VALU_DEP_1) | instskip(NEXT) | instid1(VALU_DEP_1)
	v_fmac_f32_e32 v21, v23, v20
	v_fma_f32 v19, -v19, v21, v22
	s_delay_alu instid0(VALU_DEP_1) | instskip(SKIP_1) | instid1(VALU_DEP_2)
	v_div_fmas_f32 v19, v19, v20, v21
	v_fma_f32 v20, v9, v5, v10
	v_div_fixup_f32 v6, v19, v6, 1.0
	v_fma_f32 v19, v10, v5, -v9
	s_delay_alu instid0(VALU_DEP_2) | instskip(NEXT) | instid1(VALU_DEP_2)
	v_mul_f32_e32 v5, v20, v6
	v_mul_f32_e32 v6, v19, v6
	s_cbranch_execz .LBB152_86
	s_branch .LBB152_87
.LBB152_85:                             ;   in Loop: Header=BB152_81 Depth=1
                                        ; implicit-def: $vgpr6
.LBB152_86:                             ;   in Loop: Header=BB152_81 Depth=1
	v_div_scale_f32 v5, null, v11, v11, v12
	v_div_scale_f32 v20, vcc_lo, v12, v11, v12
	s_delay_alu instid0(VALU_DEP_2) | instskip(SKIP_2) | instid1(VALU_DEP_1)
	v_rcp_f32_e32 v6, v5
	s_waitcnt_depctr 0xfff
	v_fma_f32 v19, -v5, v6, 1.0
	v_fmac_f32_e32 v6, v19, v6
	s_delay_alu instid0(VALU_DEP_1) | instskip(NEXT) | instid1(VALU_DEP_1)
	v_mul_f32_e32 v19, v20, v6
	v_fma_f32 v21, -v5, v19, v20
	s_delay_alu instid0(VALU_DEP_1) | instskip(NEXT) | instid1(VALU_DEP_1)
	v_fmac_f32_e32 v19, v21, v6
	v_fma_f32 v5, -v5, v19, v20
	s_delay_alu instid0(VALU_DEP_1) | instskip(NEXT) | instid1(VALU_DEP_1)
	v_div_fmas_f32 v5, v5, v6, v19
	v_div_fixup_f32 v5, v5, v11, v12
	s_delay_alu instid0(VALU_DEP_1) | instskip(NEXT) | instid1(VALU_DEP_1)
	v_fmac_f32_e32 v11, v12, v5
	v_div_scale_f32 v6, null, v11, v11, 1.0
	v_div_scale_f32 v20, vcc_lo, 1.0, v11, 1.0
	s_delay_alu instid0(VALU_DEP_2) | instskip(SKIP_2) | instid1(VALU_DEP_1)
	v_rcp_f32_e32 v12, v6
	s_waitcnt_depctr 0xfff
	v_fma_f32 v19, -v6, v12, 1.0
	v_fmac_f32_e32 v12, v19, v12
	s_delay_alu instid0(VALU_DEP_1) | instskip(NEXT) | instid1(VALU_DEP_1)
	v_mul_f32_e32 v19, v20, v12
	v_fma_f32 v21, -v6, v19, v20
	s_delay_alu instid0(VALU_DEP_1) | instskip(NEXT) | instid1(VALU_DEP_1)
	v_fmac_f32_e32 v19, v21, v12
	v_fma_f32 v6, -v6, v19, v20
	s_delay_alu instid0(VALU_DEP_1) | instskip(SKIP_2) | instid1(VALU_DEP_3)
	v_div_fmas_f32 v6, v6, v12, v19
	v_fma_f32 v12, v10, v5, v9
	v_fma_f32 v9, -v9, v5, v10
	v_div_fixup_f32 v6, v6, v11, 1.0
	s_delay_alu instid0(VALU_DEP_1) | instskip(NEXT) | instid1(VALU_DEP_3)
	v_mul_f32_e32 v5, v12, v6
	v_mul_f32_e32 v6, v9, v6
.LBB152_87:                             ;   in Loop: Header=BB152_81 Depth=1
	s_add_i32 s17, s14, s17
	s_delay_alu instid0(SALU_CYCLE_1) | instskip(SKIP_1) | instid1(SALU_CYCLE_1)
	s_lshl_b32 s22, s17, 3
	s_add_i32 s17, s21, 0xffffff78
	v_dual_mov_b32 v9, s22 :: v_dual_mov_b32 v10, s17
	ds_load_b64 v[11:12], v9
	ds_load_b64 v[9:10], v10
	ds_store_b64 v18, v[5:6]
	s_waitcnt lgkmcnt(2)
	v_mul_f32_e32 v19, v6, v12
	s_waitcnt lgkmcnt(1)
	v_cmp_gt_f32_e32 vcc_lo, 0, v9
	s_delay_alu instid0(VALU_DEP_2) | instskip(SKIP_4) | instid1(VALU_DEP_2)
	v_fma_f32 v19, v5, v11, -v19
	v_cndmask_b32_e64 v20, v9, -v9, vcc_lo
	v_cmp_gt_f32_e32 vcc_lo, 0, v10
	v_mul_f32_e32 v12, v5, v12
	v_cndmask_b32_e64 v21, v10, -v10, vcc_lo
	v_fmac_f32_e32 v12, v6, v11
	v_sub_f32_e32 v11, v7, v19
	s_delay_alu instid0(VALU_DEP_3) | instskip(NEXT) | instid1(VALU_DEP_3)
	v_cmp_ngt_f32_e32 vcc_lo, v20, v21
	v_sub_f32_e32 v12, v8, v12
	s_cbranch_vccz .LBB152_89
; %bb.88:                               ;   in Loop: Header=BB152_81 Depth=1
	v_div_scale_f32 v7, null, v10, v10, v9
	v_div_scale_f32 v19, vcc_lo, v9, v10, v9
	s_delay_alu instid0(VALU_DEP_2) | instskip(SKIP_2) | instid1(VALU_DEP_1)
	v_rcp_f32_e32 v8, v7
	s_waitcnt_depctr 0xfff
	v_fma_f32 v18, -v7, v8, 1.0
	v_fmac_f32_e32 v8, v18, v8
	s_delay_alu instid0(VALU_DEP_1) | instskip(NEXT) | instid1(VALU_DEP_1)
	v_mul_f32_e32 v18, v19, v8
	v_fma_f32 v20, -v7, v18, v19
	s_delay_alu instid0(VALU_DEP_1) | instskip(NEXT) | instid1(VALU_DEP_1)
	v_fmac_f32_e32 v18, v20, v8
	v_fma_f32 v7, -v7, v18, v19
	s_delay_alu instid0(VALU_DEP_1) | instskip(NEXT) | instid1(VALU_DEP_1)
	v_div_fmas_f32 v7, v7, v8, v18
	v_div_fixup_f32 v7, v7, v10, v9
	s_delay_alu instid0(VALU_DEP_1) | instskip(NEXT) | instid1(VALU_DEP_1)
	v_fma_f32 v8, v9, v7, v10
	v_div_scale_f32 v18, null, v8, v8, 1.0
	v_div_scale_f32 v21, vcc_lo, 1.0, v8, 1.0
	s_delay_alu instid0(VALU_DEP_2) | instskip(SKIP_2) | instid1(VALU_DEP_1)
	v_rcp_f32_e32 v19, v18
	s_waitcnt_depctr 0xfff
	v_fma_f32 v20, -v18, v19, 1.0
	v_fmac_f32_e32 v19, v20, v19
	s_delay_alu instid0(VALU_DEP_1) | instskip(NEXT) | instid1(VALU_DEP_1)
	v_mul_f32_e32 v20, v21, v19
	v_fma_f32 v22, -v18, v20, v21
	s_delay_alu instid0(VALU_DEP_1) | instskip(NEXT) | instid1(VALU_DEP_1)
	v_fmac_f32_e32 v20, v22, v19
	v_fma_f32 v18, -v18, v20, v21
	s_delay_alu instid0(VALU_DEP_1) | instskip(SKIP_1) | instid1(VALU_DEP_2)
	v_div_fmas_f32 v18, v18, v19, v20
	v_fma_f32 v19, v7, v11, v12
	v_div_fixup_f32 v8, v18, v8, 1.0
	v_fma_f32 v18, v7, v12, -v11
	s_delay_alu instid0(VALU_DEP_2) | instskip(NEXT) | instid1(VALU_DEP_2)
	v_mul_f32_e32 v7, v19, v8
	v_mul_f32_e32 v8, v18, v8
	s_cbranch_execz .LBB152_90
	s_branch .LBB152_91
.LBB152_89:                             ;   in Loop: Header=BB152_81 Depth=1
                                        ; implicit-def: $vgpr8
.LBB152_90:                             ;   in Loop: Header=BB152_81 Depth=1
	v_div_scale_f32 v7, null, v9, v9, v10
	v_div_scale_f32 v19, vcc_lo, v10, v9, v10
	s_delay_alu instid0(VALU_DEP_2) | instskip(SKIP_2) | instid1(VALU_DEP_1)
	v_rcp_f32_e32 v8, v7
	s_waitcnt_depctr 0xfff
	v_fma_f32 v18, -v7, v8, 1.0
	v_fmac_f32_e32 v8, v18, v8
	s_delay_alu instid0(VALU_DEP_1) | instskip(NEXT) | instid1(VALU_DEP_1)
	v_mul_f32_e32 v18, v19, v8
	v_fma_f32 v20, -v7, v18, v19
	s_delay_alu instid0(VALU_DEP_1) | instskip(NEXT) | instid1(VALU_DEP_1)
	v_fmac_f32_e32 v18, v20, v8
	v_fma_f32 v7, -v7, v18, v19
	s_delay_alu instid0(VALU_DEP_1) | instskip(NEXT) | instid1(VALU_DEP_1)
	v_div_fmas_f32 v7, v7, v8, v18
	v_div_fixup_f32 v7, v7, v9, v10
	s_delay_alu instid0(VALU_DEP_1) | instskip(NEXT) | instid1(VALU_DEP_1)
	v_fmac_f32_e32 v9, v10, v7
	v_div_scale_f32 v8, null, v9, v9, 1.0
	v_div_scale_f32 v19, vcc_lo, 1.0, v9, 1.0
	s_delay_alu instid0(VALU_DEP_2) | instskip(SKIP_2) | instid1(VALU_DEP_1)
	v_rcp_f32_e32 v10, v8
	s_waitcnt_depctr 0xfff
	v_fma_f32 v18, -v8, v10, 1.0
	v_fmac_f32_e32 v10, v18, v10
	s_delay_alu instid0(VALU_DEP_1) | instskip(NEXT) | instid1(VALU_DEP_1)
	v_mul_f32_e32 v18, v19, v10
	v_fma_f32 v20, -v8, v18, v19
	s_delay_alu instid0(VALU_DEP_1) | instskip(NEXT) | instid1(VALU_DEP_1)
	v_fmac_f32_e32 v18, v20, v10
	v_fma_f32 v8, -v8, v18, v19
	s_delay_alu instid0(VALU_DEP_1) | instskip(SKIP_1) | instid1(VALU_DEP_2)
	v_div_fmas_f32 v8, v8, v10, v18
	v_fma_f32 v10, v7, v12, v11
	v_div_fixup_f32 v8, v8, v9, 1.0
	v_fma_f32 v9, -v7, v11, v12
	s_delay_alu instid0(VALU_DEP_2) | instskip(NEXT) | instid1(VALU_DEP_2)
	v_mul_f32_e32 v7, v10, v8
	v_mul_f32_e32 v8, v9, v8
.LBB152_91:                             ;   in Loop: Header=BB152_81 Depth=1
	s_add_i32 s21, s14, s16
	s_add_i32 s16, s10, s16
	s_lshl_b32 s21, s21, 3
	s_lshl_b32 s22, s16, 3
	s_delay_alu instid0(SALU_CYCLE_1) | instskip(SKIP_1) | instid1(SALU_CYCLE_1)
	v_dual_mov_b32 v9, s21 :: v_dual_mov_b32 v10, s22
	s_add_i32 s16, s17, 0xffffff78
	v_mov_b32_e32 v20, s16
	ds_load_b64 v[11:12], v9
	ds_load_b64 v[18:19], v10
	;; [unrolled: 1-line block ×3, first 2 shown]
	ds_store_b64 v17, v[7:8]
	s_waitcnt lgkmcnt(2)
	v_dual_mul_f32 v20, v6, v12 :: v_dual_mul_f32 v21, v8, v19
	v_mul_f32_e32 v19, v7, v19
	s_waitcnt lgkmcnt(1)
	v_cmp_gt_f32_e32 vcc_lo, 0, v9
	v_mul_f32_e32 v12, v5, v12
	v_fma_f32 v20, v5, v11, -v20
	v_fma_f32 v21, v7, v18, -v21
	v_fmac_f32_e32 v19, v8, v18
	v_cndmask_b32_e64 v22, v9, -v9, vcc_lo
	v_cmp_gt_f32_e32 vcc_lo, 0, v10
	v_dual_fmac_f32 v12, v6, v11 :: v_dual_sub_f32 v3, v3, v20
	v_cndmask_b32_e64 v11, v10, -v10, vcc_lo
	s_delay_alu instid0(VALU_DEP_2) | instskip(NEXT) | instid1(VALU_DEP_2)
	v_dual_sub_f32 v4, v4, v12 :: v_dual_sub_f32 v3, v3, v21
	v_cmp_ngt_f32_e32 vcc_lo, v22, v11
	s_delay_alu instid0(VALU_DEP_2)
	v_sub_f32_e32 v4, v4, v19
	s_cbranch_vccz .LBB152_93
; %bb.92:                               ;   in Loop: Header=BB152_81 Depth=1
	v_div_scale_f32 v11, null, v10, v10, v9
	v_div_scale_f32 v18, vcc_lo, v9, v10, v9
	s_delay_alu instid0(VALU_DEP_2) | instskip(SKIP_2) | instid1(VALU_DEP_1)
	v_rcp_f32_e32 v12, v11
	s_waitcnt_depctr 0xfff
	v_fma_f32 v17, -v11, v12, 1.0
	v_fmac_f32_e32 v12, v17, v12
	s_delay_alu instid0(VALU_DEP_1) | instskip(NEXT) | instid1(VALU_DEP_1)
	v_mul_f32_e32 v17, v18, v12
	v_fma_f32 v19, -v11, v17, v18
	s_delay_alu instid0(VALU_DEP_1) | instskip(NEXT) | instid1(VALU_DEP_1)
	v_fmac_f32_e32 v17, v19, v12
	v_fma_f32 v11, -v11, v17, v18
	s_delay_alu instid0(VALU_DEP_1) | instskip(NEXT) | instid1(VALU_DEP_1)
	v_div_fmas_f32 v11, v11, v12, v17
	v_div_fixup_f32 v11, v11, v10, v9
	s_delay_alu instid0(VALU_DEP_1) | instskip(NEXT) | instid1(VALU_DEP_1)
	v_fma_f32 v12, v9, v11, v10
	v_div_scale_f32 v17, null, v12, v12, 1.0
	v_div_scale_f32 v20, vcc_lo, 1.0, v12, 1.0
	s_delay_alu instid0(VALU_DEP_2) | instskip(SKIP_2) | instid1(VALU_DEP_1)
	v_rcp_f32_e32 v18, v17
	s_waitcnt_depctr 0xfff
	v_fma_f32 v19, -v17, v18, 1.0
	v_fmac_f32_e32 v18, v19, v18
	s_delay_alu instid0(VALU_DEP_1) | instskip(NEXT) | instid1(VALU_DEP_1)
	v_mul_f32_e32 v19, v20, v18
	v_fma_f32 v21, -v17, v19, v20
	s_delay_alu instid0(VALU_DEP_1) | instskip(NEXT) | instid1(VALU_DEP_1)
	v_fmac_f32_e32 v19, v21, v18
	v_fma_f32 v17, -v17, v19, v20
	s_delay_alu instid0(VALU_DEP_1) | instskip(SKIP_1) | instid1(VALU_DEP_2)
	v_div_fmas_f32 v17, v17, v18, v19
	v_fma_f32 v18, v11, v3, v4
	v_div_fixup_f32 v12, v17, v12, 1.0
	v_fma_f32 v17, v11, v4, -v3
	s_delay_alu instid0(VALU_DEP_2) | instskip(NEXT) | instid1(VALU_DEP_2)
	v_mul_f32_e32 v11, v18, v12
	v_mul_f32_e32 v12, v17, v12
	s_cbranch_execz .LBB152_94
	s_branch .LBB152_95
.LBB152_93:                             ;   in Loop: Header=BB152_81 Depth=1
                                        ; implicit-def: $vgpr12
.LBB152_94:                             ;   in Loop: Header=BB152_81 Depth=1
	v_div_scale_f32 v11, null, v9, v9, v10
	v_div_scale_f32 v18, vcc_lo, v10, v9, v10
	s_delay_alu instid0(VALU_DEP_2) | instskip(SKIP_2) | instid1(VALU_DEP_1)
	v_rcp_f32_e32 v12, v11
	s_waitcnt_depctr 0xfff
	v_fma_f32 v17, -v11, v12, 1.0
	v_fmac_f32_e32 v12, v17, v12
	s_delay_alu instid0(VALU_DEP_1) | instskip(NEXT) | instid1(VALU_DEP_1)
	v_mul_f32_e32 v17, v18, v12
	v_fma_f32 v19, -v11, v17, v18
	s_delay_alu instid0(VALU_DEP_1) | instskip(NEXT) | instid1(VALU_DEP_1)
	v_fmac_f32_e32 v17, v19, v12
	v_fma_f32 v11, -v11, v17, v18
	s_delay_alu instid0(VALU_DEP_1) | instskip(NEXT) | instid1(VALU_DEP_1)
	v_div_fmas_f32 v11, v11, v12, v17
	v_div_fixup_f32 v11, v11, v9, v10
	s_delay_alu instid0(VALU_DEP_1) | instskip(NEXT) | instid1(VALU_DEP_1)
	v_fmac_f32_e32 v9, v10, v11
	v_div_scale_f32 v10, null, v9, v9, 1.0
	v_div_scale_f32 v18, vcc_lo, 1.0, v9, 1.0
	s_delay_alu instid0(VALU_DEP_2) | instskip(SKIP_2) | instid1(VALU_DEP_1)
	v_rcp_f32_e32 v12, v10
	s_waitcnt_depctr 0xfff
	v_fma_f32 v17, -v10, v12, 1.0
	v_fmac_f32_e32 v12, v17, v12
	s_delay_alu instid0(VALU_DEP_1) | instskip(NEXT) | instid1(VALU_DEP_1)
	v_mul_f32_e32 v17, v18, v12
	v_fma_f32 v19, -v10, v17, v18
	s_delay_alu instid0(VALU_DEP_1) | instskip(NEXT) | instid1(VALU_DEP_1)
	v_fmac_f32_e32 v17, v19, v12
	v_fma_f32 v10, -v10, v17, v18
	s_delay_alu instid0(VALU_DEP_1) | instskip(SKIP_2) | instid1(VALU_DEP_3)
	v_div_fmas_f32 v10, v10, v12, v17
	v_fma_f32 v12, v11, v4, v3
	v_fma_f32 v3, -v11, v3, v4
	v_div_fixup_f32 v9, v10, v9, 1.0
	s_delay_alu instid0(VALU_DEP_1) | instskip(NEXT) | instid1(VALU_DEP_3)
	v_mul_f32_e32 v11, v12, v9
	v_mul_f32_e32 v12, v3, v9
.LBB152_95:                             ;   in Loop: Header=BB152_81 Depth=1
	s_add_i32 s14, s14, s15
	s_add_i32 s10, s10, s15
	s_lshl_b32 s14, s14, 3
	s_lshl_b32 s10, s10, 3
	s_delay_alu instid0(SALU_CYCLE_1) | instskip(SKIP_1) | instid1(SALU_CYCLE_1)
	v_dual_mov_b32 v3, s14 :: v_dual_mov_b32 v4, s10
	s_add_i32 s9, s9, s15
	s_lshl_b32 s9, s9, 3
	ds_load_b64 v[9:10], v3
	ds_load_b64 v[17:18], v4
	v_mov_b32_e32 v19, s9
	s_add_i32 s9, s16, 0xffffff78
	s_delay_alu instid0(SALU_CYCLE_1)
	v_mov_b32_e32 v3, s9
	s_waitcnt lgkmcnt(1)
	v_mul_f32_e32 v21, v6, v10
	v_mul_f32_e32 v10, v5, v10
	s_waitcnt lgkmcnt(0)
	v_mul_f32_e32 v22, v8, v18
	ds_load_b64 v[19:20], v19
	ds_load_b64 v[3:4], v3
	v_mul_f32_e32 v18, v7, v18
	ds_store_b64 v16, v[11:12]
	v_fma_f32 v7, v7, v17, -v22
	s_waitcnt lgkmcnt(2)
	v_mul_f32_e32 v23, v12, v20
	v_mul_f32_e32 v20, v11, v20
	v_fma_f32 v5, v5, v9, -v21
	s_waitcnt lgkmcnt(1)
	v_cmp_gt_f32_e32 vcc_lo, 0, v3
	s_delay_alu instid0(VALU_DEP_2) | instskip(SKIP_3) | instid1(VALU_DEP_4)
	v_dual_fmac_f32 v20, v12, v19 :: v_dual_sub_f32 v1, v1, v5
	v_fmac_f32_e32 v10, v6, v9
	v_cndmask_b32_e64 v6, v3, -v3, vcc_lo
	v_cmp_gt_f32_e32 vcc_lo, 0, v4
	v_dual_sub_f32 v1, v1, v7 :: v_dual_fmac_f32 v18, v8, v17
	s_delay_alu instid0(VALU_DEP_4) | instskip(SKIP_2) | instid1(VALU_DEP_2)
	v_sub_f32_e32 v2, v2, v10
	v_cndmask_b32_e64 v5, v4, -v4, vcc_lo
	v_fma_f32 v8, v11, v19, -v23
	v_cmp_ngt_f32_e32 vcc_lo, v6, v5
	s_delay_alu instid0(VALU_DEP_2) | instskip(NEXT) | instid1(VALU_DEP_1)
	v_dual_sub_f32 v5, v1, v8 :: v_dual_sub_f32 v2, v2, v18
	v_sub_f32_e32 v6, v2, v20
	s_cbranch_vccz .LBB152_97
; %bb.96:                               ;   in Loop: Header=BB152_81 Depth=1
	v_div_scale_f32 v1, null, v4, v4, v3
	v_div_scale_f32 v8, vcc_lo, v3, v4, v3
	s_delay_alu instid0(VALU_DEP_2) | instskip(SKIP_2) | instid1(VALU_DEP_1)
	v_rcp_f32_e32 v2, v1
	s_waitcnt_depctr 0xfff
	v_fma_f32 v7, -v1, v2, 1.0
	v_fmac_f32_e32 v2, v7, v2
	s_delay_alu instid0(VALU_DEP_1) | instskip(NEXT) | instid1(VALU_DEP_1)
	v_mul_f32_e32 v7, v8, v2
	v_fma_f32 v9, -v1, v7, v8
	s_delay_alu instid0(VALU_DEP_1) | instskip(NEXT) | instid1(VALU_DEP_1)
	v_fmac_f32_e32 v7, v9, v2
	v_fma_f32 v1, -v1, v7, v8
	s_delay_alu instid0(VALU_DEP_1) | instskip(NEXT) | instid1(VALU_DEP_1)
	v_div_fmas_f32 v1, v1, v2, v7
	v_div_fixup_f32 v1, v1, v4, v3
	s_delay_alu instid0(VALU_DEP_1) | instskip(NEXT) | instid1(VALU_DEP_1)
	v_fma_f32 v2, v3, v1, v4
	v_div_scale_f32 v7, null, v2, v2, 1.0
	v_div_scale_f32 v10, vcc_lo, 1.0, v2, 1.0
	s_delay_alu instid0(VALU_DEP_2) | instskip(SKIP_2) | instid1(VALU_DEP_1)
	v_rcp_f32_e32 v8, v7
	s_waitcnt_depctr 0xfff
	v_fma_f32 v9, -v7, v8, 1.0
	v_fmac_f32_e32 v8, v9, v8
	s_delay_alu instid0(VALU_DEP_1) | instskip(NEXT) | instid1(VALU_DEP_1)
	v_mul_f32_e32 v9, v10, v8
	v_fma_f32 v11, -v7, v9, v10
	s_delay_alu instid0(VALU_DEP_1) | instskip(NEXT) | instid1(VALU_DEP_1)
	v_fmac_f32_e32 v9, v11, v8
	v_fma_f32 v7, -v7, v9, v10
	s_delay_alu instid0(VALU_DEP_1) | instskip(SKIP_1) | instid1(VALU_DEP_2)
	v_div_fmas_f32 v7, v7, v8, v9
	v_fma_f32 v8, v1, v5, v6
	v_div_fixup_f32 v2, v7, v2, 1.0
	v_fma_f32 v7, v1, v6, -v5
	s_delay_alu instid0(VALU_DEP_2) | instskip(NEXT) | instid1(VALU_DEP_2)
	v_mul_f32_e32 v1, v8, v2
	v_mul_f32_e32 v2, v7, v2
	s_cbranch_execz .LBB152_98
	s_branch .LBB152_99
.LBB152_97:                             ;   in Loop: Header=BB152_81 Depth=1
                                        ; implicit-def: $vgpr2
.LBB152_98:                             ;   in Loop: Header=BB152_81 Depth=1
	v_div_scale_f32 v1, null, v3, v3, v4
	v_div_scale_f32 v8, vcc_lo, v4, v3, v4
	s_delay_alu instid0(VALU_DEP_2) | instskip(SKIP_2) | instid1(VALU_DEP_1)
	v_rcp_f32_e32 v2, v1
	s_waitcnt_depctr 0xfff
	v_fma_f32 v7, -v1, v2, 1.0
	v_fmac_f32_e32 v2, v7, v2
	s_delay_alu instid0(VALU_DEP_1) | instskip(NEXT) | instid1(VALU_DEP_1)
	v_mul_f32_e32 v7, v8, v2
	v_fma_f32 v9, -v1, v7, v8
	s_delay_alu instid0(VALU_DEP_1) | instskip(NEXT) | instid1(VALU_DEP_1)
	v_fmac_f32_e32 v7, v9, v2
	v_fma_f32 v1, -v1, v7, v8
	s_delay_alu instid0(VALU_DEP_1) | instskip(NEXT) | instid1(VALU_DEP_1)
	v_div_fmas_f32 v1, v1, v2, v7
	v_div_fixup_f32 v1, v1, v3, v4
	s_delay_alu instid0(VALU_DEP_1) | instskip(NEXT) | instid1(VALU_DEP_1)
	v_fmac_f32_e32 v3, v4, v1
	v_div_scale_f32 v2, null, v3, v3, 1.0
	v_div_scale_f32 v8, vcc_lo, 1.0, v3, 1.0
	s_delay_alu instid0(VALU_DEP_2) | instskip(SKIP_2) | instid1(VALU_DEP_1)
	v_rcp_f32_e32 v4, v2
	s_waitcnt_depctr 0xfff
	v_fma_f32 v7, -v2, v4, 1.0
	v_fmac_f32_e32 v4, v7, v4
	s_delay_alu instid0(VALU_DEP_1) | instskip(NEXT) | instid1(VALU_DEP_1)
	v_mul_f32_e32 v7, v8, v4
	v_fma_f32 v9, -v2, v7, v8
	s_delay_alu instid0(VALU_DEP_1) | instskip(NEXT) | instid1(VALU_DEP_1)
	v_fmac_f32_e32 v7, v9, v4
	v_fma_f32 v2, -v2, v7, v8
	s_delay_alu instid0(VALU_DEP_1) | instskip(SKIP_1) | instid1(VALU_DEP_2)
	v_div_fmas_f32 v2, v2, v4, v7
	v_fma_f32 v4, v1, v6, v5
	v_div_fixup_f32 v2, v2, v3, 1.0
	v_fma_f32 v3, -v1, v5, v6
	s_delay_alu instid0(VALU_DEP_2) | instskip(NEXT) | instid1(VALU_DEP_2)
	v_mul_f32_e32 v1, v4, v2
	v_mul_f32_e32 v2, v3, v2
.LBB152_99:                             ;   in Loop: Header=BB152_81 Depth=1
	s_add_i32 s9, s5, -4
	s_sub_i32 s4, s4, 32
	s_cmp_lt_i32 s5, 7
	ds_store_b64 v15, v[1:2]
	s_cbranch_scc1 .LBB152_101
; %bb.100:                              ;   in Loop: Header=BB152_81 Depth=1
	s_mov_b32 s5, s9
	s_branch .LBB152_81
.LBB152_101:
	s_cmp_lt_i32 s9, 0
	s_cbranch_scc1 .LBB152_110
; %bb.102:
	s_lshl_b32 s4, s11, 7
	s_lshl_b32 s5, s9, 3
	v_lshl_or_b32 v1, v0, 3, s4
	v_lshlrev_b32_e32 v8, 3, v0
	s_add_i32 s4, s4, s5
	s_delay_alu instid0(SALU_CYCLE_1) | instskip(NEXT) | instid1(VALU_DEP_2)
	s_addk_i32 s4, 0xff80
	v_add_nc_u32_e32 v7, 0x780, v1
	s_branch .LBB152_104
.LBB152_103:                            ;   in Loop: Header=BB152_104 Depth=1
	s_add_i32 s5, s9, -1
	s_add_i32 s4, s4, -8
	s_cmp_lt_i32 s9, 1
	s_mov_b32 s9, s5
	ds_store_b64 v9, v[5:6]
	s_cbranch_scc1 .LBB152_110
.LBB152_104:                            ; =>This Loop Header: Depth=1
                                        ;     Child Loop BB152_105 Depth 2
	v_lshl_or_b32 v3, s9, 7, v8
	s_delay_alu instid0(VALU_DEP_2)
	v_mov_b32_e32 v4, v7
	s_cmp_le_i32 s30, s9
	s_mov_b32 s5, s4
	s_mov_b32 s10, s30
	ds_load_b64 v[1:2], v3 offset:2048
	s_cbranch_scc1 .LBB152_106
	.p2align	6
.LBB152_105:                            ;   Parent Loop BB152_104 Depth=1
                                        ; =>  This Inner Loop Header: Depth=2
	v_mov_b32_e32 v9, s5
	s_add_i32 s10, s10, -1
	s_addk_i32 s5, 0xff80
	s_cmp_le_i32 s10, s9
	ds_load_b64 v[5:6], v4
	ds_load_b64 v[9:10], v9
	s_waitcnt lgkmcnt(0)
	v_dual_mul_f32 v11, v10, v6 :: v_dual_add_nc_u32 v4, 0xffffff80, v4
	v_mul_f32_e32 v6, v9, v6
	s_delay_alu instid0(VALU_DEP_2) | instskip(NEXT) | instid1(VALU_DEP_2)
	v_fma_f32 v9, v9, v5, -v11
	v_fmac_f32_e32 v6, v10, v5
	s_delay_alu instid0(VALU_DEP_1)
	v_dual_sub_f32 v1, v1, v9 :: v_dual_sub_f32 v2, v2, v6
	s_cbranch_scc0 .LBB152_105
.LBB152_106:                            ;   in Loop: Header=BB152_104 Depth=1
	s_mul_i32 s5, s9, 0x88
	v_add_nc_u32_e32 v9, 0x800, v3
	v_mov_b32_e32 v3, s5
	ds_load_b64 v[3:4], v3
	s_waitcnt lgkmcnt(0)
	v_cmp_gt_f32_e32 vcc_lo, 0, v3
	v_cndmask_b32_e64 v5, v3, -v3, vcc_lo
	v_cmp_gt_f32_e32 vcc_lo, 0, v4
	v_cndmask_b32_e64 v6, v4, -v4, vcc_lo
	s_delay_alu instid0(VALU_DEP_1)
	v_cmp_ngt_f32_e32 vcc_lo, v5, v6
	s_cbranch_vccz .LBB152_108
; %bb.107:                              ;   in Loop: Header=BB152_104 Depth=1
	v_div_scale_f32 v5, null, v4, v4, v3
	v_div_scale_f32 v11, vcc_lo, v3, v4, v3
	s_delay_alu instid0(VALU_DEP_2) | instskip(SKIP_2) | instid1(VALU_DEP_1)
	v_rcp_f32_e32 v6, v5
	s_waitcnt_depctr 0xfff
	v_fma_f32 v10, -v5, v6, 1.0
	v_fmac_f32_e32 v6, v10, v6
	s_delay_alu instid0(VALU_DEP_1) | instskip(NEXT) | instid1(VALU_DEP_1)
	v_mul_f32_e32 v10, v11, v6
	v_fma_f32 v12, -v5, v10, v11
	s_delay_alu instid0(VALU_DEP_1) | instskip(NEXT) | instid1(VALU_DEP_1)
	v_fmac_f32_e32 v10, v12, v6
	v_fma_f32 v5, -v5, v10, v11
	s_delay_alu instid0(VALU_DEP_1) | instskip(NEXT) | instid1(VALU_DEP_1)
	v_div_fmas_f32 v5, v5, v6, v10
	v_div_fixup_f32 v5, v5, v4, v3
	s_delay_alu instid0(VALU_DEP_1) | instskip(NEXT) | instid1(VALU_DEP_1)
	v_fma_f32 v6, v3, v5, v4
	v_div_scale_f32 v10, null, v6, v6, 1.0
	v_div_scale_f32 v13, vcc_lo, 1.0, v6, 1.0
	s_delay_alu instid0(VALU_DEP_2) | instskip(SKIP_2) | instid1(VALU_DEP_1)
	v_rcp_f32_e32 v11, v10
	s_waitcnt_depctr 0xfff
	v_fma_f32 v12, -v10, v11, 1.0
	v_fmac_f32_e32 v11, v12, v11
	s_delay_alu instid0(VALU_DEP_1) | instskip(NEXT) | instid1(VALU_DEP_1)
	v_mul_f32_e32 v12, v13, v11
	v_fma_f32 v14, -v10, v12, v13
	s_delay_alu instid0(VALU_DEP_1) | instskip(NEXT) | instid1(VALU_DEP_1)
	v_fmac_f32_e32 v12, v14, v11
	v_fma_f32 v10, -v10, v12, v13
	s_delay_alu instid0(VALU_DEP_1) | instskip(SKIP_1) | instid1(VALU_DEP_2)
	v_div_fmas_f32 v10, v10, v11, v12
	v_fma_f32 v11, v1, v5, v2
	v_div_fixup_f32 v6, v10, v6, 1.0
	v_fma_f32 v10, v2, v5, -v1
	s_delay_alu instid0(VALU_DEP_2) | instskip(NEXT) | instid1(VALU_DEP_2)
	v_mul_f32_e32 v5, v11, v6
	v_mul_f32_e32 v6, v10, v6
	s_cbranch_execnz .LBB152_103
	s_branch .LBB152_109
.LBB152_108:                            ;   in Loop: Header=BB152_104 Depth=1
                                        ; implicit-def: $vgpr5
.LBB152_109:                            ;   in Loop: Header=BB152_104 Depth=1
	v_div_scale_f32 v5, null, v3, v3, v4
	v_div_scale_f32 v11, vcc_lo, v4, v3, v4
	s_delay_alu instid0(VALU_DEP_2) | instskip(SKIP_2) | instid1(VALU_DEP_1)
	v_rcp_f32_e32 v6, v5
	s_waitcnt_depctr 0xfff
	v_fma_f32 v10, -v5, v6, 1.0
	v_fmac_f32_e32 v6, v10, v6
	s_delay_alu instid0(VALU_DEP_1) | instskip(NEXT) | instid1(VALU_DEP_1)
	v_mul_f32_e32 v10, v11, v6
	v_fma_f32 v12, -v5, v10, v11
	s_delay_alu instid0(VALU_DEP_1) | instskip(NEXT) | instid1(VALU_DEP_1)
	v_fmac_f32_e32 v10, v12, v6
	v_fma_f32 v5, -v5, v10, v11
	s_delay_alu instid0(VALU_DEP_1) | instskip(NEXT) | instid1(VALU_DEP_1)
	v_div_fmas_f32 v5, v5, v6, v10
	v_div_fixup_f32 v5, v5, v3, v4
	s_delay_alu instid0(VALU_DEP_1) | instskip(NEXT) | instid1(VALU_DEP_1)
	v_fmac_f32_e32 v3, v4, v5
	v_div_scale_f32 v4, null, v3, v3, 1.0
	v_div_scale_f32 v11, vcc_lo, 1.0, v3, 1.0
	s_delay_alu instid0(VALU_DEP_2) | instskip(SKIP_2) | instid1(VALU_DEP_1)
	v_rcp_f32_e32 v6, v4
	s_waitcnt_depctr 0xfff
	v_fma_f32 v10, -v4, v6, 1.0
	v_fmac_f32_e32 v6, v10, v6
	s_delay_alu instid0(VALU_DEP_1) | instskip(NEXT) | instid1(VALU_DEP_1)
	v_mul_f32_e32 v10, v11, v6
	v_fma_f32 v12, -v4, v10, v11
	s_delay_alu instid0(VALU_DEP_1) | instskip(NEXT) | instid1(VALU_DEP_1)
	v_fmac_f32_e32 v10, v12, v6
	v_fma_f32 v4, -v4, v10, v11
	s_delay_alu instid0(VALU_DEP_1) | instskip(SKIP_2) | instid1(VALU_DEP_3)
	v_div_fmas_f32 v4, v4, v6, v10
	v_fma_f32 v6, v2, v5, v1
	v_fma_f32 v1, -v1, v5, v2
	v_div_fixup_f32 v3, v4, v3, 1.0
	s_delay_alu instid0(VALU_DEP_1) | instskip(NEXT) | instid1(VALU_DEP_3)
	v_mul_f32_e32 v5, v6, v3
	v_mul_f32_e32 v6, v1, v3
	s_branch .LBB152_103
.LBB152_110:
	s_mov_b32 s4, 0
.LBB152_111:
	s_delay_alu instid0(SALU_CYCLE_1)
	s_and_not1_b32 vcc_lo, exec_lo, s4
	s_cbranch_vccnz .LBB152_143
; %bb.112:
	s_and_not1_b32 vcc_lo, exec_lo, s1
	s_mov_b32 s5, s30
	s_cbranch_vccnz .LBB152_134
; %bb.113:
	v_lshlrev_b32_e32 v13, 3, v0
	s_mul_i32 s1, s11, 0x88
	s_mov_b32 s4, s30
	s_addk_i32 s1, 0xfdf0
	s_delay_alu instid0(VALU_DEP_1) | instskip(NEXT) | instid1(VALU_DEP_1)
	v_lshl_or_b32 v1, s11, 7, v13
	v_add_nc_u32_e32 v14, 0x700, v1
.LBB152_114:                            ; =>This Loop Header: Depth=1
                                        ;     Child Loop BB152_115 Depth 2
	s_lshl_b32 s5, s4, 4
	s_add_i32 s9, s4, -1
	v_or_b32_e32 v1, s5, v0
	s_sub_i32 s10, s5, 32
	s_sub_i32 s5, s5, 48
	v_or_b32_e32 v2, s10, v0
	v_or_b32_e32 v5, s5, v0
	v_lshlrev_b32_e32 v3, 3, v1
	v_lshl_or_b32 v4, s9, 7, v13
	v_mov_b32_e32 v15, v14
	v_lshlrev_b32_e32 v9, 3, v2
	v_lshlrev_b32_e32 v10, 3, v5
	ds_load_b64 v[1:2], v3 offset:2048
	ds_load_b64 v[11:12], v4 offset:2048
	;; [unrolled: 1-line block ×4, first 2 shown]
	s_cmp_le_i32 s30, s4
	s_mov_b32 s14, s1
	s_mov_b32 s15, s30
	s_cbranch_scc1 .LBB152_116
.LBB152_115:                            ;   Parent Loop BB152_114 Depth=1
                                        ; =>  This Inner Loop Header: Depth=2
	v_mov_b32_e32 v32, s14
	ds_load_2addr_b64 v[16:19], v15 offset1:16
	v_add_nc_u32_e32 v15, 0xffffff00, v15
	s_add_i32 s15, s15, -2
	s_add_i32 s14, s14, -16
	ds_load_2addr_b64 v[20:23], v32 offset0:48 offset1:49
	ds_load_2addr_b64 v[24:27], v32 offset0:32 offset1:33
	;; [unrolled: 1-line block ×3, first 2 shown]
	ds_load_2addr_b64 v[32:35], v32 offset1:1
	s_cmp_le_i32 s15, s4
	s_waitcnt lgkmcnt(3)
	v_dual_mul_f32 v37, v22, v19 :: v_dual_mul_f32 v42, v20, v17
	s_waitcnt lgkmcnt(2)
	v_dual_mul_f32 v38, v27, v19 :: v_dual_mul_f32 v43, v25, v17
	s_waitcnt lgkmcnt(1)
	v_dual_mul_f32 v27, v27, v18 :: v_dual_mul_f32 v44, v29, v17
	s_waitcnt lgkmcnt(0)
	v_dual_mul_f32 v40, v35, v19 :: v_dual_mul_f32 v25, v25, v16
	v_dual_mul_f32 v36, v23, v19 :: v_dual_mul_f32 v41, v21, v17
	s_delay_alu instid0(VALU_DEP_3) | instskip(SKIP_1) | instid1(VALU_DEP_4)
	v_fmac_f32_e32 v27, v26, v19
	v_mul_f32_e32 v35, v35, v18
	v_fmac_f32_e32 v25, v24, v17
	v_dual_mul_f32 v39, v31, v19 :: v_dual_fmac_f32 v42, v21, v16
	s_delay_alu instid0(VALU_DEP_4) | instskip(SKIP_2) | instid1(VALU_DEP_4)
	v_dual_sub_f32 v12, v12, v27 :: v_dual_fmac_f32 v37, v23, v18
	v_fma_f32 v22, v22, v18, -v36
	v_fma_f32 v23, v26, v18, -v38
	;; [unrolled: 1-line block ×3, first 2 shown]
	s_delay_alu instid0(VALU_DEP_4) | instskip(SKIP_4) | instid1(VALU_DEP_4)
	v_dual_sub_f32 v12, v12, v25 :: v_dual_mul_f32 v31, v31, v18
	v_sub_f32_e32 v2, v2, v37
	v_fma_f32 v18, v34, v18, -v40
	v_fmac_f32_e32 v35, v34, v19
	v_mul_f32_e32 v45, v33, v17
	v_dual_mul_f32 v33, v33, v16 :: v_dual_sub_f32 v2, v2, v42
	v_fmac_f32_e32 v31, v30, v19
	v_mul_f32_e32 v29, v29, v16
	v_fma_f32 v19, v20, v16, -v41
	v_fma_f32 v20, v24, v16, -v43
	;; [unrolled: 1-line block ×3, first 2 shown]
	v_sub_f32_e32 v8, v8, v31
	v_fmac_f32_e32 v29, v28, v17
	v_fmac_f32_e32 v33, v32, v17
	v_sub_f32_e32 v11, v11, v23
	v_sub_f32_e32 v7, v7, v26
	v_dual_sub_f32 v5, v5, v18 :: v_dual_sub_f32 v6, v6, v35
	v_fma_f32 v16, v32, v16, -v45
	v_sub_f32_e32 v1, v1, v22
	v_sub_f32_e32 v11, v11, v20
	;; [unrolled: 1-line block ×4, first 2 shown]
	s_delay_alu instid0(VALU_DEP_4)
	v_dual_sub_f32 v8, v8, v29 :: v_dual_sub_f32 v1, v1, v19
	v_sub_f32_e32 v5, v5, v16
	s_cbranch_scc0 .LBB152_115
.LBB152_116:                            ;   in Loop: Header=BB152_114 Depth=1
	s_mul_i32 s14, s4, 0x88
	s_delay_alu instid0(SALU_CYCLE_1)
	v_dual_mov_b32 v3, s14 :: v_dual_add_nc_u32 v18, 0x800, v3
	v_add_nc_u32_e32 v17, 0x800, v4
	v_add_nc_u32_e32 v16, 0x800, v9
	;; [unrolled: 1-line block ×3, first 2 shown]
	ds_load_b64 v[3:4], v3
	s_waitcnt lgkmcnt(0)
	v_cmp_gt_f32_e32 vcc_lo, 0, v3
	v_cndmask_b32_e64 v9, v3, -v3, vcc_lo
	v_cmp_gt_f32_e32 vcc_lo, 0, v4
	v_cndmask_b32_e64 v10, v4, -v4, vcc_lo
	s_delay_alu instid0(VALU_DEP_1)
	v_cmp_ngt_f32_e32 vcc_lo, v9, v10
	s_cbranch_vccz .LBB152_118
; %bb.117:                              ;   in Loop: Header=BB152_114 Depth=1
	v_div_scale_f32 v9, null, v4, v4, v3
	v_div_scale_f32 v20, vcc_lo, v3, v4, v3
	s_delay_alu instid0(VALU_DEP_2) | instskip(SKIP_2) | instid1(VALU_DEP_1)
	v_rcp_f32_e32 v10, v9
	s_waitcnt_depctr 0xfff
	v_fma_f32 v19, -v9, v10, 1.0
	v_fmac_f32_e32 v10, v19, v10
	s_delay_alu instid0(VALU_DEP_1) | instskip(NEXT) | instid1(VALU_DEP_1)
	v_mul_f32_e32 v19, v20, v10
	v_fma_f32 v21, -v9, v19, v20
	s_delay_alu instid0(VALU_DEP_1) | instskip(NEXT) | instid1(VALU_DEP_1)
	v_fmac_f32_e32 v19, v21, v10
	v_fma_f32 v9, -v9, v19, v20
	s_delay_alu instid0(VALU_DEP_1) | instskip(NEXT) | instid1(VALU_DEP_1)
	v_div_fmas_f32 v9, v9, v10, v19
	v_div_fixup_f32 v9, v9, v4, v3
	s_delay_alu instid0(VALU_DEP_1) | instskip(NEXT) | instid1(VALU_DEP_1)
	v_fma_f32 v10, v3, v9, v4
	v_div_scale_f32 v19, null, v10, v10, 1.0
	v_div_scale_f32 v22, vcc_lo, 1.0, v10, 1.0
	s_delay_alu instid0(VALU_DEP_2) | instskip(SKIP_2) | instid1(VALU_DEP_1)
	v_rcp_f32_e32 v20, v19
	s_waitcnt_depctr 0xfff
	v_fma_f32 v21, -v19, v20, 1.0
	v_fmac_f32_e32 v20, v21, v20
	s_delay_alu instid0(VALU_DEP_1) | instskip(NEXT) | instid1(VALU_DEP_1)
	v_mul_f32_e32 v21, v22, v20
	v_fma_f32 v23, -v19, v21, v22
	s_delay_alu instid0(VALU_DEP_1) | instskip(NEXT) | instid1(VALU_DEP_1)
	v_fmac_f32_e32 v21, v23, v20
	v_fma_f32 v19, -v19, v21, v22
	s_delay_alu instid0(VALU_DEP_1) | instskip(SKIP_1) | instid1(VALU_DEP_2)
	v_div_fmas_f32 v19, v19, v20, v21
	v_fma_f32 v20, v1, v9, v2
	v_div_fixup_f32 v10, v19, v10, 1.0
	v_fma_f32 v19, v2, v9, -v1
	s_delay_alu instid0(VALU_DEP_2) | instskip(NEXT) | instid1(VALU_DEP_2)
	v_mul_f32_e32 v9, v20, v10
	v_mul_f32_e32 v10, v19, v10
	s_cbranch_execz .LBB152_119
	s_branch .LBB152_120
.LBB152_118:                            ;   in Loop: Header=BB152_114 Depth=1
                                        ; implicit-def: $vgpr10
.LBB152_119:                            ;   in Loop: Header=BB152_114 Depth=1
	v_div_scale_f32 v9, null, v3, v3, v4
	v_div_scale_f32 v20, vcc_lo, v4, v3, v4
	s_delay_alu instid0(VALU_DEP_2) | instskip(SKIP_2) | instid1(VALU_DEP_1)
	v_rcp_f32_e32 v10, v9
	s_waitcnt_depctr 0xfff
	v_fma_f32 v19, -v9, v10, 1.0
	v_fmac_f32_e32 v10, v19, v10
	s_delay_alu instid0(VALU_DEP_1) | instskip(NEXT) | instid1(VALU_DEP_1)
	v_mul_f32_e32 v19, v20, v10
	v_fma_f32 v21, -v9, v19, v20
	s_delay_alu instid0(VALU_DEP_1) | instskip(NEXT) | instid1(VALU_DEP_1)
	v_fmac_f32_e32 v19, v21, v10
	v_fma_f32 v9, -v9, v19, v20
	s_delay_alu instid0(VALU_DEP_1) | instskip(NEXT) | instid1(VALU_DEP_1)
	v_div_fmas_f32 v9, v9, v10, v19
	v_div_fixup_f32 v9, v9, v3, v4
	s_delay_alu instid0(VALU_DEP_1) | instskip(NEXT) | instid1(VALU_DEP_1)
	v_fmac_f32_e32 v3, v4, v9
	v_div_scale_f32 v4, null, v3, v3, 1.0
	v_div_scale_f32 v20, vcc_lo, 1.0, v3, 1.0
	s_delay_alu instid0(VALU_DEP_2) | instskip(SKIP_2) | instid1(VALU_DEP_1)
	v_rcp_f32_e32 v10, v4
	s_waitcnt_depctr 0xfff
	v_fma_f32 v19, -v4, v10, 1.0
	v_fmac_f32_e32 v10, v19, v10
	s_delay_alu instid0(VALU_DEP_1) | instskip(NEXT) | instid1(VALU_DEP_1)
	v_mul_f32_e32 v19, v20, v10
	v_fma_f32 v21, -v4, v19, v20
	s_delay_alu instid0(VALU_DEP_1) | instskip(NEXT) | instid1(VALU_DEP_1)
	v_fmac_f32_e32 v19, v21, v10
	v_fma_f32 v4, -v4, v19, v20
	s_delay_alu instid0(VALU_DEP_1) | instskip(SKIP_2) | instid1(VALU_DEP_3)
	v_div_fmas_f32 v4, v4, v10, v19
	v_fma_f32 v10, v2, v9, v1
	v_fma_f32 v1, -v1, v9, v2
	v_div_fixup_f32 v3, v4, v3, 1.0
	s_delay_alu instid0(VALU_DEP_1) | instskip(NEXT) | instid1(VALU_DEP_3)
	v_mul_f32_e32 v9, v10, v3
	v_mul_f32_e32 v10, v1, v3
.LBB152_120:                            ;   in Loop: Header=BB152_114 Depth=1
	s_addk_i32 s14, 0xff78
	ds_store_b64 v18, v[9:10]
	v_mov_b32_e32 v1, s14
	ds_load_2addr_b64 v[1:4], v1 offset1:1
	s_waitcnt lgkmcnt(0)
	v_cmp_gt_f32_e32 vcc_lo, 0, v1
	v_mul_f32_e32 v19, v10, v4
	v_mul_f32_e32 v4, v9, v4
	v_cndmask_b32_e64 v20, v1, -v1, vcc_lo
	v_cmp_gt_f32_e32 vcc_lo, 0, v2
	s_delay_alu instid0(VALU_DEP_4) | instskip(NEXT) | instid1(VALU_DEP_4)
	v_fma_f32 v19, v9, v3, -v19
	v_fmac_f32_e32 v4, v10, v3
	v_cndmask_b32_e64 v21, v2, -v2, vcc_lo
	s_delay_alu instid0(VALU_DEP_2) | instskip(NEXT) | instid1(VALU_DEP_2)
	v_dual_sub_f32 v3, v11, v19 :: v_dual_sub_f32 v4, v12, v4
	v_cmp_ngt_f32_e32 vcc_lo, v20, v21
	s_cbranch_vccz .LBB152_122
; %bb.121:                              ;   in Loop: Header=BB152_114 Depth=1
	v_div_scale_f32 v11, null, v2, v2, v1
	v_div_scale_f32 v19, vcc_lo, v1, v2, v1
	s_delay_alu instid0(VALU_DEP_2) | instskip(SKIP_2) | instid1(VALU_DEP_1)
	v_rcp_f32_e32 v12, v11
	s_waitcnt_depctr 0xfff
	v_fma_f32 v18, -v11, v12, 1.0
	v_fmac_f32_e32 v12, v18, v12
	s_delay_alu instid0(VALU_DEP_1) | instskip(NEXT) | instid1(VALU_DEP_1)
	v_mul_f32_e32 v18, v19, v12
	v_fma_f32 v20, -v11, v18, v19
	s_delay_alu instid0(VALU_DEP_1) | instskip(NEXT) | instid1(VALU_DEP_1)
	v_fmac_f32_e32 v18, v20, v12
	v_fma_f32 v11, -v11, v18, v19
	s_delay_alu instid0(VALU_DEP_1) | instskip(NEXT) | instid1(VALU_DEP_1)
	v_div_fmas_f32 v11, v11, v12, v18
	v_div_fixup_f32 v11, v11, v2, v1
	s_delay_alu instid0(VALU_DEP_1) | instskip(NEXT) | instid1(VALU_DEP_1)
	v_fma_f32 v12, v1, v11, v2
	v_div_scale_f32 v18, null, v12, v12, 1.0
	v_div_scale_f32 v21, vcc_lo, 1.0, v12, 1.0
	s_delay_alu instid0(VALU_DEP_2) | instskip(SKIP_2) | instid1(VALU_DEP_1)
	v_rcp_f32_e32 v19, v18
	s_waitcnt_depctr 0xfff
	v_fma_f32 v20, -v18, v19, 1.0
	v_fmac_f32_e32 v19, v20, v19
	s_delay_alu instid0(VALU_DEP_1) | instskip(NEXT) | instid1(VALU_DEP_1)
	v_mul_f32_e32 v20, v21, v19
	v_fma_f32 v22, -v18, v20, v21
	s_delay_alu instid0(VALU_DEP_1) | instskip(NEXT) | instid1(VALU_DEP_1)
	v_fmac_f32_e32 v20, v22, v19
	v_fma_f32 v18, -v18, v20, v21
	s_delay_alu instid0(VALU_DEP_1) | instskip(SKIP_1) | instid1(VALU_DEP_2)
	v_div_fmas_f32 v18, v18, v19, v20
	v_fma_f32 v19, v11, v3, v4
	v_div_fixup_f32 v12, v18, v12, 1.0
	v_fma_f32 v18, v11, v4, -v3
	s_delay_alu instid0(VALU_DEP_2) | instskip(NEXT) | instid1(VALU_DEP_2)
	v_mul_f32_e32 v11, v19, v12
	v_mul_f32_e32 v12, v18, v12
	s_cbranch_execz .LBB152_123
	s_branch .LBB152_124
.LBB152_122:                            ;   in Loop: Header=BB152_114 Depth=1
                                        ; implicit-def: $vgpr12
.LBB152_123:                            ;   in Loop: Header=BB152_114 Depth=1
	v_div_scale_f32 v11, null, v1, v1, v2
	v_div_scale_f32 v19, vcc_lo, v2, v1, v2
	s_delay_alu instid0(VALU_DEP_2) | instskip(SKIP_2) | instid1(VALU_DEP_1)
	v_rcp_f32_e32 v12, v11
	s_waitcnt_depctr 0xfff
	v_fma_f32 v18, -v11, v12, 1.0
	v_fmac_f32_e32 v12, v18, v12
	s_delay_alu instid0(VALU_DEP_1) | instskip(NEXT) | instid1(VALU_DEP_1)
	v_mul_f32_e32 v18, v19, v12
	v_fma_f32 v20, -v11, v18, v19
	s_delay_alu instid0(VALU_DEP_1) | instskip(NEXT) | instid1(VALU_DEP_1)
	v_fmac_f32_e32 v18, v20, v12
	v_fma_f32 v11, -v11, v18, v19
	s_delay_alu instid0(VALU_DEP_1) | instskip(NEXT) | instid1(VALU_DEP_1)
	v_div_fmas_f32 v11, v11, v12, v18
	v_div_fixup_f32 v11, v11, v1, v2
	s_delay_alu instid0(VALU_DEP_1) | instskip(NEXT) | instid1(VALU_DEP_1)
	v_fmac_f32_e32 v1, v2, v11
	v_div_scale_f32 v2, null, v1, v1, 1.0
	v_div_scale_f32 v19, vcc_lo, 1.0, v1, 1.0
	s_delay_alu instid0(VALU_DEP_2) | instskip(SKIP_2) | instid1(VALU_DEP_1)
	v_rcp_f32_e32 v12, v2
	s_waitcnt_depctr 0xfff
	v_fma_f32 v18, -v2, v12, 1.0
	v_fmac_f32_e32 v12, v18, v12
	s_delay_alu instid0(VALU_DEP_1) | instskip(NEXT) | instid1(VALU_DEP_1)
	v_mul_f32_e32 v18, v19, v12
	v_fma_f32 v20, -v2, v18, v19
	s_delay_alu instid0(VALU_DEP_1) | instskip(NEXT) | instid1(VALU_DEP_1)
	v_fmac_f32_e32 v18, v20, v12
	v_fma_f32 v2, -v2, v18, v19
	s_delay_alu instid0(VALU_DEP_1) | instskip(SKIP_1) | instid1(VALU_DEP_2)
	v_div_fmas_f32 v2, v2, v12, v18
	v_fma_f32 v12, v11, v4, v3
	v_div_fixup_f32 v1, v2, v1, 1.0
	v_fma_f32 v2, -v11, v3, v4
	s_delay_alu instid0(VALU_DEP_2) | instskip(NEXT) | instid1(VALU_DEP_2)
	v_mul_f32_e32 v11, v12, v1
	v_mul_f32_e32 v12, v2, v1
.LBB152_124:                            ;   in Loop: Header=BB152_114 Depth=1
	s_add_i32 s10, s10, s4
	s_delay_alu instid0(SALU_CYCLE_1) | instskip(SKIP_1) | instid1(SALU_CYCLE_1)
	s_lshl_b32 s15, s10, 3
	s_add_i32 s10, s14, 0xffffff78
	v_dual_mov_b32 v1, s15 :: v_dual_mov_b32 v2, s10
	ds_load_b64 v[18:19], v1
	ds_load_2addr_b64 v[1:4], v2 offset1:1
	ds_store_b64 v17, v[11:12]
	s_waitcnt lgkmcnt(1)
	v_dual_mul_f32 v20, v10, v19 :: v_dual_mul_f32 v21, v12, v4
	v_cmp_gt_f32_e32 vcc_lo, 0, v1
	v_dual_mul_f32 v19, v9, v19 :: v_dual_mul_f32 v4, v11, v4
	s_delay_alu instid0(VALU_DEP_3) | instskip(NEXT) | instid1(VALU_DEP_4)
	v_fma_f32 v20, v9, v18, -v20
	v_fma_f32 v21, v11, v3, -v21
	v_cndmask_b32_e64 v22, v1, -v1, vcc_lo
	v_cmp_gt_f32_e32 vcc_lo, 0, v2
	v_dual_fmac_f32 v19, v10, v18 :: v_dual_fmac_f32 v4, v12, v3
	v_sub_f32_e32 v3, v7, v20
	v_cndmask_b32_e64 v18, v2, -v2, vcc_lo
	s_delay_alu instid0(VALU_DEP_3) | instskip(NEXT) | instid1(VALU_DEP_3)
	v_sub_f32_e32 v7, v8, v19
	v_sub_f32_e32 v3, v3, v21
	s_delay_alu instid0(VALU_DEP_3) | instskip(NEXT) | instid1(VALU_DEP_3)
	v_cmp_ngt_f32_e32 vcc_lo, v22, v18
	v_sub_f32_e32 v4, v7, v4
	s_cbranch_vccz .LBB152_126
; %bb.125:                              ;   in Loop: Header=BB152_114 Depth=1
	v_div_scale_f32 v7, null, v2, v2, v1
	v_div_scale_f32 v18, vcc_lo, v1, v2, v1
	s_delay_alu instid0(VALU_DEP_2) | instskip(SKIP_2) | instid1(VALU_DEP_1)
	v_rcp_f32_e32 v8, v7
	s_waitcnt_depctr 0xfff
	v_fma_f32 v17, -v7, v8, 1.0
	v_fmac_f32_e32 v8, v17, v8
	s_delay_alu instid0(VALU_DEP_1) | instskip(NEXT) | instid1(VALU_DEP_1)
	v_mul_f32_e32 v17, v18, v8
	v_fma_f32 v19, -v7, v17, v18
	s_delay_alu instid0(VALU_DEP_1) | instskip(NEXT) | instid1(VALU_DEP_1)
	v_fmac_f32_e32 v17, v19, v8
	v_fma_f32 v7, -v7, v17, v18
	s_delay_alu instid0(VALU_DEP_1) | instskip(NEXT) | instid1(VALU_DEP_1)
	v_div_fmas_f32 v7, v7, v8, v17
	v_div_fixup_f32 v7, v7, v2, v1
	s_delay_alu instid0(VALU_DEP_1) | instskip(NEXT) | instid1(VALU_DEP_1)
	v_fma_f32 v8, v1, v7, v2
	v_div_scale_f32 v17, null, v8, v8, 1.0
	v_div_scale_f32 v20, vcc_lo, 1.0, v8, 1.0
	s_delay_alu instid0(VALU_DEP_2) | instskip(SKIP_2) | instid1(VALU_DEP_1)
	v_rcp_f32_e32 v18, v17
	s_waitcnt_depctr 0xfff
	v_fma_f32 v19, -v17, v18, 1.0
	v_fmac_f32_e32 v18, v19, v18
	s_delay_alu instid0(VALU_DEP_1) | instskip(NEXT) | instid1(VALU_DEP_1)
	v_mul_f32_e32 v19, v20, v18
	v_fma_f32 v21, -v17, v19, v20
	s_delay_alu instid0(VALU_DEP_1) | instskip(NEXT) | instid1(VALU_DEP_1)
	v_fmac_f32_e32 v19, v21, v18
	v_fma_f32 v17, -v17, v19, v20
	s_delay_alu instid0(VALU_DEP_1) | instskip(SKIP_1) | instid1(VALU_DEP_2)
	v_div_fmas_f32 v17, v17, v18, v19
	v_fma_f32 v18, v7, v3, v4
	v_div_fixup_f32 v8, v17, v8, 1.0
	v_fma_f32 v17, v7, v4, -v3
	s_delay_alu instid0(VALU_DEP_2) | instskip(NEXT) | instid1(VALU_DEP_2)
	v_mul_f32_e32 v7, v18, v8
	v_mul_f32_e32 v8, v17, v8
	s_cbranch_execz .LBB152_127
	s_branch .LBB152_128
.LBB152_126:                            ;   in Loop: Header=BB152_114 Depth=1
                                        ; implicit-def: $vgpr8
.LBB152_127:                            ;   in Loop: Header=BB152_114 Depth=1
	v_div_scale_f32 v7, null, v1, v1, v2
	v_div_scale_f32 v18, vcc_lo, v2, v1, v2
	s_delay_alu instid0(VALU_DEP_2) | instskip(SKIP_2) | instid1(VALU_DEP_1)
	v_rcp_f32_e32 v8, v7
	s_waitcnt_depctr 0xfff
	v_fma_f32 v17, -v7, v8, 1.0
	v_fmac_f32_e32 v8, v17, v8
	s_delay_alu instid0(VALU_DEP_1) | instskip(NEXT) | instid1(VALU_DEP_1)
	v_mul_f32_e32 v17, v18, v8
	v_fma_f32 v19, -v7, v17, v18
	s_delay_alu instid0(VALU_DEP_1) | instskip(NEXT) | instid1(VALU_DEP_1)
	v_fmac_f32_e32 v17, v19, v8
	v_fma_f32 v7, -v7, v17, v18
	s_delay_alu instid0(VALU_DEP_1) | instskip(NEXT) | instid1(VALU_DEP_1)
	v_div_fmas_f32 v7, v7, v8, v17
	v_div_fixup_f32 v7, v7, v1, v2
	s_delay_alu instid0(VALU_DEP_1) | instskip(NEXT) | instid1(VALU_DEP_1)
	v_fmac_f32_e32 v1, v2, v7
	v_div_scale_f32 v2, null, v1, v1, 1.0
	v_div_scale_f32 v18, vcc_lo, 1.0, v1, 1.0
	s_delay_alu instid0(VALU_DEP_2) | instskip(SKIP_2) | instid1(VALU_DEP_1)
	v_rcp_f32_e32 v8, v2
	s_waitcnt_depctr 0xfff
	v_fma_f32 v17, -v2, v8, 1.0
	v_fmac_f32_e32 v8, v17, v8
	s_delay_alu instid0(VALU_DEP_1) | instskip(NEXT) | instid1(VALU_DEP_1)
	v_mul_f32_e32 v17, v18, v8
	v_fma_f32 v19, -v2, v17, v18
	s_delay_alu instid0(VALU_DEP_1) | instskip(NEXT) | instid1(VALU_DEP_1)
	v_fmac_f32_e32 v17, v19, v8
	v_fma_f32 v2, -v2, v17, v18
	s_delay_alu instid0(VALU_DEP_1) | instskip(SKIP_1) | instid1(VALU_DEP_2)
	v_div_fmas_f32 v2, v2, v8, v17
	v_fma_f32 v8, v7, v4, v3
	v_div_fixup_f32 v1, v2, v1, 1.0
	v_fma_f32 v2, -v7, v3, v4
	s_delay_alu instid0(VALU_DEP_2) | instskip(NEXT) | instid1(VALU_DEP_2)
	v_mul_f32_e32 v7, v8, v1
	v_mul_f32_e32 v8, v2, v1
.LBB152_128:                            ;   in Loop: Header=BB152_114 Depth=1
	s_add_i32 s5, s5, s9
	s_delay_alu instid0(SALU_CYCLE_1) | instskip(NEXT) | instid1(SALU_CYCLE_1)
	s_lshl_b32 s5, s5, 3
	v_mov_b32_e32 v1, s5
	s_add_i32 s5, s10, 0xffffff78
	s_delay_alu instid0(SALU_CYCLE_1)
	v_mov_b32_e32 v2, s5
	ds_load_2addr_b64 v[17:20], v1 offset1:1
	ds_load_2addr_b64 v[1:4], v2 offset1:1
	ds_store_b64 v16, v[7:8]
	s_waitcnt lgkmcnt(2)
	v_dual_mul_f32 v21, v10, v20 :: v_dual_mul_f32 v22, v12, v18
	v_mul_f32_e32 v20, v9, v20
	s_waitcnt lgkmcnt(1)
	v_dual_mul_f32 v18, v11, v18 :: v_dual_mul_f32 v23, v8, v4
	s_delay_alu instid0(VALU_DEP_3) | instskip(SKIP_3) | instid1(VALU_DEP_4)
	v_fma_f32 v9, v9, v19, -v21
	v_mul_f32_e32 v4, v7, v4
	v_fma_f32 v11, v11, v17, -v22
	v_cmp_gt_f32_e32 vcc_lo, 0, v1
	v_sub_f32_e32 v5, v5, v9
	v_fmac_f32_e32 v18, v12, v17
	v_fma_f32 v12, v7, v3, -v23
	v_fmac_f32_e32 v4, v8, v3
	s_delay_alu instid0(VALU_DEP_4) | instskip(SKIP_3) | instid1(VALU_DEP_4)
	v_sub_f32_e32 v3, v5, v11
	v_fmac_f32_e32 v20, v10, v19
	v_cndmask_b32_e64 v10, v1, -v1, vcc_lo
	v_cmp_gt_f32_e32 vcc_lo, 0, v2
	v_sub_f32_e32 v5, v3, v12
	s_delay_alu instid0(VALU_DEP_4) | instskip(SKIP_1) | instid1(VALU_DEP_2)
	v_sub_f32_e32 v6, v6, v20
	v_cndmask_b32_e64 v9, v2, -v2, vcc_lo
	v_sub_f32_e32 v6, v6, v18
	s_delay_alu instid0(VALU_DEP_2) | instskip(NEXT) | instid1(VALU_DEP_2)
	v_cmp_ngt_f32_e32 vcc_lo, v10, v9
	v_sub_f32_e32 v6, v6, v4
	s_cbranch_vccz .LBB152_130
; %bb.129:                              ;   in Loop: Header=BB152_114 Depth=1
	v_div_scale_f32 v3, null, v2, v2, v1
	v_div_scale_f32 v8, vcc_lo, v1, v2, v1
	s_delay_alu instid0(VALU_DEP_2) | instskip(SKIP_2) | instid1(VALU_DEP_1)
	v_rcp_f32_e32 v4, v3
	s_waitcnt_depctr 0xfff
	v_fma_f32 v7, -v3, v4, 1.0
	v_fmac_f32_e32 v4, v7, v4
	s_delay_alu instid0(VALU_DEP_1) | instskip(NEXT) | instid1(VALU_DEP_1)
	v_mul_f32_e32 v7, v8, v4
	v_fma_f32 v9, -v3, v7, v8
	s_delay_alu instid0(VALU_DEP_1) | instskip(NEXT) | instid1(VALU_DEP_1)
	v_fmac_f32_e32 v7, v9, v4
	v_fma_f32 v3, -v3, v7, v8
	s_delay_alu instid0(VALU_DEP_1) | instskip(NEXT) | instid1(VALU_DEP_1)
	v_div_fmas_f32 v3, v3, v4, v7
	v_div_fixup_f32 v3, v3, v2, v1
	s_delay_alu instid0(VALU_DEP_1) | instskip(NEXT) | instid1(VALU_DEP_1)
	v_fma_f32 v4, v1, v3, v2
	v_div_scale_f32 v7, null, v4, v4, 1.0
	v_div_scale_f32 v10, vcc_lo, 1.0, v4, 1.0
	s_delay_alu instid0(VALU_DEP_2) | instskip(SKIP_2) | instid1(VALU_DEP_1)
	v_rcp_f32_e32 v8, v7
	s_waitcnt_depctr 0xfff
	v_fma_f32 v9, -v7, v8, 1.0
	v_fmac_f32_e32 v8, v9, v8
	s_delay_alu instid0(VALU_DEP_1) | instskip(NEXT) | instid1(VALU_DEP_1)
	v_mul_f32_e32 v9, v10, v8
	v_fma_f32 v11, -v7, v9, v10
	s_delay_alu instid0(VALU_DEP_1) | instskip(NEXT) | instid1(VALU_DEP_1)
	v_fmac_f32_e32 v9, v11, v8
	v_fma_f32 v7, -v7, v9, v10
	s_delay_alu instid0(VALU_DEP_1) | instskip(SKIP_1) | instid1(VALU_DEP_2)
	v_div_fmas_f32 v7, v7, v8, v9
	v_fma_f32 v8, v3, v5, v6
	v_div_fixup_f32 v4, v7, v4, 1.0
	v_fma_f32 v7, v3, v6, -v5
	s_delay_alu instid0(VALU_DEP_2) | instskip(NEXT) | instid1(VALU_DEP_2)
	v_mul_f32_e32 v3, v8, v4
	v_mul_f32_e32 v4, v7, v4
	s_cbranch_execz .LBB152_131
	s_branch .LBB152_132
.LBB152_130:                            ;   in Loop: Header=BB152_114 Depth=1
                                        ; implicit-def: $vgpr4
.LBB152_131:                            ;   in Loop: Header=BB152_114 Depth=1
	v_div_scale_f32 v3, null, v1, v1, v2
	v_div_scale_f32 v8, vcc_lo, v2, v1, v2
	s_delay_alu instid0(VALU_DEP_2) | instskip(SKIP_2) | instid1(VALU_DEP_1)
	v_rcp_f32_e32 v4, v3
	s_waitcnt_depctr 0xfff
	v_fma_f32 v7, -v3, v4, 1.0
	v_fmac_f32_e32 v4, v7, v4
	s_delay_alu instid0(VALU_DEP_1) | instskip(NEXT) | instid1(VALU_DEP_1)
	v_mul_f32_e32 v7, v8, v4
	v_fma_f32 v9, -v3, v7, v8
	s_delay_alu instid0(VALU_DEP_1) | instskip(NEXT) | instid1(VALU_DEP_1)
	v_fmac_f32_e32 v7, v9, v4
	v_fma_f32 v3, -v3, v7, v8
	s_delay_alu instid0(VALU_DEP_1) | instskip(NEXT) | instid1(VALU_DEP_1)
	v_div_fmas_f32 v3, v3, v4, v7
	v_div_fixup_f32 v3, v3, v1, v2
	s_delay_alu instid0(VALU_DEP_1) | instskip(NEXT) | instid1(VALU_DEP_1)
	v_fmac_f32_e32 v1, v2, v3
	v_div_scale_f32 v2, null, v1, v1, 1.0
	v_div_scale_f32 v8, vcc_lo, 1.0, v1, 1.0
	s_delay_alu instid0(VALU_DEP_2) | instskip(SKIP_2) | instid1(VALU_DEP_1)
	v_rcp_f32_e32 v4, v2
	s_waitcnt_depctr 0xfff
	v_fma_f32 v7, -v2, v4, 1.0
	v_fmac_f32_e32 v4, v7, v4
	s_delay_alu instid0(VALU_DEP_1) | instskip(NEXT) | instid1(VALU_DEP_1)
	v_mul_f32_e32 v7, v8, v4
	v_fma_f32 v9, -v2, v7, v8
	s_delay_alu instid0(VALU_DEP_1) | instskip(NEXT) | instid1(VALU_DEP_1)
	v_fmac_f32_e32 v7, v9, v4
	v_fma_f32 v2, -v2, v7, v8
	s_delay_alu instid0(VALU_DEP_1) | instskip(SKIP_1) | instid1(VALU_DEP_2)
	v_div_fmas_f32 v2, v2, v4, v7
	v_fma_f32 v4, v3, v6, v5
	v_div_fixup_f32 v1, v2, v1, 1.0
	v_fma_f32 v2, -v3, v5, v6
	s_delay_alu instid0(VALU_DEP_2) | instskip(NEXT) | instid1(VALU_DEP_2)
	v_mul_f32_e32 v3, v4, v1
	v_mul_f32_e32 v4, v2, v1
.LBB152_132:                            ;   in Loop: Header=BB152_114 Depth=1
	s_add_i32 s5, s4, -4
	s_addk_i32 s1, 0xfe00
	s_cmp_lt_i32 s4, 7
	ds_store_b64 v15, v[3:4]
	s_cbranch_scc1 .LBB152_134
; %bb.133:                              ;   in Loop: Header=BB152_114 Depth=1
	s_mov_b32 s4, s5
	s_branch .LBB152_114
.LBB152_134:
	s_cmp_lt_i32 s5, 0
	s_cbranch_scc1 .LBB152_143
; %bb.135:
	v_lshlrev_b32_e32 v7, 3, v0
	s_lshl_b32 s1, s5, 7
	s_lshl_b32 s4, s11, 3
	s_delay_alu instid0(SALU_CYCLE_1) | instskip(NEXT) | instid1(VALU_DEP_1)
	s_add_i32 s1, s1, s4
	v_lshl_or_b32 v1, s11, 7, v7
	s_add_i32 s1, s1, -8
	s_delay_alu instid0(VALU_DEP_1)
	v_add_nc_u32_e32 v8, 0x780, v1
	s_branch .LBB152_137
.LBB152_136:                            ;   in Loop: Header=BB152_137 Depth=1
	s_add_i32 s4, s5, -1
	s_addk_i32 s1, 0xff80
	s_cmp_lt_i32 s5, 1
	s_mov_b32 s5, s4
	ds_store_b64 v9, v[5:6]
	s_cbranch_scc1 .LBB152_143
.LBB152_137:                            ; =>This Loop Header: Depth=1
                                        ;     Child Loop BB152_138 Depth 2
	v_lshl_or_b32 v3, s5, 7, v7
	s_delay_alu instid0(VALU_DEP_2)
	v_mov_b32_e32 v4, v8
	s_cmp_le_i32 s30, s5
	s_mov_b32 s4, s1
	s_mov_b32 s9, s30
	ds_load_b64 v[1:2], v3 offset:2048
	s_cbranch_scc1 .LBB152_139
	.p2align	6
.LBB152_138:                            ;   Parent Loop BB152_137 Depth=1
                                        ; =>  This Inner Loop Header: Depth=2
	v_mov_b32_e32 v9, s4
	s_add_i32 s9, s9, -1
	s_add_i32 s4, s4, -8
	s_cmp_le_i32 s9, s5
	ds_load_b64 v[5:6], v4
	ds_load_b64 v[9:10], v9
	s_waitcnt lgkmcnt(0)
	v_dual_mul_f32 v11, v10, v6 :: v_dual_add_nc_u32 v4, 0xffffff80, v4
	v_mul_f32_e32 v6, v9, v6
	s_delay_alu instid0(VALU_DEP_2) | instskip(NEXT) | instid1(VALU_DEP_2)
	v_fma_f32 v9, v9, v5, -v11
	v_fmac_f32_e32 v6, v10, v5
	s_delay_alu instid0(VALU_DEP_1)
	v_dual_sub_f32 v1, v1, v9 :: v_dual_sub_f32 v2, v2, v6
	s_cbranch_scc0 .LBB152_138
.LBB152_139:                            ;   in Loop: Header=BB152_137 Depth=1
	s_mul_i32 s4, s5, 0x88
	v_add_nc_u32_e32 v9, 0x800, v3
	v_mov_b32_e32 v3, s4
	ds_load_b64 v[3:4], v3
	s_waitcnt lgkmcnt(0)
	v_cmp_gt_f32_e32 vcc_lo, 0, v3
	v_cndmask_b32_e64 v5, v3, -v3, vcc_lo
	v_cmp_gt_f32_e32 vcc_lo, 0, v4
	v_cndmask_b32_e64 v6, v4, -v4, vcc_lo
	s_delay_alu instid0(VALU_DEP_1)
	v_cmp_ngt_f32_e32 vcc_lo, v5, v6
	s_cbranch_vccz .LBB152_141
; %bb.140:                              ;   in Loop: Header=BB152_137 Depth=1
	v_div_scale_f32 v5, null, v4, v4, v3
	v_div_scale_f32 v11, vcc_lo, v3, v4, v3
	s_delay_alu instid0(VALU_DEP_2) | instskip(SKIP_2) | instid1(VALU_DEP_1)
	v_rcp_f32_e32 v6, v5
	s_waitcnt_depctr 0xfff
	v_fma_f32 v10, -v5, v6, 1.0
	v_fmac_f32_e32 v6, v10, v6
	s_delay_alu instid0(VALU_DEP_1) | instskip(NEXT) | instid1(VALU_DEP_1)
	v_mul_f32_e32 v10, v11, v6
	v_fma_f32 v12, -v5, v10, v11
	s_delay_alu instid0(VALU_DEP_1) | instskip(NEXT) | instid1(VALU_DEP_1)
	v_fmac_f32_e32 v10, v12, v6
	v_fma_f32 v5, -v5, v10, v11
	s_delay_alu instid0(VALU_DEP_1) | instskip(NEXT) | instid1(VALU_DEP_1)
	v_div_fmas_f32 v5, v5, v6, v10
	v_div_fixup_f32 v5, v5, v4, v3
	s_delay_alu instid0(VALU_DEP_1) | instskip(NEXT) | instid1(VALU_DEP_1)
	v_fma_f32 v6, v3, v5, v4
	v_div_scale_f32 v10, null, v6, v6, 1.0
	v_div_scale_f32 v13, vcc_lo, 1.0, v6, 1.0
	s_delay_alu instid0(VALU_DEP_2) | instskip(SKIP_2) | instid1(VALU_DEP_1)
	v_rcp_f32_e32 v11, v10
	s_waitcnt_depctr 0xfff
	v_fma_f32 v12, -v10, v11, 1.0
	v_fmac_f32_e32 v11, v12, v11
	s_delay_alu instid0(VALU_DEP_1) | instskip(NEXT) | instid1(VALU_DEP_1)
	v_mul_f32_e32 v12, v13, v11
	v_fma_f32 v14, -v10, v12, v13
	s_delay_alu instid0(VALU_DEP_1) | instskip(NEXT) | instid1(VALU_DEP_1)
	v_fmac_f32_e32 v12, v14, v11
	v_fma_f32 v10, -v10, v12, v13
	s_delay_alu instid0(VALU_DEP_1) | instskip(SKIP_1) | instid1(VALU_DEP_2)
	v_div_fmas_f32 v10, v10, v11, v12
	v_fma_f32 v11, v1, v5, v2
	v_div_fixup_f32 v6, v10, v6, 1.0
	v_fma_f32 v10, v2, v5, -v1
	s_delay_alu instid0(VALU_DEP_2) | instskip(NEXT) | instid1(VALU_DEP_2)
	v_mul_f32_e32 v5, v11, v6
	v_mul_f32_e32 v6, v10, v6
	s_cbranch_execnz .LBB152_136
	s_branch .LBB152_142
.LBB152_141:                            ;   in Loop: Header=BB152_137 Depth=1
                                        ; implicit-def: $vgpr5
.LBB152_142:                            ;   in Loop: Header=BB152_137 Depth=1
	v_div_scale_f32 v5, null, v3, v3, v4
	v_div_scale_f32 v11, vcc_lo, v4, v3, v4
	s_delay_alu instid0(VALU_DEP_2) | instskip(SKIP_2) | instid1(VALU_DEP_1)
	v_rcp_f32_e32 v6, v5
	s_waitcnt_depctr 0xfff
	v_fma_f32 v10, -v5, v6, 1.0
	v_fmac_f32_e32 v6, v10, v6
	s_delay_alu instid0(VALU_DEP_1) | instskip(NEXT) | instid1(VALU_DEP_1)
	v_mul_f32_e32 v10, v11, v6
	v_fma_f32 v12, -v5, v10, v11
	s_delay_alu instid0(VALU_DEP_1) | instskip(NEXT) | instid1(VALU_DEP_1)
	v_fmac_f32_e32 v10, v12, v6
	v_fma_f32 v5, -v5, v10, v11
	s_delay_alu instid0(VALU_DEP_1) | instskip(NEXT) | instid1(VALU_DEP_1)
	v_div_fmas_f32 v5, v5, v6, v10
	v_div_fixup_f32 v5, v5, v3, v4
	s_delay_alu instid0(VALU_DEP_1) | instskip(NEXT) | instid1(VALU_DEP_1)
	v_fmac_f32_e32 v3, v4, v5
	v_div_scale_f32 v4, null, v3, v3, 1.0
	v_div_scale_f32 v11, vcc_lo, 1.0, v3, 1.0
	s_delay_alu instid0(VALU_DEP_2) | instskip(SKIP_2) | instid1(VALU_DEP_1)
	v_rcp_f32_e32 v6, v4
	s_waitcnt_depctr 0xfff
	v_fma_f32 v10, -v4, v6, 1.0
	v_fmac_f32_e32 v6, v10, v6
	s_delay_alu instid0(VALU_DEP_1) | instskip(NEXT) | instid1(VALU_DEP_1)
	v_mul_f32_e32 v10, v11, v6
	v_fma_f32 v12, -v4, v10, v11
	s_delay_alu instid0(VALU_DEP_1) | instskip(NEXT) | instid1(VALU_DEP_1)
	v_fmac_f32_e32 v10, v12, v6
	v_fma_f32 v4, -v4, v10, v11
	s_delay_alu instid0(VALU_DEP_1) | instskip(SKIP_2) | instid1(VALU_DEP_3)
	v_div_fmas_f32 v4, v4, v6, v10
	v_fma_f32 v6, v2, v5, v1
	v_fma_f32 v1, -v1, v5, v2
	v_div_fixup_f32 v3, v4, v3, 1.0
	s_delay_alu instid0(VALU_DEP_1) | instskip(NEXT) | instid1(VALU_DEP_3)
	v_mul_f32_e32 v5, v6, v3
	v_mul_f32_e32 v6, v1, v3
	s_branch .LBB152_136
.LBB152_143:
	s_mov_b32 s9, 0
.LBB152_144:
	s_delay_alu instid0(SALU_CYCLE_1)
	s_and_not1_b32 vcc_lo, exec_lo, s9
	s_cbranch_vccnz .LBB152_183
; %bb.145:
	s_cmp_lt_i32 s8, 4
	s_mov_b32 s5, 0
	s_cbranch_scc1 .LBB152_168
; %bb.146:
	v_lshl_or_b32 v13, v0, 3, 0x800
	s_mov_b32 s1, 0
	s_mov_b32 s4, 0
.LBB152_147:                            ; =>This Loop Header: Depth=1
                                        ;     Child Loop BB152_149 Depth 2
	s_delay_alu instid0(SALU_CYCLE_1) | instskip(NEXT) | instid1(SALU_CYCLE_1)
	s_lshl_b32 s5, s4, 4
	s_or_b32 s10, s5, 16
	v_or_b32_e32 v1, s5, v0
	s_or_b32 s9, s5, 32
	v_or_b32_e32 v2, s10, v0
	;; [unrolled: 2-line block ×3, first 2 shown]
	v_or_b32_e32 v6, s5, v0
	v_lshlrev_b32_e32 v3, 3, v1
	v_lshlrev_b32_e32 v4, 3, v2
	s_cmp_eq_u32 s4, 0
	v_lshlrev_b32_e32 v9, 3, v5
	v_lshlrev_b32_e32 v10, 3, v6
	ds_load_b64 v[1:2], v3 offset:2048
	ds_load_b64 v[11:12], v4 offset:2048
	;; [unrolled: 1-line block ×4, first 2 shown]
	s_cbranch_scc1 .LBB152_150
; %bb.148:                              ;   in Loop: Header=BB152_147 Depth=1
	v_mov_b32_e32 v14, v13
	s_mov_b32 s14, 0
	s_mov_b32 s15, s1
.LBB152_149:                            ;   Parent Loop BB152_147 Depth=1
                                        ; =>  This Inner Loop Header: Depth=2
	s_delay_alu instid0(SALU_CYCLE_1)
	v_mov_b32_e32 v31, s15
	ds_load_2addr_b64 v[15:18], v14 offset1:16
	v_add_nc_u32_e32 v14, 0x100, v14
	s_add_i32 s14, s14, 2
	s_add_i32 s15, s15, 16
	ds_load_b128 v[19:22], v31
	ds_load_b128 v[23:26], v31 offset:128
	ds_load_b128 v[27:30], v31 offset:256
	;; [unrolled: 1-line block ×3, first 2 shown]
	s_cmp_ge_u32 s14, s4
	s_waitcnt lgkmcnt(3)
	v_dual_mul_f32 v35, v20, v16 :: v_dual_mul_f32 v40, v22, v18
	v_dual_mul_f32 v36, v19, v16 :: v_dual_mul_f32 v41, v21, v18
	s_waitcnt lgkmcnt(2)
	v_dual_mul_f32 v37, v24, v16 :: v_dual_mul_f32 v42, v26, v18
	s_waitcnt lgkmcnt(1)
	v_dual_mul_f32 v24, v24, v15 :: v_dual_mul_f32 v43, v30, v18
	v_dual_mul_f32 v38, v28, v16 :: v_dual_fmac_f32 v41, v22, v17
	s_waitcnt lgkmcnt(0)
	v_dual_mul_f32 v39, v32, v16 :: v_dual_mul_f32 v26, v26, v17
	v_fma_f32 v19, v19, v15, -v35
	v_mul_f32_e32 v30, v30, v17
	v_fmac_f32_e32 v36, v20, v15
	v_fma_f32 v20, v23, v15, -v37
	v_mul_f32_e32 v28, v28, v15
	v_fmac_f32_e32 v24, v23, v16
	v_fma_f32 v23, v27, v15, -v38
	v_dual_mul_f32 v44, v34, v18 :: v_dual_sub_f32 v1, v1, v19
	v_mul_f32_e32 v32, v32, v15
	v_fma_f32 v15, v31, v15, -v39
	v_mul_f32_e32 v34, v34, v17
	v_fma_f32 v22, v29, v17, -v43
	v_sub_f32_e32 v11, v11, v20
	s_delay_alu instid0(VALU_DEP_4)
	v_dual_fmac_f32 v28, v27, v16 :: v_dual_sub_f32 v5, v5, v15
	v_fmac_f32_e32 v32, v31, v16
	v_fma_f32 v16, v21, v17, -v40
	v_fma_f32 v21, v25, v17, -v42
	v_sub_f32_e32 v7, v7, v23
	v_fma_f32 v17, v33, v17, -v44
	v_fmac_f32_e32 v26, v25, v18
	v_fmac_f32_e32 v30, v29, v18
	;; [unrolled: 1-line block ×3, first 2 shown]
	v_sub_f32_e32 v8, v8, v28
	v_dual_sub_f32 v6, v6, v32 :: v_dual_sub_f32 v11, v11, v21
	v_dual_sub_f32 v2, v2, v36 :: v_dual_sub_f32 v7, v7, v22
	;; [unrolled: 1-line block ×3, first 2 shown]
	s_delay_alu instid0(VALU_DEP_2) | instskip(SKIP_2) | instid1(VALU_DEP_4)
	v_dual_sub_f32 v1, v1, v16 :: v_dual_sub_f32 v2, v2, v41
	v_sub_f32_e32 v8, v8, v30
	v_sub_f32_e32 v6, v6, v34
	;; [unrolled: 1-line block ×3, first 2 shown]
	s_cbranch_scc0 .LBB152_149
.LBB152_150:                            ;   in Loop: Header=BB152_147 Depth=1
	s_mul_i32 s14, s4, 0x88
	v_add_nc_u32_e32 v17, 0x800, v3
	v_dual_mov_b32 v3, s14 :: v_dual_add_nc_u32 v16, 0x800, v4
	v_add_nc_u32_e32 v15, 0x800, v9
	v_add_nc_u32_e32 v14, 0x800, v10
	ds_load_b64 v[3:4], v3
	s_waitcnt lgkmcnt(0)
	v_cmp_gt_f32_e32 vcc_lo, 0, v3
	v_cndmask_b32_e64 v9, v3, -v3, vcc_lo
	v_cmp_gt_f32_e32 vcc_lo, 0, v4
	v_cndmask_b32_e64 v10, v4, -v4, vcc_lo
	s_delay_alu instid0(VALU_DEP_1)
	v_cmp_ngt_f32_e32 vcc_lo, v9, v10
	s_cbranch_vccz .LBB152_152
; %bb.151:                              ;   in Loop: Header=BB152_147 Depth=1
	v_div_scale_f32 v9, null, v4, v4, v3
	v_div_scale_f32 v19, vcc_lo, v3, v4, v3
	s_delay_alu instid0(VALU_DEP_2) | instskip(SKIP_2) | instid1(VALU_DEP_1)
	v_rcp_f32_e32 v10, v9
	s_waitcnt_depctr 0xfff
	v_fma_f32 v18, -v9, v10, 1.0
	v_fmac_f32_e32 v10, v18, v10
	s_delay_alu instid0(VALU_DEP_1) | instskip(NEXT) | instid1(VALU_DEP_1)
	v_mul_f32_e32 v18, v19, v10
	v_fma_f32 v20, -v9, v18, v19
	s_delay_alu instid0(VALU_DEP_1) | instskip(NEXT) | instid1(VALU_DEP_1)
	v_fmac_f32_e32 v18, v20, v10
	v_fma_f32 v9, -v9, v18, v19
	s_delay_alu instid0(VALU_DEP_1) | instskip(NEXT) | instid1(VALU_DEP_1)
	v_div_fmas_f32 v9, v9, v10, v18
	v_div_fixup_f32 v9, v9, v4, v3
	s_delay_alu instid0(VALU_DEP_1) | instskip(NEXT) | instid1(VALU_DEP_1)
	v_fma_f32 v10, v3, v9, v4
	v_div_scale_f32 v18, null, v10, v10, 1.0
	v_div_scale_f32 v21, vcc_lo, 1.0, v10, 1.0
	s_delay_alu instid0(VALU_DEP_2) | instskip(SKIP_2) | instid1(VALU_DEP_1)
	v_rcp_f32_e32 v19, v18
	s_waitcnt_depctr 0xfff
	v_fma_f32 v20, -v18, v19, 1.0
	v_fmac_f32_e32 v19, v20, v19
	s_delay_alu instid0(VALU_DEP_1) | instskip(NEXT) | instid1(VALU_DEP_1)
	v_mul_f32_e32 v20, v21, v19
	v_fma_f32 v22, -v18, v20, v21
	s_delay_alu instid0(VALU_DEP_1) | instskip(NEXT) | instid1(VALU_DEP_1)
	v_fmac_f32_e32 v20, v22, v19
	v_fma_f32 v18, -v18, v20, v21
	s_delay_alu instid0(VALU_DEP_1) | instskip(SKIP_1) | instid1(VALU_DEP_2)
	v_div_fmas_f32 v18, v18, v19, v20
	v_fma_f32 v19, v1, v9, v2
	v_div_fixup_f32 v10, v18, v10, 1.0
	v_fma_f32 v18, v2, v9, -v1
	s_delay_alu instid0(VALU_DEP_2) | instskip(NEXT) | instid1(VALU_DEP_2)
	v_mul_f32_e32 v9, v19, v10
	v_mul_f32_e32 v10, v18, v10
	s_cbranch_execz .LBB152_153
	s_branch .LBB152_154
.LBB152_152:                            ;   in Loop: Header=BB152_147 Depth=1
                                        ; implicit-def: $vgpr10
.LBB152_153:                            ;   in Loop: Header=BB152_147 Depth=1
	v_div_scale_f32 v9, null, v3, v3, v4
	v_div_scale_f32 v19, vcc_lo, v4, v3, v4
	s_delay_alu instid0(VALU_DEP_2) | instskip(SKIP_2) | instid1(VALU_DEP_1)
	v_rcp_f32_e32 v10, v9
	s_waitcnt_depctr 0xfff
	v_fma_f32 v18, -v9, v10, 1.0
	v_fmac_f32_e32 v10, v18, v10
	s_delay_alu instid0(VALU_DEP_1) | instskip(NEXT) | instid1(VALU_DEP_1)
	v_mul_f32_e32 v18, v19, v10
	v_fma_f32 v20, -v9, v18, v19
	s_delay_alu instid0(VALU_DEP_1) | instskip(NEXT) | instid1(VALU_DEP_1)
	v_fmac_f32_e32 v18, v20, v10
	v_fma_f32 v9, -v9, v18, v19
	s_delay_alu instid0(VALU_DEP_1) | instskip(NEXT) | instid1(VALU_DEP_1)
	v_div_fmas_f32 v9, v9, v10, v18
	v_div_fixup_f32 v9, v9, v3, v4
	s_delay_alu instid0(VALU_DEP_1) | instskip(NEXT) | instid1(VALU_DEP_1)
	v_fmac_f32_e32 v3, v4, v9
	v_div_scale_f32 v4, null, v3, v3, 1.0
	v_div_scale_f32 v19, vcc_lo, 1.0, v3, 1.0
	s_delay_alu instid0(VALU_DEP_2) | instskip(SKIP_2) | instid1(VALU_DEP_1)
	v_rcp_f32_e32 v10, v4
	s_waitcnt_depctr 0xfff
	v_fma_f32 v18, -v4, v10, 1.0
	v_fmac_f32_e32 v10, v18, v10
	s_delay_alu instid0(VALU_DEP_1) | instskip(NEXT) | instid1(VALU_DEP_1)
	v_mul_f32_e32 v18, v19, v10
	v_fma_f32 v20, -v4, v18, v19
	s_delay_alu instid0(VALU_DEP_1) | instskip(NEXT) | instid1(VALU_DEP_1)
	v_fmac_f32_e32 v18, v20, v10
	v_fma_f32 v4, -v4, v18, v19
	s_delay_alu instid0(VALU_DEP_1) | instskip(SKIP_2) | instid1(VALU_DEP_3)
	v_div_fmas_f32 v4, v4, v10, v18
	v_fma_f32 v10, v2, v9, v1
	v_fma_f32 v1, -v1, v9, v2
	v_div_fixup_f32 v3, v4, v3, 1.0
	s_delay_alu instid0(VALU_DEP_1) | instskip(NEXT) | instid1(VALU_DEP_3)
	v_mul_f32_e32 v9, v10, v3
	v_mul_f32_e32 v10, v1, v3
.LBB152_154:                            ;   in Loop: Header=BB152_147 Depth=1
	s_add_i32 s10, s10, s4
	ds_store_b64 v17, v[9:10]
	s_lshl_b32 s10, s10, 3
	s_delay_alu instid0(SALU_CYCLE_1)
	v_mov_b32_e32 v1, s10
	ds_load_b128 v[1:4], v1
	s_waitcnt lgkmcnt(0)
	v_mul_f32_e32 v18, v10, v2
	v_cmp_gt_f32_e32 vcc_lo, 0, v3
	v_mul_f32_e32 v2, v9, v2
	s_delay_alu instid0(VALU_DEP_3) | instskip(SKIP_2) | instid1(VALU_DEP_3)
	v_fma_f32 v18, v9, v1, -v18
	v_cndmask_b32_e64 v19, v3, -v3, vcc_lo
	v_cmp_gt_f32_e32 vcc_lo, 0, v4
	v_dual_fmac_f32 v2, v10, v1 :: v_dual_sub_f32 v1, v11, v18
	v_cndmask_b32_e64 v20, v4, -v4, vcc_lo
	s_delay_alu instid0(VALU_DEP_2) | instskip(NEXT) | instid1(VALU_DEP_2)
	v_sub_f32_e32 v2, v12, v2
	v_cmp_ngt_f32_e32 vcc_lo, v19, v20
	s_cbranch_vccz .LBB152_156
; %bb.155:                              ;   in Loop: Header=BB152_147 Depth=1
	v_div_scale_f32 v11, null, v4, v4, v3
	v_div_scale_f32 v18, vcc_lo, v3, v4, v3
	s_delay_alu instid0(VALU_DEP_2) | instskip(SKIP_2) | instid1(VALU_DEP_1)
	v_rcp_f32_e32 v12, v11
	s_waitcnt_depctr 0xfff
	v_fma_f32 v17, -v11, v12, 1.0
	v_fmac_f32_e32 v12, v17, v12
	s_delay_alu instid0(VALU_DEP_1) | instskip(NEXT) | instid1(VALU_DEP_1)
	v_mul_f32_e32 v17, v18, v12
	v_fma_f32 v19, -v11, v17, v18
	s_delay_alu instid0(VALU_DEP_1) | instskip(NEXT) | instid1(VALU_DEP_1)
	v_fmac_f32_e32 v17, v19, v12
	v_fma_f32 v11, -v11, v17, v18
	s_delay_alu instid0(VALU_DEP_1) | instskip(NEXT) | instid1(VALU_DEP_1)
	v_div_fmas_f32 v11, v11, v12, v17
	v_div_fixup_f32 v11, v11, v4, v3
	s_delay_alu instid0(VALU_DEP_1) | instskip(NEXT) | instid1(VALU_DEP_1)
	v_fma_f32 v12, v3, v11, v4
	v_div_scale_f32 v17, null, v12, v12, 1.0
	v_div_scale_f32 v20, vcc_lo, 1.0, v12, 1.0
	s_delay_alu instid0(VALU_DEP_2) | instskip(SKIP_2) | instid1(VALU_DEP_1)
	v_rcp_f32_e32 v18, v17
	s_waitcnt_depctr 0xfff
	v_fma_f32 v19, -v17, v18, 1.0
	v_fmac_f32_e32 v18, v19, v18
	s_delay_alu instid0(VALU_DEP_1) | instskip(NEXT) | instid1(VALU_DEP_1)
	v_mul_f32_e32 v19, v20, v18
	v_fma_f32 v21, -v17, v19, v20
	s_delay_alu instid0(VALU_DEP_1) | instskip(NEXT) | instid1(VALU_DEP_1)
	v_fmac_f32_e32 v19, v21, v18
	v_fma_f32 v17, -v17, v19, v20
	s_delay_alu instid0(VALU_DEP_1) | instskip(SKIP_1) | instid1(VALU_DEP_2)
	v_div_fmas_f32 v17, v17, v18, v19
	v_fma_f32 v18, v11, v1, v2
	v_div_fixup_f32 v12, v17, v12, 1.0
	v_fma_f32 v17, v11, v2, -v1
	s_delay_alu instid0(VALU_DEP_2) | instskip(NEXT) | instid1(VALU_DEP_2)
	v_mul_f32_e32 v11, v18, v12
	v_mul_f32_e32 v12, v17, v12
	s_cbranch_execz .LBB152_157
	s_branch .LBB152_158
.LBB152_156:                            ;   in Loop: Header=BB152_147 Depth=1
                                        ; implicit-def: $vgpr12
.LBB152_157:                            ;   in Loop: Header=BB152_147 Depth=1
	v_div_scale_f32 v11, null, v3, v3, v4
	v_div_scale_f32 v18, vcc_lo, v4, v3, v4
	s_delay_alu instid0(VALU_DEP_2) | instskip(SKIP_2) | instid1(VALU_DEP_1)
	v_rcp_f32_e32 v12, v11
	s_waitcnt_depctr 0xfff
	v_fma_f32 v17, -v11, v12, 1.0
	v_fmac_f32_e32 v12, v17, v12
	s_delay_alu instid0(VALU_DEP_1) | instskip(NEXT) | instid1(VALU_DEP_1)
	v_mul_f32_e32 v17, v18, v12
	v_fma_f32 v19, -v11, v17, v18
	s_delay_alu instid0(VALU_DEP_1) | instskip(NEXT) | instid1(VALU_DEP_1)
	v_fmac_f32_e32 v17, v19, v12
	v_fma_f32 v11, -v11, v17, v18
	s_delay_alu instid0(VALU_DEP_1) | instskip(NEXT) | instid1(VALU_DEP_1)
	v_div_fmas_f32 v11, v11, v12, v17
	v_div_fixup_f32 v11, v11, v3, v4
	s_delay_alu instid0(VALU_DEP_1) | instskip(NEXT) | instid1(VALU_DEP_1)
	v_fmac_f32_e32 v3, v4, v11
	v_div_scale_f32 v4, null, v3, v3, 1.0
	v_div_scale_f32 v18, vcc_lo, 1.0, v3, 1.0
	s_delay_alu instid0(VALU_DEP_2) | instskip(SKIP_2) | instid1(VALU_DEP_1)
	v_rcp_f32_e32 v12, v4
	s_waitcnt_depctr 0xfff
	v_fma_f32 v17, -v4, v12, 1.0
	v_fmac_f32_e32 v12, v17, v12
	s_delay_alu instid0(VALU_DEP_1) | instskip(NEXT) | instid1(VALU_DEP_1)
	v_mul_f32_e32 v17, v18, v12
	v_fma_f32 v19, -v4, v17, v18
	s_delay_alu instid0(VALU_DEP_1) | instskip(NEXT) | instid1(VALU_DEP_1)
	v_fmac_f32_e32 v17, v19, v12
	v_fma_f32 v4, -v4, v17, v18
	s_delay_alu instid0(VALU_DEP_1) | instskip(SKIP_2) | instid1(VALU_DEP_3)
	v_div_fmas_f32 v4, v4, v12, v17
	v_fma_f32 v12, v11, v2, v1
	v_fma_f32 v1, -v11, v1, v2
	v_div_fixup_f32 v3, v4, v3, 1.0
	s_delay_alu instid0(VALU_DEP_1) | instskip(NEXT) | instid1(VALU_DEP_3)
	v_mul_f32_e32 v11, v12, v3
	v_mul_f32_e32 v12, v1, v3
.LBB152_158:                            ;   in Loop: Header=BB152_147 Depth=1
	s_add_i32 s9, s9, s4
	v_mov_b32_e32 v2, s14
	s_lshl_b32 s9, s9, 3
	s_delay_alu instid0(SALU_CYCLE_1)
	v_mov_b32_e32 v1, s9
	ds_load_b128 v[17:20], v1
	ds_load_b64 v[1:2], v2 offset:272
	ds_store_b64 v16, v[11:12]
	s_waitcnt lgkmcnt(2)
	v_mul_f32_e32 v3, v10, v18
	s_waitcnt lgkmcnt(1)
	v_cmp_gt_f32_e32 vcc_lo, 0, v1
	v_mul_f32_e32 v4, v9, v18
	v_mul_f32_e32 v18, v12, v20
	;; [unrolled: 1-line block ×3, first 2 shown]
	v_fma_f32 v3, v9, v17, -v3
	v_cndmask_b32_e64 v21, v1, -v1, vcc_lo
	v_cmp_gt_f32_e32 vcc_lo, 0, v2
	v_fma_f32 v18, v11, v19, -v18
	v_fmac_f32_e32 v20, v12, v19
	v_dual_sub_f32 v3, v7, v3 :: v_dual_fmac_f32 v4, v10, v17
	v_cndmask_b32_e64 v17, v2, -v2, vcc_lo
	s_delay_alu instid0(VALU_DEP_2) | instskip(NEXT) | instid1(VALU_DEP_2)
	v_dual_sub_f32 v3, v3, v18 :: v_dual_sub_f32 v4, v8, v4
	v_cmp_ngt_f32_e32 vcc_lo, v21, v17
	s_delay_alu instid0(VALU_DEP_2)
	v_sub_f32_e32 v4, v4, v20
	s_cbranch_vccz .LBB152_160
; %bb.159:                              ;   in Loop: Header=BB152_147 Depth=1
	v_div_scale_f32 v7, null, v2, v2, v1
	v_div_scale_f32 v17, vcc_lo, v1, v2, v1
	s_delay_alu instid0(VALU_DEP_2) | instskip(SKIP_2) | instid1(VALU_DEP_1)
	v_rcp_f32_e32 v8, v7
	s_waitcnt_depctr 0xfff
	v_fma_f32 v16, -v7, v8, 1.0
	v_fmac_f32_e32 v8, v16, v8
	s_delay_alu instid0(VALU_DEP_1) | instskip(NEXT) | instid1(VALU_DEP_1)
	v_mul_f32_e32 v16, v17, v8
	v_fma_f32 v18, -v7, v16, v17
	s_delay_alu instid0(VALU_DEP_1) | instskip(NEXT) | instid1(VALU_DEP_1)
	v_fmac_f32_e32 v16, v18, v8
	v_fma_f32 v7, -v7, v16, v17
	s_delay_alu instid0(VALU_DEP_1) | instskip(NEXT) | instid1(VALU_DEP_1)
	v_div_fmas_f32 v7, v7, v8, v16
	v_div_fixup_f32 v7, v7, v2, v1
	s_delay_alu instid0(VALU_DEP_1) | instskip(NEXT) | instid1(VALU_DEP_1)
	v_fma_f32 v8, v1, v7, v2
	v_div_scale_f32 v16, null, v8, v8, 1.0
	v_div_scale_f32 v19, vcc_lo, 1.0, v8, 1.0
	s_delay_alu instid0(VALU_DEP_2) | instskip(SKIP_2) | instid1(VALU_DEP_1)
	v_rcp_f32_e32 v17, v16
	s_waitcnt_depctr 0xfff
	v_fma_f32 v18, -v16, v17, 1.0
	v_fmac_f32_e32 v17, v18, v17
	s_delay_alu instid0(VALU_DEP_1) | instskip(NEXT) | instid1(VALU_DEP_1)
	v_mul_f32_e32 v18, v19, v17
	v_fma_f32 v20, -v16, v18, v19
	s_delay_alu instid0(VALU_DEP_1) | instskip(NEXT) | instid1(VALU_DEP_1)
	v_fmac_f32_e32 v18, v20, v17
	v_fma_f32 v16, -v16, v18, v19
	s_delay_alu instid0(VALU_DEP_1) | instskip(SKIP_1) | instid1(VALU_DEP_2)
	v_div_fmas_f32 v16, v16, v17, v18
	v_fma_f32 v17, v7, v3, v4
	v_div_fixup_f32 v8, v16, v8, 1.0
	v_fma_f32 v16, v7, v4, -v3
	s_delay_alu instid0(VALU_DEP_2) | instskip(NEXT) | instid1(VALU_DEP_2)
	v_mul_f32_e32 v7, v17, v8
	v_mul_f32_e32 v8, v16, v8
	s_cbranch_execz .LBB152_161
	s_branch .LBB152_162
.LBB152_160:                            ;   in Loop: Header=BB152_147 Depth=1
                                        ; implicit-def: $vgpr8
.LBB152_161:                            ;   in Loop: Header=BB152_147 Depth=1
	v_div_scale_f32 v7, null, v1, v1, v2
	v_div_scale_f32 v17, vcc_lo, v2, v1, v2
	s_delay_alu instid0(VALU_DEP_2) | instskip(SKIP_2) | instid1(VALU_DEP_1)
	v_rcp_f32_e32 v8, v7
	s_waitcnt_depctr 0xfff
	v_fma_f32 v16, -v7, v8, 1.0
	v_fmac_f32_e32 v8, v16, v8
	s_delay_alu instid0(VALU_DEP_1) | instskip(NEXT) | instid1(VALU_DEP_1)
	v_mul_f32_e32 v16, v17, v8
	v_fma_f32 v18, -v7, v16, v17
	s_delay_alu instid0(VALU_DEP_1) | instskip(NEXT) | instid1(VALU_DEP_1)
	v_fmac_f32_e32 v16, v18, v8
	v_fma_f32 v7, -v7, v16, v17
	s_delay_alu instid0(VALU_DEP_1) | instskip(NEXT) | instid1(VALU_DEP_1)
	v_div_fmas_f32 v7, v7, v8, v16
	v_div_fixup_f32 v7, v7, v1, v2
	s_delay_alu instid0(VALU_DEP_1) | instskip(NEXT) | instid1(VALU_DEP_1)
	v_fmac_f32_e32 v1, v2, v7
	v_div_scale_f32 v2, null, v1, v1, 1.0
	v_div_scale_f32 v17, vcc_lo, 1.0, v1, 1.0
	s_delay_alu instid0(VALU_DEP_2) | instskip(SKIP_2) | instid1(VALU_DEP_1)
	v_rcp_f32_e32 v8, v2
	s_waitcnt_depctr 0xfff
	v_fma_f32 v16, -v2, v8, 1.0
	v_fmac_f32_e32 v8, v16, v8
	s_delay_alu instid0(VALU_DEP_1) | instskip(NEXT) | instid1(VALU_DEP_1)
	v_mul_f32_e32 v16, v17, v8
	v_fma_f32 v18, -v2, v16, v17
	s_delay_alu instid0(VALU_DEP_1) | instskip(NEXT) | instid1(VALU_DEP_1)
	v_fmac_f32_e32 v16, v18, v8
	v_fma_f32 v2, -v2, v16, v17
	s_delay_alu instid0(VALU_DEP_1) | instskip(SKIP_1) | instid1(VALU_DEP_2)
	v_div_fmas_f32 v2, v2, v8, v16
	v_fma_f32 v8, v7, v4, v3
	v_div_fixup_f32 v1, v2, v1, 1.0
	v_fma_f32 v2, -v7, v3, v4
	s_delay_alu instid0(VALU_DEP_2) | instskip(NEXT) | instid1(VALU_DEP_2)
	v_mul_f32_e32 v7, v8, v1
	v_mul_f32_e32 v8, v2, v1
.LBB152_162:                            ;   in Loop: Header=BB152_147 Depth=1
	s_add_i32 s5, s5, s4
	s_delay_alu instid0(SALU_CYCLE_1) | instskip(NEXT) | instid1(SALU_CYCLE_1)
	s_lshl_b32 s5, s5, 3
	v_mov_b32_e32 v1, s5
	ds_load_b128 v[16:19], v1
	ds_load_b128 v[1:4], v1 offset:16
	ds_store_b64 v15, v[7:8]
	s_waitcnt lgkmcnt(2)
	v_mul_f32_e32 v20, v10, v17
	s_waitcnt lgkmcnt(1)
	v_dual_mul_f32 v17, v9, v17 :: v_dual_mul_f32 v22, v8, v2
	v_dual_mul_f32 v21, v12, v19 :: v_dual_mul_f32 v2, v7, v2
	v_cmp_gt_f32_e32 vcc_lo, 0, v3
	v_fma_f32 v9, v9, v16, -v20
	s_delay_alu instid0(VALU_DEP_3) | instskip(SKIP_2) | instid1(VALU_DEP_3)
	v_dual_fmac_f32 v17, v10, v16 :: v_dual_fmac_f32 v2, v8, v1
	v_mul_f32_e32 v19, v11, v19
	v_cndmask_b32_e64 v10, v3, -v3, vcc_lo
	v_sub_f32_e32 v6, v6, v17
	v_cmp_gt_f32_e32 vcc_lo, 0, v4
	v_fma_f32 v11, v11, v18, -v21
	v_fmac_f32_e32 v19, v12, v18
	v_sub_f32_e32 v5, v5, v9
	v_fma_f32 v12, v7, v1, -v22
	v_cndmask_b32_e64 v9, v4, -v4, vcc_lo
	s_delay_alu instid0(VALU_DEP_4) | instskip(NEXT) | instid1(VALU_DEP_4)
	v_sub_f32_e32 v6, v6, v19
	v_sub_f32_e32 v1, v5, v11
	s_delay_alu instid0(VALU_DEP_3) | instskip(NEXT) | instid1(VALU_DEP_2)
	v_cmp_ngt_f32_e32 vcc_lo, v10, v9
	v_dual_sub_f32 v6, v6, v2 :: v_dual_sub_f32 v5, v1, v12
	s_cbranch_vccz .LBB152_164
; %bb.163:                              ;   in Loop: Header=BB152_147 Depth=1
	v_div_scale_f32 v1, null, v4, v4, v3
	v_div_scale_f32 v8, vcc_lo, v3, v4, v3
	s_delay_alu instid0(VALU_DEP_2) | instskip(SKIP_2) | instid1(VALU_DEP_1)
	v_rcp_f32_e32 v2, v1
	s_waitcnt_depctr 0xfff
	v_fma_f32 v7, -v1, v2, 1.0
	v_fmac_f32_e32 v2, v7, v2
	s_delay_alu instid0(VALU_DEP_1) | instskip(NEXT) | instid1(VALU_DEP_1)
	v_mul_f32_e32 v7, v8, v2
	v_fma_f32 v9, -v1, v7, v8
	s_delay_alu instid0(VALU_DEP_1) | instskip(NEXT) | instid1(VALU_DEP_1)
	v_fmac_f32_e32 v7, v9, v2
	v_fma_f32 v1, -v1, v7, v8
	s_delay_alu instid0(VALU_DEP_1) | instskip(NEXT) | instid1(VALU_DEP_1)
	v_div_fmas_f32 v1, v1, v2, v7
	v_div_fixup_f32 v1, v1, v4, v3
	s_delay_alu instid0(VALU_DEP_1) | instskip(NEXT) | instid1(VALU_DEP_1)
	v_fma_f32 v2, v3, v1, v4
	v_div_scale_f32 v7, null, v2, v2, 1.0
	v_div_scale_f32 v10, vcc_lo, 1.0, v2, 1.0
	s_delay_alu instid0(VALU_DEP_2) | instskip(SKIP_2) | instid1(VALU_DEP_1)
	v_rcp_f32_e32 v8, v7
	s_waitcnt_depctr 0xfff
	v_fma_f32 v9, -v7, v8, 1.0
	v_fmac_f32_e32 v8, v9, v8
	s_delay_alu instid0(VALU_DEP_1) | instskip(NEXT) | instid1(VALU_DEP_1)
	v_mul_f32_e32 v9, v10, v8
	v_fma_f32 v11, -v7, v9, v10
	s_delay_alu instid0(VALU_DEP_1) | instskip(NEXT) | instid1(VALU_DEP_1)
	v_fmac_f32_e32 v9, v11, v8
	v_fma_f32 v7, -v7, v9, v10
	s_delay_alu instid0(VALU_DEP_1) | instskip(SKIP_1) | instid1(VALU_DEP_2)
	v_div_fmas_f32 v7, v7, v8, v9
	v_fma_f32 v8, v1, v5, v6
	v_div_fixup_f32 v2, v7, v2, 1.0
	v_fma_f32 v7, v1, v6, -v5
	s_delay_alu instid0(VALU_DEP_2) | instskip(NEXT) | instid1(VALU_DEP_2)
	v_mul_f32_e32 v1, v8, v2
	v_mul_f32_e32 v2, v7, v2
	s_cbranch_execz .LBB152_165
	s_branch .LBB152_166
.LBB152_164:                            ;   in Loop: Header=BB152_147 Depth=1
                                        ; implicit-def: $vgpr2
.LBB152_165:                            ;   in Loop: Header=BB152_147 Depth=1
	v_div_scale_f32 v1, null, v3, v3, v4
	v_div_scale_f32 v8, vcc_lo, v4, v3, v4
	s_delay_alu instid0(VALU_DEP_2) | instskip(SKIP_2) | instid1(VALU_DEP_1)
	v_rcp_f32_e32 v2, v1
	s_waitcnt_depctr 0xfff
	v_fma_f32 v7, -v1, v2, 1.0
	v_fmac_f32_e32 v2, v7, v2
	s_delay_alu instid0(VALU_DEP_1) | instskip(NEXT) | instid1(VALU_DEP_1)
	v_mul_f32_e32 v7, v8, v2
	v_fma_f32 v9, -v1, v7, v8
	s_delay_alu instid0(VALU_DEP_1) | instskip(NEXT) | instid1(VALU_DEP_1)
	v_fmac_f32_e32 v7, v9, v2
	v_fma_f32 v1, -v1, v7, v8
	s_delay_alu instid0(VALU_DEP_1) | instskip(NEXT) | instid1(VALU_DEP_1)
	v_div_fmas_f32 v1, v1, v2, v7
	v_div_fixup_f32 v1, v1, v3, v4
	s_delay_alu instid0(VALU_DEP_1) | instskip(NEXT) | instid1(VALU_DEP_1)
	v_fmac_f32_e32 v3, v4, v1
	v_div_scale_f32 v2, null, v3, v3, 1.0
	v_div_scale_f32 v8, vcc_lo, 1.0, v3, 1.0
	s_delay_alu instid0(VALU_DEP_2) | instskip(SKIP_2) | instid1(VALU_DEP_1)
	v_rcp_f32_e32 v4, v2
	s_waitcnt_depctr 0xfff
	v_fma_f32 v7, -v2, v4, 1.0
	v_fmac_f32_e32 v4, v7, v4
	s_delay_alu instid0(VALU_DEP_1) | instskip(NEXT) | instid1(VALU_DEP_1)
	v_mul_f32_e32 v7, v8, v4
	v_fma_f32 v9, -v2, v7, v8
	s_delay_alu instid0(VALU_DEP_1) | instskip(NEXT) | instid1(VALU_DEP_1)
	v_fmac_f32_e32 v7, v9, v4
	v_fma_f32 v2, -v2, v7, v8
	s_delay_alu instid0(VALU_DEP_1) | instskip(SKIP_1) | instid1(VALU_DEP_2)
	v_div_fmas_f32 v2, v2, v4, v7
	v_fma_f32 v4, v1, v6, v5
	v_div_fixup_f32 v2, v2, v3, 1.0
	v_fma_f32 v3, -v1, v5, v6
	s_delay_alu instid0(VALU_DEP_2) | instskip(NEXT) | instid1(VALU_DEP_2)
	v_mul_f32_e32 v1, v4, v2
	v_mul_f32_e32 v2, v3, v2
.LBB152_166:                            ;   in Loop: Header=BB152_147 Depth=1
	s_add_i32 s5, s4, 4
	s_add_i32 s4, s4, 7
	s_addk_i32 s1, 0x200
	s_cmp_ge_i32 s4, s11
	ds_store_b64 v14, v[1:2]
	s_cbranch_scc1 .LBB152_168
; %bb.167:                              ;   in Loop: Header=BB152_147 Depth=1
	s_mov_b32 s4, s5
	s_branch .LBB152_147
.LBB152_168:
	s_cmp_ge_i32 s5, s11
	s_cbranch_scc1 .LBB152_183
; %bb.169:
	v_lshl_or_b32 v7, v0, 3, 0x800
	v_lshlrev_b32_e32 v8, 3, v0
	s_add_i32 s1, s5, -1
	s_lshl_b32 s4, s5, 7
	s_mov_b32 s9, 0
	s_mov_b32 s10, s5
	s_branch .LBB152_171
.LBB152_170:                            ;   in Loop: Header=BB152_171 Depth=1
	v_add_nc_u16 v1, s10, 1
	s_add_i32 s5, s5, 1
	s_add_i32 s9, s9, 1
	s_addk_i32 s4, 0x80
	s_cmp_ge_i32 s5, s11
	v_readfirstlane_b32 s10, v1
	ds_store_b64 v9, v[5:6]
	s_cbranch_scc1 .LBB152_183
.LBB152_171:                            ; =>This Loop Header: Depth=1
                                        ;     Child Loop BB152_174 Depth 2
                                        ;     Child Loop BB152_178 Depth 2
	v_lshl_or_b32 v3, s5, 7, v8
	s_cmp_eq_u32 s5, 0
	ds_load_b64 v[1:2], v3 offset:2048
	s_cbranch_scc1 .LBB152_179
; %bb.172:                              ;   in Loop: Header=BB152_171 Depth=1
	s_add_i32 s14, s1, s9
	s_delay_alu instid0(SALU_CYCLE_1)
	s_cmp_lt_u32 s14, 7
	s_cbranch_scc1 .LBB152_176
; %bb.173:                              ;   in Loop: Header=BB152_171 Depth=1
	v_mov_b32_e32 v4, v7
	s_and_b32 s14, s5, -8
	s_mov_b32 s15, 0
	s_mov_b32 s16, s4
.LBB152_174:                            ;   Parent Loop BB152_171 Depth=1
                                        ; =>  This Inner Loop Header: Depth=2
	s_delay_alu instid0(SALU_CYCLE_1)
	v_mov_b32_e32 v5, s16
	ds_load_2addr_b64 v[9:12], v4 offset1:16
	ds_load_2addr_b64 v[13:16], v4 offset0:32 offset1:48
	ds_load_2addr_b64 v[17:20], v4 offset0:64 offset1:80
	ds_load_2addr_b64 v[21:24], v4 offset0:96 offset1:112
	ds_load_b128 v[25:28], v5
	ds_load_b128 v[29:32], v5 offset:16
	ds_load_b128 v[33:36], v5 offset:32
	;; [unrolled: 1-line block ×3, first 2 shown]
	v_add_nc_u32_e32 v4, 0x400, v4
	s_add_i32 s15, s15, 8
	s_add_i32 s16, s16, 64
	s_cmp_eq_u32 s14, s15
	s_waitcnt lgkmcnt(3)
	v_mul_f32_e32 v6, v25, v10
	v_dual_mul_f32 v5, v26, v10 :: v_dual_mul_f32 v10, v28, v12
	s_waitcnt lgkmcnt(2)
	v_dual_mul_f32 v12, v27, v12 :: v_dual_mul_f32 v41, v30, v14
	s_waitcnt lgkmcnt(1)
	v_dual_mul_f32 v42, v32, v16 :: v_dual_mul_f32 v43, v34, v18
	v_fma_f32 v5, v25, v9, -v5
	v_mul_f32_e32 v16, v31, v16
	v_fma_f32 v10, v27, v11, -v10
	v_mul_f32_e32 v14, v29, v14
	v_mul_f32_e32 v18, v33, v18
	v_sub_f32_e32 v1, v1, v5
	v_dual_mul_f32 v5, v35, v20 :: v_dual_fmac_f32 v6, v26, v9
	s_delay_alu instid0(VALU_DEP_4) | instskip(NEXT) | instid1(VALU_DEP_3)
	v_dual_mul_f32 v9, v36, v20 :: v_dual_fmac_f32 v14, v30, v13
	v_sub_f32_e32 v1, v1, v10
	s_delay_alu instid0(VALU_DEP_3) | instskip(SKIP_4) | instid1(VALU_DEP_4)
	v_dual_fmac_f32 v5, v36, v19 :: v_dual_sub_f32 v2, v2, v6
	v_fma_f32 v6, v29, v13, -v41
	v_fmac_f32_e32 v12, v28, v11
	v_fma_f32 v11, v31, v15, -v42
	v_fma_f32 v9, v35, v19, -v9
	v_sub_f32_e32 v1, v1, v6
	s_waitcnt lgkmcnt(0)
	v_mul_f32_e32 v6, v37, v22
	s_delay_alu instid0(VALU_DEP_2) | instskip(SKIP_2) | instid1(VALU_DEP_2)
	v_dual_sub_f32 v1, v1, v11 :: v_dual_sub_f32 v2, v2, v12
	v_fma_f32 v12, v33, v17, -v43
	v_dual_mul_f32 v10, v38, v22 :: v_dual_mul_f32 v11, v40, v24
	v_dual_fmac_f32 v6, v38, v21 :: v_dual_sub_f32 v1, v1, v12
	v_fmac_f32_e32 v16, v32, v15
	s_delay_alu instid0(VALU_DEP_3) | instskip(NEXT) | instid1(VALU_DEP_3)
	v_fma_f32 v10, v37, v21, -v10
	v_dual_mul_f32 v12, v39, v24 :: v_dual_sub_f32 v1, v1, v9
	v_fmac_f32_e32 v18, v34, v17
	s_delay_alu instid0(VALU_DEP_2) | instskip(SKIP_1) | instid1(VALU_DEP_1)
	v_dual_fmac_f32 v12, v40, v23 :: v_dual_sub_f32 v1, v1, v10
	v_sub_f32_e32 v2, v2, v14
	v_sub_f32_e32 v2, v2, v16
	s_delay_alu instid0(VALU_DEP_1) | instskip(NEXT) | instid1(VALU_DEP_1)
	v_sub_f32_e32 v2, v2, v18
	v_sub_f32_e32 v2, v2, v5
	v_fma_f32 v5, v39, v23, -v11
	s_delay_alu instid0(VALU_DEP_1) | instskip(NEXT) | instid1(VALU_DEP_1)
	v_dual_sub_f32 v2, v2, v6 :: v_dual_sub_f32 v1, v1, v5
	v_sub_f32_e32 v2, v2, v12
	s_cbranch_scc0 .LBB152_174
; %bb.175:                              ;   in Loop: Header=BB152_171 Depth=1
	s_and_b32 s15, s5, 7
	s_delay_alu instid0(SALU_CYCLE_1)
	s_cmp_eq_u32 s15, 0
	s_cbranch_scc0 .LBB152_177
	s_branch .LBB152_179
.LBB152_176:                            ;   in Loop: Header=BB152_171 Depth=1
	s_mov_b32 s14, 0
	s_and_b32 s15, s5, 7
	s_delay_alu instid0(SALU_CYCLE_1)
	s_cmp_eq_u32 s15, 0
	s_cbranch_scc1 .LBB152_179
.LBB152_177:                            ;   in Loop: Header=BB152_171 Depth=1
	v_lshl_add_u32 v4, s14, 7, v7
	s_and_b32 s15, s10, 7
	s_lshl_b32 s14, s14, 3
	.p2align	6
.LBB152_178:                            ;   Parent Loop BB152_171 Depth=1
                                        ; =>  This Inner Loop Header: Depth=2
	s_delay_alu instid0(SALU_CYCLE_1)
	s_add_i32 s16, s4, s14
	s_add_i32 s15, s15, -1
	v_mov_b32_e32 v9, s16
	s_add_i32 s14, s14, 8
	s_cmp_lg_u32 s15, 0
	ds_load_b64 v[5:6], v4
	ds_load_b64 v[9:10], v9
	s_waitcnt lgkmcnt(0)
	v_dual_mul_f32 v11, v10, v6 :: v_dual_add_nc_u32 v4, 0x80, v4
	v_mul_f32_e32 v6, v9, v6
	s_delay_alu instid0(VALU_DEP_2) | instskip(NEXT) | instid1(VALU_DEP_2)
	v_fma_f32 v9, v9, v5, -v11
	v_fmac_f32_e32 v6, v10, v5
	s_delay_alu instid0(VALU_DEP_1)
	v_dual_sub_f32 v1, v1, v9 :: v_dual_sub_f32 v2, v2, v6
	s_cbranch_scc1 .LBB152_178
.LBB152_179:                            ;   in Loop: Header=BB152_171 Depth=1
	s_mul_i32 s14, s5, 0x88
	v_add_nc_u32_e32 v9, 0x800, v3
	v_mov_b32_e32 v3, s14
	ds_load_b64 v[3:4], v3
	s_waitcnt lgkmcnt(0)
	v_cmp_gt_f32_e32 vcc_lo, 0, v3
	v_cndmask_b32_e64 v5, v3, -v3, vcc_lo
	v_cmp_gt_f32_e32 vcc_lo, 0, v4
	v_cndmask_b32_e64 v6, v4, -v4, vcc_lo
	s_delay_alu instid0(VALU_DEP_1)
	v_cmp_ngt_f32_e32 vcc_lo, v5, v6
	s_cbranch_vccz .LBB152_181
; %bb.180:                              ;   in Loop: Header=BB152_171 Depth=1
	v_div_scale_f32 v5, null, v4, v4, v3
	v_div_scale_f32 v11, vcc_lo, v3, v4, v3
	s_delay_alu instid0(VALU_DEP_2) | instskip(SKIP_2) | instid1(VALU_DEP_1)
	v_rcp_f32_e32 v6, v5
	s_waitcnt_depctr 0xfff
	v_fma_f32 v10, -v5, v6, 1.0
	v_fmac_f32_e32 v6, v10, v6
	s_delay_alu instid0(VALU_DEP_1) | instskip(NEXT) | instid1(VALU_DEP_1)
	v_mul_f32_e32 v10, v11, v6
	v_fma_f32 v12, -v5, v10, v11
	s_delay_alu instid0(VALU_DEP_1) | instskip(NEXT) | instid1(VALU_DEP_1)
	v_fmac_f32_e32 v10, v12, v6
	v_fma_f32 v5, -v5, v10, v11
	s_delay_alu instid0(VALU_DEP_1) | instskip(NEXT) | instid1(VALU_DEP_1)
	v_div_fmas_f32 v5, v5, v6, v10
	v_div_fixup_f32 v5, v5, v4, v3
	s_delay_alu instid0(VALU_DEP_1) | instskip(NEXT) | instid1(VALU_DEP_1)
	v_fma_f32 v6, v3, v5, v4
	v_div_scale_f32 v10, null, v6, v6, 1.0
	v_div_scale_f32 v13, vcc_lo, 1.0, v6, 1.0
	s_delay_alu instid0(VALU_DEP_2) | instskip(SKIP_2) | instid1(VALU_DEP_1)
	v_rcp_f32_e32 v11, v10
	s_waitcnt_depctr 0xfff
	v_fma_f32 v12, -v10, v11, 1.0
	v_fmac_f32_e32 v11, v12, v11
	s_delay_alu instid0(VALU_DEP_1) | instskip(NEXT) | instid1(VALU_DEP_1)
	v_mul_f32_e32 v12, v13, v11
	v_fma_f32 v14, -v10, v12, v13
	s_delay_alu instid0(VALU_DEP_1) | instskip(NEXT) | instid1(VALU_DEP_1)
	v_fmac_f32_e32 v12, v14, v11
	v_fma_f32 v10, -v10, v12, v13
	s_delay_alu instid0(VALU_DEP_1) | instskip(SKIP_1) | instid1(VALU_DEP_2)
	v_div_fmas_f32 v10, v10, v11, v12
	v_fma_f32 v11, v1, v5, v2
	v_div_fixup_f32 v6, v10, v6, 1.0
	v_fma_f32 v10, v2, v5, -v1
	s_delay_alu instid0(VALU_DEP_2) | instskip(NEXT) | instid1(VALU_DEP_2)
	v_mul_f32_e32 v5, v11, v6
	v_mul_f32_e32 v6, v10, v6
	s_cbranch_execnz .LBB152_170
	s_branch .LBB152_182
.LBB152_181:                            ;   in Loop: Header=BB152_171 Depth=1
                                        ; implicit-def: $vgpr5
.LBB152_182:                            ;   in Loop: Header=BB152_171 Depth=1
	v_div_scale_f32 v5, null, v3, v3, v4
	v_div_scale_f32 v11, vcc_lo, v4, v3, v4
	s_delay_alu instid0(VALU_DEP_2) | instskip(SKIP_2) | instid1(VALU_DEP_1)
	v_rcp_f32_e32 v6, v5
	s_waitcnt_depctr 0xfff
	v_fma_f32 v10, -v5, v6, 1.0
	v_fmac_f32_e32 v6, v10, v6
	s_delay_alu instid0(VALU_DEP_1) | instskip(NEXT) | instid1(VALU_DEP_1)
	v_mul_f32_e32 v10, v11, v6
	v_fma_f32 v12, -v5, v10, v11
	s_delay_alu instid0(VALU_DEP_1) | instskip(NEXT) | instid1(VALU_DEP_1)
	v_fmac_f32_e32 v10, v12, v6
	v_fma_f32 v5, -v5, v10, v11
	s_delay_alu instid0(VALU_DEP_1) | instskip(NEXT) | instid1(VALU_DEP_1)
	v_div_fmas_f32 v5, v5, v6, v10
	v_div_fixup_f32 v5, v5, v3, v4
	s_delay_alu instid0(VALU_DEP_1) | instskip(NEXT) | instid1(VALU_DEP_1)
	v_fmac_f32_e32 v3, v4, v5
	v_div_scale_f32 v4, null, v3, v3, 1.0
	v_div_scale_f32 v11, vcc_lo, 1.0, v3, 1.0
	s_delay_alu instid0(VALU_DEP_2) | instskip(SKIP_2) | instid1(VALU_DEP_1)
	v_rcp_f32_e32 v6, v4
	s_waitcnt_depctr 0xfff
	v_fma_f32 v10, -v4, v6, 1.0
	v_fmac_f32_e32 v6, v10, v6
	s_delay_alu instid0(VALU_DEP_1) | instskip(NEXT) | instid1(VALU_DEP_1)
	v_mul_f32_e32 v10, v11, v6
	v_fma_f32 v12, -v4, v10, v11
	s_delay_alu instid0(VALU_DEP_1) | instskip(NEXT) | instid1(VALU_DEP_1)
	v_fmac_f32_e32 v10, v12, v6
	v_fma_f32 v4, -v4, v10, v11
	s_delay_alu instid0(VALU_DEP_1) | instskip(SKIP_2) | instid1(VALU_DEP_3)
	v_div_fmas_f32 v4, v4, v6, v10
	v_fma_f32 v6, v2, v5, v1
	v_fma_f32 v1, -v1, v5, v2
	v_div_fixup_f32 v3, v4, v3, 1.0
	s_delay_alu instid0(VALU_DEP_1) | instskip(NEXT) | instid1(VALU_DEP_3)
	v_mul_f32_e32 v5, v6, v3
	v_mul_f32_e32 v6, v1, v3
	s_branch .LBB152_170
.LBB152_183:
	s_and_saveexec_b32 s1, s20
	s_cbranch_execz .LBB152_190
; %bb.184:
	v_lshlrev_b32_e32 v3, 3, v0
	s_ashr_i32 s1, s0, 31
	s_cmp_lt_u32 s8, 4
	s_mov_b32 s9, 0
	s_cbranch_scc1 .LBB152_187
; %bb.185:
	v_add_co_u32 v1, s4, s18, v3
	s_delay_alu instid0(VALU_DEP_1)
	v_add_co_ci_u32_e64 v2, null, s19, 0, s4
	v_lshl_or_b32 v0, v0, 3, 0x800
	s_and_b32 s9, s8, 0x7ffffffc
	s_mul_hi_i32 s16, s0, 24
	s_mul_i32 s17, s0, 24
	s_lshl_b64 s[4:5], s[0:1], 5
	s_lshl_b64 s[10:11], s[0:1], 4
	;; [unrolled: 1-line block ×3, first 2 shown]
	s_mov_b32 s18, 0
	.p2align	6
.LBB152_186:                            ; =>This Inner Loop Header: Depth=1
	ds_load_2addr_b64 v[4:7], v0 offset1:16
	ds_load_2addr_b64 v[8:11], v0 offset0:32 offset1:48
	v_add_co_u32 v12, vcc_lo, v1, s14
	v_add_co_ci_u32_e32 v13, vcc_lo, s15, v2, vcc_lo
	v_add_co_u32 v14, vcc_lo, v1, s10
	v_add_co_ci_u32_e32 v15, vcc_lo, s11, v2, vcc_lo
	;; [unrolled: 2-line block ×3, first 2 shown]
	v_add_nc_u32_e32 v0, 0x200, v0
	s_add_i32 s18, s18, 4
	s_delay_alu instid0(SALU_CYCLE_1)
	s_cmp_lg_u32 s9, s18
	s_waitcnt lgkmcnt(1)
	global_store_b64 v[1:2], v[4:5], off
	v_add_co_u32 v1, vcc_lo, v1, s4
	v_add_co_ci_u32_e32 v2, vcc_lo, s5, v2, vcc_lo
	global_store_b64 v[12:13], v[6:7], off
	s_waitcnt lgkmcnt(0)
	s_clause 0x1
	global_store_b64 v[14:15], v[8:9], off
	global_store_b64 v[16:17], v[10:11], off
	s_cbranch_scc1 .LBB152_186
.LBB152_187:
	s_and_b32 s4, s8, 3
	s_delay_alu instid0(SALU_CYCLE_1)
	s_cmp_eq_u32 s4, 0
	s_cbranch_scc1 .LBB152_190
; %bb.188:
	s_mul_hi_i32 s11, s0, s9
	s_mul_i32 s10, s0, s9
	v_lshl_or_b32 v2, s9, 7, v3
	s_lshl_b64 s[10:11], s[10:11], 3
	s_delay_alu instid0(SALU_CYCLE_1)
	s_add_u32 s5, s10, s6
	s_addc_u32 s6, s11, s7
	s_add_u32 s5, s5, s12
	s_addc_u32 s6, s6, s13
	;; [unrolled: 2-line block ×3, first 2 shown]
	v_add_co_u32 v0, s2, s2, v3
	s_delay_alu instid0(VALU_DEP_1)
	v_add_co_ci_u32_e64 v1, null, s3, 0, s2
	v_add_nc_u32_e32 v2, 0x800, v2
	s_lshl_b64 s[0:1], s[0:1], 3
.LBB152_189:                            ; =>This Inner Loop Header: Depth=1
	ds_load_b64 v[3:4], v2
	v_add_nc_u32_e32 v2, 0x80, v2
	s_add_i32 s4, s4, -1
	s_delay_alu instid0(SALU_CYCLE_1)
	s_cmp_lg_u32 s4, 0
	s_waitcnt lgkmcnt(0)
	global_store_b64 v[0:1], v[3:4], off
	v_add_co_u32 v0, vcc_lo, v0, s0
	v_add_co_ci_u32_e32 v1, vcc_lo, s1, v1, vcc_lo
	s_cbranch_scc1 .LBB152_189
.LBB152_190:
	s_nop 0
	s_sendmsg sendmsg(MSG_DEALLOC_VGPRS)
	s_endpgm
	.section	.rodata,"a",@progbits
	.p2align	6, 0x0
	.amdhsa_kernel _ZL31rocblas_trsm_small_right_deviceI19rocblas_complex_numIfES1_PKPKS1_PKPS1_Li16EEv13rocblas_fill_18rocblas_operation_17rocblas_diagonal_iiT0_T1_lilT2_lili
		.amdhsa_group_segment_fixed_size 4096
		.amdhsa_private_segment_fixed_size 0
		.amdhsa_kernarg_size 360
		.amdhsa_user_sgpr_count 14
		.amdhsa_user_sgpr_dispatch_ptr 0
		.amdhsa_user_sgpr_queue_ptr 0
		.amdhsa_user_sgpr_kernarg_segment_ptr 1
		.amdhsa_user_sgpr_dispatch_id 0
		.amdhsa_user_sgpr_private_segment_size 0
		.amdhsa_wavefront_size32 1
		.amdhsa_uses_dynamic_stack 0
		.amdhsa_enable_private_segment 0
		.amdhsa_system_sgpr_workgroup_id_x 1
		.amdhsa_system_sgpr_workgroup_id_y 0
		.amdhsa_system_sgpr_workgroup_id_z 1
		.amdhsa_system_sgpr_workgroup_info 0
		.amdhsa_system_vgpr_workitem_id 0
		.amdhsa_next_free_vgpr 46
		.amdhsa_next_free_sgpr 36
		.amdhsa_reserve_vcc 1
		.amdhsa_float_round_mode_32 0
		.amdhsa_float_round_mode_16_64 0
		.amdhsa_float_denorm_mode_32 3
		.amdhsa_float_denorm_mode_16_64 3
		.amdhsa_dx10_clamp 1
		.amdhsa_ieee_mode 1
		.amdhsa_fp16_overflow 0
		.amdhsa_workgroup_processor_mode 1
		.amdhsa_memory_ordered 1
		.amdhsa_forward_progress 0
		.amdhsa_shared_vgpr_count 0
		.amdhsa_exception_fp_ieee_invalid_op 0
		.amdhsa_exception_fp_denorm_src 0
		.amdhsa_exception_fp_ieee_div_zero 0
		.amdhsa_exception_fp_ieee_overflow 0
		.amdhsa_exception_fp_ieee_underflow 0
		.amdhsa_exception_fp_ieee_inexact 0
		.amdhsa_exception_int_div_zero 0
	.end_amdhsa_kernel
	.section	.text._ZL31rocblas_trsm_small_right_deviceI19rocblas_complex_numIfES1_PKPKS1_PKPS1_Li16EEv13rocblas_fill_18rocblas_operation_17rocblas_diagonal_iiT0_T1_lilT2_lili,"axG",@progbits,_ZL31rocblas_trsm_small_right_deviceI19rocblas_complex_numIfES1_PKPKS1_PKPS1_Li16EEv13rocblas_fill_18rocblas_operation_17rocblas_diagonal_iiT0_T1_lilT2_lili,comdat
.Lfunc_end152:
	.size	_ZL31rocblas_trsm_small_right_deviceI19rocblas_complex_numIfES1_PKPKS1_PKPS1_Li16EEv13rocblas_fill_18rocblas_operation_17rocblas_diagonal_iiT0_T1_lilT2_lili, .Lfunc_end152-_ZL31rocblas_trsm_small_right_deviceI19rocblas_complex_numIfES1_PKPKS1_PKPS1_Li16EEv13rocblas_fill_18rocblas_operation_17rocblas_diagonal_iiT0_T1_lilT2_lili
                                        ; -- End function
	.section	.AMDGPU.csdata,"",@progbits
; Kernel info:
; codeLenInByte = 17236
; NumSgprs: 38
; NumVgprs: 46
; ScratchSize: 0
; MemoryBound: 0
; FloatMode: 240
; IeeeMode: 1
; LDSByteSize: 4096 bytes/workgroup (compile time only)
; SGPRBlocks: 4
; VGPRBlocks: 5
; NumSGPRsForWavesPerEU: 38
; NumVGPRsForWavesPerEU: 46
; Occupancy: 8
; WaveLimiterHint : 0
; COMPUTE_PGM_RSRC2:SCRATCH_EN: 0
; COMPUTE_PGM_RSRC2:USER_SGPR: 14
; COMPUTE_PGM_RSRC2:TRAP_HANDLER: 0
; COMPUTE_PGM_RSRC2:TGID_X_EN: 1
; COMPUTE_PGM_RSRC2:TGID_Y_EN: 0
; COMPUTE_PGM_RSRC2:TGID_Z_EN: 1
; COMPUTE_PGM_RSRC2:TIDIG_COMP_CNT: 0
	.section	.text._ZL38rocblas_trsm_small_left_device_sharedBILi20ELi20ELb0E19rocblas_complex_numIfES1_PKPKS1_PKPS1_Ev13rocblas_fill_18rocblas_operation_17rocblas_diagonal_iiT3_T4_lilT5_lili,"axG",@progbits,_ZL38rocblas_trsm_small_left_device_sharedBILi20ELi20ELb0E19rocblas_complex_numIfES1_PKPKS1_PKPS1_Ev13rocblas_fill_18rocblas_operation_17rocblas_diagonal_iiT3_T4_lilT5_lili,comdat
	.globl	_ZL38rocblas_trsm_small_left_device_sharedBILi20ELi20ELb0E19rocblas_complex_numIfES1_PKPKS1_PKPS1_Ev13rocblas_fill_18rocblas_operation_17rocblas_diagonal_iiT3_T4_lilT5_lili ; -- Begin function _ZL38rocblas_trsm_small_left_device_sharedBILi20ELi20ELb0E19rocblas_complex_numIfES1_PKPKS1_PKPS1_Ev13rocblas_fill_18rocblas_operation_17rocblas_diagonal_iiT3_T4_lilT5_lili
	.p2align	8
	.type	_ZL38rocblas_trsm_small_left_device_sharedBILi20ELi20ELb0E19rocblas_complex_numIfES1_PKPKS1_PKPS1_Ev13rocblas_fill_18rocblas_operation_17rocblas_diagonal_iiT3_T4_lilT5_lili,@function
_ZL38rocblas_trsm_small_left_device_sharedBILi20ELi20ELb0E19rocblas_complex_numIfES1_PKPKS1_PKPS1_Ev13rocblas_fill_18rocblas_operation_17rocblas_diagonal_iiT3_T4_lilT5_lili: ; @_ZL38rocblas_trsm_small_left_device_sharedBILi20ELi20ELb0E19rocblas_complex_numIfES1_PKPKS1_PKPS1_Ev13rocblas_fill_18rocblas_operation_17rocblas_diagonal_iiT3_T4_lilT5_lili
; %bb.0:
	s_clause 0x1
	s_load_b128 s[8:11], s[0:1], 0x40
	s_load_b128 s[4:7], s[0:1], 0x4
	s_mov_b32 s20, s15
	s_mov_b32 s21, 0
	s_load_b32 s15, s[0:1], 0x68
	s_lshl_b64 s[22:23], s[20:21], 3
	s_mov_b32 s29, exec_lo
	s_waitcnt lgkmcnt(0)
	s_add_u32 s2, s8, s22
	s_addc_u32 s3, s9, s23
	s_load_b64 s[12:13], s[0:1], 0x14
	s_load_b64 s[2:3], s[2:3], 0x0
	s_min_i32 s20, s6, 20
	s_delay_alu instid0(SALU_CYCLE_1)
	s_add_i32 s28, s20, -1
	v_cmpx_gt_i32_e64 s20, v0
	s_cbranch_execz .LBB153_35
; %bb.1:
	s_clause 0x1
	s_load_b32 s8, s[0:1], 0x30
	s_load_b128 s[16:19], s[0:1], 0x20
	s_waitcnt lgkmcnt(0)
	s_ashr_i32 s9, s8, 31
	s_cmpk_lg_i32 s4, 0x71
	s_cselect_b32 s30, -1, 0
	s_add_u32 s16, s16, s22
	s_addc_u32 s17, s17, s23
	v_cndmask_b32_e64 v7, 0, 1, s30
	s_load_b64 s[16:17], s[16:17], 0x0
	s_cmp_lt_u32 s28, 3
	s_cbranch_scc1 .LBB153_20
; %bb.2:
	v_lshlrev_b32_e32 v8, 3, v0
	s_lshl_b64 s[22:23], s[18:19], 3
	s_mul_hi_i32 s31, s8, 24
	s_waitcnt lgkmcnt(0)
	s_add_u32 s21, s16, s22
	s_addc_u32 s22, s17, s23
	v_add_co_u32 v1, s21, s21, v8
	s_delay_alu instid0(VALU_DEP_1)
	v_add_co_ci_u32_e64 v2, null, s22, 0, s21
	s_and_b32 s21, s20, -4
	s_mul_i32 s33, s8, 24
	s_lshl_b64 s[22:23], s[8:9], 5
	s_lshl_b64 s[24:25], s[8:9], 4
	;; [unrolled: 1-line block ×3, first 2 shown]
	s_mov_b32 s34, 0
	s_branch .LBB153_4
.LBB153_3:                              ;   in Loop: Header=BB153_4 Depth=1
	global_load_b32 v3, v[5:6], off
	v_add_co_u32 v1, vcc_lo, v1, s22
	v_add_co_ci_u32_e32 v2, vcc_lo, s23, v2, vcc_lo
	s_add_i32 s34, s34, 4
	s_delay_alu instid0(SALU_CYCLE_1)
	s_cmp_eq_u32 s21, s34
	s_waitcnt vmcnt(0)
	ds_store_b64 v8, v[3:4] offset:480
	v_add_nc_u32_e32 v8, 0x280, v8
	s_cbranch_scc1 .LBB153_20
.LBB153_4:                              ; =>This Inner Loop Header: Depth=1
	s_and_b32 vcc_lo, exec_lo, s30
	s_cbranch_vccz .LBB153_6
; %bb.5:                                ;   in Loop: Header=BB153_4 Depth=1
	global_load_b32 v4, v[1:2], off offset:4
	s_cbranch_execz .LBB153_7
	s_branch .LBB153_8
.LBB153_6:                              ;   in Loop: Header=BB153_4 Depth=1
                                        ; implicit-def: $vgpr4
.LBB153_7:                              ;   in Loop: Header=BB153_4 Depth=1
	global_load_b32 v3, v[1:2], off offset:4
	s_waitcnt vmcnt(0)
	v_xor_b32_e32 v4, 0x80000000, v3
.LBB153_8:                              ;   in Loop: Header=BB153_4 Depth=1
	global_load_b32 v3, v[1:2], off
	v_add_co_u32 v5, vcc_lo, v1, s26
	v_add_co_ci_u32_e32 v6, vcc_lo, s27, v2, vcc_lo
	s_and_not1_b32 vcc_lo, exec_lo, s30
	s_waitcnt vmcnt(0)
	ds_store_b64 v8, v[3:4]
	s_cbranch_vccnz .LBB153_10
; %bb.9:                                ;   in Loop: Header=BB153_4 Depth=1
	global_load_b32 v4, v[5:6], off offset:4
	s_cbranch_execz .LBB153_11
	s_branch .LBB153_12
.LBB153_10:                             ;   in Loop: Header=BB153_4 Depth=1
                                        ; implicit-def: $vgpr4
.LBB153_11:                             ;   in Loop: Header=BB153_4 Depth=1
	global_load_b32 v3, v[5:6], off offset:4
	s_waitcnt vmcnt(0)
	v_xor_b32_e32 v4, 0x80000000, v3
.LBB153_12:                             ;   in Loop: Header=BB153_4 Depth=1
	global_load_b32 v3, v[5:6], off
	v_add_co_u32 v5, vcc_lo, v1, s24
	v_add_co_ci_u32_e32 v6, vcc_lo, s25, v2, vcc_lo
	s_and_not1_b32 vcc_lo, exec_lo, s30
	s_waitcnt vmcnt(0)
	ds_store_b64 v8, v[3:4] offset:160
	s_cbranch_vccnz .LBB153_14
; %bb.13:                               ;   in Loop: Header=BB153_4 Depth=1
	global_load_b32 v4, v[5:6], off offset:4
	s_cbranch_execz .LBB153_15
	s_branch .LBB153_16
.LBB153_14:                             ;   in Loop: Header=BB153_4 Depth=1
                                        ; implicit-def: $vgpr4
.LBB153_15:                             ;   in Loop: Header=BB153_4 Depth=1
	global_load_b32 v3, v[5:6], off offset:4
	s_waitcnt vmcnt(0)
	v_xor_b32_e32 v4, 0x80000000, v3
.LBB153_16:                             ;   in Loop: Header=BB153_4 Depth=1
	global_load_b32 v3, v[5:6], off
	v_add_co_u32 v5, vcc_lo, v1, s33
	v_add_co_ci_u32_e32 v6, vcc_lo, s31, v2, vcc_lo
	s_and_not1_b32 vcc_lo, exec_lo, s30
	s_waitcnt vmcnt(0)
	ds_store_b64 v8, v[3:4] offset:320
	s_cbranch_vccnz .LBB153_18
; %bb.17:                               ;   in Loop: Header=BB153_4 Depth=1
	global_load_b32 v4, v[5:6], off offset:4
	s_cbranch_execnz .LBB153_3
	s_branch .LBB153_19
.LBB153_18:                             ;   in Loop: Header=BB153_4 Depth=1
                                        ; implicit-def: $vgpr4
.LBB153_19:                             ;   in Loop: Header=BB153_4 Depth=1
	global_load_b32 v3, v[5:6], off offset:4
	s_waitcnt vmcnt(0)
	v_xor_b32_e32 v4, 0x80000000, v3
	s_branch .LBB153_3
.LBB153_20:
	s_and_b32 s22, s20, 3
	s_delay_alu instid0(SALU_CYCLE_1)
	s_cmp_eq_u32 s22, 0
	s_cbranch_scc1 .LBB153_27
; %bb.21:
	s_mul_i32 s23, s9, s21
	s_mul_hi_u32 s25, s8, s21
	s_mul_i32 s24, s8, s21
	s_add_i32 s25, s25, s23
	s_lshl_b64 s[18:19], s[18:19], 3
	s_lshl_b64 s[24:25], s[24:25], 3
	v_lshlrev_b32_e32 v1, 3, v0
	s_add_u32 s18, s24, s18
	s_addc_u32 s19, s25, s19
	s_waitcnt lgkmcnt(0)
	s_add_u32 s16, s16, s18
	s_addc_u32 s17, s17, s19
	v_add_co_u32 v1, s16, s16, v1
	s_delay_alu instid0(VALU_DEP_1) | instskip(SKIP_1) | instid1(VALU_DEP_2)
	v_add_co_ci_u32_e64 v2, null, s17, 0, s16
	s_mulk_i32 s21, 0xa0
	v_add_co_u32 v1, vcc_lo, v1, 4
	v_lshl_add_u32 v5, v0, 3, s21
	s_delay_alu instid0(VALU_DEP_3)
	v_add_co_ci_u32_e32 v2, vcc_lo, 0, v2, vcc_lo
	s_lshl_b64 s[8:9], s[8:9], 3
	s_set_inst_prefetch_distance 0x1
	s_branch .LBB153_23
	.p2align	6
.LBB153_22:                             ;   in Loop: Header=BB153_23 Depth=1
	global_load_b32 v3, v[1:2], off offset:-4
	v_add_co_u32 v1, vcc_lo, v1, s8
	v_add_co_ci_u32_e32 v2, vcc_lo, s9, v2, vcc_lo
	s_add_i32 s22, s22, -1
	s_delay_alu instid0(SALU_CYCLE_1)
	s_cmp_lg_u32 s22, 0
	s_waitcnt vmcnt(0)
	ds_store_b64 v5, v[3:4]
	v_add_nc_u32_e32 v5, 0xa0, v5
	s_cbranch_scc0 .LBB153_27
.LBB153_23:                             ; =>This Inner Loop Header: Depth=1
	v_cmp_ne_u32_e32 vcc_lo, 1, v7
	s_mov_b32 s16, -1
                                        ; implicit-def: $vgpr4
	s_cbranch_vccnz .LBB153_25
; %bb.24:                               ;   in Loop: Header=BB153_23 Depth=1
	global_load_b32 v4, v[1:2], off
	s_mov_b32 s16, 0
.LBB153_25:                             ;   in Loop: Header=BB153_23 Depth=1
	s_delay_alu instid0(SALU_CYCLE_1)
	s_and_not1_b32 vcc_lo, exec_lo, s16
	s_cbranch_vccnz .LBB153_22
; %bb.26:                               ;   in Loop: Header=BB153_23 Depth=1
	global_load_b32 v3, v[1:2], off
	s_waitcnt vmcnt(0)
	v_xor_b32_e32 v4, 0x80000000, v3
	s_branch .LBB153_22
.LBB153_27:
	s_set_inst_prefetch_distance 0x2
	v_mul_u32_u24_e32 v1, 21, v0
	s_cmpk_lg_i32 s5, 0x84
	s_mov_b32 s5, -1
	s_delay_alu instid0(VALU_DEP_1)
	v_lshlrev_b32_e32 v5, 3, v1
	s_cbranch_scc0 .LBB153_33
; %bb.28:
	ds_load_b64 v[1:2], v5
	s_waitcnt lgkmcnt(0)
	v_cmp_gt_f32_e32 vcc_lo, 0, v1
	v_cndmask_b32_e64 v3, v1, -v1, vcc_lo
	v_cmp_gt_f32_e32 vcc_lo, 0, v2
	v_cndmask_b32_e64 v4, v2, -v2, vcc_lo
	s_delay_alu instid0(VALU_DEP_1) | instskip(SKIP_1) | instid1(SALU_CYCLE_1)
	v_cmp_ngt_f32_e32 vcc_lo, v3, v4
                                        ; implicit-def: $vgpr3
	s_and_saveexec_b32 s5, vcc_lo
	s_xor_b32 s5, exec_lo, s5
	s_cbranch_execz .LBB153_30
; %bb.29:
	v_div_scale_f32 v3, null, v2, v2, v1
	v_div_scale_f32 v7, vcc_lo, v1, v2, v1
	s_delay_alu instid0(VALU_DEP_2) | instskip(SKIP_2) | instid1(VALU_DEP_1)
	v_rcp_f32_e32 v4, v3
	s_waitcnt_depctr 0xfff
	v_fma_f32 v6, -v3, v4, 1.0
	v_fmac_f32_e32 v4, v6, v4
	s_delay_alu instid0(VALU_DEP_1) | instskip(NEXT) | instid1(VALU_DEP_1)
	v_mul_f32_e32 v6, v7, v4
	v_fma_f32 v8, -v3, v6, v7
	s_delay_alu instid0(VALU_DEP_1) | instskip(NEXT) | instid1(VALU_DEP_1)
	v_fmac_f32_e32 v6, v8, v4
	v_fma_f32 v3, -v3, v6, v7
	s_delay_alu instid0(VALU_DEP_1) | instskip(NEXT) | instid1(VALU_DEP_1)
	v_div_fmas_f32 v3, v3, v4, v6
	v_div_fixup_f32 v3, v3, v2, v1
	s_delay_alu instid0(VALU_DEP_1) | instskip(NEXT) | instid1(VALU_DEP_1)
	v_fmac_f32_e32 v2, v1, v3
	v_div_scale_f32 v1, null, v2, v2, 1.0
	v_div_scale_f32 v7, vcc_lo, 1.0, v2, 1.0
	s_delay_alu instid0(VALU_DEP_2) | instskip(SKIP_2) | instid1(VALU_DEP_1)
	v_rcp_f32_e32 v4, v1
	s_waitcnt_depctr 0xfff
	v_fma_f32 v6, -v1, v4, 1.0
	v_fmac_f32_e32 v4, v6, v4
	s_delay_alu instid0(VALU_DEP_1) | instskip(NEXT) | instid1(VALU_DEP_1)
	v_mul_f32_e32 v6, v7, v4
	v_fma_f32 v8, -v1, v6, v7
	s_delay_alu instid0(VALU_DEP_1) | instskip(NEXT) | instid1(VALU_DEP_1)
	v_fmac_f32_e32 v6, v8, v4
	v_fma_f32 v1, -v1, v6, v7
	s_delay_alu instid0(VALU_DEP_1) | instskip(SKIP_1) | instid1(VALU_DEP_2)
	v_div_fmas_f32 v1, v1, v4, v6
	v_add_f32_e32 v4, 0, v3
	v_div_fixup_f32 v1, v1, v2, 1.0
	v_fma_f32 v2, v3, 0, -1.0
	s_delay_alu instid0(VALU_DEP_2) | instskip(NEXT) | instid1(VALU_DEP_2)
	v_mul_f32_e32 v3, v4, v1
	v_mul_f32_e32 v4, v2, v1
                                        ; implicit-def: $vgpr1_vgpr2
.LBB153_30:
	s_and_not1_saveexec_b32 s5, s5
	s_cbranch_execz .LBB153_32
; %bb.31:
	v_div_scale_f32 v3, null, v1, v1, v2
	v_div_scale_f32 v7, vcc_lo, v2, v1, v2
	s_delay_alu instid0(VALU_DEP_2) | instskip(SKIP_2) | instid1(VALU_DEP_1)
	v_rcp_f32_e32 v4, v3
	s_waitcnt_depctr 0xfff
	v_fma_f32 v6, -v3, v4, 1.0
	v_fmac_f32_e32 v4, v6, v4
	s_delay_alu instid0(VALU_DEP_1) | instskip(NEXT) | instid1(VALU_DEP_1)
	v_mul_f32_e32 v6, v7, v4
	v_fma_f32 v8, -v3, v6, v7
	s_delay_alu instid0(VALU_DEP_1) | instskip(NEXT) | instid1(VALU_DEP_1)
	v_fmac_f32_e32 v6, v8, v4
	v_fma_f32 v3, -v3, v6, v7
	s_delay_alu instid0(VALU_DEP_1) | instskip(NEXT) | instid1(VALU_DEP_1)
	v_div_fmas_f32 v3, v3, v4, v6
	v_div_fixup_f32 v4, v3, v1, v2
	s_delay_alu instid0(VALU_DEP_1) | instskip(NEXT) | instid1(VALU_DEP_1)
	v_fmac_f32_e32 v1, v2, v4
	v_div_scale_f32 v2, null, v1, v1, 1.0
	v_div_scale_f32 v7, vcc_lo, 1.0, v1, 1.0
	s_delay_alu instid0(VALU_DEP_2) | instskip(SKIP_2) | instid1(VALU_DEP_1)
	v_rcp_f32_e32 v3, v2
	s_waitcnt_depctr 0xfff
	v_fma_f32 v6, -v2, v3, 1.0
	v_fmac_f32_e32 v3, v6, v3
	s_delay_alu instid0(VALU_DEP_1) | instskip(NEXT) | instid1(VALU_DEP_1)
	v_mul_f32_e32 v6, v7, v3
	v_fma_f32 v8, -v2, v6, v7
	s_delay_alu instid0(VALU_DEP_1) | instskip(NEXT) | instid1(VALU_DEP_1)
	v_fmac_f32_e32 v6, v8, v3
	v_fma_f32 v2, -v2, v6, v7
	s_delay_alu instid0(VALU_DEP_1) | instskip(SKIP_1) | instid1(VALU_DEP_2)
	v_div_fmas_f32 v2, v2, v3, v6
	v_fma_f32 v3, v4, 0, 1.0
	v_div_fixup_f32 v1, v2, v1, 1.0
	s_delay_alu instid0(VALU_DEP_1)
	v_mul_f32_e32 v3, v3, v1
	v_mul_f32_e64 v4, -v4, v1
.LBB153_32:
	s_or_b32 exec_lo, exec_lo, s5
	s_mov_b32 s5, 0
	ds_store_b64 v5, v[3:4]
.LBB153_33:
	s_and_b32 vcc_lo, exec_lo, s5
	s_cbranch_vccz .LBB153_35
; %bb.34:
	v_dual_mov_b32 v1, 1.0 :: v_dual_mov_b32 v2, 0
	ds_store_b64 v5, v[1:2]
.LBB153_35:
	s_or_b32 exec_lo, exec_lo, s29
	s_waitcnt lgkmcnt(0)
	s_load_b32 s16, s[0:1], 0x50
	s_lshl_b64 s[0:1], s[10:11], 3
	s_mul_i32 s5, s14, 0xffffffec
	s_mul_i32 s8, s14, 20
	s_waitcnt lgkmcnt(0)
	s_ashr_i32 s17, s16, 31
	s_add_u32 s18, s2, s0
	s_addc_u32 s19, s3, s1
	s_add_i32 s15, s15, -1
	s_add_i32 s5, s5, s7
	s_mul_hi_i32 s11, s16, s8
	s_cmp_ge_u32 s14, s15
	s_mul_i32 s10, s16, s8
	s_cselect_b32 s5, s5, 20
	s_lshl_b64 s[10:11], s[10:11], 3
	s_ashr_i32 s9, s8, 31
	s_add_u32 s7, s18, s10
	s_addc_u32 s18, s19, s11
	v_cmp_gt_i32_e32 vcc_lo, s5, v0
	s_cmp_gt_i32 s6, 0
	s_mov_b32 s10, 0
	s_cselect_b32 s5, -1, 0
	s_delay_alu instid0(SALU_CYCLE_1) | instskip(NEXT) | instid1(SALU_CYCLE_1)
	s_and_b32 s19, vcc_lo, s5
	s_and_saveexec_b32 s5, s19
	s_cbranch_execz .LBB153_42
; %bb.36:
	s_cmp_lt_i32 s6, 8
	s_cbranch_scc1 .LBB153_39
; %bb.37:
	v_mad_i64_i32 v[1:2], null, s16, v0, 0
	v_lshl_add_u32 v3, v0, 3, 0xc80
	s_lshl_b32 s10, s20, 3
	s_mov_b64 s[14:15], 0
	s_and_b32 s11, s10, 0xc0
	s_mov_b32 s10, 0
	s_delay_alu instid0(VALU_DEP_2) | instskip(NEXT) | instid1(VALU_DEP_1)
	v_lshlrev_b64 v[1:2], 3, v[1:2]
	v_add_co_u32 v1, vcc_lo, s7, v1
	s_delay_alu instid0(VALU_DEP_2)
	v_add_co_ci_u32_e32 v2, vcc_lo, s18, v2, vcc_lo
.LBB153_38:                             ; =>This Inner Loop Header: Depth=1
	s_delay_alu instid0(VALU_DEP_2) | instskip(NEXT) | instid1(VALU_DEP_2)
	v_add_co_u32 v16, vcc_lo, v1, s14
	v_add_co_ci_u32_e32 v17, vcc_lo, s15, v2, vcc_lo
	s_add_i32 s10, s10, 8
	s_add_u32 s14, s14, 64
	s_addc_u32 s15, s15, 0
	s_clause 0x3
	global_load_b128 v[4:7], v[16:17], off
	global_load_b128 v[8:11], v[16:17], off offset:16
	global_load_b128 v[12:15], v[16:17], off offset:32
	;; [unrolled: 1-line block ×3, first 2 shown]
	s_cmp_lg_u32 s11, s14
	s_waitcnt vmcnt(3)
	v_dual_mul_f32 v21, s13, v5 :: v_dual_mul_f32 v22, s13, v7
	v_dual_mul_f32 v20, s12, v5 :: v_dual_mul_f32 v5, s12, v7
	s_waitcnt vmcnt(2)
	v_dual_mul_f32 v23, s13, v9 :: v_dual_mul_f32 v24, s13, v11
	s_waitcnt vmcnt(1)
	v_dual_mul_f32 v7, s12, v9 :: v_dual_mul_f32 v26, s13, v15
	v_dual_mul_f32 v9, s12, v11 :: v_dual_fmac_f32 v20, s13, v4
	s_waitcnt vmcnt(0)
	v_dual_mul_f32 v25, s13, v13 :: v_dual_mul_f32 v28, s13, v19
	v_mul_f32_e32 v11, s12, v13
	v_mul_f32_e32 v13, s12, v15
	;; [unrolled: 1-line block ×5, first 2 shown]
	v_fma_f32 v19, s12, v4, -v21
	v_fma_f32 v4, s12, v6, -v22
	v_fmac_f32_e32 v5, s13, v6
	v_fma_f32 v6, s12, v8, -v23
	v_fmac_f32_e32 v7, s13, v8
	;; [unrolled: 2-line block ×7, first 2 shown]
	ds_store_2addr_b64 v3, v[19:20], v[4:5] offset1:20
	ds_store_2addr_b64 v3, v[6:7], v[8:9] offset0:40 offset1:60
	ds_store_2addr_b64 v3, v[10:11], v[12:13] offset0:80 offset1:100
	;; [unrolled: 1-line block ×3, first 2 shown]
	v_add_nc_u32_e32 v3, 0x500, v3
	s_cbranch_scc1 .LBB153_38
.LBB153_39:
	s_and_b32 s14, s20, 7
	s_mov_b32 s11, 0
	s_cmp_eq_u32 s14, 0
	s_cbranch_scc1 .LBB153_42
; %bb.40:
	v_lshlrev_b32_e32 v3, 3, v0
	s_lshl_b64 s[22:23], s[8:9], 3
	s_lshl_b64 s[24:25], s[10:11], 3
	s_mulk_i32 s10, 0xa0
	s_delay_alu instid0(VALU_DEP_1) | instskip(NEXT) | instid1(VALU_DEP_1)
	v_add_co_u32 v4, s11, s22, v3
	v_add_co_ci_u32_e64 v5, null, s23, 0, s11
	s_add_u32 s11, s2, s24
	s_addc_u32 s15, s3, s25
	s_add_u32 s22, s11, s0
	s_addc_u32 s23, s15, s1
	v_mul_lo_u32 v5, v5, s16
	v_mad_u64_u32 v[1:2], null, v4, s16, s[22:23]
	v_mul_lo_u32 v4, v4, s17
	v_add3_u32 v3, s10, v3, 0xc80
	s_delay_alu instid0(VALU_DEP_3) | instskip(NEXT) | instid1(VALU_DEP_3)
	v_add_co_u32 v1, vcc_lo, v1, 4
	v_add3_u32 v2, v5, v2, v4
	s_delay_alu instid0(VALU_DEP_1)
	v_add_co_ci_u32_e32 v2, vcc_lo, 0, v2, vcc_lo
	.p2align	6
.LBB153_41:                             ; =>This Inner Loop Header: Depth=1
	global_load_b64 v[4:5], v[1:2], off offset:-4
	v_add_co_u32 v1, vcc_lo, v1, 8
	v_add_co_ci_u32_e32 v2, vcc_lo, 0, v2, vcc_lo
	s_add_i32 s14, s14, -1
	s_delay_alu instid0(SALU_CYCLE_1) | instskip(SKIP_2) | instid1(VALU_DEP_1)
	s_cmp_lg_u32 s14, 0
	s_waitcnt vmcnt(0)
	v_mul_f32_e32 v6, s12, v5
	v_dual_mul_f32 v7, s13, v5 :: v_dual_fmac_f32 v6, s13, v4
	s_delay_alu instid0(VALU_DEP_1)
	v_fma_f32 v5, s12, v4, -v7
	ds_store_b64 v3, v[5:6]
	v_add_nc_u32_e32 v3, 0xa0, v3
	s_cbranch_scc1 .LBB153_41
.LBB153_42:
	s_or_b32 exec_lo, exec_lo, s5
	v_or_b32_e64 v5, 0, 4
	s_cmpk_eq_i32 s4, 0x6f
	s_mov_b32 s4, -1
	s_waitcnt vmcnt(0) lgkmcnt(0)
	s_waitcnt_vscnt null, 0x0
	; wave barrier
	s_waitcnt lgkmcnt(0)
	buffer_gl0_inv
	s_cbranch_scc1 .LBB153_64
; %bb.43:
	v_lshl_add_u32 v3, v0, 3, 0xc80
	s_mov_b32 s5, 0
	s_delay_alu instid0(SALU_CYCLE_1)
	s_mov_b32 s4, s5
	s_mov_b32 s10, s5
	s_branch .LBB153_45
.LBB153_44:                             ;   in Loop: Header=BB153_45 Depth=1
	s_cmp_ge_i32 s10, s20
	s_cselect_b32 s11, -1, 0
	s_add_i32 s4, s4, 1
	s_delay_alu instid0(SALU_CYCLE_1) | instskip(SKIP_1) | instid1(SALU_CYCLE_1)
	s_cmp_eq_u32 s4, 3
	s_cselect_b32 s12, -1, 0
	s_or_b32 s11, s11, s12
	s_delay_alu instid0(SALU_CYCLE_1)
	s_and_not1_b32 vcc_lo, exec_lo, s11
	s_cbranch_vccz .LBB153_63
.LBB153_45:                             ; =>This Loop Header: Depth=1
                                        ;     Child Loop BB153_48 Depth 2
                                        ;       Child Loop BB153_49 Depth 3
                                        ;       Child Loop BB153_52 Depth 3
                                        ;         Child Loop BB153_53 Depth 4
                                        ;       Child Loop BB153_57 Depth 3
                                        ;         Child Loop BB153_59 Depth 4
	s_getpc_b64 s[12:13]
	s_add_u32 s12, s12, __const._ZL38rocblas_trsm_small_left_device_sharedBILi20ELi20ELb0E19rocblas_complex_numIfES1_PKPKS1_PKPS1_Ev13rocblas_fill_18rocblas_operation_17rocblas_diagonal_iiT3_T4_lilT5_lili.step_sizes@rel32@lo+4
	s_addc_u32 s13, s13, __const._ZL38rocblas_trsm_small_left_device_sharedBILi20ELi20ELb0E19rocblas_complex_numIfES1_PKPKS1_PKPS1_Ev13rocblas_fill_18rocblas_operation_17rocblas_diagonal_iiT3_T4_lilT5_lili.step_sizes@rel32@hi+12
	s_lshl_b64 s[14:15], s[4:5], 2
	s_delay_alu instid0(SALU_CYCLE_1) | instskip(SKIP_4) | instid1(SALU_CYCLE_1)
	s_add_u32 s12, s14, s12
	s_addc_u32 s13, s15, s13
	s_load_b32 s11, s[12:13], 0x0
	s_waitcnt lgkmcnt(0)
	s_add_i32 s12, s11, -1
	s_add_i32 s13, s12, s10
	s_delay_alu instid0(SALU_CYCLE_1)
	s_cmp_ge_i32 s13, s20
	s_cbranch_scc1 .LBB153_44
; %bb.46:                               ;   in Loop: Header=BB153_45 Depth=1
	s_mul_i32 s13, s10, 0xa0
	s_max_i32 s14, s11, 1
	v_add_nc_u32_e32 v4, s13, v3
	s_mul_i32 s15, s11, 0xa0
	s_mul_i32 s21, s10, 0xa8
	;; [unrolled: 1-line block ×3, first 2 shown]
	s_branch .LBB153_48
.LBB153_47:                             ;   in Loop: Header=BB153_48 Depth=2
	s_add_i32 s10, s10, s11
	v_add_nc_u32_e32 v4, s15, v4
	s_add_i32 s23, s12, s10
	s_add_i32 s13, s13, s15
	;; [unrolled: 1-line block ×3, first 2 shown]
	s_cmp_ge_i32 s23, s20
	s_cbranch_scc1 .LBB153_44
.LBB153_48:                             ;   Parent Loop BB153_45 Depth=1
                                        ; =>  This Loop Header: Depth=2
                                        ;       Child Loop BB153_49 Depth 3
                                        ;       Child Loop BB153_52 Depth 3
                                        ;         Child Loop BB153_53 Depth 4
                                        ;       Child Loop BB153_57 Depth 3
                                        ;         Child Loop BB153_59 Depth 4
	v_dual_mov_b32 v1, 0 :: v_dual_mov_b32 v2, v4
	s_mov_b32 s23, s14
.LBB153_49:                             ;   Parent Loop BB153_45 Depth=1
                                        ;     Parent Loop BB153_48 Depth=2
                                        ; =>    This Inner Loop Header: Depth=3
	ds_load_b64 v[6:7], v2
	v_add_nc_u32_e32 v2, 0xa0, v2
	s_add_i32 s23, s23, -1
	s_delay_alu instid0(SALU_CYCLE_1)
	s_cmp_eq_u32 s23, 0
	s_waitcnt lgkmcnt(0)
	scratch_store_b64 v1, v[6:7], off
	v_add_nc_u32_e32 v1, 8, v1
	s_cbranch_scc0 .LBB153_49
; %bb.50:                               ;   in Loop: Header=BB153_48 Depth=2
	s_cmp_lt_i32 s10, 1
	s_cbranch_scc1 .LBB153_55
; %bb.51:                               ;   in Loop: Header=BB153_48 Depth=2
	s_mov_b32 s23, 0
	s_mov_b32 s24, s13
	.p2align	6
.LBB153_52:                             ;   Parent Loop BB153_45 Depth=1
                                        ;     Parent Loop BB153_48 Depth=2
                                        ; =>    This Loop Header: Depth=3
                                        ;         Child Loop BB153_53 Depth 4
	s_mul_i32 s25, s23, 20
	v_mov_b32_e32 v6, v5
	v_add_lshl_u32 v1, s25, v0, 3
	s_mov_b32 s25, s24
	s_mov_b32 s26, s14
	ds_load_b64 v[1:2], v1 offset:3200
	.p2align	6
.LBB153_53:                             ;   Parent Loop BB153_45 Depth=1
                                        ;     Parent Loop BB153_48 Depth=2
                                        ;       Parent Loop BB153_52 Depth=3
                                        ; =>      This Inner Loop Header: Depth=4
	scratch_load_b64 v[7:8], v6, off offset:-4
	v_mov_b32_e32 v9, s25
	s_add_i32 s26, s26, -1
	s_addk_i32 s25, 0xa0
	s_cmp_eq_u32 s26, 0
	ds_load_b64 v[9:10], v9
	s_waitcnt lgkmcnt(0)
	v_mul_f32_e32 v11, v10, v2
	v_mul_f32_e32 v10, v10, v1
	s_delay_alu instid0(VALU_DEP_2) | instskip(SKIP_1) | instid1(VALU_DEP_1)
	v_fma_f32 v11, v9, v1, -v11
	s_waitcnt vmcnt(0)
	v_dual_fmac_f32 v10, v9, v2 :: v_dual_sub_f32 v7, v7, v11
	s_delay_alu instid0(VALU_DEP_1)
	v_sub_f32_e32 v8, v8, v10
	scratch_store_b64 v6, v[7:8], off offset:-4
	v_add_nc_u32_e32 v6, 8, v6
	s_cbranch_scc0 .LBB153_53
; %bb.54:                               ;   in Loop: Header=BB153_52 Depth=3
	s_add_i32 s23, s23, 1
	s_add_i32 s24, s24, 8
	s_cmp_ge_i32 s23, s10
	s_cbranch_scc0 .LBB153_52
.LBB153_55:                             ;   in Loop: Header=BB153_48 Depth=2
	s_mul_i32 s23, s10, 20
	s_mov_b32 s24, 0
	s_mov_b32 s25, s21
	s_branch .LBB153_57
.LBB153_56:                             ;   in Loop: Header=BB153_57 Depth=3
	s_mulk_i32 s27, 0xa8
	s_addk_i32 s25, 0xa0
	v_mov_b32_e32 v6, s27
	s_lshl_b32 s27, s24, 3
	s_add_i32 s24, s24, 1
	ds_load_b64 v[6:7], v6
	s_waitcnt vmcnt(0) lgkmcnt(0)
	v_mul_f32_e32 v8, v7, v2
	v_mul_f32_e32 v9, v6, v2
	v_add_lshl_u32 v2, s26, v0, 3
	s_add_i32 s26, s27, 0
	s_cmp_eq_u32 s24, s14
	v_fma_f32 v8, v6, v1, -v8
	v_fmac_f32_e32 v9, v7, v1
	scratch_store_b64 off, v[8:9], s26
	ds_store_b64 v2, v[8:9] offset:3200
	s_cbranch_scc1 .LBB153_47
.LBB153_57:                             ;   Parent Loop BB153_45 Depth=1
                                        ;     Parent Loop BB153_48 Depth=2
                                        ; =>    This Loop Header: Depth=3
                                        ;         Child Loop BB153_59 Depth 4
	s_cmp_lg_u32 s24, 0
	s_cbranch_scc0 .LBB153_61
; %bb.58:                               ;   in Loop: Header=BB153_57 Depth=3
	s_lshl_b32 s26, s24, 3
	v_mov_b32_e32 v7, 0
	s_add_i32 s27, s26, 0
	v_add_nc_u32_e64 v6, s26, 0
	scratch_load_b64 v[1:2], off, s27
	s_add_i32 s27, s24, s10
	s_mov_b32 s29, 0
	s_mul_i32 s26, s27, 20
	s_mov_b32 s30, s25
	.p2align	6
.LBB153_59:                             ;   Parent Loop BB153_45 Depth=1
                                        ;     Parent Loop BB153_48 Depth=2
                                        ;       Parent Loop BB153_57 Depth=3
                                        ; =>      This Inner Loop Header: Depth=4
	scratch_load_b64 v[8:9], v7, off
	v_mov_b32_e32 v10, s30
	s_add_i32 s29, s29, 1
	s_add_i32 s30, s30, 8
	s_cmp_ge_u32 s29, s24
	v_add_nc_u32_e32 v7, 8, v7
	ds_load_b64 v[10:11], v10
	s_waitcnt vmcnt(0) lgkmcnt(0)
	v_mul_f32_e32 v12, v11, v9
	v_mul_f32_e32 v9, v10, v9
	s_delay_alu instid0(VALU_DEP_2) | instskip(NEXT) | instid1(VALU_DEP_2)
	v_fma_f32 v10, v10, v8, -v12
	v_fmac_f32_e32 v9, v11, v8
	s_delay_alu instid0(VALU_DEP_1)
	v_dual_sub_f32 v1, v1, v10 :: v_dual_sub_f32 v2, v2, v9
	scratch_store_b64 v6, v[1:2], off
	s_cbranch_scc0 .LBB153_59
; %bb.60:                               ;   in Loop: Header=BB153_57 Depth=3
	s_branch .LBB153_56
.LBB153_61:                             ;   in Loop: Header=BB153_57 Depth=3
                                        ; implicit-def: $vgpr1
                                        ; implicit-def: $sgpr27
                                        ; implicit-def: $sgpr26
	s_cbranch_execz .LBB153_56
; %bb.62:                               ;   in Loop: Header=BB153_57 Depth=3
	scratch_load_b64 v[1:2], off, off
	s_mov_b32 s26, s23
	s_mov_b32 s27, s10
	s_branch .LBB153_56
.LBB153_63:
	s_mov_b32 s4, 0
.LBB153_64:
	s_delay_alu instid0(SALU_CYCLE_1)
	s_and_b32 vcc_lo, exec_lo, s4
	s_cbranch_vccz .LBB153_84
; %bb.65:
	v_lshl_add_u32 v1, v0, 3, 0xc80
	s_mul_i32 s10, s20, 0xa0
	s_mov_b32 s5, 0
	s_addk_i32 s10, 0xff60
	s_mov_b32 s4, s5
	s_mov_b32 s11, s28
	s_branch .LBB153_67
.LBB153_66:                             ;   in Loop: Header=BB153_67 Depth=1
	s_cmp_lt_i32 s11, 0
	s_cselect_b32 s12, -1, 0
	s_add_i32 s4, s4, 1
	s_delay_alu instid0(SALU_CYCLE_1) | instskip(SKIP_1) | instid1(SALU_CYCLE_1)
	s_cmp_eq_u32 s4, 3
	s_cselect_b32 s13, -1, 0
	s_or_b32 s12, s12, s13
	s_delay_alu instid0(SALU_CYCLE_1)
	s_and_b32 vcc_lo, exec_lo, s12
	s_cbranch_vccnz .LBB153_84
.LBB153_67:                             ; =>This Loop Header: Depth=1
                                        ;     Child Loop BB153_70 Depth 2
                                        ;       Child Loop BB153_71 Depth 3
                                        ;       Child Loop BB153_73 Depth 3
                                        ;         Child Loop BB153_74 Depth 4
                                        ;       Child Loop BB153_78 Depth 3
                                        ;         Child Loop BB153_80 Depth 4
	s_getpc_b64 s[12:13]
	s_add_u32 s12, s12, __const._ZL38rocblas_trsm_small_left_device_sharedBILi20ELi20ELb0E19rocblas_complex_numIfES1_PKPKS1_PKPS1_Ev13rocblas_fill_18rocblas_operation_17rocblas_diagonal_iiT3_T4_lilT5_lili.step_sizes@rel32@lo+4
	s_addc_u32 s13, s13, __const._ZL38rocblas_trsm_small_left_device_sharedBILi20ELi20ELb0E19rocblas_complex_numIfES1_PKPKS1_PKPS1_Ev13rocblas_fill_18rocblas_operation_17rocblas_diagonal_iiT3_T4_lilT5_lili.step_sizes@rel32@hi+12
	s_lshl_b64 s[14:15], s[4:5], 2
	s_delay_alu instid0(SALU_CYCLE_1) | instskip(SKIP_4) | instid1(SALU_CYCLE_1)
	s_add_u32 s12, s14, s12
	s_addc_u32 s13, s15, s13
	s_load_b32 s12, s[12:13], 0x0
	s_waitcnt lgkmcnt(0)
	s_add_i32 s13, s12, -1
	s_cmp_lt_i32 s11, s13
	s_cbranch_scc1 .LBB153_66
; %bb.68:                               ;   in Loop: Header=BB153_67 Depth=1
	v_mad_u64_u32 v[2:3], null, 0xa0, s11, v[1:2]
	s_lshl_b32 s21, s11, 3
	s_lshl_b32 s22, s12, 3
	s_max_i32 s14, s12, 1
	s_mul_i32 s15, s12, 0xffffff60
	s_add_i32 s21, s10, s21
	s_sub_i32 s22, 0, s22
	s_mul_i32 s23, s11, 0xa8
	s_mul_i32 s24, s12, 0xffffff58
	s_branch .LBB153_70
.LBB153_69:                             ;   in Loop: Header=BB153_70 Depth=2
	v_add_nc_u32_e32 v2, s15, v2
	s_sub_i32 s11, s11, s12
	s_add_i32 s21, s21, s22
	s_add_i32 s23, s23, s24
	s_cmp_lt_i32 s11, s13
	s_cbranch_scc1 .LBB153_66
.LBB153_70:                             ;   Parent Loop BB153_67 Depth=1
                                        ; =>  This Loop Header: Depth=2
                                        ;       Child Loop BB153_71 Depth 3
                                        ;       Child Loop BB153_73 Depth 3
                                        ;         Child Loop BB153_74 Depth 4
                                        ;       Child Loop BB153_78 Depth 3
                                        ;         Child Loop BB153_80 Depth 4
	v_dual_mov_b32 v3, 0 :: v_dual_mov_b32 v4, v2
	s_mov_b32 s25, s14
.LBB153_71:                             ;   Parent Loop BB153_67 Depth=1
                                        ;     Parent Loop BB153_70 Depth=2
                                        ; =>    This Inner Loop Header: Depth=3
	ds_load_b64 v[6:7], v4
	v_add_nc_u32_e32 v4, 0xffffff60, v4
	s_add_i32 s25, s25, -1
	s_delay_alu instid0(SALU_CYCLE_1)
	s_cmp_eq_u32 s25, 0
	s_waitcnt lgkmcnt(0)
	scratch_store_b64 v3, v[6:7], off
	v_add_nc_u32_e32 v3, 8, v3
	s_cbranch_scc0 .LBB153_71
; %bb.72:                               ;   in Loop: Header=BB153_70 Depth=2
	s_cmp_le_i32 s28, s11
	s_mov_b32 s25, s21
	s_mov_b32 s26, s28
	s_cbranch_scc1 .LBB153_76
	.p2align	6
.LBB153_73:                             ;   Parent Loop BB153_67 Depth=1
                                        ;     Parent Loop BB153_70 Depth=2
                                        ; =>    This Loop Header: Depth=3
                                        ;         Child Loop BB153_74 Depth 4
	s_mul_i32 s27, s26, 20
	v_mov_b32_e32 v6, v5
	v_add_lshl_u32 v3, s27, v0, 3
	s_mov_b32 s27, s14
	s_mov_b32 s29, s25
	ds_load_b64 v[3:4], v3 offset:3200
	.p2align	6
.LBB153_74:                             ;   Parent Loop BB153_67 Depth=1
                                        ;     Parent Loop BB153_70 Depth=2
                                        ;       Parent Loop BB153_73 Depth=3
                                        ; =>      This Inner Loop Header: Depth=4
	scratch_load_b64 v[7:8], v6, off offset:-4
	v_mov_b32_e32 v9, s29
	s_add_i32 s27, s27, -1
	s_add_i32 s29, s29, -8
	s_cmp_eq_u32 s27, 0
	ds_load_b64 v[9:10], v9
	s_waitcnt lgkmcnt(0)
	v_mul_f32_e32 v11, v10, v4
	v_mul_f32_e32 v10, v10, v3
	s_delay_alu instid0(VALU_DEP_1) | instskip(SKIP_1) | instid1(VALU_DEP_1)
	v_fmac_f32_e32 v10, v9, v4
	s_waitcnt vmcnt(0)
	v_sub_f32_e32 v8, v8, v10
	v_fma_f32 v11, v9, v3, -v11
	s_delay_alu instid0(VALU_DEP_1)
	v_sub_f32_e32 v7, v7, v11
	scratch_store_b64 v6, v[7:8], off offset:-4
	v_add_nc_u32_e32 v6, 8, v6
	s_cbranch_scc0 .LBB153_74
; %bb.75:                               ;   in Loop: Header=BB153_73 Depth=3
	s_add_i32 s26, s26, -1
	s_addk_i32 s25, 0xff60
	s_cmp_le_i32 s26, s11
	s_cbranch_scc0 .LBB153_73
.LBB153_76:                             ;   in Loop: Header=BB153_70 Depth=2
	s_mov_b32 s25, 0
	s_mov_b32 s26, s23
	s_branch .LBB153_78
.LBB153_77:                             ;   in Loop: Header=BB153_78 Depth=3
	s_mul_i32 s29, s27, 0xa8
	s_mul_i32 s27, s27, 20
	v_mov_b32_e32 v6, s29
	s_lshl_b32 s29, s25, 3
	s_add_i32 s25, s25, 1
	s_add_i32 s26, s26, -8
	ds_load_b64 v[6:7], v6
	s_waitcnt vmcnt(0) lgkmcnt(0)
	v_mul_f32_e32 v8, v7, v4
	v_mul_f32_e32 v9, v6, v4
	s_delay_alu instid0(VALU_DEP_2) | instskip(NEXT) | instid1(VALU_DEP_2)
	v_fma_f32 v8, v6, v3, -v8
	v_fmac_f32_e32 v9, v7, v3
	v_add_lshl_u32 v3, s27, v0, 3
	s_add_i32 s27, s29, 0
	s_cmp_eq_u32 s25, s14
	scratch_store_b64 off, v[8:9], s27
	ds_store_b64 v3, v[8:9] offset:3200
	s_cbranch_scc1 .LBB153_69
.LBB153_78:                             ;   Parent Loop BB153_67 Depth=1
                                        ;     Parent Loop BB153_70 Depth=2
                                        ; =>    This Loop Header: Depth=3
                                        ;         Child Loop BB153_80 Depth 4
	s_cmp_lg_u32 s25, 0
	s_cbranch_scc0 .LBB153_82
; %bb.79:                               ;   in Loop: Header=BB153_78 Depth=3
	s_lshl_b32 s27, s25, 3
	v_mov_b32_e32 v7, 0
	s_add_i32 s29, s27, 0
	v_add_nc_u32_e64 v6, s27, 0
	scratch_load_b64 v[3:4], off, s29
	s_sub_i32 s27, s11, s25
	s_mov_b32 s29, 0
	s_mov_b32 s30, s26
	.p2align	6
.LBB153_80:                             ;   Parent Loop BB153_67 Depth=1
                                        ;     Parent Loop BB153_70 Depth=2
                                        ;       Parent Loop BB153_78 Depth=3
                                        ; =>      This Inner Loop Header: Depth=4
	scratch_load_b64 v[8:9], v7, off
	v_mov_b32_e32 v10, s30
	s_add_i32 s29, s29, 1
	s_addk_i32 s30, 0xff60
	s_cmp_ge_u32 s29, s25
	v_add_nc_u32_e32 v7, 8, v7
	ds_load_b64 v[10:11], v10
	s_waitcnt vmcnt(0) lgkmcnt(0)
	v_mul_f32_e32 v12, v11, v9
	v_mul_f32_e32 v9, v10, v9
	s_delay_alu instid0(VALU_DEP_2) | instskip(NEXT) | instid1(VALU_DEP_2)
	v_fma_f32 v10, v10, v8, -v12
	v_fmac_f32_e32 v9, v11, v8
	s_delay_alu instid0(VALU_DEP_1)
	v_dual_sub_f32 v3, v3, v10 :: v_dual_sub_f32 v4, v4, v9
	scratch_store_b64 v6, v[3:4], off
	s_cbranch_scc0 .LBB153_80
; %bb.81:                               ;   in Loop: Header=BB153_78 Depth=3
	s_branch .LBB153_77
.LBB153_82:                             ;   in Loop: Header=BB153_78 Depth=3
                                        ; implicit-def: $vgpr3
                                        ; implicit-def: $sgpr27
	s_cbranch_execz .LBB153_77
; %bb.83:                               ;   in Loop: Header=BB153_78 Depth=3
	scratch_load_b64 v[3:4], off, off
	s_mov_b32 s27, s11
	s_branch .LBB153_77
.LBB153_84:
	s_waitcnt vmcnt(0) lgkmcnt(0)
	s_waitcnt_vscnt null, 0x0
	; wave barrier
	s_waitcnt lgkmcnt(0)
	s_waitcnt_vscnt null, 0x0
	buffer_gl0_inv
	s_and_saveexec_b32 s4, s19
	s_cbranch_execz .LBB153_91
; %bb.85:
	s_cmp_lt_i32 s6, 8
	s_mov_b32 s4, 0
	s_cbranch_scc1 .LBB153_88
; %bb.86:
	v_mad_i64_i32 v[1:2], null, s16, v0, 0
	v_lshl_add_u32 v3, v0, 3, 0xc80
	s_lshl_b32 s4, s20, 3
	s_delay_alu instid0(SALU_CYCLE_1) | instskip(SKIP_1) | instid1(VALU_DEP_2)
	s_and_b32 s5, s4, 0xc0
	s_mov_b32 s4, 0
	v_lshlrev_b64 v[1:2], 3, v[1:2]
	s_delay_alu instid0(VALU_DEP_1) | instskip(NEXT) | instid1(VALU_DEP_2)
	v_add_co_u32 v1, vcc_lo, s7, v1
	v_add_co_ci_u32_e32 v2, vcc_lo, s18, v2, vcc_lo
	s_mov_b64 s[6:7], 0
	.p2align	6
.LBB153_87:                             ; =>This Inner Loop Header: Depth=1
	ds_load_2addr_b64 v[4:7], v3 offset1:20
	ds_load_2addr_b64 v[8:11], v3 offset0:40 offset1:60
	ds_load_2addr_b64 v[12:15], v3 offset0:80 offset1:100
	;; [unrolled: 1-line block ×3, first 2 shown]
	v_add_co_u32 v20, vcc_lo, v1, s6
	v_add_co_ci_u32_e32 v21, vcc_lo, s7, v2, vcc_lo
	s_add_i32 s4, s4, 8
	v_add_nc_u32_e32 v3, 0x500, v3
	s_add_u32 s6, s6, 64
	s_addc_u32 s7, s7, 0
	s_cmp_lg_u32 s5, s6
	s_waitcnt lgkmcnt(3)
	global_store_b128 v[20:21], v[4:7], off
	s_waitcnt lgkmcnt(2)
	global_store_b128 v[20:21], v[8:11], off offset:16
	s_waitcnt lgkmcnt(1)
	global_store_b128 v[20:21], v[12:15], off offset:32
	;; [unrolled: 2-line block ×3, first 2 shown]
	s_cbranch_scc1 .LBB153_87
.LBB153_88:
	s_and_b32 s6, s20, 7
	s_mov_b32 s5, 0
	s_cmp_eq_u32 s6, 0
	s_cbranch_scc1 .LBB153_91
; %bb.89:
	v_lshlrev_b32_e32 v2, 3, v0
	s_lshl_b64 s[8:9], s[8:9], 3
	s_lshl_b64 s[10:11], s[4:5], 3
	s_delay_alu instid0(SALU_CYCLE_1) | instskip(NEXT) | instid1(VALU_DEP_1)
	s_add_u32 s2, s2, s10
	v_add_co_u32 v3, s5, s8, v2
	s_delay_alu instid0(VALU_DEP_1) | instskip(SKIP_3) | instid1(VALU_DEP_1)
	v_add_co_ci_u32_e64 v4, null, s9, 0, s5
	s_addc_u32 s3, s3, s11
	s_add_u32 s0, s2, s0
	s_addc_u32 s1, s3, s1
	v_mul_lo_u32 v4, v4, s16
	v_mad_u64_u32 v[0:1], null, v3, s16, s[0:1]
	v_mul_lo_u32 v3, v3, s17
	s_mul_i32 s0, s4, 0xa0
	s_delay_alu instid0(SALU_CYCLE_1) | instskip(NEXT) | instid1(VALU_DEP_2)
	v_add3_u32 v2, s0, v2, 0xc80
	v_add3_u32 v1, v4, v1, v3
.LBB153_90:                             ; =>This Inner Loop Header: Depth=1
	ds_load_b64 v[3:4], v2
	v_add_nc_u32_e32 v2, 0xa0, v2
	s_add_i32 s6, s6, -1
	s_delay_alu instid0(SALU_CYCLE_1)
	s_cmp_lg_u32 s6, 0
	s_waitcnt lgkmcnt(0)
	global_store_b64 v[0:1], v[3:4], off
	v_add_co_u32 v0, vcc_lo, v0, 8
	v_add_co_ci_u32_e32 v1, vcc_lo, 0, v1, vcc_lo
	s_cbranch_scc1 .LBB153_90
.LBB153_91:
	s_nop 0
	s_sendmsg sendmsg(MSG_DEALLOC_VGPRS)
	s_endpgm
	.section	.rodata,"a",@progbits
	.p2align	6, 0x0
	.amdhsa_kernel _ZL38rocblas_trsm_small_left_device_sharedBILi20ELi20ELb0E19rocblas_complex_numIfES1_PKPKS1_PKPS1_Ev13rocblas_fill_18rocblas_operation_17rocblas_diagonal_iiT3_T4_lilT5_lili
		.amdhsa_group_segment_fixed_size 6400
		.amdhsa_private_segment_fixed_size 176
		.amdhsa_kernarg_size 360
		.amdhsa_user_sgpr_count 14
		.amdhsa_user_sgpr_dispatch_ptr 0
		.amdhsa_user_sgpr_queue_ptr 0
		.amdhsa_user_sgpr_kernarg_segment_ptr 1
		.amdhsa_user_sgpr_dispatch_id 0
		.amdhsa_user_sgpr_private_segment_size 0
		.amdhsa_wavefront_size32 1
		.amdhsa_uses_dynamic_stack 0
		.amdhsa_enable_private_segment 1
		.amdhsa_system_sgpr_workgroup_id_x 1
		.amdhsa_system_sgpr_workgroup_id_y 0
		.amdhsa_system_sgpr_workgroup_id_z 1
		.amdhsa_system_sgpr_workgroup_info 0
		.amdhsa_system_vgpr_workitem_id 0
		.amdhsa_next_free_vgpr 29
		.amdhsa_next_free_sgpr 35
		.amdhsa_reserve_vcc 1
		.amdhsa_float_round_mode_32 0
		.amdhsa_float_round_mode_16_64 0
		.amdhsa_float_denorm_mode_32 3
		.amdhsa_float_denorm_mode_16_64 3
		.amdhsa_dx10_clamp 1
		.amdhsa_ieee_mode 1
		.amdhsa_fp16_overflow 0
		.amdhsa_workgroup_processor_mode 1
		.amdhsa_memory_ordered 1
		.amdhsa_forward_progress 0
		.amdhsa_shared_vgpr_count 0
		.amdhsa_exception_fp_ieee_invalid_op 0
		.amdhsa_exception_fp_denorm_src 0
		.amdhsa_exception_fp_ieee_div_zero 0
		.amdhsa_exception_fp_ieee_overflow 0
		.amdhsa_exception_fp_ieee_underflow 0
		.amdhsa_exception_fp_ieee_inexact 0
		.amdhsa_exception_int_div_zero 0
	.end_amdhsa_kernel
	.section	.text._ZL38rocblas_trsm_small_left_device_sharedBILi20ELi20ELb0E19rocblas_complex_numIfES1_PKPKS1_PKPS1_Ev13rocblas_fill_18rocblas_operation_17rocblas_diagonal_iiT3_T4_lilT5_lili,"axG",@progbits,_ZL38rocblas_trsm_small_left_device_sharedBILi20ELi20ELb0E19rocblas_complex_numIfES1_PKPKS1_PKPS1_Ev13rocblas_fill_18rocblas_operation_17rocblas_diagonal_iiT3_T4_lilT5_lili,comdat
.Lfunc_end153:
	.size	_ZL38rocblas_trsm_small_left_device_sharedBILi20ELi20ELb0E19rocblas_complex_numIfES1_PKPKS1_PKPS1_Ev13rocblas_fill_18rocblas_operation_17rocblas_diagonal_iiT3_T4_lilT5_lili, .Lfunc_end153-_ZL38rocblas_trsm_small_left_device_sharedBILi20ELi20ELb0E19rocblas_complex_numIfES1_PKPKS1_PKPS1_Ev13rocblas_fill_18rocblas_operation_17rocblas_diagonal_iiT3_T4_lilT5_lili
                                        ; -- End function
	.section	.AMDGPU.csdata,"",@progbits
; Kernel info:
; codeLenInByte = 3964
; NumSgprs: 37
; NumVgprs: 29
; ScratchSize: 176
; MemoryBound: 0
; FloatMode: 240
; IeeeMode: 1
; LDSByteSize: 6400 bytes/workgroup (compile time only)
; SGPRBlocks: 4
; VGPRBlocks: 3
; NumSGPRsForWavesPerEU: 37
; NumVGPRsForWavesPerEU: 29
; Occupancy: 5
; WaveLimiterHint : 1
; COMPUTE_PGM_RSRC2:SCRATCH_EN: 1
; COMPUTE_PGM_RSRC2:USER_SGPR: 14
; COMPUTE_PGM_RSRC2:TRAP_HANDLER: 0
; COMPUTE_PGM_RSRC2:TGID_X_EN: 1
; COMPUTE_PGM_RSRC2:TGID_Y_EN: 0
; COMPUTE_PGM_RSRC2:TGID_Z_EN: 1
; COMPUTE_PGM_RSRC2:TIDIG_COMP_CNT: 0
	.section	.text._ZL30rocblas_trsm_small_left_deviceILi20ELi20ELb0E19rocblas_complex_numIfES1_PKPKS1_PKPS1_Ev13rocblas_fill_18rocblas_operation_17rocblas_diagonal_iiT3_T4_lilT5_lili,"axG",@progbits,_ZL30rocblas_trsm_small_left_deviceILi20ELi20ELb0E19rocblas_complex_numIfES1_PKPKS1_PKPS1_Ev13rocblas_fill_18rocblas_operation_17rocblas_diagonal_iiT3_T4_lilT5_lili,comdat
	.globl	_ZL30rocblas_trsm_small_left_deviceILi20ELi20ELb0E19rocblas_complex_numIfES1_PKPKS1_PKPS1_Ev13rocblas_fill_18rocblas_operation_17rocblas_diagonal_iiT3_T4_lilT5_lili ; -- Begin function _ZL30rocblas_trsm_small_left_deviceILi20ELi20ELb0E19rocblas_complex_numIfES1_PKPKS1_PKPS1_Ev13rocblas_fill_18rocblas_operation_17rocblas_diagonal_iiT3_T4_lilT5_lili
	.p2align	8
	.type	_ZL30rocblas_trsm_small_left_deviceILi20ELi20ELb0E19rocblas_complex_numIfES1_PKPKS1_PKPS1_Ev13rocblas_fill_18rocblas_operation_17rocblas_diagonal_iiT3_T4_lilT5_lili,@function
_ZL30rocblas_trsm_small_left_deviceILi20ELi20ELb0E19rocblas_complex_numIfES1_PKPKS1_PKPS1_Ev13rocblas_fill_18rocblas_operation_17rocblas_diagonal_iiT3_T4_lilT5_lili: ; @_ZL30rocblas_trsm_small_left_deviceILi20ELi20ELb0E19rocblas_complex_numIfES1_PKPKS1_PKPS1_Ev13rocblas_fill_18rocblas_operation_17rocblas_diagonal_iiT3_T4_lilT5_lili
; %bb.0:
	s_clause 0x1
	s_load_b128 s[8:11], s[0:1], 0x40
	s_load_b128 s[4:7], s[0:1], 0x4
	s_mov_b32 s12, s15
	s_mov_b32 s13, 0
	s_load_b32 s15, s[0:1], 0x68
	s_lshl_b64 s[22:23], s[12:13], 3
	s_waitcnt lgkmcnt(0)
	s_add_u32 s8, s8, s22
	s_addc_u32 s9, s9, s23
	s_load_b64 s[2:3], s[0:1], 0x14
	s_load_b64 s[8:9], s[8:9], 0x0
	s_min_i32 s29, s6, 20
	s_mov_b32 s6, exec_lo
	s_add_i32 s28, s29, -1
	v_cmpx_gt_i32_e64 s29, v0
	s_cbranch_execz .LBB154_35
; %bb.1:
	s_clause 0x1
	s_load_b32 s20, s[0:1], 0x30
	s_load_b128 s[16:19], s[0:1], 0x20
	v_lshlrev_b32_e32 v8, 3, v0
	s_waitcnt lgkmcnt(0)
	s_ashr_i32 s21, s20, 31
	s_cmpk_lg_i32 s4, 0x71
	s_cselect_b32 s12, -1, 0
	s_add_u32 s16, s16, s22
	s_addc_u32 s17, s17, s23
	v_cndmask_b32_e64 v7, 0, 1, s12
	s_load_b64 s[16:17], s[16:17], 0x0
	s_cmp_lt_u32 s28, 3
	s_cbranch_scc1 .LBB154_20
; %bb.2:
	s_lshl_b64 s[22:23], s[18:19], 3
	v_mov_b32_e32 v9, v8
	s_waitcnt lgkmcnt(0)
	s_add_u32 s13, s16, s22
	s_addc_u32 s22, s17, s23
	v_add_co_u32 v1, s13, s13, v8
	s_delay_alu instid0(VALU_DEP_1)
	v_add_co_ci_u32_e64 v2, null, s22, 0, s13
	s_and_b32 s13, s29, -4
	s_mul_hi_i32 s30, s20, 24
	s_mul_i32 s31, s20, 24
	s_lshl_b64 s[22:23], s[20:21], 5
	s_lshl_b64 s[24:25], s[20:21], 4
	;; [unrolled: 1-line block ×3, first 2 shown]
	s_mov_b32 s33, 0
	s_branch .LBB154_4
.LBB154_3:                              ;   in Loop: Header=BB154_4 Depth=1
	global_load_b32 v3, v[5:6], off
	v_add_co_u32 v1, vcc_lo, v1, s22
	v_add_co_ci_u32_e32 v2, vcc_lo, s23, v2, vcc_lo
	s_add_i32 s33, s33, 4
	s_delay_alu instid0(SALU_CYCLE_1)
	s_cmp_eq_u32 s13, s33
	s_waitcnt vmcnt(0)
	ds_store_b64 v9, v[3:4] offset:480
	v_add_nc_u32_e32 v9, 0x280, v9
	s_cbranch_scc1 .LBB154_20
.LBB154_4:                              ; =>This Inner Loop Header: Depth=1
	s_and_b32 vcc_lo, exec_lo, s12
	s_cbranch_vccz .LBB154_6
; %bb.5:                                ;   in Loop: Header=BB154_4 Depth=1
	global_load_b32 v4, v[1:2], off offset:4
	s_cbranch_execz .LBB154_7
	s_branch .LBB154_8
.LBB154_6:                              ;   in Loop: Header=BB154_4 Depth=1
                                        ; implicit-def: $vgpr4
.LBB154_7:                              ;   in Loop: Header=BB154_4 Depth=1
	global_load_b32 v3, v[1:2], off offset:4
	s_waitcnt vmcnt(0)
	v_xor_b32_e32 v4, 0x80000000, v3
.LBB154_8:                              ;   in Loop: Header=BB154_4 Depth=1
	global_load_b32 v3, v[1:2], off
	v_add_co_u32 v5, vcc_lo, v1, s26
	v_add_co_ci_u32_e32 v6, vcc_lo, s27, v2, vcc_lo
	s_and_not1_b32 vcc_lo, exec_lo, s12
	s_waitcnt vmcnt(0)
	ds_store_b64 v9, v[3:4]
	s_cbranch_vccnz .LBB154_10
; %bb.9:                                ;   in Loop: Header=BB154_4 Depth=1
	global_load_b32 v4, v[5:6], off offset:4
	s_cbranch_execz .LBB154_11
	s_branch .LBB154_12
.LBB154_10:                             ;   in Loop: Header=BB154_4 Depth=1
                                        ; implicit-def: $vgpr4
.LBB154_11:                             ;   in Loop: Header=BB154_4 Depth=1
	global_load_b32 v3, v[5:6], off offset:4
	s_waitcnt vmcnt(0)
	v_xor_b32_e32 v4, 0x80000000, v3
.LBB154_12:                             ;   in Loop: Header=BB154_4 Depth=1
	global_load_b32 v3, v[5:6], off
	v_add_co_u32 v5, vcc_lo, v1, s24
	v_add_co_ci_u32_e32 v6, vcc_lo, s25, v2, vcc_lo
	s_and_not1_b32 vcc_lo, exec_lo, s12
	s_waitcnt vmcnt(0)
	ds_store_b64 v9, v[3:4] offset:160
	s_cbranch_vccnz .LBB154_14
; %bb.13:                               ;   in Loop: Header=BB154_4 Depth=1
	global_load_b32 v4, v[5:6], off offset:4
	s_cbranch_execz .LBB154_15
	s_branch .LBB154_16
.LBB154_14:                             ;   in Loop: Header=BB154_4 Depth=1
                                        ; implicit-def: $vgpr4
.LBB154_15:                             ;   in Loop: Header=BB154_4 Depth=1
	global_load_b32 v3, v[5:6], off offset:4
	s_waitcnt vmcnt(0)
	v_xor_b32_e32 v4, 0x80000000, v3
.LBB154_16:                             ;   in Loop: Header=BB154_4 Depth=1
	global_load_b32 v3, v[5:6], off
	v_add_co_u32 v5, vcc_lo, v1, s31
	v_add_co_ci_u32_e32 v6, vcc_lo, s30, v2, vcc_lo
	s_and_not1_b32 vcc_lo, exec_lo, s12
	s_waitcnt vmcnt(0)
	ds_store_b64 v9, v[3:4] offset:320
	s_cbranch_vccnz .LBB154_18
; %bb.17:                               ;   in Loop: Header=BB154_4 Depth=1
	global_load_b32 v4, v[5:6], off offset:4
	s_cbranch_execnz .LBB154_3
	s_branch .LBB154_19
.LBB154_18:                             ;   in Loop: Header=BB154_4 Depth=1
                                        ; implicit-def: $vgpr4
.LBB154_19:                             ;   in Loop: Header=BB154_4 Depth=1
	global_load_b32 v3, v[5:6], off offset:4
	s_waitcnt vmcnt(0)
	v_xor_b32_e32 v4, 0x80000000, v3
	s_branch .LBB154_3
.LBB154_20:
	s_and_b32 s22, s29, 3
	s_delay_alu instid0(SALU_CYCLE_1)
	s_cmp_eq_u32 s22, 0
	s_cbranch_scc1 .LBB154_27
; %bb.21:
	s_mul_i32 s12, s21, s13
	s_mul_hi_u32 s23, s20, s13
	s_mul_i32 s24, s20, s13
	s_add_i32 s25, s23, s12
	s_lshl_b64 s[18:19], s[18:19], 3
	s_lshl_b64 s[24:25], s[24:25], 3
	s_mul_i32 s12, s13, 0xa0
	s_add_u32 s13, s24, s18
	s_addc_u32 s18, s25, s19
	s_waitcnt lgkmcnt(0)
	s_add_u32 s13, s16, s13
	s_addc_u32 s16, s17, s18
	v_add_co_u32 v1, s13, s13, v8
	s_delay_alu instid0(VALU_DEP_1) | instskip(SKIP_1) | instid1(VALU_DEP_3)
	v_add_co_ci_u32_e64 v2, null, s16, 0, s13
	v_lshl_add_u32 v5, v0, 3, s12
	v_add_co_u32 v1, vcc_lo, v1, 4
	s_delay_alu instid0(VALU_DEP_3)
	v_add_co_ci_u32_e32 v2, vcc_lo, 0, v2, vcc_lo
	s_lshl_b64 s[12:13], s[20:21], 3
	s_set_inst_prefetch_distance 0x1
	s_branch .LBB154_23
	.p2align	6
.LBB154_22:                             ;   in Loop: Header=BB154_23 Depth=1
	global_load_b32 v3, v[1:2], off offset:-4
	v_add_co_u32 v1, vcc_lo, v1, s12
	v_add_co_ci_u32_e32 v2, vcc_lo, s13, v2, vcc_lo
	s_add_i32 s22, s22, -1
	s_delay_alu instid0(SALU_CYCLE_1)
	s_cmp_lg_u32 s22, 0
	s_waitcnt vmcnt(0)
	ds_store_b64 v5, v[3:4]
	v_add_nc_u32_e32 v5, 0xa0, v5
	s_cbranch_scc0 .LBB154_27
.LBB154_23:                             ; =>This Inner Loop Header: Depth=1
	v_cmp_ne_u32_e32 vcc_lo, 1, v7
	s_mov_b32 s16, -1
                                        ; implicit-def: $vgpr4
	s_cbranch_vccnz .LBB154_25
; %bb.24:                               ;   in Loop: Header=BB154_23 Depth=1
	global_load_b32 v4, v[1:2], off
	s_mov_b32 s16, 0
.LBB154_25:                             ;   in Loop: Header=BB154_23 Depth=1
	s_delay_alu instid0(SALU_CYCLE_1)
	s_and_not1_b32 vcc_lo, exec_lo, s16
	s_cbranch_vccnz .LBB154_22
; %bb.26:                               ;   in Loop: Header=BB154_23 Depth=1
	global_load_b32 v3, v[1:2], off
	s_waitcnt vmcnt(0)
	v_xor_b32_e32 v4, 0x80000000, v3
	s_branch .LBB154_22
.LBB154_27:
	s_set_inst_prefetch_distance 0x2
	v_mul_u32_u24_e32 v1, 21, v0
	s_cmpk_lg_i32 s5, 0x84
	s_mov_b32 s5, -1
	s_delay_alu instid0(VALU_DEP_1)
	v_lshlrev_b32_e32 v5, 3, v1
	s_cbranch_scc0 .LBB154_33
; %bb.28:
	ds_load_b64 v[1:2], v5
	s_waitcnt lgkmcnt(0)
	v_cmp_gt_f32_e32 vcc_lo, 0, v1
	v_cndmask_b32_e64 v3, v1, -v1, vcc_lo
	v_cmp_gt_f32_e32 vcc_lo, 0, v2
	v_cndmask_b32_e64 v4, v2, -v2, vcc_lo
	s_delay_alu instid0(VALU_DEP_1) | instskip(SKIP_1) | instid1(SALU_CYCLE_1)
	v_cmp_ngt_f32_e32 vcc_lo, v3, v4
                                        ; implicit-def: $vgpr3
	s_and_saveexec_b32 s5, vcc_lo
	s_xor_b32 s5, exec_lo, s5
	s_cbranch_execz .LBB154_30
; %bb.29:
	v_div_scale_f32 v3, null, v2, v2, v1
	v_div_scale_f32 v7, vcc_lo, v1, v2, v1
	s_delay_alu instid0(VALU_DEP_2) | instskip(SKIP_2) | instid1(VALU_DEP_1)
	v_rcp_f32_e32 v4, v3
	s_waitcnt_depctr 0xfff
	v_fma_f32 v6, -v3, v4, 1.0
	v_fmac_f32_e32 v4, v6, v4
	s_delay_alu instid0(VALU_DEP_1) | instskip(NEXT) | instid1(VALU_DEP_1)
	v_mul_f32_e32 v6, v7, v4
	v_fma_f32 v8, -v3, v6, v7
	s_delay_alu instid0(VALU_DEP_1) | instskip(NEXT) | instid1(VALU_DEP_1)
	v_fmac_f32_e32 v6, v8, v4
	v_fma_f32 v3, -v3, v6, v7
	s_delay_alu instid0(VALU_DEP_1) | instskip(NEXT) | instid1(VALU_DEP_1)
	v_div_fmas_f32 v3, v3, v4, v6
	v_div_fixup_f32 v3, v3, v2, v1
	s_delay_alu instid0(VALU_DEP_1) | instskip(NEXT) | instid1(VALU_DEP_1)
	v_fmac_f32_e32 v2, v1, v3
	v_div_scale_f32 v1, null, v2, v2, 1.0
	v_div_scale_f32 v7, vcc_lo, 1.0, v2, 1.0
	s_delay_alu instid0(VALU_DEP_2) | instskip(SKIP_2) | instid1(VALU_DEP_1)
	v_rcp_f32_e32 v4, v1
	s_waitcnt_depctr 0xfff
	v_fma_f32 v6, -v1, v4, 1.0
	v_fmac_f32_e32 v4, v6, v4
	s_delay_alu instid0(VALU_DEP_1) | instskip(NEXT) | instid1(VALU_DEP_1)
	v_mul_f32_e32 v6, v7, v4
	v_fma_f32 v8, -v1, v6, v7
	s_delay_alu instid0(VALU_DEP_1) | instskip(NEXT) | instid1(VALU_DEP_1)
	v_fmac_f32_e32 v6, v8, v4
	v_fma_f32 v1, -v1, v6, v7
	s_delay_alu instid0(VALU_DEP_1) | instskip(SKIP_1) | instid1(VALU_DEP_2)
	v_div_fmas_f32 v1, v1, v4, v6
	v_add_f32_e32 v4, 0, v3
	v_div_fixup_f32 v1, v1, v2, 1.0
	v_fma_f32 v2, v3, 0, -1.0
	s_delay_alu instid0(VALU_DEP_2) | instskip(NEXT) | instid1(VALU_DEP_2)
	v_mul_f32_e32 v3, v4, v1
	v_mul_f32_e32 v4, v2, v1
                                        ; implicit-def: $vgpr1_vgpr2
.LBB154_30:
	s_and_not1_saveexec_b32 s5, s5
	s_cbranch_execz .LBB154_32
; %bb.31:
	v_div_scale_f32 v3, null, v1, v1, v2
	v_div_scale_f32 v7, vcc_lo, v2, v1, v2
	s_delay_alu instid0(VALU_DEP_2) | instskip(SKIP_2) | instid1(VALU_DEP_1)
	v_rcp_f32_e32 v4, v3
	s_waitcnt_depctr 0xfff
	v_fma_f32 v6, -v3, v4, 1.0
	v_fmac_f32_e32 v4, v6, v4
	s_delay_alu instid0(VALU_DEP_1) | instskip(NEXT) | instid1(VALU_DEP_1)
	v_mul_f32_e32 v6, v7, v4
	v_fma_f32 v8, -v3, v6, v7
	s_delay_alu instid0(VALU_DEP_1) | instskip(NEXT) | instid1(VALU_DEP_1)
	v_fmac_f32_e32 v6, v8, v4
	v_fma_f32 v3, -v3, v6, v7
	s_delay_alu instid0(VALU_DEP_1) | instskip(NEXT) | instid1(VALU_DEP_1)
	v_div_fmas_f32 v3, v3, v4, v6
	v_div_fixup_f32 v4, v3, v1, v2
	s_delay_alu instid0(VALU_DEP_1) | instskip(NEXT) | instid1(VALU_DEP_1)
	v_fmac_f32_e32 v1, v2, v4
	v_div_scale_f32 v2, null, v1, v1, 1.0
	v_div_scale_f32 v7, vcc_lo, 1.0, v1, 1.0
	s_delay_alu instid0(VALU_DEP_2) | instskip(SKIP_2) | instid1(VALU_DEP_1)
	v_rcp_f32_e32 v3, v2
	s_waitcnt_depctr 0xfff
	v_fma_f32 v6, -v2, v3, 1.0
	v_fmac_f32_e32 v3, v6, v3
	s_delay_alu instid0(VALU_DEP_1) | instskip(NEXT) | instid1(VALU_DEP_1)
	v_mul_f32_e32 v6, v7, v3
	v_fma_f32 v8, -v2, v6, v7
	s_delay_alu instid0(VALU_DEP_1) | instskip(NEXT) | instid1(VALU_DEP_1)
	v_fmac_f32_e32 v6, v8, v3
	v_fma_f32 v2, -v2, v6, v7
	s_delay_alu instid0(VALU_DEP_1) | instskip(SKIP_1) | instid1(VALU_DEP_2)
	v_div_fmas_f32 v2, v2, v3, v6
	v_fma_f32 v3, v4, 0, 1.0
	v_div_fixup_f32 v1, v2, v1, 1.0
	s_delay_alu instid0(VALU_DEP_1)
	v_mul_f32_e32 v3, v3, v1
	v_mul_f32_e64 v4, -v4, v1
.LBB154_32:
	s_or_b32 exec_lo, exec_lo, s5
	s_mov_b32 s5, 0
	ds_store_b64 v5, v[3:4]
.LBB154_33:
	s_and_b32 vcc_lo, exec_lo, s5
	s_cbranch_vccz .LBB154_35
; %bb.34:
	v_dual_mov_b32 v1, 1.0 :: v_dual_mov_b32 v2, 0
	ds_store_b64 v5, v[1:2]
.LBB154_35:
	s_or_b32 exec_lo, exec_lo, s6
	s_mul_i32 s5, s14, 0xffffffec
	s_add_i32 s15, s15, -1
	s_add_i32 s5, s5, s7
	s_cmp_ge_u32 s14, s15
	s_waitcnt lgkmcnt(0)
	s_cselect_b32 s5, s5, 20
	; wave barrier
	buffer_gl0_inv
	v_cmp_gt_i32_e32 vcc_lo, s5, v0
	s_mov_b32 s5, -1
	s_and_saveexec_b32 s6, vcc_lo
	s_cbranch_execz .LBB154_78
; %bb.36:
	s_load_b32 s0, s[0:1], 0x50
	v_mad_u64_u32 v[1:2], null, s14, 20, v[0:1]
	v_or_b32_e64 v8, 0, 4
	s_waitcnt lgkmcnt(0)
	s_delay_alu instid0(VALU_DEP_2) | instskip(SKIP_1) | instid1(SALU_CYCLE_1)
	v_mad_i64_i32 v[2:3], null, s0, v1, 0
	s_lshl_b64 s[0:1], s[10:11], 3
	s_add_u32 s6, s8, s0
	s_addc_u32 s7, s9, s1
	s_cmpk_eq_i32 s4, 0x6f
	s_delay_alu instid0(VALU_DEP_1) | instskip(NEXT) | instid1(VALU_DEP_1)
	v_lshlrev_b64 v[0:1], 3, v[2:3]
	v_add_co_u32 v6, vcc_lo, s6, v0
	s_delay_alu instid0(VALU_DEP_2)
	v_add_co_ci_u32_e32 v7, vcc_lo, s7, v1, vcc_lo
	s_cbranch_scc1 .LBB154_58
; %bb.37:
	s_add_u32 s4, s8, s0
	s_addc_u32 s5, s9, s1
	v_add_co_u32 v2, vcc_lo, s4, v0
	v_add_co_ci_u32_e32 v3, vcc_lo, s5, v1, vcc_lo
	s_mov_b32 s5, 0
	s_delay_alu instid0(VALU_DEP_2) | instskip(NEXT) | instid1(VALU_DEP_2)
	v_add_co_u32 v9, vcc_lo, v2, 4
	v_add_co_ci_u32_e32 v10, vcc_lo, 0, v3, vcc_lo
	s_mov_b32 s6, s5
	s_mov_b32 s10, s5
	s_branch .LBB154_39
.LBB154_38:                             ;   in Loop: Header=BB154_39 Depth=1
	s_cmp_ge_i32 s10, s29
	s_cselect_b32 s4, -1, 0
	s_add_i32 s6, s6, 1
	s_delay_alu instid0(SALU_CYCLE_1) | instskip(SKIP_1) | instid1(SALU_CYCLE_1)
	s_cmp_eq_u32 s6, 3
	s_cselect_b32 s7, -1, 0
	s_or_b32 s4, s4, s7
	s_delay_alu instid0(SALU_CYCLE_1)
	s_and_not1_b32 vcc_lo, exec_lo, s4
	s_cbranch_vccz .LBB154_57
.LBB154_39:                             ; =>This Loop Header: Depth=1
                                        ;     Child Loop BB154_42 Depth 2
                                        ;       Child Loop BB154_43 Depth 3
                                        ;       Child Loop BB154_46 Depth 3
                                        ;         Child Loop BB154_47 Depth 4
                                        ;       Child Loop BB154_51 Depth 3
                                        ;         Child Loop BB154_53 Depth 4
	s_mov_b32 s7, s5
	s_getpc_b64 s[12:13]
	s_add_u32 s12, s12, __const._ZL30rocblas_trsm_small_left_deviceILi20ELi20ELb0E19rocblas_complex_numIfES1_PKPKS1_PKPS1_Ev13rocblas_fill_18rocblas_operation_17rocblas_diagonal_iiT3_T4_lilT5_lili.step_sizes@rel32@lo+4
	s_addc_u32 s13, s13, __const._ZL30rocblas_trsm_small_left_deviceILi20ELi20ELb0E19rocblas_complex_numIfES1_PKPKS1_PKPS1_Ev13rocblas_fill_18rocblas_operation_17rocblas_diagonal_iiT3_T4_lilT5_lili.step_sizes@rel32@hi+12
	s_lshl_b64 s[14:15], s[6:7], 2
	s_delay_alu instid0(SALU_CYCLE_1) | instskip(SKIP_4) | instid1(SALU_CYCLE_1)
	s_add_u32 s12, s14, s12
	s_addc_u32 s13, s15, s13
	s_load_b32 s12, s[12:13], 0x0
	s_waitcnt lgkmcnt(0)
	s_add_i32 s7, s12, -1
	s_add_i32 s4, s7, s10
	s_delay_alu instid0(SALU_CYCLE_1)
	s_cmp_ge_i32 s4, s29
	s_cbranch_scc1 .LBB154_38
; %bb.40:                               ;   in Loop: Header=BB154_39 Depth=1
	s_ashr_i32 s11, s10, 31
	s_ashr_i32 s13, s12, 31
	s_lshl_b64 s[14:15], s[10:11], 3
	s_max_i32 s18, s12, 1
	v_add_co_u32 v2, vcc_lo, v9, s14
	v_add_co_ci_u32_e32 v3, vcc_lo, s15, v10, vcc_lo
	s_lshl_b64 s[14:15], s[12:13], 3
	s_mul_i32 s11, s10, 0xa0
	s_mul_i32 s13, s12, 0xa0
	;; [unrolled: 1-line block ×4, first 2 shown]
	s_branch .LBB154_42
.LBB154_41:                             ;   in Loop: Header=BB154_42 Depth=2
	v_add_co_u32 v2, vcc_lo, v2, s14
	s_add_i32 s10, s10, s12
	v_add_co_ci_u32_e32 v3, vcc_lo, s15, v3, vcc_lo
	s_add_i32 s4, s7, s10
	s_add_i32 s11, s11, s13
	;; [unrolled: 1-line block ×3, first 2 shown]
	s_cmp_ge_i32 s4, s29
	s_cbranch_scc1 .LBB154_38
.LBB154_42:                             ;   Parent Loop BB154_39 Depth=1
                                        ; =>  This Loop Header: Depth=2
                                        ;       Child Loop BB154_43 Depth 3
                                        ;       Child Loop BB154_46 Depth 3
                                        ;         Child Loop BB154_47 Depth 4
                                        ;       Child Loop BB154_51 Depth 3
                                        ;         Child Loop BB154_53 Depth 4
	v_dual_mov_b32 v5, v3 :: v_dual_mov_b32 v4, v2
	s_mov_b32 s4, 4
	s_mov_b32 s16, s18
	.p2align	6
.LBB154_43:                             ;   Parent Loop BB154_39 Depth=1
                                        ;     Parent Loop BB154_42 Depth=2
                                        ; =>    This Inner Loop Header: Depth=3
	global_load_b64 v[11:12], v[4:5], off offset:-4
	v_add_co_u32 v4, vcc_lo, v4, 8
	v_add_co_ci_u32_e32 v5, vcc_lo, 0, v5, vcc_lo
	s_add_i32 s16, s16, -1
	s_add_i32 s17, s4, 0
	s_add_i32 s4, s4, 8
	s_cmp_eq_u32 s16, 0
	s_waitcnt vmcnt(0)
	v_mul_f32_e32 v13, s2, v12
	s_delay_alu instid0(VALU_DEP_1) | instskip(NEXT) | instid1(VALU_DEP_1)
	v_dual_mul_f32 v14, s3, v12 :: v_dual_fmac_f32 v13, s3, v11
	v_fma_f32 v12, v11, s2, -v14
	scratch_store_b64 off, v[12:13], s17 offset:-4
	s_cbranch_scc0 .LBB154_43
; %bb.44:                               ;   in Loop: Header=BB154_42 Depth=2
	s_cmp_lt_i32 s10, 1
	s_cbranch_scc1 .LBB154_49
; %bb.45:                               ;   in Loop: Header=BB154_42 Depth=2
	s_mov_b32 s4, 0
	s_mov_b32 s16, s11
	.p2align	6
.LBB154_46:                             ;   Parent Loop BB154_39 Depth=1
                                        ;     Parent Loop BB154_42 Depth=2
                                        ; =>    This Loop Header: Depth=3
                                        ;         Child Loop BB154_47 Depth 4
	s_lshl_b64 s[22:23], s[4:5], 3
	v_mov_b32_e32 v11, v8
	v_add_co_u32 v4, vcc_lo, v6, s22
	v_add_co_ci_u32_e32 v5, vcc_lo, s23, v7, vcc_lo
	s_mov_b32 s17, s16
	s_mov_b32 s21, s18
	global_load_b64 v[4:5], v[4:5], off
	.p2align	6
.LBB154_47:                             ;   Parent Loop BB154_39 Depth=1
                                        ;     Parent Loop BB154_42 Depth=2
                                        ;       Parent Loop BB154_46 Depth=3
                                        ; =>      This Inner Loop Header: Depth=4
	scratch_load_b64 v[12:13], v11, off offset:-4
	v_mov_b32_e32 v14, s17
	s_add_i32 s21, s21, -1
	s_addk_i32 s17, 0xa0
	s_cmp_eq_u32 s21, 0
	ds_load_b64 v[14:15], v14
	s_waitcnt vmcnt(1) lgkmcnt(0)
	v_mul_f32_e32 v16, v15, v5
	v_mul_f32_e32 v15, v15, v4
	s_delay_alu instid0(VALU_DEP_1) | instskip(SKIP_1) | instid1(VALU_DEP_1)
	v_fmac_f32_e32 v15, v14, v5
	s_waitcnt vmcnt(0)
	v_sub_f32_e32 v13, v13, v15
	v_fma_f32 v16, v14, v4, -v16
	s_delay_alu instid0(VALU_DEP_1)
	v_sub_f32_e32 v12, v12, v16
	scratch_store_b64 v11, v[12:13], off offset:-4
	v_add_nc_u32_e32 v11, 8, v11
	s_cbranch_scc0 .LBB154_47
; %bb.48:                               ;   in Loop: Header=BB154_46 Depth=3
	s_add_i32 s4, s4, 1
	s_add_i32 s16, s16, 8
	s_cmp_ge_i32 s4, s10
	s_cbranch_scc0 .LBB154_46
.LBB154_49:                             ;   in Loop: Header=BB154_42 Depth=2
	s_mov_b32 s4, 0
	s_mov_b32 s21, s19
	s_branch .LBB154_51
.LBB154_50:                             ;   in Loop: Header=BB154_51 Depth=3
	s_mul_i32 s17, s16, 0xa8
	s_lshl_b32 s22, s4, 3
	v_mov_b32_e32 v11, s17
	s_ashr_i32 s17, s16, 31
	s_add_i32 s4, s4, 1
	s_lshl_b64 s[16:17], s[16:17], 3
	s_addk_i32 s21, 0xa0
	ds_load_b64 v[11:12], v11
	s_waitcnt vmcnt(0) lgkmcnt(0)
	v_mul_f32_e32 v13, v12, v5
	v_mul_f32_e32 v14, v11, v5
	s_delay_alu instid0(VALU_DEP_2) | instskip(NEXT) | instid1(VALU_DEP_2)
	v_fma_f32 v13, v11, v4, -v13
	v_fmac_f32_e32 v14, v12, v4
	v_add_co_u32 v4, vcc_lo, v6, s16
	v_add_co_ci_u32_e32 v5, vcc_lo, s17, v7, vcc_lo
	s_add_i32 s16, s22, 0
	s_cmp_eq_u32 s4, s18
	scratch_store_b64 off, v[13:14], s16
	global_store_b64 v[4:5], v[13:14], off
	s_cbranch_scc1 .LBB154_41
.LBB154_51:                             ;   Parent Loop BB154_39 Depth=1
                                        ;     Parent Loop BB154_42 Depth=2
                                        ; =>    This Loop Header: Depth=3
                                        ;         Child Loop BB154_53 Depth 4
	s_cmp_lg_u32 s4, 0
	s_cbranch_scc0 .LBB154_55
; %bb.52:                               ;   in Loop: Header=BB154_51 Depth=3
	s_lshl_b32 s16, s4, 3
	v_mov_b32_e32 v12, 0
	s_add_i32 s17, s16, 0
	v_add_nc_u32_e64 v11, s16, 0
	scratch_load_b64 v[4:5], off, s17
	s_add_i32 s16, s4, s10
	s_mov_b32 s17, 0
	s_mov_b32 s22, s21
	.p2align	6
.LBB154_53:                             ;   Parent Loop BB154_39 Depth=1
                                        ;     Parent Loop BB154_42 Depth=2
                                        ;       Parent Loop BB154_51 Depth=3
                                        ; =>      This Inner Loop Header: Depth=4
	scratch_load_b64 v[13:14], v12, off
	v_mov_b32_e32 v15, s22
	s_add_i32 s17, s17, 1
	s_add_i32 s22, s22, 8
	s_cmp_ge_u32 s17, s4
	v_add_nc_u32_e32 v12, 8, v12
	ds_load_b64 v[15:16], v15
	s_waitcnt vmcnt(0) lgkmcnt(0)
	v_mul_f32_e32 v17, v16, v14
	v_mul_f32_e32 v14, v15, v14
	s_delay_alu instid0(VALU_DEP_2) | instskip(NEXT) | instid1(VALU_DEP_2)
	v_fma_f32 v15, v15, v13, -v17
	v_fmac_f32_e32 v14, v16, v13
	s_delay_alu instid0(VALU_DEP_1)
	v_dual_sub_f32 v4, v4, v15 :: v_dual_sub_f32 v5, v5, v14
	scratch_store_b64 v11, v[4:5], off
	s_cbranch_scc0 .LBB154_53
; %bb.54:                               ;   in Loop: Header=BB154_51 Depth=3
	s_branch .LBB154_50
.LBB154_55:                             ;   in Loop: Header=BB154_51 Depth=3
                                        ; implicit-def: $vgpr4
                                        ; implicit-def: $sgpr16
	s_cbranch_execz .LBB154_50
; %bb.56:                               ;   in Loop: Header=BB154_51 Depth=3
	scratch_load_b64 v[4:5], off, off
	s_mov_b32 s16, s10
	s_branch .LBB154_50
.LBB154_57:
	s_mov_b32 s5, 0
.LBB154_58:
	s_delay_alu instid0(SALU_CYCLE_1)
	s_and_b32 vcc_lo, exec_lo, s5
	s_cbranch_vccz .LBB154_78
; %bb.59:
	s_add_u32 s0, s8, s0
	s_addc_u32 s1, s9, s1
	v_add_co_u32 v0, vcc_lo, s0, v0
	v_add_co_ci_u32_e32 v1, vcc_lo, s1, v1, vcc_lo
	s_mul_i32 s10, s29, 0xa0
	s_delay_alu instid0(VALU_DEP_2) | instskip(NEXT) | instid1(VALU_DEP_2)
	v_add_co_u32 v2, vcc_lo, v0, 4
	v_add_co_ci_u32_e32 v3, vcc_lo, 0, v1, vcc_lo
	s_mov_b32 s1, 0
	s_addk_i32 s10, 0xff60
	s_mov_b32 s4, s28
	s_mov_b32 s0, s1
	s_branch .LBB154_61
.LBB154_60:                             ;   in Loop: Header=BB154_61 Depth=1
	s_cmp_lt_i32 s4, 0
	s_cselect_b32 s5, -1, 0
	s_add_i32 s0, s0, 1
	s_delay_alu instid0(SALU_CYCLE_1) | instskip(SKIP_1) | instid1(SALU_CYCLE_1)
	s_cmp_eq_u32 s0, 3
	s_cselect_b32 s6, -1, 0
	s_or_b32 s5, s5, s6
	s_delay_alu instid0(SALU_CYCLE_1)
	s_and_b32 vcc_lo, exec_lo, s5
	s_cbranch_vccnz .LBB154_78
.LBB154_61:                             ; =>This Loop Header: Depth=1
                                        ;     Child Loop BB154_64 Depth 2
                                        ;       Child Loop BB154_65 Depth 3
                                        ;       Child Loop BB154_67 Depth 3
                                        ;         Child Loop BB154_68 Depth 4
                                        ;       Child Loop BB154_72 Depth 3
                                        ;         Child Loop BB154_74 Depth 4
	s_getpc_b64 s[6:7]
	s_add_u32 s6, s6, __const._ZL30rocblas_trsm_small_left_deviceILi20ELi20ELb0E19rocblas_complex_numIfES1_PKPKS1_PKPS1_Ev13rocblas_fill_18rocblas_operation_17rocblas_diagonal_iiT3_T4_lilT5_lili.step_sizes@rel32@lo+4
	s_addc_u32 s7, s7, __const._ZL30rocblas_trsm_small_left_deviceILi20ELi20ELb0E19rocblas_complex_numIfES1_PKPKS1_PKPS1_Ev13rocblas_fill_18rocblas_operation_17rocblas_diagonal_iiT3_T4_lilT5_lili.step_sizes@rel32@hi+12
	s_lshl_b64 s[8:9], s[0:1], 2
	s_delay_alu instid0(SALU_CYCLE_1) | instskip(SKIP_4) | instid1(SALU_CYCLE_1)
	s_add_u32 s6, s8, s6
	s_addc_u32 s7, s9, s7
	s_load_b32 s11, s[6:7], 0x0
	s_waitcnt lgkmcnt(0)
	s_add_i32 s12, s11, -1
	s_cmp_lt_i32 s4, s12
	s_cbranch_scc1 .LBB154_60
; %bb.62:                               ;   in Loop: Header=BB154_61 Depth=1
	s_lshl_b32 s5, s4, 3
	s_lshl_b32 s6, s11, 3
	s_max_i32 s13, s11, 1
	s_add_i32 s14, s10, s5
	s_sub_i32 s15, 0, s6
	s_mul_i32 s16, s4, 0xa8
	s_mul_i32 s17, s11, 0xffffff58
	s_branch .LBB154_64
.LBB154_63:                             ;   in Loop: Header=BB154_64 Depth=2
	s_sub_i32 s4, s4, s11
	s_add_i32 s14, s14, s15
	s_add_i32 s16, s16, s17
	s_cmp_lt_i32 s4, s12
	s_cbranch_scc1 .LBB154_60
.LBB154_64:                             ;   Parent Loop BB154_61 Depth=1
                                        ; =>  This Loop Header: Depth=2
                                        ;       Child Loop BB154_65 Depth 3
                                        ;       Child Loop BB154_67 Depth 3
                                        ;         Child Loop BB154_68 Depth 4
                                        ;       Child Loop BB154_72 Depth 3
                                        ;         Child Loop BB154_74 Depth 4
	s_ashr_i32 s5, s4, 31
	s_delay_alu instid0(SALU_CYCLE_1) | instskip(NEXT) | instid1(SALU_CYCLE_1)
	s_lshl_b64 s[6:7], s[4:5], 3
	v_add_co_u32 v0, vcc_lo, v2, s6
	v_add_co_ci_u32_e32 v1, vcc_lo, s7, v3, vcc_lo
	s_mov_b32 s6, 4
	s_mov_b32 s7, s13
	.p2align	6
.LBB154_65:                             ;   Parent Loop BB154_61 Depth=1
                                        ;     Parent Loop BB154_64 Depth=2
                                        ; =>    This Inner Loop Header: Depth=3
	global_load_b64 v[4:5], v[0:1], off offset:-4
	v_add_co_u32 v0, vcc_lo, v0, -8
	v_add_co_ci_u32_e32 v1, vcc_lo, -1, v1, vcc_lo
	s_add_i32 s7, s7, -1
	s_add_i32 s8, s6, 0
	s_add_i32 s6, s6, 8
	s_cmp_eq_u32 s7, 0
	s_waitcnt vmcnt(0)
	v_mul_f32_e32 v10, s2, v5
	s_delay_alu instid0(VALU_DEP_1) | instskip(NEXT) | instid1(VALU_DEP_1)
	v_dual_mul_f32 v9, s3, v5 :: v_dual_fmac_f32 v10, s3, v4
	v_fma_f32 v9, v4, s2, -v9
	scratch_store_b64 off, v[9:10], s8 offset:-4
	s_cbranch_scc0 .LBB154_65
; %bb.66:                               ;   in Loop: Header=BB154_64 Depth=2
	s_cmp_le_i32 s28, s4
	s_mov_b32 s8, s14
	s_mov_b32 s6, s28
	s_cbranch_scc1 .LBB154_70
	.p2align	6
.LBB154_67:                             ;   Parent Loop BB154_61 Depth=1
                                        ;     Parent Loop BB154_64 Depth=2
                                        ; =>    This Loop Header: Depth=3
                                        ;         Child Loop BB154_68 Depth 4
	s_ashr_i32 s7, s6, 31
	v_mov_b32_e32 v4, v8
	s_lshl_b64 s[18:19], s[6:7], 3
	s_mov_b32 s7, s13
	v_add_co_u32 v0, vcc_lo, v6, s18
	v_add_co_ci_u32_e32 v1, vcc_lo, s19, v7, vcc_lo
	s_mov_b32 s9, s8
	global_load_b64 v[0:1], v[0:1], off
	.p2align	6
.LBB154_68:                             ;   Parent Loop BB154_61 Depth=1
                                        ;     Parent Loop BB154_64 Depth=2
                                        ;       Parent Loop BB154_67 Depth=3
                                        ; =>      This Inner Loop Header: Depth=4
	scratch_load_b64 v[9:10], v4, off offset:-4
	v_mov_b32_e32 v5, s9
	s_add_i32 s7, s7, -1
	s_add_i32 s9, s9, -8
	s_cmp_eq_u32 s7, 0
	ds_load_b64 v[11:12], v5
	s_waitcnt vmcnt(1) lgkmcnt(0)
	v_mul_f32_e32 v5, v12, v1
	v_mul_f32_e32 v12, v12, v0
	s_delay_alu instid0(VALU_DEP_1) | instskip(SKIP_1) | instid1(VALU_DEP_1)
	v_fmac_f32_e32 v12, v11, v1
	s_waitcnt vmcnt(0)
	v_sub_f32_e32 v10, v10, v12
	v_fma_f32 v5, v11, v0, -v5
	s_delay_alu instid0(VALU_DEP_1)
	v_sub_f32_e32 v9, v9, v5
	scratch_store_b64 v4, v[9:10], off offset:-4
	v_add_nc_u32_e32 v4, 8, v4
	s_cbranch_scc0 .LBB154_68
; %bb.69:                               ;   in Loop: Header=BB154_67 Depth=3
	s_add_i32 s6, s6, -1
	s_addk_i32 s8, 0xff60
	s_cmp_le_i32 s6, s4
	s_cbranch_scc0 .LBB154_67
.LBB154_70:                             ;   in Loop: Header=BB154_64 Depth=2
	s_mov_b32 s18, 0
	s_mov_b32 s19, s16
	s_branch .LBB154_72
.LBB154_71:                             ;   in Loop: Header=BB154_72 Depth=3
	s_mulk_i32 s8, 0xa8
	s_lshl_b64 s[6:7], s[6:7], 3
	v_mov_b32_e32 v4, s8
	s_lshl_b32 s8, s18, 3
	s_add_i32 s18, s18, 1
	s_add_i32 s19, s19, -8
	ds_load_b64 v[4:5], v4
	s_waitcnt vmcnt(0) lgkmcnt(0)
	v_mul_f32_e32 v9, v5, v1
	v_mul_f32_e32 v10, v4, v1
	s_delay_alu instid0(VALU_DEP_2) | instskip(NEXT) | instid1(VALU_DEP_2)
	v_fma_f32 v9, v4, v0, -v9
	v_fmac_f32_e32 v10, v5, v0
	v_add_co_u32 v0, vcc_lo, v6, s6
	v_add_co_ci_u32_e32 v1, vcc_lo, s7, v7, vcc_lo
	s_add_i32 s6, s8, 0
	s_cmp_eq_u32 s18, s13
	scratch_store_b64 off, v[9:10], s6
	global_store_b64 v[0:1], v[9:10], off
	s_cbranch_scc1 .LBB154_63
.LBB154_72:                             ;   Parent Loop BB154_61 Depth=1
                                        ;     Parent Loop BB154_64 Depth=2
                                        ; =>    This Loop Header: Depth=3
                                        ;         Child Loop BB154_74 Depth 4
	s_cmp_lg_u32 s18, 0
	s_cbranch_scc0 .LBB154_76
; %bb.73:                               ;   in Loop: Header=BB154_72 Depth=3
	s_lshl_b32 s6, s18, 3
	v_mov_b32_e32 v5, 0
	s_add_i32 s7, s6, 0
	v_add_nc_u32_e64 v4, s6, 0
	scratch_load_b64 v[0:1], off, s7
	s_mov_b32 s6, 0
	s_mov_b32 s7, s19
	.p2align	6
.LBB154_74:                             ;   Parent Loop BB154_61 Depth=1
                                        ;     Parent Loop BB154_64 Depth=2
                                        ;       Parent Loop BB154_72 Depth=3
                                        ; =>      This Inner Loop Header: Depth=4
	scratch_load_b64 v[9:10], v5, off
	v_mov_b32_e32 v11, s7
	s_add_i32 s6, s6, 1
	s_addk_i32 s7, 0xff60
	s_cmp_ge_u32 s6, s18
	v_add_nc_u32_e32 v5, 8, v5
	ds_load_b64 v[11:12], v11
	s_waitcnt vmcnt(0) lgkmcnt(0)
	v_mul_f32_e32 v13, v12, v10
	v_mul_f32_e32 v10, v11, v10
	s_delay_alu instid0(VALU_DEP_2) | instskip(NEXT) | instid1(VALU_DEP_2)
	v_fma_f32 v11, v11, v9, -v13
	v_fmac_f32_e32 v10, v12, v9
	s_delay_alu instid0(VALU_DEP_1)
	v_dual_sub_f32 v0, v0, v11 :: v_dual_sub_f32 v1, v1, v10
	scratch_store_b64 v4, v[0:1], off
	s_cbranch_scc0 .LBB154_74
; %bb.75:                               ;   in Loop: Header=BB154_72 Depth=3
	s_sub_i32 s8, s4, s18
	s_delay_alu instid0(SALU_CYCLE_1) | instskip(NEXT) | instid1(SALU_CYCLE_1)
	s_ashr_i32 s9, s8, 31
	s_mov_b64 s[6:7], s[8:9]
	s_branch .LBB154_71
.LBB154_76:                             ;   in Loop: Header=BB154_72 Depth=3
                                        ; implicit-def: $vgpr0
                                        ; implicit-def: $sgpr8
                                        ; implicit-def: $sgpr6_sgpr7
	s_cbranch_execz .LBB154_71
; %bb.77:                               ;   in Loop: Header=BB154_72 Depth=3
	scratch_load_b64 v[0:1], off, off
	s_mov_b64 s[6:7], s[4:5]
	s_mov_b32 s8, s4
	s_branch .LBB154_71
.LBB154_78:
	s_endpgm
	.section	.rodata,"a",@progbits
	.p2align	6, 0x0
	.amdhsa_kernel _ZL30rocblas_trsm_small_left_deviceILi20ELi20ELb0E19rocblas_complex_numIfES1_PKPKS1_PKPS1_Ev13rocblas_fill_18rocblas_operation_17rocblas_diagonal_iiT3_T4_lilT5_lili
		.amdhsa_group_segment_fixed_size 3200
		.amdhsa_private_segment_fixed_size 176
		.amdhsa_kernarg_size 360
		.amdhsa_user_sgpr_count 14
		.amdhsa_user_sgpr_dispatch_ptr 0
		.amdhsa_user_sgpr_queue_ptr 0
		.amdhsa_user_sgpr_kernarg_segment_ptr 1
		.amdhsa_user_sgpr_dispatch_id 0
		.amdhsa_user_sgpr_private_segment_size 0
		.amdhsa_wavefront_size32 1
		.amdhsa_uses_dynamic_stack 0
		.amdhsa_enable_private_segment 1
		.amdhsa_system_sgpr_workgroup_id_x 1
		.amdhsa_system_sgpr_workgroup_id_y 0
		.amdhsa_system_sgpr_workgroup_id_z 1
		.amdhsa_system_sgpr_workgroup_info 0
		.amdhsa_system_vgpr_workitem_id 0
		.amdhsa_next_free_vgpr 18
		.amdhsa_next_free_sgpr 34
		.amdhsa_reserve_vcc 1
		.amdhsa_float_round_mode_32 0
		.amdhsa_float_round_mode_16_64 0
		.amdhsa_float_denorm_mode_32 3
		.amdhsa_float_denorm_mode_16_64 3
		.amdhsa_dx10_clamp 1
		.amdhsa_ieee_mode 1
		.amdhsa_fp16_overflow 0
		.amdhsa_workgroup_processor_mode 1
		.amdhsa_memory_ordered 1
		.amdhsa_forward_progress 0
		.amdhsa_shared_vgpr_count 0
		.amdhsa_exception_fp_ieee_invalid_op 0
		.amdhsa_exception_fp_denorm_src 0
		.amdhsa_exception_fp_ieee_div_zero 0
		.amdhsa_exception_fp_ieee_overflow 0
		.amdhsa_exception_fp_ieee_underflow 0
		.amdhsa_exception_fp_ieee_inexact 0
		.amdhsa_exception_int_div_zero 0
	.end_amdhsa_kernel
	.section	.text._ZL30rocblas_trsm_small_left_deviceILi20ELi20ELb0E19rocblas_complex_numIfES1_PKPKS1_PKPS1_Ev13rocblas_fill_18rocblas_operation_17rocblas_diagonal_iiT3_T4_lilT5_lili,"axG",@progbits,_ZL30rocblas_trsm_small_left_deviceILi20ELi20ELb0E19rocblas_complex_numIfES1_PKPKS1_PKPS1_Ev13rocblas_fill_18rocblas_operation_17rocblas_diagonal_iiT3_T4_lilT5_lili,comdat
.Lfunc_end154:
	.size	_ZL30rocblas_trsm_small_left_deviceILi20ELi20ELb0E19rocblas_complex_numIfES1_PKPKS1_PKPS1_Ev13rocblas_fill_18rocblas_operation_17rocblas_diagonal_iiT3_T4_lilT5_lili, .Lfunc_end154-_ZL30rocblas_trsm_small_left_deviceILi20ELi20ELb0E19rocblas_complex_numIfES1_PKPKS1_PKPS1_Ev13rocblas_fill_18rocblas_operation_17rocblas_diagonal_iiT3_T4_lilT5_lili
                                        ; -- End function
	.section	.AMDGPU.csdata,"",@progbits
; Kernel info:
; codeLenInByte = 3120
; NumSgprs: 36
; NumVgprs: 18
; ScratchSize: 176
; MemoryBound: 0
; FloatMode: 240
; IeeeMode: 1
; LDSByteSize: 3200 bytes/workgroup (compile time only)
; SGPRBlocks: 4
; VGPRBlocks: 2
; NumSGPRsForWavesPerEU: 36
; NumVGPRsForWavesPerEU: 18
; Occupancy: 10
; WaveLimiterHint : 1
; COMPUTE_PGM_RSRC2:SCRATCH_EN: 1
; COMPUTE_PGM_RSRC2:USER_SGPR: 14
; COMPUTE_PGM_RSRC2:TRAP_HANDLER: 0
; COMPUTE_PGM_RSRC2:TGID_X_EN: 1
; COMPUTE_PGM_RSRC2:TGID_Y_EN: 0
; COMPUTE_PGM_RSRC2:TGID_Z_EN: 1
; COMPUTE_PGM_RSRC2:TIDIG_COMP_CNT: 0
	.section	.text._ZL38rocblas_trsm_small_left_device_sharedBILi20ELi20ELb1E19rocblas_complex_numIfES1_PKPKS1_PKPS1_Ev13rocblas_fill_18rocblas_operation_17rocblas_diagonal_iiT3_T4_lilT5_lili,"axG",@progbits,_ZL38rocblas_trsm_small_left_device_sharedBILi20ELi20ELb1E19rocblas_complex_numIfES1_PKPKS1_PKPS1_Ev13rocblas_fill_18rocblas_operation_17rocblas_diagonal_iiT3_T4_lilT5_lili,comdat
	.globl	_ZL38rocblas_trsm_small_left_device_sharedBILi20ELi20ELb1E19rocblas_complex_numIfES1_PKPKS1_PKPS1_Ev13rocblas_fill_18rocblas_operation_17rocblas_diagonal_iiT3_T4_lilT5_lili ; -- Begin function _ZL38rocblas_trsm_small_left_device_sharedBILi20ELi20ELb1E19rocblas_complex_numIfES1_PKPKS1_PKPS1_Ev13rocblas_fill_18rocblas_operation_17rocblas_diagonal_iiT3_T4_lilT5_lili
	.p2align	8
	.type	_ZL38rocblas_trsm_small_left_device_sharedBILi20ELi20ELb1E19rocblas_complex_numIfES1_PKPKS1_PKPS1_Ev13rocblas_fill_18rocblas_operation_17rocblas_diagonal_iiT3_T4_lilT5_lili,@function
_ZL38rocblas_trsm_small_left_device_sharedBILi20ELi20ELb1E19rocblas_complex_numIfES1_PKPKS1_PKPS1_Ev13rocblas_fill_18rocblas_operation_17rocblas_diagonal_iiT3_T4_lilT5_lili: ; @_ZL38rocblas_trsm_small_left_device_sharedBILi20ELi20ELb1E19rocblas_complex_numIfES1_PKPKS1_PKPS1_Ev13rocblas_fill_18rocblas_operation_17rocblas_diagonal_iiT3_T4_lilT5_lili
; %bb.0:
	s_clause 0x1
	s_load_b128 s[8:11], s[0:1], 0x40
	s_load_b128 s[4:7], s[0:1], 0x4
	s_mov_b32 s20, s15
	s_mov_b32 s21, 0
	s_load_b32 s15, s[0:1], 0x68
	s_lshl_b64 s[22:23], s[20:21], 3
	s_mov_b32 s29, exec_lo
	s_waitcnt lgkmcnt(0)
	s_add_u32 s2, s8, s22
	s_addc_u32 s3, s9, s23
	s_load_b64 s[12:13], s[0:1], 0x14
	s_load_b64 s[2:3], s[2:3], 0x0
	s_min_i32 s20, s6, 20
	s_delay_alu instid0(SALU_CYCLE_1)
	s_add_i32 s28, s20, -1
	v_cmpx_gt_i32_e64 s20, v0
	s_cbranch_execz .LBB155_35
; %bb.1:
	s_clause 0x1
	s_load_b32 s8, s[0:1], 0x30
	s_load_b128 s[16:19], s[0:1], 0x20
	s_waitcnt lgkmcnt(0)
	s_ashr_i32 s9, s8, 31
	s_cmpk_lg_i32 s4, 0x71
	s_cselect_b32 s30, -1, 0
	s_add_u32 s16, s16, s22
	s_addc_u32 s17, s17, s23
	v_cndmask_b32_e64 v7, 0, 1, s30
	s_load_b64 s[16:17], s[16:17], 0x0
	s_cmp_lt_u32 s28, 3
	s_cbranch_scc1 .LBB155_20
; %bb.2:
	v_lshlrev_b32_e32 v8, 3, v0
	s_lshl_b64 s[22:23], s[18:19], 3
	s_mul_hi_i32 s31, s8, 24
	s_waitcnt lgkmcnt(0)
	s_add_u32 s21, s16, s22
	s_addc_u32 s22, s17, s23
	v_add_co_u32 v1, s21, s21, v8
	s_delay_alu instid0(VALU_DEP_1)
	v_add_co_ci_u32_e64 v2, null, s22, 0, s21
	s_and_b32 s21, s20, -4
	s_mul_i32 s33, s8, 24
	s_lshl_b64 s[22:23], s[8:9], 5
	s_lshl_b64 s[24:25], s[8:9], 4
	;; [unrolled: 1-line block ×3, first 2 shown]
	s_mov_b32 s34, 0
	s_branch .LBB155_4
.LBB155_3:                              ;   in Loop: Header=BB155_4 Depth=1
	global_load_b32 v3, v[5:6], off
	v_add_co_u32 v1, vcc_lo, v1, s22
	v_add_co_ci_u32_e32 v2, vcc_lo, s23, v2, vcc_lo
	s_add_i32 s34, s34, 4
	s_delay_alu instid0(SALU_CYCLE_1)
	s_cmp_eq_u32 s21, s34
	s_waitcnt vmcnt(0)
	ds_store_b64 v8, v[3:4] offset:480
	v_add_nc_u32_e32 v8, 0x280, v8
	s_cbranch_scc1 .LBB155_20
.LBB155_4:                              ; =>This Inner Loop Header: Depth=1
	s_and_b32 vcc_lo, exec_lo, s30
	s_cbranch_vccz .LBB155_6
; %bb.5:                                ;   in Loop: Header=BB155_4 Depth=1
	global_load_b32 v4, v[1:2], off offset:4
	s_cbranch_execz .LBB155_7
	s_branch .LBB155_8
.LBB155_6:                              ;   in Loop: Header=BB155_4 Depth=1
                                        ; implicit-def: $vgpr4
.LBB155_7:                              ;   in Loop: Header=BB155_4 Depth=1
	global_load_b32 v3, v[1:2], off offset:4
	s_waitcnt vmcnt(0)
	v_xor_b32_e32 v4, 0x80000000, v3
.LBB155_8:                              ;   in Loop: Header=BB155_4 Depth=1
	global_load_b32 v3, v[1:2], off
	v_add_co_u32 v5, vcc_lo, v1, s26
	v_add_co_ci_u32_e32 v6, vcc_lo, s27, v2, vcc_lo
	s_and_not1_b32 vcc_lo, exec_lo, s30
	s_waitcnt vmcnt(0)
	ds_store_b64 v8, v[3:4]
	s_cbranch_vccnz .LBB155_10
; %bb.9:                                ;   in Loop: Header=BB155_4 Depth=1
	global_load_b32 v4, v[5:6], off offset:4
	s_cbranch_execz .LBB155_11
	s_branch .LBB155_12
.LBB155_10:                             ;   in Loop: Header=BB155_4 Depth=1
                                        ; implicit-def: $vgpr4
.LBB155_11:                             ;   in Loop: Header=BB155_4 Depth=1
	global_load_b32 v3, v[5:6], off offset:4
	s_waitcnt vmcnt(0)
	v_xor_b32_e32 v4, 0x80000000, v3
.LBB155_12:                             ;   in Loop: Header=BB155_4 Depth=1
	global_load_b32 v3, v[5:6], off
	v_add_co_u32 v5, vcc_lo, v1, s24
	v_add_co_ci_u32_e32 v6, vcc_lo, s25, v2, vcc_lo
	s_and_not1_b32 vcc_lo, exec_lo, s30
	s_waitcnt vmcnt(0)
	ds_store_b64 v8, v[3:4] offset:160
	s_cbranch_vccnz .LBB155_14
; %bb.13:                               ;   in Loop: Header=BB155_4 Depth=1
	global_load_b32 v4, v[5:6], off offset:4
	s_cbranch_execz .LBB155_15
	s_branch .LBB155_16
.LBB155_14:                             ;   in Loop: Header=BB155_4 Depth=1
                                        ; implicit-def: $vgpr4
.LBB155_15:                             ;   in Loop: Header=BB155_4 Depth=1
	global_load_b32 v3, v[5:6], off offset:4
	s_waitcnt vmcnt(0)
	v_xor_b32_e32 v4, 0x80000000, v3
.LBB155_16:                             ;   in Loop: Header=BB155_4 Depth=1
	global_load_b32 v3, v[5:6], off
	v_add_co_u32 v5, vcc_lo, v1, s33
	v_add_co_ci_u32_e32 v6, vcc_lo, s31, v2, vcc_lo
	s_and_not1_b32 vcc_lo, exec_lo, s30
	s_waitcnt vmcnt(0)
	ds_store_b64 v8, v[3:4] offset:320
	s_cbranch_vccnz .LBB155_18
; %bb.17:                               ;   in Loop: Header=BB155_4 Depth=1
	global_load_b32 v4, v[5:6], off offset:4
	s_cbranch_execnz .LBB155_3
	s_branch .LBB155_19
.LBB155_18:                             ;   in Loop: Header=BB155_4 Depth=1
                                        ; implicit-def: $vgpr4
.LBB155_19:                             ;   in Loop: Header=BB155_4 Depth=1
	global_load_b32 v3, v[5:6], off offset:4
	s_waitcnt vmcnt(0)
	v_xor_b32_e32 v4, 0x80000000, v3
	s_branch .LBB155_3
.LBB155_20:
	s_and_b32 s22, s20, 3
	s_delay_alu instid0(SALU_CYCLE_1)
	s_cmp_eq_u32 s22, 0
	s_cbranch_scc1 .LBB155_27
; %bb.21:
	s_mul_i32 s23, s9, s21
	s_mul_hi_u32 s25, s8, s21
	s_mul_i32 s24, s8, s21
	s_add_i32 s25, s25, s23
	s_lshl_b64 s[18:19], s[18:19], 3
	s_lshl_b64 s[24:25], s[24:25], 3
	v_lshlrev_b32_e32 v1, 3, v0
	s_add_u32 s18, s24, s18
	s_addc_u32 s19, s25, s19
	s_waitcnt lgkmcnt(0)
	s_add_u32 s16, s16, s18
	s_addc_u32 s17, s17, s19
	v_add_co_u32 v1, s16, s16, v1
	s_delay_alu instid0(VALU_DEP_1) | instskip(SKIP_1) | instid1(VALU_DEP_2)
	v_add_co_ci_u32_e64 v2, null, s17, 0, s16
	s_mulk_i32 s21, 0xa0
	v_add_co_u32 v1, vcc_lo, v1, 4
	v_lshl_add_u32 v5, v0, 3, s21
	s_delay_alu instid0(VALU_DEP_3)
	v_add_co_ci_u32_e32 v2, vcc_lo, 0, v2, vcc_lo
	s_lshl_b64 s[8:9], s[8:9], 3
	s_set_inst_prefetch_distance 0x1
	s_branch .LBB155_23
	.p2align	6
.LBB155_22:                             ;   in Loop: Header=BB155_23 Depth=1
	global_load_b32 v3, v[1:2], off offset:-4
	v_add_co_u32 v1, vcc_lo, v1, s8
	v_add_co_ci_u32_e32 v2, vcc_lo, s9, v2, vcc_lo
	s_add_i32 s22, s22, -1
	s_delay_alu instid0(SALU_CYCLE_1)
	s_cmp_lg_u32 s22, 0
	s_waitcnt vmcnt(0)
	ds_store_b64 v5, v[3:4]
	v_add_nc_u32_e32 v5, 0xa0, v5
	s_cbranch_scc0 .LBB155_27
.LBB155_23:                             ; =>This Inner Loop Header: Depth=1
	v_cmp_ne_u32_e32 vcc_lo, 1, v7
	s_mov_b32 s16, -1
                                        ; implicit-def: $vgpr4
	s_cbranch_vccnz .LBB155_25
; %bb.24:                               ;   in Loop: Header=BB155_23 Depth=1
	global_load_b32 v4, v[1:2], off
	s_mov_b32 s16, 0
.LBB155_25:                             ;   in Loop: Header=BB155_23 Depth=1
	s_delay_alu instid0(SALU_CYCLE_1)
	s_and_not1_b32 vcc_lo, exec_lo, s16
	s_cbranch_vccnz .LBB155_22
; %bb.26:                               ;   in Loop: Header=BB155_23 Depth=1
	global_load_b32 v3, v[1:2], off
	s_waitcnt vmcnt(0)
	v_xor_b32_e32 v4, 0x80000000, v3
	s_branch .LBB155_22
.LBB155_27:
	s_set_inst_prefetch_distance 0x2
	v_mul_u32_u24_e32 v1, 21, v0
	s_cmpk_lg_i32 s5, 0x84
	s_mov_b32 s5, -1
	s_delay_alu instid0(VALU_DEP_1)
	v_lshlrev_b32_e32 v5, 3, v1
	s_cbranch_scc0 .LBB155_33
; %bb.28:
	ds_load_b64 v[1:2], v5
	s_waitcnt lgkmcnt(0)
	v_cmp_gt_f32_e32 vcc_lo, 0, v1
	v_cndmask_b32_e64 v3, v1, -v1, vcc_lo
	v_cmp_gt_f32_e32 vcc_lo, 0, v2
	v_cndmask_b32_e64 v4, v2, -v2, vcc_lo
	s_delay_alu instid0(VALU_DEP_1) | instskip(SKIP_1) | instid1(SALU_CYCLE_1)
	v_cmp_ngt_f32_e32 vcc_lo, v3, v4
                                        ; implicit-def: $vgpr3
	s_and_saveexec_b32 s5, vcc_lo
	s_xor_b32 s5, exec_lo, s5
	s_cbranch_execz .LBB155_30
; %bb.29:
	v_div_scale_f32 v3, null, v2, v2, v1
	v_div_scale_f32 v7, vcc_lo, v1, v2, v1
	s_delay_alu instid0(VALU_DEP_2) | instskip(SKIP_2) | instid1(VALU_DEP_1)
	v_rcp_f32_e32 v4, v3
	s_waitcnt_depctr 0xfff
	v_fma_f32 v6, -v3, v4, 1.0
	v_fmac_f32_e32 v4, v6, v4
	s_delay_alu instid0(VALU_DEP_1) | instskip(NEXT) | instid1(VALU_DEP_1)
	v_mul_f32_e32 v6, v7, v4
	v_fma_f32 v8, -v3, v6, v7
	s_delay_alu instid0(VALU_DEP_1) | instskip(NEXT) | instid1(VALU_DEP_1)
	v_fmac_f32_e32 v6, v8, v4
	v_fma_f32 v3, -v3, v6, v7
	s_delay_alu instid0(VALU_DEP_1) | instskip(NEXT) | instid1(VALU_DEP_1)
	v_div_fmas_f32 v3, v3, v4, v6
	v_div_fixup_f32 v3, v3, v2, v1
	s_delay_alu instid0(VALU_DEP_1) | instskip(NEXT) | instid1(VALU_DEP_1)
	v_fmac_f32_e32 v2, v1, v3
	v_div_scale_f32 v1, null, v2, v2, 1.0
	v_div_scale_f32 v7, vcc_lo, 1.0, v2, 1.0
	s_delay_alu instid0(VALU_DEP_2) | instskip(SKIP_2) | instid1(VALU_DEP_1)
	v_rcp_f32_e32 v4, v1
	s_waitcnt_depctr 0xfff
	v_fma_f32 v6, -v1, v4, 1.0
	v_fmac_f32_e32 v4, v6, v4
	s_delay_alu instid0(VALU_DEP_1) | instskip(NEXT) | instid1(VALU_DEP_1)
	v_mul_f32_e32 v6, v7, v4
	v_fma_f32 v8, -v1, v6, v7
	s_delay_alu instid0(VALU_DEP_1) | instskip(NEXT) | instid1(VALU_DEP_1)
	v_fmac_f32_e32 v6, v8, v4
	v_fma_f32 v1, -v1, v6, v7
	s_delay_alu instid0(VALU_DEP_1) | instskip(SKIP_1) | instid1(VALU_DEP_2)
	v_div_fmas_f32 v1, v1, v4, v6
	v_add_f32_e32 v4, 0, v3
	v_div_fixup_f32 v1, v1, v2, 1.0
	v_fma_f32 v2, v3, 0, -1.0
	s_delay_alu instid0(VALU_DEP_2) | instskip(NEXT) | instid1(VALU_DEP_2)
	v_mul_f32_e32 v3, v4, v1
	v_mul_f32_e32 v4, v2, v1
                                        ; implicit-def: $vgpr1_vgpr2
.LBB155_30:
	s_and_not1_saveexec_b32 s5, s5
	s_cbranch_execz .LBB155_32
; %bb.31:
	v_div_scale_f32 v3, null, v1, v1, v2
	v_div_scale_f32 v7, vcc_lo, v2, v1, v2
	s_delay_alu instid0(VALU_DEP_2) | instskip(SKIP_2) | instid1(VALU_DEP_1)
	v_rcp_f32_e32 v4, v3
	s_waitcnt_depctr 0xfff
	v_fma_f32 v6, -v3, v4, 1.0
	v_fmac_f32_e32 v4, v6, v4
	s_delay_alu instid0(VALU_DEP_1) | instskip(NEXT) | instid1(VALU_DEP_1)
	v_mul_f32_e32 v6, v7, v4
	v_fma_f32 v8, -v3, v6, v7
	s_delay_alu instid0(VALU_DEP_1) | instskip(NEXT) | instid1(VALU_DEP_1)
	v_fmac_f32_e32 v6, v8, v4
	v_fma_f32 v3, -v3, v6, v7
	s_delay_alu instid0(VALU_DEP_1) | instskip(NEXT) | instid1(VALU_DEP_1)
	v_div_fmas_f32 v3, v3, v4, v6
	v_div_fixup_f32 v4, v3, v1, v2
	s_delay_alu instid0(VALU_DEP_1) | instskip(NEXT) | instid1(VALU_DEP_1)
	v_fmac_f32_e32 v1, v2, v4
	v_div_scale_f32 v2, null, v1, v1, 1.0
	v_div_scale_f32 v7, vcc_lo, 1.0, v1, 1.0
	s_delay_alu instid0(VALU_DEP_2) | instskip(SKIP_2) | instid1(VALU_DEP_1)
	v_rcp_f32_e32 v3, v2
	s_waitcnt_depctr 0xfff
	v_fma_f32 v6, -v2, v3, 1.0
	v_fmac_f32_e32 v3, v6, v3
	s_delay_alu instid0(VALU_DEP_1) | instskip(NEXT) | instid1(VALU_DEP_1)
	v_mul_f32_e32 v6, v7, v3
	v_fma_f32 v8, -v2, v6, v7
	s_delay_alu instid0(VALU_DEP_1) | instskip(NEXT) | instid1(VALU_DEP_1)
	v_fmac_f32_e32 v6, v8, v3
	v_fma_f32 v2, -v2, v6, v7
	s_delay_alu instid0(VALU_DEP_1) | instskip(SKIP_1) | instid1(VALU_DEP_2)
	v_div_fmas_f32 v2, v2, v3, v6
	v_fma_f32 v3, v4, 0, 1.0
	v_div_fixup_f32 v1, v2, v1, 1.0
	s_delay_alu instid0(VALU_DEP_1)
	v_mul_f32_e32 v3, v3, v1
	v_mul_f32_e64 v4, -v4, v1
.LBB155_32:
	s_or_b32 exec_lo, exec_lo, s5
	s_mov_b32 s5, 0
	ds_store_b64 v5, v[3:4]
.LBB155_33:
	s_and_b32 vcc_lo, exec_lo, s5
	s_cbranch_vccz .LBB155_35
; %bb.34:
	v_dual_mov_b32 v1, 1.0 :: v_dual_mov_b32 v2, 0
	ds_store_b64 v5, v[1:2]
.LBB155_35:
	s_or_b32 exec_lo, exec_lo, s29
	s_waitcnt lgkmcnt(0)
	s_load_b32 s16, s[0:1], 0x50
	s_lshl_b64 s[0:1], s[10:11], 3
	s_mul_i32 s5, s14, 0xffffffec
	s_mul_i32 s8, s14, 20
	s_waitcnt lgkmcnt(0)
	s_ashr_i32 s17, s16, 31
	s_add_u32 s18, s2, s0
	s_addc_u32 s19, s3, s1
	s_add_i32 s15, s15, -1
	s_add_i32 s5, s5, s7
	s_mul_hi_i32 s11, s16, s8
	s_cmp_ge_u32 s14, s15
	s_mul_i32 s10, s16, s8
	s_cselect_b32 s5, s5, 20
	s_lshl_b64 s[10:11], s[10:11], 3
	s_ashr_i32 s9, s8, 31
	s_add_u32 s7, s18, s10
	s_addc_u32 s18, s19, s11
	v_cmp_gt_i32_e32 vcc_lo, s5, v0
	s_cmp_gt_i32 s6, 0
	s_mov_b32 s10, 0
	s_cselect_b32 s5, -1, 0
	s_delay_alu instid0(SALU_CYCLE_1) | instskip(NEXT) | instid1(SALU_CYCLE_1)
	s_and_b32 s19, vcc_lo, s5
	s_and_saveexec_b32 s5, s19
	s_cbranch_execz .LBB155_42
; %bb.36:
	s_cmp_lt_i32 s6, 8
	s_cbranch_scc1 .LBB155_39
; %bb.37:
	v_mad_i64_i32 v[1:2], null, s16, v0, 0
	v_lshl_add_u32 v3, v0, 3, 0xc80
	s_lshl_b32 s10, s20, 3
	s_mov_b64 s[14:15], 0
	s_and_b32 s11, s10, 0xc0
	s_mov_b32 s10, 0
	s_delay_alu instid0(VALU_DEP_2) | instskip(NEXT) | instid1(VALU_DEP_1)
	v_lshlrev_b64 v[1:2], 3, v[1:2]
	v_add_co_u32 v1, vcc_lo, s7, v1
	s_delay_alu instid0(VALU_DEP_2)
	v_add_co_ci_u32_e32 v2, vcc_lo, s18, v2, vcc_lo
.LBB155_38:                             ; =>This Inner Loop Header: Depth=1
	s_delay_alu instid0(VALU_DEP_2) | instskip(NEXT) | instid1(VALU_DEP_2)
	v_add_co_u32 v16, vcc_lo, v1, s14
	v_add_co_ci_u32_e32 v17, vcc_lo, s15, v2, vcc_lo
	s_add_i32 s10, s10, 8
	s_add_u32 s14, s14, 64
	s_addc_u32 s15, s15, 0
	s_clause 0x3
	global_load_b128 v[4:7], v[16:17], off
	global_load_b128 v[8:11], v[16:17], off offset:16
	global_load_b128 v[12:15], v[16:17], off offset:32
	global_load_b128 v[16:19], v[16:17], off offset:48
	s_cmp_lg_u32 s11, s14
	s_waitcnt vmcnt(3)
	v_dual_mul_f32 v21, s13, v5 :: v_dual_mul_f32 v22, s13, v7
	v_dual_mul_f32 v20, s12, v5 :: v_dual_mul_f32 v5, s12, v7
	s_waitcnt vmcnt(2)
	v_dual_mul_f32 v23, s13, v9 :: v_dual_mul_f32 v24, s13, v11
	s_waitcnt vmcnt(1)
	v_dual_mul_f32 v7, s12, v9 :: v_dual_mul_f32 v26, s13, v15
	v_dual_mul_f32 v9, s12, v11 :: v_dual_fmac_f32 v20, s13, v4
	s_waitcnt vmcnt(0)
	v_dual_mul_f32 v25, s13, v13 :: v_dual_mul_f32 v28, s13, v19
	v_mul_f32_e32 v11, s12, v13
	v_mul_f32_e32 v13, s12, v15
	;; [unrolled: 1-line block ×5, first 2 shown]
	v_fma_f32 v19, s12, v4, -v21
	v_fma_f32 v4, s12, v6, -v22
	v_fmac_f32_e32 v5, s13, v6
	v_fma_f32 v6, s12, v8, -v23
	v_fmac_f32_e32 v7, s13, v8
	;; [unrolled: 2-line block ×7, first 2 shown]
	ds_store_2addr_b64 v3, v[19:20], v[4:5] offset1:20
	ds_store_2addr_b64 v3, v[6:7], v[8:9] offset0:40 offset1:60
	ds_store_2addr_b64 v3, v[10:11], v[12:13] offset0:80 offset1:100
	ds_store_2addr_b64 v3, v[14:15], v[16:17] offset0:120 offset1:140
	v_add_nc_u32_e32 v3, 0x500, v3
	s_cbranch_scc1 .LBB155_38
.LBB155_39:
	s_and_b32 s14, s20, 7
	s_mov_b32 s11, 0
	s_cmp_eq_u32 s14, 0
	s_cbranch_scc1 .LBB155_42
; %bb.40:
	v_lshlrev_b32_e32 v3, 3, v0
	s_lshl_b64 s[22:23], s[8:9], 3
	s_lshl_b64 s[24:25], s[10:11], 3
	s_mulk_i32 s10, 0xa0
	s_delay_alu instid0(VALU_DEP_1) | instskip(NEXT) | instid1(VALU_DEP_1)
	v_add_co_u32 v4, s11, s22, v3
	v_add_co_ci_u32_e64 v5, null, s23, 0, s11
	s_add_u32 s11, s2, s24
	s_addc_u32 s15, s3, s25
	s_add_u32 s22, s11, s0
	s_addc_u32 s23, s15, s1
	v_mul_lo_u32 v5, v5, s16
	v_mad_u64_u32 v[1:2], null, v4, s16, s[22:23]
	v_mul_lo_u32 v4, v4, s17
	v_add3_u32 v3, s10, v3, 0xc80
	s_delay_alu instid0(VALU_DEP_3) | instskip(NEXT) | instid1(VALU_DEP_3)
	v_add_co_u32 v1, vcc_lo, v1, 4
	v_add3_u32 v2, v5, v2, v4
	s_delay_alu instid0(VALU_DEP_1)
	v_add_co_ci_u32_e32 v2, vcc_lo, 0, v2, vcc_lo
	.p2align	6
.LBB155_41:                             ; =>This Inner Loop Header: Depth=1
	global_load_b64 v[4:5], v[1:2], off offset:-4
	v_add_co_u32 v1, vcc_lo, v1, 8
	v_add_co_ci_u32_e32 v2, vcc_lo, 0, v2, vcc_lo
	s_add_i32 s14, s14, -1
	s_delay_alu instid0(SALU_CYCLE_1) | instskip(SKIP_2) | instid1(VALU_DEP_1)
	s_cmp_lg_u32 s14, 0
	s_waitcnt vmcnt(0)
	v_mul_f32_e32 v6, s12, v5
	v_dual_mul_f32 v7, s13, v5 :: v_dual_fmac_f32 v6, s13, v4
	s_delay_alu instid0(VALU_DEP_1)
	v_fma_f32 v5, s12, v4, -v7
	ds_store_b64 v3, v[5:6]
	v_add_nc_u32_e32 v3, 0xa0, v3
	s_cbranch_scc1 .LBB155_41
.LBB155_42:
	s_or_b32 exec_lo, exec_lo, s5
	v_or_b32_e64 v5, 0, 4
	s_cmpk_eq_i32 s4, 0x6f
	s_mov_b32 s4, -1
	s_waitcnt vmcnt(0) lgkmcnt(0)
	s_waitcnt_vscnt null, 0x0
	; wave barrier
	s_waitcnt lgkmcnt(0)
	buffer_gl0_inv
	s_cbranch_scc1 .LBB155_63
; %bb.43:
	v_lshl_add_u32 v3, v0, 3, 0xc80
	s_lshl_b32 s10, s20, 3
	s_mov_b32 s5, 0
	s_add_i32 s10, s10, -8
	s_mov_b32 s4, s5
	s_mov_b32 s11, s28
	s_branch .LBB155_45
.LBB155_44:                             ;   in Loop: Header=BB155_45 Depth=1
	s_cmp_lt_i32 s11, 0
	s_cselect_b32 s12, -1, 0
	s_add_i32 s4, s4, 1
	s_delay_alu instid0(SALU_CYCLE_1) | instskip(SKIP_1) | instid1(SALU_CYCLE_1)
	s_cmp_eq_u32 s4, 3
	s_cselect_b32 s13, -1, 0
	s_or_b32 s12, s12, s13
	s_delay_alu instid0(SALU_CYCLE_1)
	s_and_not1_b32 vcc_lo, exec_lo, s12
	s_cbranch_vccz .LBB155_62
.LBB155_45:                             ; =>This Loop Header: Depth=1
                                        ;     Child Loop BB155_48 Depth 2
                                        ;       Child Loop BB155_49 Depth 3
                                        ;       Child Loop BB155_51 Depth 3
                                        ;         Child Loop BB155_52 Depth 4
                                        ;       Child Loop BB155_56 Depth 3
                                        ;         Child Loop BB155_58 Depth 4
	s_getpc_b64 s[12:13]
	s_add_u32 s12, s12, __const._ZL38rocblas_trsm_small_left_device_sharedBILi20ELi20ELb1E19rocblas_complex_numIfES1_PKPKS1_PKPS1_Ev13rocblas_fill_18rocblas_operation_17rocblas_diagonal_iiT3_T4_lilT5_lili.step_sizes@rel32@lo+4
	s_addc_u32 s13, s13, __const._ZL38rocblas_trsm_small_left_device_sharedBILi20ELi20ELb1E19rocblas_complex_numIfES1_PKPKS1_PKPS1_Ev13rocblas_fill_18rocblas_operation_17rocblas_diagonal_iiT3_T4_lilT5_lili.step_sizes@rel32@hi+12
	s_lshl_b64 s[14:15], s[4:5], 2
	s_delay_alu instid0(SALU_CYCLE_1) | instskip(SKIP_4) | instid1(SALU_CYCLE_1)
	s_add_u32 s12, s14, s12
	s_addc_u32 s13, s15, s13
	s_load_b32 s12, s[12:13], 0x0
	s_waitcnt lgkmcnt(0)
	s_add_i32 s13, s12, -1
	s_cmp_lt_i32 s11, s13
	s_cbranch_scc1 .LBB155_44
; %bb.46:                               ;   in Loop: Header=BB155_45 Depth=1
	s_mul_i32 s21, s11, 0xa0
	s_max_i32 s14, s12, 1
	v_add_nc_u32_e32 v4, s21, v3
	s_mul_i32 s15, s12, 0xffffff60
	s_add_i32 s21, s10, s21
	s_mul_i32 s22, s11, 0xa8
	s_mul_i32 s23, s12, 0xffffff58
	s_branch .LBB155_48
.LBB155_47:                             ;   in Loop: Header=BB155_48 Depth=2
	v_add_nc_u32_e32 v4, s15, v4
	s_sub_i32 s11, s11, s12
	s_add_i32 s21, s21, s15
	s_add_i32 s22, s22, s23
	s_cmp_lt_i32 s11, s13
	s_cbranch_scc1 .LBB155_44
.LBB155_48:                             ;   Parent Loop BB155_45 Depth=1
                                        ; =>  This Loop Header: Depth=2
                                        ;       Child Loop BB155_49 Depth 3
                                        ;       Child Loop BB155_51 Depth 3
                                        ;         Child Loop BB155_52 Depth 4
                                        ;       Child Loop BB155_56 Depth 3
                                        ;         Child Loop BB155_58 Depth 4
	v_dual_mov_b32 v1, 0 :: v_dual_mov_b32 v2, v4
	s_mov_b32 s24, s14
.LBB155_49:                             ;   Parent Loop BB155_45 Depth=1
                                        ;     Parent Loop BB155_48 Depth=2
                                        ; =>    This Inner Loop Header: Depth=3
	ds_load_b64 v[6:7], v2
	v_add_nc_u32_e32 v2, 0xffffff60, v2
	s_add_i32 s24, s24, -1
	s_delay_alu instid0(SALU_CYCLE_1)
	s_cmp_eq_u32 s24, 0
	s_waitcnt lgkmcnt(0)
	scratch_store_b64 v1, v[6:7], off
	v_add_nc_u32_e32 v1, 8, v1
	s_cbranch_scc0 .LBB155_49
; %bb.50:                               ;   in Loop: Header=BB155_48 Depth=2
	s_cmp_le_i32 s28, s11
	s_mov_b32 s24, s21
	s_mov_b32 s25, s28
	s_cbranch_scc1 .LBB155_54
	.p2align	6
.LBB155_51:                             ;   Parent Loop BB155_45 Depth=1
                                        ;     Parent Loop BB155_48 Depth=2
                                        ; =>    This Loop Header: Depth=3
                                        ;         Child Loop BB155_52 Depth 4
	s_mul_i32 s26, s25, 20
	v_mov_b32_e32 v6, v5
	v_add_lshl_u32 v1, s26, v0, 3
	s_mov_b32 s26, s24
	s_mov_b32 s27, s14
	ds_load_b64 v[1:2], v1 offset:3200
	.p2align	6
.LBB155_52:                             ;   Parent Loop BB155_45 Depth=1
                                        ;     Parent Loop BB155_48 Depth=2
                                        ;       Parent Loop BB155_51 Depth=3
                                        ; =>      This Inner Loop Header: Depth=4
	scratch_load_b64 v[7:8], v6, off offset:-4
	v_mov_b32_e32 v9, s26
	s_add_i32 s27, s27, -1
	s_addk_i32 s26, 0xff60
	s_cmp_eq_u32 s27, 0
	ds_load_b64 v[9:10], v9
	s_waitcnt lgkmcnt(0)
	v_mul_f32_e32 v11, v10, v2
	v_mul_f32_e32 v10, v10, v1
	s_delay_alu instid0(VALU_DEP_2) | instskip(SKIP_1) | instid1(VALU_DEP_1)
	v_fma_f32 v11, v9, v1, -v11
	s_waitcnt vmcnt(0)
	v_dual_fmac_f32 v10, v9, v2 :: v_dual_sub_f32 v7, v7, v11
	s_delay_alu instid0(VALU_DEP_1)
	v_sub_f32_e32 v8, v8, v10
	scratch_store_b64 v6, v[7:8], off offset:-4
	v_add_nc_u32_e32 v6, 8, v6
	s_cbranch_scc0 .LBB155_52
; %bb.53:                               ;   in Loop: Header=BB155_51 Depth=3
	s_add_i32 s25, s25, -1
	s_add_i32 s24, s24, -8
	s_cmp_le_i32 s25, s11
	s_cbranch_scc0 .LBB155_51
.LBB155_54:                             ;   in Loop: Header=BB155_48 Depth=2
	s_mul_i32 s24, s11, 20
	s_mov_b32 s25, 0
	s_mov_b32 s26, s22
	s_branch .LBB155_56
.LBB155_55:                             ;   in Loop: Header=BB155_56 Depth=3
	s_mulk_i32 s29, 0xa8
	s_addk_i32 s26, 0xff60
	v_mov_b32_e32 v6, s29
	s_lshl_b32 s29, s25, 3
	s_add_i32 s25, s25, 1
	ds_load_b64 v[6:7], v6
	s_waitcnt vmcnt(0) lgkmcnt(0)
	v_mul_f32_e32 v8, v7, v2
	v_mul_f32_e32 v9, v6, v2
	v_add_lshl_u32 v2, s27, v0, 3
	s_add_i32 s27, s29, 0
	s_cmp_eq_u32 s25, s14
	v_fma_f32 v8, v6, v1, -v8
	v_fmac_f32_e32 v9, v7, v1
	scratch_store_b64 off, v[8:9], s27
	ds_store_b64 v2, v[8:9] offset:3200
	s_cbranch_scc1 .LBB155_47
.LBB155_56:                             ;   Parent Loop BB155_45 Depth=1
                                        ;     Parent Loop BB155_48 Depth=2
                                        ; =>    This Loop Header: Depth=3
                                        ;         Child Loop BB155_58 Depth 4
	s_cmp_lg_u32 s25, 0
	s_cbranch_scc0 .LBB155_60
; %bb.57:                               ;   in Loop: Header=BB155_56 Depth=3
	s_lshl_b32 s27, s25, 3
	v_mov_b32_e32 v7, 0
	s_add_i32 s29, s27, 0
	v_add_nc_u32_e64 v6, s27, 0
	scratch_load_b64 v[1:2], off, s29
	s_sub_i32 s29, s11, s25
	s_mov_b32 s30, 0
	s_mul_i32 s27, s29, 20
	s_mov_b32 s31, s26
	.p2align	6
.LBB155_58:                             ;   Parent Loop BB155_45 Depth=1
                                        ;     Parent Loop BB155_48 Depth=2
                                        ;       Parent Loop BB155_56 Depth=3
                                        ; =>      This Inner Loop Header: Depth=4
	scratch_load_b64 v[8:9], v7, off
	v_mov_b32_e32 v10, s31
	s_add_i32 s30, s30, 1
	s_add_i32 s31, s31, -8
	s_cmp_ge_u32 s30, s25
	v_add_nc_u32_e32 v7, 8, v7
	ds_load_b64 v[10:11], v10
	s_waitcnt vmcnt(0) lgkmcnt(0)
	v_mul_f32_e32 v12, v11, v9
	v_mul_f32_e32 v9, v10, v9
	s_delay_alu instid0(VALU_DEP_2) | instskip(NEXT) | instid1(VALU_DEP_2)
	v_fma_f32 v10, v10, v8, -v12
	v_fmac_f32_e32 v9, v11, v8
	s_delay_alu instid0(VALU_DEP_1)
	v_dual_sub_f32 v1, v1, v10 :: v_dual_sub_f32 v2, v2, v9
	scratch_store_b64 v6, v[1:2], off
	s_cbranch_scc0 .LBB155_58
; %bb.59:                               ;   in Loop: Header=BB155_56 Depth=3
	s_branch .LBB155_55
.LBB155_60:                             ;   in Loop: Header=BB155_56 Depth=3
                                        ; implicit-def: $vgpr1
                                        ; implicit-def: $sgpr29
                                        ; implicit-def: $sgpr27
	s_cbranch_execz .LBB155_55
; %bb.61:                               ;   in Loop: Header=BB155_56 Depth=3
	scratch_load_b64 v[1:2], off, off
	s_mov_b32 s27, s24
	s_mov_b32 s29, s11
	s_branch .LBB155_55
.LBB155_62:
	s_mov_b32 s4, 0
.LBB155_63:
	s_delay_alu instid0(SALU_CYCLE_1)
	s_and_b32 vcc_lo, exec_lo, s4
	s_cbranch_vccz .LBB155_84
; %bb.64:
	v_lshl_add_u32 v1, v0, 3, 0xc80
	s_mov_b32 s5, 0
	s_delay_alu instid0(SALU_CYCLE_1)
	s_mov_b32 s4, s5
	s_mov_b32 s10, s5
	s_branch .LBB155_66
.LBB155_65:                             ;   in Loop: Header=BB155_66 Depth=1
	s_cmp_ge_i32 s10, s20
	s_cselect_b32 s11, -1, 0
	s_add_i32 s4, s4, 1
	s_delay_alu instid0(SALU_CYCLE_1) | instskip(SKIP_1) | instid1(SALU_CYCLE_1)
	s_cmp_eq_u32 s4, 3
	s_cselect_b32 s12, -1, 0
	s_or_b32 s11, s11, s12
	s_delay_alu instid0(SALU_CYCLE_1)
	s_and_b32 vcc_lo, exec_lo, s11
	s_cbranch_vccnz .LBB155_84
.LBB155_66:                             ; =>This Loop Header: Depth=1
                                        ;     Child Loop BB155_69 Depth 2
                                        ;       Child Loop BB155_70 Depth 3
                                        ;       Child Loop BB155_73 Depth 3
                                        ;         Child Loop BB155_74 Depth 4
                                        ;       Child Loop BB155_78 Depth 3
                                        ;         Child Loop BB155_80 Depth 4
	s_getpc_b64 s[12:13]
	s_add_u32 s12, s12, __const._ZL38rocblas_trsm_small_left_device_sharedBILi20ELi20ELb1E19rocblas_complex_numIfES1_PKPKS1_PKPS1_Ev13rocblas_fill_18rocblas_operation_17rocblas_diagonal_iiT3_T4_lilT5_lili.step_sizes@rel32@lo+4
	s_addc_u32 s13, s13, __const._ZL38rocblas_trsm_small_left_device_sharedBILi20ELi20ELb1E19rocblas_complex_numIfES1_PKPKS1_PKPS1_Ev13rocblas_fill_18rocblas_operation_17rocblas_diagonal_iiT3_T4_lilT5_lili.step_sizes@rel32@hi+12
	s_lshl_b64 s[14:15], s[4:5], 2
	s_delay_alu instid0(SALU_CYCLE_1) | instskip(SKIP_4) | instid1(SALU_CYCLE_1)
	s_add_u32 s12, s14, s12
	s_addc_u32 s13, s15, s13
	s_load_b32 s11, s[12:13], 0x0
	s_waitcnt lgkmcnt(0)
	s_add_i32 s12, s11, -1
	s_add_i32 s13, s12, s10
	s_delay_alu instid0(SALU_CYCLE_1)
	s_cmp_ge_i32 s13, s20
	s_cbranch_scc1 .LBB155_65
; %bb.67:                               ;   in Loop: Header=BB155_66 Depth=1
	v_mad_u64_u32 v[2:3], null, 0xa0, s10, v[1:2]
	s_max_i32 s13, s11, 1
	s_mul_i32 s14, s11, 0xa0
	s_lshl_b32 s15, s10, 3
	s_lshl_b32 s21, s11, 3
	s_mul_i32 s22, s10, 0xa8
	s_mul_i32 s23, s11, 0xa8
	s_branch .LBB155_69
.LBB155_68:                             ;   in Loop: Header=BB155_69 Depth=2
	s_add_i32 s10, s10, s11
	v_add_nc_u32_e32 v2, s14, v2
	s_add_i32 s24, s12, s10
	s_add_i32 s15, s15, s21
	;; [unrolled: 1-line block ×3, first 2 shown]
	s_cmp_ge_i32 s24, s20
	s_cbranch_scc1 .LBB155_65
.LBB155_69:                             ;   Parent Loop BB155_66 Depth=1
                                        ; =>  This Loop Header: Depth=2
                                        ;       Child Loop BB155_70 Depth 3
                                        ;       Child Loop BB155_73 Depth 3
                                        ;         Child Loop BB155_74 Depth 4
                                        ;       Child Loop BB155_78 Depth 3
                                        ;         Child Loop BB155_80 Depth 4
	v_dual_mov_b32 v3, 0 :: v_dual_mov_b32 v4, v2
	s_mov_b32 s24, s13
.LBB155_70:                             ;   Parent Loop BB155_66 Depth=1
                                        ;     Parent Loop BB155_69 Depth=2
                                        ; =>    This Inner Loop Header: Depth=3
	ds_load_b64 v[6:7], v4
	v_add_nc_u32_e32 v4, 0xa0, v4
	s_add_i32 s24, s24, -1
	s_delay_alu instid0(SALU_CYCLE_1)
	s_cmp_eq_u32 s24, 0
	s_waitcnt lgkmcnt(0)
	scratch_store_b64 v3, v[6:7], off
	v_add_nc_u32_e32 v3, 8, v3
	s_cbranch_scc0 .LBB155_70
; %bb.71:                               ;   in Loop: Header=BB155_69 Depth=2
	s_cmp_lt_i32 s10, 1
	s_cbranch_scc1 .LBB155_76
; %bb.72:                               ;   in Loop: Header=BB155_69 Depth=2
	s_mov_b32 s24, 0
	s_mov_b32 s25, s15
	.p2align	6
.LBB155_73:                             ;   Parent Loop BB155_66 Depth=1
                                        ;     Parent Loop BB155_69 Depth=2
                                        ; =>    This Loop Header: Depth=3
                                        ;         Child Loop BB155_74 Depth 4
	s_mul_i32 s26, s24, 20
	v_mov_b32_e32 v6, v5
	v_add_lshl_u32 v3, s26, v0, 3
	s_mov_b32 s26, s25
	s_mov_b32 s27, s13
	ds_load_b64 v[3:4], v3 offset:3200
	.p2align	6
.LBB155_74:                             ;   Parent Loop BB155_66 Depth=1
                                        ;     Parent Loop BB155_69 Depth=2
                                        ;       Parent Loop BB155_73 Depth=3
                                        ; =>      This Inner Loop Header: Depth=4
	scratch_load_b64 v[7:8], v6, off offset:-4
	v_mov_b32_e32 v9, s26
	s_add_i32 s27, s27, -1
	s_add_i32 s26, s26, 8
	s_cmp_eq_u32 s27, 0
	ds_load_b64 v[9:10], v9
	s_waitcnt lgkmcnt(0)
	v_mul_f32_e32 v11, v10, v4
	v_mul_f32_e32 v10, v10, v3
	s_delay_alu instid0(VALU_DEP_1) | instskip(SKIP_1) | instid1(VALU_DEP_1)
	v_fmac_f32_e32 v10, v9, v4
	s_waitcnt vmcnt(0)
	v_sub_f32_e32 v8, v8, v10
	v_fma_f32 v11, v9, v3, -v11
	s_delay_alu instid0(VALU_DEP_1)
	v_sub_f32_e32 v7, v7, v11
	scratch_store_b64 v6, v[7:8], off offset:-4
	v_add_nc_u32_e32 v6, 8, v6
	s_cbranch_scc0 .LBB155_74
; %bb.75:                               ;   in Loop: Header=BB155_73 Depth=3
	s_add_i32 s24, s24, 1
	s_addk_i32 s25, 0xa0
	s_cmp_ge_i32 s24, s10
	s_cbranch_scc0 .LBB155_73
.LBB155_76:                             ;   in Loop: Header=BB155_69 Depth=2
	s_mov_b32 s24, 0
	s_mov_b32 s25, s22
	s_branch .LBB155_78
.LBB155_77:                             ;   in Loop: Header=BB155_78 Depth=3
	s_mul_i32 s27, s26, 0xa8
	s_mul_i32 s26, s26, 20
	v_mov_b32_e32 v6, s27
	s_lshl_b32 s27, s24, 3
	s_add_i32 s24, s24, 1
	s_add_i32 s25, s25, 8
	ds_load_b64 v[6:7], v6
	s_waitcnt vmcnt(0) lgkmcnt(0)
	v_mul_f32_e32 v8, v7, v4
	v_mul_f32_e32 v9, v6, v4
	s_delay_alu instid0(VALU_DEP_2) | instskip(NEXT) | instid1(VALU_DEP_2)
	v_fma_f32 v8, v6, v3, -v8
	v_fmac_f32_e32 v9, v7, v3
	v_add_lshl_u32 v3, s26, v0, 3
	s_add_i32 s26, s27, 0
	s_cmp_eq_u32 s24, s13
	scratch_store_b64 off, v[8:9], s26
	ds_store_b64 v3, v[8:9] offset:3200
	s_cbranch_scc1 .LBB155_68
.LBB155_78:                             ;   Parent Loop BB155_66 Depth=1
                                        ;     Parent Loop BB155_69 Depth=2
                                        ; =>    This Loop Header: Depth=3
                                        ;         Child Loop BB155_80 Depth 4
	s_cmp_lg_u32 s24, 0
	s_cbranch_scc0 .LBB155_82
; %bb.79:                               ;   in Loop: Header=BB155_78 Depth=3
	s_lshl_b32 s26, s24, 3
	v_mov_b32_e32 v7, 0
	s_add_i32 s27, s26, 0
	v_add_nc_u32_e64 v6, s26, 0
	scratch_load_b64 v[3:4], off, s27
	s_add_i32 s26, s24, s10
	s_mov_b32 s27, 0
	s_mov_b32 s28, s25
	.p2align	6
.LBB155_80:                             ;   Parent Loop BB155_66 Depth=1
                                        ;     Parent Loop BB155_69 Depth=2
                                        ;       Parent Loop BB155_78 Depth=3
                                        ; =>      This Inner Loop Header: Depth=4
	scratch_load_b64 v[8:9], v7, off
	v_mov_b32_e32 v10, s28
	s_add_i32 s27, s27, 1
	s_addk_i32 s28, 0xa0
	s_cmp_ge_u32 s27, s24
	v_add_nc_u32_e32 v7, 8, v7
	ds_load_b64 v[10:11], v10
	s_waitcnt vmcnt(0) lgkmcnt(0)
	v_mul_f32_e32 v12, v11, v9
	v_mul_f32_e32 v9, v10, v9
	s_delay_alu instid0(VALU_DEP_2) | instskip(NEXT) | instid1(VALU_DEP_2)
	v_fma_f32 v10, v10, v8, -v12
	v_fmac_f32_e32 v9, v11, v8
	s_delay_alu instid0(VALU_DEP_1)
	v_dual_sub_f32 v3, v3, v10 :: v_dual_sub_f32 v4, v4, v9
	scratch_store_b64 v6, v[3:4], off
	s_cbranch_scc0 .LBB155_80
; %bb.81:                               ;   in Loop: Header=BB155_78 Depth=3
	s_branch .LBB155_77
.LBB155_82:                             ;   in Loop: Header=BB155_78 Depth=3
                                        ; implicit-def: $vgpr3
                                        ; implicit-def: $sgpr26
	s_cbranch_execz .LBB155_77
; %bb.83:                               ;   in Loop: Header=BB155_78 Depth=3
	scratch_load_b64 v[3:4], off, off
	s_mov_b32 s26, s10
	s_branch .LBB155_77
.LBB155_84:
	s_waitcnt vmcnt(0) lgkmcnt(0)
	s_waitcnt_vscnt null, 0x0
	; wave barrier
	s_waitcnt lgkmcnt(0)
	s_waitcnt_vscnt null, 0x0
	buffer_gl0_inv
	s_and_saveexec_b32 s4, s19
	s_cbranch_execz .LBB155_91
; %bb.85:
	s_cmp_lt_i32 s6, 8
	s_mov_b32 s4, 0
	s_cbranch_scc1 .LBB155_88
; %bb.86:
	v_mad_i64_i32 v[1:2], null, s16, v0, 0
	v_lshl_add_u32 v3, v0, 3, 0xc80
	s_lshl_b32 s4, s20, 3
	s_delay_alu instid0(SALU_CYCLE_1) | instskip(SKIP_1) | instid1(VALU_DEP_2)
	s_and_b32 s5, s4, 0xc0
	s_mov_b32 s4, 0
	v_lshlrev_b64 v[1:2], 3, v[1:2]
	s_delay_alu instid0(VALU_DEP_1) | instskip(NEXT) | instid1(VALU_DEP_2)
	v_add_co_u32 v1, vcc_lo, s7, v1
	v_add_co_ci_u32_e32 v2, vcc_lo, s18, v2, vcc_lo
	s_mov_b64 s[6:7], 0
	.p2align	6
.LBB155_87:                             ; =>This Inner Loop Header: Depth=1
	ds_load_2addr_b64 v[4:7], v3 offset1:20
	ds_load_2addr_b64 v[8:11], v3 offset0:40 offset1:60
	ds_load_2addr_b64 v[12:15], v3 offset0:80 offset1:100
	;; [unrolled: 1-line block ×3, first 2 shown]
	v_add_co_u32 v20, vcc_lo, v1, s6
	v_add_co_ci_u32_e32 v21, vcc_lo, s7, v2, vcc_lo
	s_add_i32 s4, s4, 8
	v_add_nc_u32_e32 v3, 0x500, v3
	s_add_u32 s6, s6, 64
	s_addc_u32 s7, s7, 0
	s_cmp_lg_u32 s5, s6
	s_waitcnt lgkmcnt(3)
	global_store_b128 v[20:21], v[4:7], off
	s_waitcnt lgkmcnt(2)
	global_store_b128 v[20:21], v[8:11], off offset:16
	s_waitcnt lgkmcnt(1)
	global_store_b128 v[20:21], v[12:15], off offset:32
	s_waitcnt lgkmcnt(0)
	global_store_b128 v[20:21], v[16:19], off offset:48
	s_cbranch_scc1 .LBB155_87
.LBB155_88:
	s_and_b32 s6, s20, 7
	s_mov_b32 s5, 0
	s_cmp_eq_u32 s6, 0
	s_cbranch_scc1 .LBB155_91
; %bb.89:
	v_lshlrev_b32_e32 v2, 3, v0
	s_lshl_b64 s[8:9], s[8:9], 3
	s_lshl_b64 s[10:11], s[4:5], 3
	s_delay_alu instid0(SALU_CYCLE_1) | instskip(NEXT) | instid1(VALU_DEP_1)
	s_add_u32 s2, s2, s10
	v_add_co_u32 v3, s5, s8, v2
	s_delay_alu instid0(VALU_DEP_1) | instskip(SKIP_3) | instid1(VALU_DEP_1)
	v_add_co_ci_u32_e64 v4, null, s9, 0, s5
	s_addc_u32 s3, s3, s11
	s_add_u32 s0, s2, s0
	s_addc_u32 s1, s3, s1
	v_mul_lo_u32 v4, v4, s16
	v_mad_u64_u32 v[0:1], null, v3, s16, s[0:1]
	v_mul_lo_u32 v3, v3, s17
	s_mul_i32 s0, s4, 0xa0
	s_delay_alu instid0(SALU_CYCLE_1) | instskip(NEXT) | instid1(VALU_DEP_2)
	v_add3_u32 v2, s0, v2, 0xc80
	v_add3_u32 v1, v4, v1, v3
.LBB155_90:                             ; =>This Inner Loop Header: Depth=1
	ds_load_b64 v[3:4], v2
	v_add_nc_u32_e32 v2, 0xa0, v2
	s_add_i32 s6, s6, -1
	s_delay_alu instid0(SALU_CYCLE_1)
	s_cmp_lg_u32 s6, 0
	s_waitcnt lgkmcnt(0)
	global_store_b64 v[0:1], v[3:4], off
	v_add_co_u32 v0, vcc_lo, v0, 8
	v_add_co_ci_u32_e32 v1, vcc_lo, 0, v1, vcc_lo
	s_cbranch_scc1 .LBB155_90
.LBB155_91:
	s_nop 0
	s_sendmsg sendmsg(MSG_DEALLOC_VGPRS)
	s_endpgm
	.section	.rodata,"a",@progbits
	.p2align	6, 0x0
	.amdhsa_kernel _ZL38rocblas_trsm_small_left_device_sharedBILi20ELi20ELb1E19rocblas_complex_numIfES1_PKPKS1_PKPS1_Ev13rocblas_fill_18rocblas_operation_17rocblas_diagonal_iiT3_T4_lilT5_lili
		.amdhsa_group_segment_fixed_size 6400
		.amdhsa_private_segment_fixed_size 176
		.amdhsa_kernarg_size 360
		.amdhsa_user_sgpr_count 14
		.amdhsa_user_sgpr_dispatch_ptr 0
		.amdhsa_user_sgpr_queue_ptr 0
		.amdhsa_user_sgpr_kernarg_segment_ptr 1
		.amdhsa_user_sgpr_dispatch_id 0
		.amdhsa_user_sgpr_private_segment_size 0
		.amdhsa_wavefront_size32 1
		.amdhsa_uses_dynamic_stack 0
		.amdhsa_enable_private_segment 1
		.amdhsa_system_sgpr_workgroup_id_x 1
		.amdhsa_system_sgpr_workgroup_id_y 0
		.amdhsa_system_sgpr_workgroup_id_z 1
		.amdhsa_system_sgpr_workgroup_info 0
		.amdhsa_system_vgpr_workitem_id 0
		.amdhsa_next_free_vgpr 29
		.amdhsa_next_free_sgpr 35
		.amdhsa_reserve_vcc 1
		.amdhsa_float_round_mode_32 0
		.amdhsa_float_round_mode_16_64 0
		.amdhsa_float_denorm_mode_32 3
		.amdhsa_float_denorm_mode_16_64 3
		.amdhsa_dx10_clamp 1
		.amdhsa_ieee_mode 1
		.amdhsa_fp16_overflow 0
		.amdhsa_workgroup_processor_mode 1
		.amdhsa_memory_ordered 1
		.amdhsa_forward_progress 0
		.amdhsa_shared_vgpr_count 0
		.amdhsa_exception_fp_ieee_invalid_op 0
		.amdhsa_exception_fp_denorm_src 0
		.amdhsa_exception_fp_ieee_div_zero 0
		.amdhsa_exception_fp_ieee_overflow 0
		.amdhsa_exception_fp_ieee_underflow 0
		.amdhsa_exception_fp_ieee_inexact 0
		.amdhsa_exception_int_div_zero 0
	.end_amdhsa_kernel
	.section	.text._ZL38rocblas_trsm_small_left_device_sharedBILi20ELi20ELb1E19rocblas_complex_numIfES1_PKPKS1_PKPS1_Ev13rocblas_fill_18rocblas_operation_17rocblas_diagonal_iiT3_T4_lilT5_lili,"axG",@progbits,_ZL38rocblas_trsm_small_left_device_sharedBILi20ELi20ELb1E19rocblas_complex_numIfES1_PKPKS1_PKPS1_Ev13rocblas_fill_18rocblas_operation_17rocblas_diagonal_iiT3_T4_lilT5_lili,comdat
.Lfunc_end155:
	.size	_ZL38rocblas_trsm_small_left_device_sharedBILi20ELi20ELb1E19rocblas_complex_numIfES1_PKPKS1_PKPS1_Ev13rocblas_fill_18rocblas_operation_17rocblas_diagonal_iiT3_T4_lilT5_lili, .Lfunc_end155-_ZL38rocblas_trsm_small_left_device_sharedBILi20ELi20ELb1E19rocblas_complex_numIfES1_PKPKS1_PKPS1_Ev13rocblas_fill_18rocblas_operation_17rocblas_diagonal_iiT3_T4_lilT5_lili
                                        ; -- End function
	.section	.AMDGPU.csdata,"",@progbits
; Kernel info:
; codeLenInByte = 3956
; NumSgprs: 37
; NumVgprs: 29
; ScratchSize: 176
; MemoryBound: 0
; FloatMode: 240
; IeeeMode: 1
; LDSByteSize: 6400 bytes/workgroup (compile time only)
; SGPRBlocks: 4
; VGPRBlocks: 3
; NumSGPRsForWavesPerEU: 37
; NumVGPRsForWavesPerEU: 29
; Occupancy: 5
; WaveLimiterHint : 1
; COMPUTE_PGM_RSRC2:SCRATCH_EN: 1
; COMPUTE_PGM_RSRC2:USER_SGPR: 14
; COMPUTE_PGM_RSRC2:TRAP_HANDLER: 0
; COMPUTE_PGM_RSRC2:TGID_X_EN: 1
; COMPUTE_PGM_RSRC2:TGID_Y_EN: 0
; COMPUTE_PGM_RSRC2:TGID_Z_EN: 1
; COMPUTE_PGM_RSRC2:TIDIG_COMP_CNT: 0
	.section	.text._ZL30rocblas_trsm_small_left_deviceILi20ELi20ELb1E19rocblas_complex_numIfES1_PKPKS1_PKPS1_Ev13rocblas_fill_18rocblas_operation_17rocblas_diagonal_iiT3_T4_lilT5_lili,"axG",@progbits,_ZL30rocblas_trsm_small_left_deviceILi20ELi20ELb1E19rocblas_complex_numIfES1_PKPKS1_PKPS1_Ev13rocblas_fill_18rocblas_operation_17rocblas_diagonal_iiT3_T4_lilT5_lili,comdat
	.globl	_ZL30rocblas_trsm_small_left_deviceILi20ELi20ELb1E19rocblas_complex_numIfES1_PKPKS1_PKPS1_Ev13rocblas_fill_18rocblas_operation_17rocblas_diagonal_iiT3_T4_lilT5_lili ; -- Begin function _ZL30rocblas_trsm_small_left_deviceILi20ELi20ELb1E19rocblas_complex_numIfES1_PKPKS1_PKPS1_Ev13rocblas_fill_18rocblas_operation_17rocblas_diagonal_iiT3_T4_lilT5_lili
	.p2align	8
	.type	_ZL30rocblas_trsm_small_left_deviceILi20ELi20ELb1E19rocblas_complex_numIfES1_PKPKS1_PKPS1_Ev13rocblas_fill_18rocblas_operation_17rocblas_diagonal_iiT3_T4_lilT5_lili,@function
_ZL30rocblas_trsm_small_left_deviceILi20ELi20ELb1E19rocblas_complex_numIfES1_PKPKS1_PKPS1_Ev13rocblas_fill_18rocblas_operation_17rocblas_diagonal_iiT3_T4_lilT5_lili: ; @_ZL30rocblas_trsm_small_left_deviceILi20ELi20ELb1E19rocblas_complex_numIfES1_PKPKS1_PKPS1_Ev13rocblas_fill_18rocblas_operation_17rocblas_diagonal_iiT3_T4_lilT5_lili
; %bb.0:
	s_clause 0x1
	s_load_b128 s[8:11], s[0:1], 0x40
	s_load_b128 s[4:7], s[0:1], 0x4
	s_mov_b32 s12, s15
	s_mov_b32 s13, 0
	s_load_b32 s29, s[0:1], 0x68
	s_lshl_b64 s[22:23], s[12:13], 3
	s_waitcnt lgkmcnt(0)
	s_add_u32 s8, s8, s22
	s_addc_u32 s9, s9, s23
	s_load_b64 s[2:3], s[0:1], 0x14
	s_load_b64 s[8:9], s[8:9], 0x0
	s_min_i32 s15, s6, 20
	s_mov_b32 s6, exec_lo
	s_add_i32 s28, s15, -1
	v_cmpx_gt_i32_e64 s15, v0
	s_cbranch_execz .LBB156_35
; %bb.1:
	s_clause 0x1
	s_load_b32 s20, s[0:1], 0x30
	s_load_b128 s[16:19], s[0:1], 0x20
	v_lshlrev_b32_e32 v8, 3, v0
	s_waitcnt lgkmcnt(0)
	s_ashr_i32 s21, s20, 31
	s_cmpk_lg_i32 s4, 0x71
	s_cselect_b32 s12, -1, 0
	s_add_u32 s16, s16, s22
	s_addc_u32 s17, s17, s23
	v_cndmask_b32_e64 v7, 0, 1, s12
	s_load_b64 s[16:17], s[16:17], 0x0
	s_cmp_lt_u32 s28, 3
	s_cbranch_scc1 .LBB156_20
; %bb.2:
	s_lshl_b64 s[22:23], s[18:19], 3
	v_mov_b32_e32 v9, v8
	s_waitcnt lgkmcnt(0)
	s_add_u32 s13, s16, s22
	s_addc_u32 s22, s17, s23
	v_add_co_u32 v1, s13, s13, v8
	s_delay_alu instid0(VALU_DEP_1)
	v_add_co_ci_u32_e64 v2, null, s22, 0, s13
	s_and_b32 s13, s15, -4
	s_mul_hi_i32 s30, s20, 24
	s_mul_i32 s31, s20, 24
	s_lshl_b64 s[22:23], s[20:21], 5
	s_lshl_b64 s[24:25], s[20:21], 4
	;; [unrolled: 1-line block ×3, first 2 shown]
	s_mov_b32 s33, 0
	s_branch .LBB156_4
.LBB156_3:                              ;   in Loop: Header=BB156_4 Depth=1
	global_load_b32 v3, v[5:6], off
	v_add_co_u32 v1, vcc_lo, v1, s22
	v_add_co_ci_u32_e32 v2, vcc_lo, s23, v2, vcc_lo
	s_add_i32 s33, s33, 4
	s_delay_alu instid0(SALU_CYCLE_1)
	s_cmp_eq_u32 s13, s33
	s_waitcnt vmcnt(0)
	ds_store_b64 v9, v[3:4] offset:480
	v_add_nc_u32_e32 v9, 0x280, v9
	s_cbranch_scc1 .LBB156_20
.LBB156_4:                              ; =>This Inner Loop Header: Depth=1
	s_and_b32 vcc_lo, exec_lo, s12
	s_cbranch_vccz .LBB156_6
; %bb.5:                                ;   in Loop: Header=BB156_4 Depth=1
	global_load_b32 v4, v[1:2], off offset:4
	s_cbranch_execz .LBB156_7
	s_branch .LBB156_8
.LBB156_6:                              ;   in Loop: Header=BB156_4 Depth=1
                                        ; implicit-def: $vgpr4
.LBB156_7:                              ;   in Loop: Header=BB156_4 Depth=1
	global_load_b32 v3, v[1:2], off offset:4
	s_waitcnt vmcnt(0)
	v_xor_b32_e32 v4, 0x80000000, v3
.LBB156_8:                              ;   in Loop: Header=BB156_4 Depth=1
	global_load_b32 v3, v[1:2], off
	v_add_co_u32 v5, vcc_lo, v1, s26
	v_add_co_ci_u32_e32 v6, vcc_lo, s27, v2, vcc_lo
	s_and_not1_b32 vcc_lo, exec_lo, s12
	s_waitcnt vmcnt(0)
	ds_store_b64 v9, v[3:4]
	s_cbranch_vccnz .LBB156_10
; %bb.9:                                ;   in Loop: Header=BB156_4 Depth=1
	global_load_b32 v4, v[5:6], off offset:4
	s_cbranch_execz .LBB156_11
	s_branch .LBB156_12
.LBB156_10:                             ;   in Loop: Header=BB156_4 Depth=1
                                        ; implicit-def: $vgpr4
.LBB156_11:                             ;   in Loop: Header=BB156_4 Depth=1
	global_load_b32 v3, v[5:6], off offset:4
	s_waitcnt vmcnt(0)
	v_xor_b32_e32 v4, 0x80000000, v3
.LBB156_12:                             ;   in Loop: Header=BB156_4 Depth=1
	global_load_b32 v3, v[5:6], off
	v_add_co_u32 v5, vcc_lo, v1, s24
	v_add_co_ci_u32_e32 v6, vcc_lo, s25, v2, vcc_lo
	s_and_not1_b32 vcc_lo, exec_lo, s12
	s_waitcnt vmcnt(0)
	ds_store_b64 v9, v[3:4] offset:160
	s_cbranch_vccnz .LBB156_14
; %bb.13:                               ;   in Loop: Header=BB156_4 Depth=1
	global_load_b32 v4, v[5:6], off offset:4
	s_cbranch_execz .LBB156_15
	s_branch .LBB156_16
.LBB156_14:                             ;   in Loop: Header=BB156_4 Depth=1
                                        ; implicit-def: $vgpr4
.LBB156_15:                             ;   in Loop: Header=BB156_4 Depth=1
	global_load_b32 v3, v[5:6], off offset:4
	s_waitcnt vmcnt(0)
	v_xor_b32_e32 v4, 0x80000000, v3
.LBB156_16:                             ;   in Loop: Header=BB156_4 Depth=1
	global_load_b32 v3, v[5:6], off
	v_add_co_u32 v5, vcc_lo, v1, s31
	v_add_co_ci_u32_e32 v6, vcc_lo, s30, v2, vcc_lo
	s_and_not1_b32 vcc_lo, exec_lo, s12
	s_waitcnt vmcnt(0)
	ds_store_b64 v9, v[3:4] offset:320
	s_cbranch_vccnz .LBB156_18
; %bb.17:                               ;   in Loop: Header=BB156_4 Depth=1
	global_load_b32 v4, v[5:6], off offset:4
	s_cbranch_execnz .LBB156_3
	s_branch .LBB156_19
.LBB156_18:                             ;   in Loop: Header=BB156_4 Depth=1
                                        ; implicit-def: $vgpr4
.LBB156_19:                             ;   in Loop: Header=BB156_4 Depth=1
	global_load_b32 v3, v[5:6], off offset:4
	s_waitcnt vmcnt(0)
	v_xor_b32_e32 v4, 0x80000000, v3
	s_branch .LBB156_3
.LBB156_20:
	s_and_b32 s22, s15, 3
	s_delay_alu instid0(SALU_CYCLE_1)
	s_cmp_eq_u32 s22, 0
	s_cbranch_scc1 .LBB156_27
; %bb.21:
	s_mul_i32 s12, s21, s13
	s_mul_hi_u32 s23, s20, s13
	s_mul_i32 s24, s20, s13
	s_add_i32 s25, s23, s12
	s_lshl_b64 s[18:19], s[18:19], 3
	s_lshl_b64 s[24:25], s[24:25], 3
	s_mul_i32 s12, s13, 0xa0
	s_add_u32 s13, s24, s18
	s_addc_u32 s18, s25, s19
	s_waitcnt lgkmcnt(0)
	s_add_u32 s13, s16, s13
	s_addc_u32 s16, s17, s18
	v_add_co_u32 v1, s13, s13, v8
	s_delay_alu instid0(VALU_DEP_1) | instskip(SKIP_1) | instid1(VALU_DEP_3)
	v_add_co_ci_u32_e64 v2, null, s16, 0, s13
	v_lshl_add_u32 v5, v0, 3, s12
	v_add_co_u32 v1, vcc_lo, v1, 4
	s_delay_alu instid0(VALU_DEP_3)
	v_add_co_ci_u32_e32 v2, vcc_lo, 0, v2, vcc_lo
	s_lshl_b64 s[12:13], s[20:21], 3
	s_set_inst_prefetch_distance 0x1
	s_branch .LBB156_23
	.p2align	6
.LBB156_22:                             ;   in Loop: Header=BB156_23 Depth=1
	global_load_b32 v3, v[1:2], off offset:-4
	v_add_co_u32 v1, vcc_lo, v1, s12
	v_add_co_ci_u32_e32 v2, vcc_lo, s13, v2, vcc_lo
	s_add_i32 s22, s22, -1
	s_delay_alu instid0(SALU_CYCLE_1)
	s_cmp_lg_u32 s22, 0
	s_waitcnt vmcnt(0)
	ds_store_b64 v5, v[3:4]
	v_add_nc_u32_e32 v5, 0xa0, v5
	s_cbranch_scc0 .LBB156_27
.LBB156_23:                             ; =>This Inner Loop Header: Depth=1
	v_cmp_ne_u32_e32 vcc_lo, 1, v7
	s_mov_b32 s16, -1
                                        ; implicit-def: $vgpr4
	s_cbranch_vccnz .LBB156_25
; %bb.24:                               ;   in Loop: Header=BB156_23 Depth=1
	global_load_b32 v4, v[1:2], off
	s_mov_b32 s16, 0
.LBB156_25:                             ;   in Loop: Header=BB156_23 Depth=1
	s_delay_alu instid0(SALU_CYCLE_1)
	s_and_not1_b32 vcc_lo, exec_lo, s16
	s_cbranch_vccnz .LBB156_22
; %bb.26:                               ;   in Loop: Header=BB156_23 Depth=1
	global_load_b32 v3, v[1:2], off
	s_waitcnt vmcnt(0)
	v_xor_b32_e32 v4, 0x80000000, v3
	s_branch .LBB156_22
.LBB156_27:
	s_set_inst_prefetch_distance 0x2
	v_mul_u32_u24_e32 v1, 21, v0
	s_cmpk_lg_i32 s5, 0x84
	s_mov_b32 s5, -1
	s_delay_alu instid0(VALU_DEP_1)
	v_lshlrev_b32_e32 v5, 3, v1
	s_cbranch_scc0 .LBB156_33
; %bb.28:
	ds_load_b64 v[1:2], v5
	s_waitcnt lgkmcnt(0)
	v_cmp_gt_f32_e32 vcc_lo, 0, v1
	v_cndmask_b32_e64 v3, v1, -v1, vcc_lo
	v_cmp_gt_f32_e32 vcc_lo, 0, v2
	v_cndmask_b32_e64 v4, v2, -v2, vcc_lo
	s_delay_alu instid0(VALU_DEP_1) | instskip(SKIP_1) | instid1(SALU_CYCLE_1)
	v_cmp_ngt_f32_e32 vcc_lo, v3, v4
                                        ; implicit-def: $vgpr3
	s_and_saveexec_b32 s5, vcc_lo
	s_xor_b32 s5, exec_lo, s5
	s_cbranch_execz .LBB156_30
; %bb.29:
	v_div_scale_f32 v3, null, v2, v2, v1
	v_div_scale_f32 v7, vcc_lo, v1, v2, v1
	s_delay_alu instid0(VALU_DEP_2) | instskip(SKIP_2) | instid1(VALU_DEP_1)
	v_rcp_f32_e32 v4, v3
	s_waitcnt_depctr 0xfff
	v_fma_f32 v6, -v3, v4, 1.0
	v_fmac_f32_e32 v4, v6, v4
	s_delay_alu instid0(VALU_DEP_1) | instskip(NEXT) | instid1(VALU_DEP_1)
	v_mul_f32_e32 v6, v7, v4
	v_fma_f32 v8, -v3, v6, v7
	s_delay_alu instid0(VALU_DEP_1) | instskip(NEXT) | instid1(VALU_DEP_1)
	v_fmac_f32_e32 v6, v8, v4
	v_fma_f32 v3, -v3, v6, v7
	s_delay_alu instid0(VALU_DEP_1) | instskip(NEXT) | instid1(VALU_DEP_1)
	v_div_fmas_f32 v3, v3, v4, v6
	v_div_fixup_f32 v3, v3, v2, v1
	s_delay_alu instid0(VALU_DEP_1) | instskip(NEXT) | instid1(VALU_DEP_1)
	v_fmac_f32_e32 v2, v1, v3
	v_div_scale_f32 v1, null, v2, v2, 1.0
	v_div_scale_f32 v7, vcc_lo, 1.0, v2, 1.0
	s_delay_alu instid0(VALU_DEP_2) | instskip(SKIP_2) | instid1(VALU_DEP_1)
	v_rcp_f32_e32 v4, v1
	s_waitcnt_depctr 0xfff
	v_fma_f32 v6, -v1, v4, 1.0
	v_fmac_f32_e32 v4, v6, v4
	s_delay_alu instid0(VALU_DEP_1) | instskip(NEXT) | instid1(VALU_DEP_1)
	v_mul_f32_e32 v6, v7, v4
	v_fma_f32 v8, -v1, v6, v7
	s_delay_alu instid0(VALU_DEP_1) | instskip(NEXT) | instid1(VALU_DEP_1)
	v_fmac_f32_e32 v6, v8, v4
	v_fma_f32 v1, -v1, v6, v7
	s_delay_alu instid0(VALU_DEP_1) | instskip(SKIP_1) | instid1(VALU_DEP_2)
	v_div_fmas_f32 v1, v1, v4, v6
	v_add_f32_e32 v4, 0, v3
	v_div_fixup_f32 v1, v1, v2, 1.0
	v_fma_f32 v2, v3, 0, -1.0
	s_delay_alu instid0(VALU_DEP_2) | instskip(NEXT) | instid1(VALU_DEP_2)
	v_mul_f32_e32 v3, v4, v1
	v_mul_f32_e32 v4, v2, v1
                                        ; implicit-def: $vgpr1_vgpr2
.LBB156_30:
	s_and_not1_saveexec_b32 s5, s5
	s_cbranch_execz .LBB156_32
; %bb.31:
	v_div_scale_f32 v3, null, v1, v1, v2
	v_div_scale_f32 v7, vcc_lo, v2, v1, v2
	s_delay_alu instid0(VALU_DEP_2) | instskip(SKIP_2) | instid1(VALU_DEP_1)
	v_rcp_f32_e32 v4, v3
	s_waitcnt_depctr 0xfff
	v_fma_f32 v6, -v3, v4, 1.0
	v_fmac_f32_e32 v4, v6, v4
	s_delay_alu instid0(VALU_DEP_1) | instskip(NEXT) | instid1(VALU_DEP_1)
	v_mul_f32_e32 v6, v7, v4
	v_fma_f32 v8, -v3, v6, v7
	s_delay_alu instid0(VALU_DEP_1) | instskip(NEXT) | instid1(VALU_DEP_1)
	v_fmac_f32_e32 v6, v8, v4
	v_fma_f32 v3, -v3, v6, v7
	s_delay_alu instid0(VALU_DEP_1) | instskip(NEXT) | instid1(VALU_DEP_1)
	v_div_fmas_f32 v3, v3, v4, v6
	v_div_fixup_f32 v4, v3, v1, v2
	s_delay_alu instid0(VALU_DEP_1) | instskip(NEXT) | instid1(VALU_DEP_1)
	v_fmac_f32_e32 v1, v2, v4
	v_div_scale_f32 v2, null, v1, v1, 1.0
	v_div_scale_f32 v7, vcc_lo, 1.0, v1, 1.0
	s_delay_alu instid0(VALU_DEP_2) | instskip(SKIP_2) | instid1(VALU_DEP_1)
	v_rcp_f32_e32 v3, v2
	s_waitcnt_depctr 0xfff
	v_fma_f32 v6, -v2, v3, 1.0
	v_fmac_f32_e32 v3, v6, v3
	s_delay_alu instid0(VALU_DEP_1) | instskip(NEXT) | instid1(VALU_DEP_1)
	v_mul_f32_e32 v6, v7, v3
	v_fma_f32 v8, -v2, v6, v7
	s_delay_alu instid0(VALU_DEP_1) | instskip(NEXT) | instid1(VALU_DEP_1)
	v_fmac_f32_e32 v6, v8, v3
	v_fma_f32 v2, -v2, v6, v7
	s_delay_alu instid0(VALU_DEP_1) | instskip(SKIP_1) | instid1(VALU_DEP_2)
	v_div_fmas_f32 v2, v2, v3, v6
	v_fma_f32 v3, v4, 0, 1.0
	v_div_fixup_f32 v1, v2, v1, 1.0
	s_delay_alu instid0(VALU_DEP_1)
	v_mul_f32_e32 v3, v3, v1
	v_mul_f32_e64 v4, -v4, v1
.LBB156_32:
	s_or_b32 exec_lo, exec_lo, s5
	s_mov_b32 s5, 0
	ds_store_b64 v5, v[3:4]
.LBB156_33:
	s_and_b32 vcc_lo, exec_lo, s5
	s_cbranch_vccz .LBB156_35
; %bb.34:
	v_dual_mov_b32 v1, 1.0 :: v_dual_mov_b32 v2, 0
	ds_store_b64 v5, v[1:2]
.LBB156_35:
	s_or_b32 exec_lo, exec_lo, s6
	s_mul_i32 s5, s14, 0xffffffec
	s_add_i32 s29, s29, -1
	s_add_i32 s5, s5, s7
	s_cmp_ge_u32 s14, s29
	s_waitcnt lgkmcnt(0)
	s_cselect_b32 s5, s5, 20
	; wave barrier
	buffer_gl0_inv
	v_cmp_gt_i32_e32 vcc_lo, s5, v0
	s_mov_b32 s5, -1
	s_and_saveexec_b32 s6, vcc_lo
	s_cbranch_execz .LBB156_78
; %bb.36:
	s_load_b32 s0, s[0:1], 0x50
	v_mad_u64_u32 v[1:2], null, s14, 20, v[0:1]
	v_or_b32_e64 v6, 0, 4
	s_waitcnt lgkmcnt(0)
	s_delay_alu instid0(VALU_DEP_2) | instskip(SKIP_1) | instid1(SALU_CYCLE_1)
	v_mad_i64_i32 v[2:3], null, s0, v1, 0
	s_lshl_b64 s[0:1], s[10:11], 3
	s_add_u32 s6, s8, s0
	s_addc_u32 s7, s9, s1
	s_cmpk_eq_i32 s4, 0x6f
	s_delay_alu instid0(VALU_DEP_1) | instskip(NEXT) | instid1(VALU_DEP_1)
	v_lshlrev_b64 v[0:1], 3, v[2:3]
	v_add_co_u32 v4, vcc_lo, s6, v0
	s_delay_alu instid0(VALU_DEP_2)
	v_add_co_ci_u32_e32 v5, vcc_lo, s7, v1, vcc_lo
	s_cbranch_scc1 .LBB156_57
; %bb.37:
	s_add_u32 s4, s8, s0
	s_addc_u32 s5, s9, s1
	v_add_co_u32 v2, vcc_lo, s4, v0
	v_add_co_ci_u32_e32 v3, vcc_lo, s5, v1, vcc_lo
	s_lshl_b32 s14, s15, 3
	s_delay_alu instid0(VALU_DEP_2) | instskip(NEXT) | instid1(VALU_DEP_2)
	v_add_co_u32 v7, vcc_lo, v2, 4
	v_add_co_ci_u32_e32 v8, vcc_lo, 0, v3, vcc_lo
	s_mov_b32 s5, 0
	s_add_i32 s14, s14, -8
	s_mov_b32 s4, s5
	s_mov_b32 s6, s28
	s_branch .LBB156_39
.LBB156_38:                             ;   in Loop: Header=BB156_39 Depth=1
	s_cmp_lt_i32 s6, 0
	s_cselect_b32 s7, -1, 0
	s_add_i32 s4, s4, 1
	s_delay_alu instid0(SALU_CYCLE_1) | instskip(SKIP_1) | instid1(SALU_CYCLE_1)
	s_cmp_eq_u32 s4, 3
	s_cselect_b32 s10, -1, 0
	s_or_b32 s7, s7, s10
	s_delay_alu instid0(SALU_CYCLE_1)
	s_and_not1_b32 vcc_lo, exec_lo, s7
	s_cbranch_vccz .LBB156_56
.LBB156_39:                             ; =>This Loop Header: Depth=1
                                        ;     Child Loop BB156_42 Depth 2
                                        ;       Child Loop BB156_43 Depth 3
                                        ;       Child Loop BB156_45 Depth 3
                                        ;         Child Loop BB156_46 Depth 4
                                        ;       Child Loop BB156_50 Depth 3
                                        ;         Child Loop BB156_52 Depth 4
	s_getpc_b64 s[10:11]
	s_add_u32 s10, s10, __const._ZL30rocblas_trsm_small_left_deviceILi20ELi20ELb1E19rocblas_complex_numIfES1_PKPKS1_PKPS1_Ev13rocblas_fill_18rocblas_operation_17rocblas_diagonal_iiT3_T4_lilT5_lili.step_sizes@rel32@lo+4
	s_addc_u32 s11, s11, __const._ZL30rocblas_trsm_small_left_deviceILi20ELi20ELb1E19rocblas_complex_numIfES1_PKPKS1_PKPS1_Ev13rocblas_fill_18rocblas_operation_17rocblas_diagonal_iiT3_T4_lilT5_lili.step_sizes@rel32@hi+12
	s_lshl_b64 s[12:13], s[4:5], 2
	s_delay_alu instid0(SALU_CYCLE_1) | instskip(SKIP_4) | instid1(SALU_CYCLE_1)
	s_add_u32 s10, s12, s10
	s_addc_u32 s11, s13, s11
	s_load_b32 s16, s[10:11], 0x0
	s_waitcnt lgkmcnt(0)
	s_add_i32 s17, s16, -1
	s_cmp_lt_i32 s6, s17
	s_cbranch_scc1 .LBB156_38
; %bb.40:                               ;   in Loop: Header=BB156_39 Depth=1
	s_mul_i32 s7, s6, 0xa0
	s_max_i32 s18, s16, 1
	s_add_i32 s19, s14, s7
	s_mul_i32 s20, s16, 0xffffff60
	s_mul_i32 s21, s6, 0xa8
	;; [unrolled: 1-line block ×3, first 2 shown]
	s_branch .LBB156_42
.LBB156_41:                             ;   in Loop: Header=BB156_42 Depth=2
	s_sub_i32 s6, s6, s16
	s_add_i32 s19, s19, s20
	s_add_i32 s21, s21, s22
	s_cmp_lt_i32 s6, s17
	s_cbranch_scc1 .LBB156_38
.LBB156_42:                             ;   Parent Loop BB156_39 Depth=1
                                        ; =>  This Loop Header: Depth=2
                                        ;       Child Loop BB156_43 Depth 3
                                        ;       Child Loop BB156_45 Depth 3
                                        ;         Child Loop BB156_46 Depth 4
                                        ;       Child Loop BB156_50 Depth 3
                                        ;         Child Loop BB156_52 Depth 4
	s_ashr_i32 s7, s6, 31
	s_delay_alu instid0(SALU_CYCLE_1) | instskip(NEXT) | instid1(SALU_CYCLE_1)
	s_lshl_b64 s[10:11], s[6:7], 3
	v_add_co_u32 v2, vcc_lo, v7, s10
	v_add_co_ci_u32_e32 v3, vcc_lo, s11, v8, vcc_lo
	s_mov_b32 s10, 4
	s_mov_b32 s11, s18
	.p2align	6
.LBB156_43:                             ;   Parent Loop BB156_39 Depth=1
                                        ;     Parent Loop BB156_42 Depth=2
                                        ; =>    This Inner Loop Header: Depth=3
	global_load_b64 v[9:10], v[2:3], off offset:-4
	v_add_co_u32 v2, vcc_lo, v2, -8
	v_add_co_ci_u32_e32 v3, vcc_lo, -1, v3, vcc_lo
	s_add_i32 s11, s11, -1
	s_add_i32 s12, s10, 0
	s_add_i32 s10, s10, 8
	s_cmp_eq_u32 s11, 0
	s_waitcnt vmcnt(0)
	v_mul_f32_e32 v11, s2, v10
	s_delay_alu instid0(VALU_DEP_1) | instskip(NEXT) | instid1(VALU_DEP_1)
	v_dual_mul_f32 v12, s3, v10 :: v_dual_fmac_f32 v11, s3, v9
	v_fma_f32 v10, v9, s2, -v12
	scratch_store_b64 off, v[10:11], s12 offset:-4
	s_cbranch_scc0 .LBB156_43
; %bb.44:                               ;   in Loop: Header=BB156_42 Depth=2
	s_cmp_le_i32 s28, s6
	s_mov_b32 s12, s19
	s_mov_b32 s10, s28
	s_cbranch_scc1 .LBB156_48
	.p2align	6
.LBB156_45:                             ;   Parent Loop BB156_39 Depth=1
                                        ;     Parent Loop BB156_42 Depth=2
                                        ; =>    This Loop Header: Depth=3
                                        ;         Child Loop BB156_46 Depth 4
	s_ashr_i32 s11, s10, 31
	v_mov_b32_e32 v9, v6
	s_lshl_b64 s[24:25], s[10:11], 3
	s_mov_b32 s11, s12
	v_add_co_u32 v2, vcc_lo, v4, s24
	v_add_co_ci_u32_e32 v3, vcc_lo, s25, v5, vcc_lo
	s_mov_b32 s13, s18
	global_load_b64 v[2:3], v[2:3], off
	.p2align	6
.LBB156_46:                             ;   Parent Loop BB156_39 Depth=1
                                        ;     Parent Loop BB156_42 Depth=2
                                        ;       Parent Loop BB156_45 Depth=3
                                        ; =>      This Inner Loop Header: Depth=4
	scratch_load_b64 v[10:11], v9, off offset:-4
	v_mov_b32_e32 v12, s11
	s_add_i32 s13, s13, -1
	s_addk_i32 s11, 0xff60
	s_cmp_eq_u32 s13, 0
	ds_load_b64 v[12:13], v12
	s_waitcnt vmcnt(1) lgkmcnt(0)
	v_mul_f32_e32 v14, v13, v3
	v_mul_f32_e32 v13, v13, v2
	s_delay_alu instid0(VALU_DEP_1) | instskip(SKIP_1) | instid1(VALU_DEP_1)
	v_fmac_f32_e32 v13, v12, v3
	s_waitcnt vmcnt(0)
	v_sub_f32_e32 v11, v11, v13
	v_fma_f32 v14, v12, v2, -v14
	s_delay_alu instid0(VALU_DEP_1)
	v_sub_f32_e32 v10, v10, v14
	scratch_store_b64 v9, v[10:11], off offset:-4
	v_add_nc_u32_e32 v9, 8, v9
	s_cbranch_scc0 .LBB156_46
; %bb.47:                               ;   in Loop: Header=BB156_45 Depth=3
	s_add_i32 s10, s10, -1
	s_add_i32 s12, s12, -8
	s_cmp_le_i32 s10, s6
	s_cbranch_scc0 .LBB156_45
.LBB156_48:                             ;   in Loop: Header=BB156_42 Depth=2
	s_mov_b32 s23, 0
	s_mov_b32 s24, s21
	s_branch .LBB156_50
.LBB156_49:                             ;   in Loop: Header=BB156_50 Depth=3
	s_mulk_i32 s12, 0xa8
	s_lshl_b64 s[10:11], s[10:11], 3
	v_mov_b32_e32 v9, s12
	s_lshl_b32 s12, s23, 3
	s_add_i32 s23, s23, 1
	s_addk_i32 s24, 0xff60
	ds_load_b64 v[9:10], v9
	s_waitcnt vmcnt(0) lgkmcnt(0)
	v_mul_f32_e32 v11, v10, v3
	v_mul_f32_e32 v12, v9, v3
	s_delay_alu instid0(VALU_DEP_2) | instskip(NEXT) | instid1(VALU_DEP_2)
	v_fma_f32 v11, v9, v2, -v11
	v_fmac_f32_e32 v12, v10, v2
	v_add_co_u32 v2, vcc_lo, v4, s10
	v_add_co_ci_u32_e32 v3, vcc_lo, s11, v5, vcc_lo
	s_add_i32 s10, s12, 0
	s_cmp_eq_u32 s23, s18
	scratch_store_b64 off, v[11:12], s10
	global_store_b64 v[2:3], v[11:12], off
	s_cbranch_scc1 .LBB156_41
.LBB156_50:                             ;   Parent Loop BB156_39 Depth=1
                                        ;     Parent Loop BB156_42 Depth=2
                                        ; =>    This Loop Header: Depth=3
                                        ;         Child Loop BB156_52 Depth 4
	s_cmp_lg_u32 s23, 0
	s_cbranch_scc0 .LBB156_54
; %bb.51:                               ;   in Loop: Header=BB156_50 Depth=3
	s_lshl_b32 s10, s23, 3
	v_mov_b32_e32 v10, 0
	s_add_i32 s11, s10, 0
	v_add_nc_u32_e64 v9, s10, 0
	scratch_load_b64 v[2:3], off, s11
	s_mov_b32 s10, 0
	s_mov_b32 s11, s24
	.p2align	6
.LBB156_52:                             ;   Parent Loop BB156_39 Depth=1
                                        ;     Parent Loop BB156_42 Depth=2
                                        ;       Parent Loop BB156_50 Depth=3
                                        ; =>      This Inner Loop Header: Depth=4
	scratch_load_b64 v[11:12], v10, off
	v_mov_b32_e32 v13, s11
	s_add_i32 s10, s10, 1
	s_add_i32 s11, s11, -8
	s_cmp_ge_u32 s10, s23
	v_add_nc_u32_e32 v10, 8, v10
	ds_load_b64 v[13:14], v13
	s_waitcnt vmcnt(0) lgkmcnt(0)
	v_mul_f32_e32 v15, v14, v12
	v_mul_f32_e32 v12, v13, v12
	s_delay_alu instid0(VALU_DEP_2) | instskip(NEXT) | instid1(VALU_DEP_2)
	v_fma_f32 v13, v13, v11, -v15
	v_fmac_f32_e32 v12, v14, v11
	s_delay_alu instid0(VALU_DEP_1)
	v_dual_sub_f32 v2, v2, v13 :: v_dual_sub_f32 v3, v3, v12
	scratch_store_b64 v9, v[2:3], off
	s_cbranch_scc0 .LBB156_52
; %bb.53:                               ;   in Loop: Header=BB156_50 Depth=3
	s_sub_i32 s12, s6, s23
	s_delay_alu instid0(SALU_CYCLE_1) | instskip(NEXT) | instid1(SALU_CYCLE_1)
	s_ashr_i32 s13, s12, 31
	s_mov_b64 s[10:11], s[12:13]
	s_branch .LBB156_49
.LBB156_54:                             ;   in Loop: Header=BB156_50 Depth=3
                                        ; implicit-def: $vgpr2
                                        ; implicit-def: $sgpr12
                                        ; implicit-def: $sgpr10_sgpr11
	s_cbranch_execz .LBB156_49
; %bb.55:                               ;   in Loop: Header=BB156_50 Depth=3
	scratch_load_b64 v[2:3], off, off
	s_mov_b64 s[10:11], s[6:7]
	s_mov_b32 s12, s6
	s_branch .LBB156_49
.LBB156_56:
	s_mov_b32 s5, 0
.LBB156_57:
	s_delay_alu instid0(SALU_CYCLE_1)
	s_and_b32 vcc_lo, exec_lo, s5
	s_cbranch_vccz .LBB156_78
; %bb.58:
	s_add_u32 s0, s8, s0
	s_addc_u32 s1, s9, s1
	v_add_co_u32 v0, vcc_lo, s0, v0
	v_add_co_ci_u32_e32 v1, vcc_lo, s1, v1, vcc_lo
	s_mov_b32 s1, 0
	s_delay_alu instid0(VALU_DEP_2) | instskip(NEXT) | instid1(VALU_DEP_2)
	v_add_co_u32 v7, vcc_lo, v0, 4
	v_add_co_ci_u32_e32 v8, vcc_lo, 0, v1, vcc_lo
	s_mov_b32 s4, s1
	s_mov_b32 s6, s1
	s_branch .LBB156_60
.LBB156_59:                             ;   in Loop: Header=BB156_60 Depth=1
	s_cmp_ge_i32 s4, s15
	s_cselect_b32 s0, -1, 0
	s_add_i32 s6, s6, 1
	s_delay_alu instid0(SALU_CYCLE_1) | instskip(SKIP_1) | instid1(SALU_CYCLE_1)
	s_cmp_eq_u32 s6, 3
	s_cselect_b32 s5, -1, 0
	s_or_b32 s0, s0, s5
	s_delay_alu instid0(SALU_CYCLE_1)
	s_and_b32 vcc_lo, exec_lo, s0
	s_cbranch_vccnz .LBB156_78
.LBB156_60:                             ; =>This Loop Header: Depth=1
                                        ;     Child Loop BB156_63 Depth 2
                                        ;       Child Loop BB156_64 Depth 3
                                        ;       Child Loop BB156_67 Depth 3
                                        ;         Child Loop BB156_68 Depth 4
                                        ;       Child Loop BB156_72 Depth 3
                                        ;         Child Loop BB156_74 Depth 4
	s_mov_b32 s7, s1
	s_getpc_b64 s[8:9]
	s_add_u32 s8, s8, __const._ZL30rocblas_trsm_small_left_deviceILi20ELi20ELb1E19rocblas_complex_numIfES1_PKPKS1_PKPS1_Ev13rocblas_fill_18rocblas_operation_17rocblas_diagonal_iiT3_T4_lilT5_lili.step_sizes@rel32@lo+4
	s_addc_u32 s9, s9, __const._ZL30rocblas_trsm_small_left_deviceILi20ELi20ELb1E19rocblas_complex_numIfES1_PKPKS1_PKPS1_Ev13rocblas_fill_18rocblas_operation_17rocblas_diagonal_iiT3_T4_lilT5_lili.step_sizes@rel32@hi+12
	s_lshl_b64 s[10:11], s[6:7], 2
	s_delay_alu instid0(SALU_CYCLE_1) | instskip(SKIP_4) | instid1(SALU_CYCLE_1)
	s_add_u32 s8, s10, s8
	s_addc_u32 s9, s11, s9
	s_load_b32 s8, s[8:9], 0x0
	s_waitcnt lgkmcnt(0)
	s_add_i32 s7, s8, -1
	s_add_i32 s0, s7, s4
	s_delay_alu instid0(SALU_CYCLE_1)
	s_cmp_ge_i32 s0, s15
	s_cbranch_scc1 .LBB156_59
; %bb.61:                               ;   in Loop: Header=BB156_60 Depth=1
	s_ashr_i32 s5, s4, 31
	s_ashr_i32 s9, s8, 31
	s_lshl_b64 s[10:11], s[4:5], 3
	s_max_i32 s14, s8, 1
	v_add_co_u32 v0, vcc_lo, v7, s10
	v_add_co_ci_u32_e32 v1, vcc_lo, s11, v8, vcc_lo
	s_lshl_b64 s[10:11], s[8:9], 3
	s_lshl_b32 s5, s4, 3
	s_lshl_b32 s9, s8, 3
	s_mul_i32 s16, s4, 0xa8
	s_mul_i32 s17, s8, 0xa8
	s_branch .LBB156_63
.LBB156_62:                             ;   in Loop: Header=BB156_63 Depth=2
	v_add_co_u32 v0, vcc_lo, v0, s10
	s_add_i32 s4, s4, s8
	v_add_co_ci_u32_e32 v1, vcc_lo, s11, v1, vcc_lo
	s_add_i32 s0, s7, s4
	s_add_i32 s5, s5, s9
	;; [unrolled: 1-line block ×3, first 2 shown]
	s_cmp_ge_i32 s0, s15
	s_cbranch_scc1 .LBB156_59
.LBB156_63:                             ;   Parent Loop BB156_60 Depth=1
                                        ; =>  This Loop Header: Depth=2
                                        ;       Child Loop BB156_64 Depth 3
                                        ;       Child Loop BB156_67 Depth 3
                                        ;         Child Loop BB156_68 Depth 4
                                        ;       Child Loop BB156_72 Depth 3
                                        ;         Child Loop BB156_74 Depth 4
	v_dual_mov_b32 v3, v1 :: v_dual_mov_b32 v2, v0
	s_mov_b32 s0, 4
	s_mov_b32 s12, s14
	.p2align	6
.LBB156_64:                             ;   Parent Loop BB156_60 Depth=1
                                        ;     Parent Loop BB156_63 Depth=2
                                        ; =>    This Inner Loop Header: Depth=3
	global_load_b64 v[9:10], v[2:3], off offset:-4
	v_add_co_u32 v2, vcc_lo, v2, 8
	v_add_co_ci_u32_e32 v3, vcc_lo, 0, v3, vcc_lo
	s_add_i32 s12, s12, -1
	s_add_i32 s13, s0, 0
	s_add_i32 s0, s0, 8
	s_cmp_eq_u32 s12, 0
	s_waitcnt vmcnt(0)
	v_mul_f32_e32 v11, s2, v10
	s_delay_alu instid0(VALU_DEP_1) | instskip(NEXT) | instid1(VALU_DEP_1)
	v_dual_mul_f32 v12, s3, v10 :: v_dual_fmac_f32 v11, s3, v9
	v_fma_f32 v10, v9, s2, -v12
	scratch_store_b64 off, v[10:11], s13 offset:-4
	s_cbranch_scc0 .LBB156_64
; %bb.65:                               ;   in Loop: Header=BB156_63 Depth=2
	s_cmp_lt_i32 s4, 1
	s_cbranch_scc1 .LBB156_70
; %bb.66:                               ;   in Loop: Header=BB156_63 Depth=2
	s_mov_b32 s0, 0
	s_mov_b32 s12, s5
	.p2align	6
.LBB156_67:                             ;   Parent Loop BB156_60 Depth=1
                                        ;     Parent Loop BB156_63 Depth=2
                                        ; =>    This Loop Header: Depth=3
                                        ;         Child Loop BB156_68 Depth 4
	s_lshl_b64 s[18:19], s[0:1], 3
	v_mov_b32_e32 v9, v6
	v_add_co_u32 v2, vcc_lo, v4, s18
	v_add_co_ci_u32_e32 v3, vcc_lo, s19, v5, vcc_lo
	s_mov_b32 s13, s12
	s_mov_b32 s18, s14
	global_load_b64 v[2:3], v[2:3], off
	.p2align	6
.LBB156_68:                             ;   Parent Loop BB156_60 Depth=1
                                        ;     Parent Loop BB156_63 Depth=2
                                        ;       Parent Loop BB156_67 Depth=3
                                        ; =>      This Inner Loop Header: Depth=4
	scratch_load_b64 v[10:11], v9, off offset:-4
	v_mov_b32_e32 v12, s13
	s_add_i32 s18, s18, -1
	s_add_i32 s13, s13, 8
	s_cmp_eq_u32 s18, 0
	ds_load_b64 v[12:13], v12
	s_waitcnt vmcnt(1) lgkmcnt(0)
	v_mul_f32_e32 v14, v13, v3
	v_mul_f32_e32 v13, v13, v2
	s_delay_alu instid0(VALU_DEP_1) | instskip(SKIP_1) | instid1(VALU_DEP_1)
	v_fmac_f32_e32 v13, v12, v3
	s_waitcnt vmcnt(0)
	v_sub_f32_e32 v11, v11, v13
	v_fma_f32 v14, v12, v2, -v14
	s_delay_alu instid0(VALU_DEP_1)
	v_sub_f32_e32 v10, v10, v14
	scratch_store_b64 v9, v[10:11], off offset:-4
	v_add_nc_u32_e32 v9, 8, v9
	s_cbranch_scc0 .LBB156_68
; %bb.69:                               ;   in Loop: Header=BB156_67 Depth=3
	s_add_i32 s0, s0, 1
	s_addk_i32 s12, 0xa0
	s_cmp_ge_i32 s0, s4
	s_cbranch_scc0 .LBB156_67
.LBB156_70:                             ;   in Loop: Header=BB156_63 Depth=2
	s_mov_b32 s0, 0
	s_mov_b32 s18, s16
	s_branch .LBB156_72
.LBB156_71:                             ;   in Loop: Header=BB156_72 Depth=3
	s_mul_i32 s13, s12, 0xa8
	s_lshl_b32 s19, s0, 3
	v_mov_b32_e32 v9, s13
	s_ashr_i32 s13, s12, 31
	s_add_i32 s0, s0, 1
	s_lshl_b64 s[12:13], s[12:13], 3
	s_add_i32 s18, s18, 8
	ds_load_b64 v[9:10], v9
	s_waitcnt vmcnt(0) lgkmcnt(0)
	v_mul_f32_e32 v11, v10, v3
	v_mul_f32_e32 v12, v9, v3
	s_delay_alu instid0(VALU_DEP_2) | instskip(NEXT) | instid1(VALU_DEP_2)
	v_fma_f32 v11, v9, v2, -v11
	v_fmac_f32_e32 v12, v10, v2
	v_add_co_u32 v2, vcc_lo, v4, s12
	v_add_co_ci_u32_e32 v3, vcc_lo, s13, v5, vcc_lo
	s_add_i32 s12, s19, 0
	s_cmp_eq_u32 s0, s14
	scratch_store_b64 off, v[11:12], s12
	global_store_b64 v[2:3], v[11:12], off
	s_cbranch_scc1 .LBB156_62
.LBB156_72:                             ;   Parent Loop BB156_60 Depth=1
                                        ;     Parent Loop BB156_63 Depth=2
                                        ; =>    This Loop Header: Depth=3
                                        ;         Child Loop BB156_74 Depth 4
	s_cmp_lg_u32 s0, 0
	s_cbranch_scc0 .LBB156_76
; %bb.73:                               ;   in Loop: Header=BB156_72 Depth=3
	s_lshl_b32 s12, s0, 3
	v_mov_b32_e32 v10, 0
	s_add_i32 s13, s12, 0
	v_add_nc_u32_e64 v9, s12, 0
	scratch_load_b64 v[2:3], off, s13
	s_add_i32 s12, s0, s4
	s_mov_b32 s13, 0
	s_mov_b32 s19, s18
	.p2align	6
.LBB156_74:                             ;   Parent Loop BB156_60 Depth=1
                                        ;     Parent Loop BB156_63 Depth=2
                                        ;       Parent Loop BB156_72 Depth=3
                                        ; =>      This Inner Loop Header: Depth=4
	scratch_load_b64 v[11:12], v10, off
	v_mov_b32_e32 v13, s19
	s_add_i32 s13, s13, 1
	s_addk_i32 s19, 0xa0
	s_cmp_ge_u32 s13, s0
	v_add_nc_u32_e32 v10, 8, v10
	ds_load_b64 v[13:14], v13
	s_waitcnt vmcnt(0) lgkmcnt(0)
	v_mul_f32_e32 v15, v14, v12
	v_mul_f32_e32 v12, v13, v12
	s_delay_alu instid0(VALU_DEP_2) | instskip(NEXT) | instid1(VALU_DEP_2)
	v_fma_f32 v13, v13, v11, -v15
	v_fmac_f32_e32 v12, v14, v11
	s_delay_alu instid0(VALU_DEP_1)
	v_dual_sub_f32 v2, v2, v13 :: v_dual_sub_f32 v3, v3, v12
	scratch_store_b64 v9, v[2:3], off
	s_cbranch_scc0 .LBB156_74
; %bb.75:                               ;   in Loop: Header=BB156_72 Depth=3
	s_branch .LBB156_71
.LBB156_76:                             ;   in Loop: Header=BB156_72 Depth=3
                                        ; implicit-def: $vgpr2
                                        ; implicit-def: $sgpr12
	s_cbranch_execz .LBB156_71
; %bb.77:                               ;   in Loop: Header=BB156_72 Depth=3
	scratch_load_b64 v[2:3], off, off
	s_mov_b32 s12, s4
	s_branch .LBB156_71
.LBB156_78:
	s_endpgm
	.section	.rodata,"a",@progbits
	.p2align	6, 0x0
	.amdhsa_kernel _ZL30rocblas_trsm_small_left_deviceILi20ELi20ELb1E19rocblas_complex_numIfES1_PKPKS1_PKPS1_Ev13rocblas_fill_18rocblas_operation_17rocblas_diagonal_iiT3_T4_lilT5_lili
		.amdhsa_group_segment_fixed_size 3200
		.amdhsa_private_segment_fixed_size 176
		.amdhsa_kernarg_size 360
		.amdhsa_user_sgpr_count 14
		.amdhsa_user_sgpr_dispatch_ptr 0
		.amdhsa_user_sgpr_queue_ptr 0
		.amdhsa_user_sgpr_kernarg_segment_ptr 1
		.amdhsa_user_sgpr_dispatch_id 0
		.amdhsa_user_sgpr_private_segment_size 0
		.amdhsa_wavefront_size32 1
		.amdhsa_uses_dynamic_stack 0
		.amdhsa_enable_private_segment 1
		.amdhsa_system_sgpr_workgroup_id_x 1
		.amdhsa_system_sgpr_workgroup_id_y 0
		.amdhsa_system_sgpr_workgroup_id_z 1
		.amdhsa_system_sgpr_workgroup_info 0
		.amdhsa_system_vgpr_workitem_id 0
		.amdhsa_next_free_vgpr 16
		.amdhsa_next_free_sgpr 34
		.amdhsa_reserve_vcc 1
		.amdhsa_float_round_mode_32 0
		.amdhsa_float_round_mode_16_64 0
		.amdhsa_float_denorm_mode_32 3
		.amdhsa_float_denorm_mode_16_64 3
		.amdhsa_dx10_clamp 1
		.amdhsa_ieee_mode 1
		.amdhsa_fp16_overflow 0
		.amdhsa_workgroup_processor_mode 1
		.amdhsa_memory_ordered 1
		.amdhsa_forward_progress 0
		.amdhsa_shared_vgpr_count 0
		.amdhsa_exception_fp_ieee_invalid_op 0
		.amdhsa_exception_fp_denorm_src 0
		.amdhsa_exception_fp_ieee_div_zero 0
		.amdhsa_exception_fp_ieee_overflow 0
		.amdhsa_exception_fp_ieee_underflow 0
		.amdhsa_exception_fp_ieee_inexact 0
		.amdhsa_exception_int_div_zero 0
	.end_amdhsa_kernel
	.section	.text._ZL30rocblas_trsm_small_left_deviceILi20ELi20ELb1E19rocblas_complex_numIfES1_PKPKS1_PKPS1_Ev13rocblas_fill_18rocblas_operation_17rocblas_diagonal_iiT3_T4_lilT5_lili,"axG",@progbits,_ZL30rocblas_trsm_small_left_deviceILi20ELi20ELb1E19rocblas_complex_numIfES1_PKPKS1_PKPS1_Ev13rocblas_fill_18rocblas_operation_17rocblas_diagonal_iiT3_T4_lilT5_lili,comdat
.Lfunc_end156:
	.size	_ZL30rocblas_trsm_small_left_deviceILi20ELi20ELb1E19rocblas_complex_numIfES1_PKPKS1_PKPS1_Ev13rocblas_fill_18rocblas_operation_17rocblas_diagonal_iiT3_T4_lilT5_lili, .Lfunc_end156-_ZL30rocblas_trsm_small_left_deviceILi20ELi20ELb1E19rocblas_complex_numIfES1_PKPKS1_PKPS1_Ev13rocblas_fill_18rocblas_operation_17rocblas_diagonal_iiT3_T4_lilT5_lili
                                        ; -- End function
	.section	.AMDGPU.csdata,"",@progbits
; Kernel info:
; codeLenInByte = 3112
; NumSgprs: 36
; NumVgprs: 16
; ScratchSize: 176
; MemoryBound: 0
; FloatMode: 240
; IeeeMode: 1
; LDSByteSize: 3200 bytes/workgroup (compile time only)
; SGPRBlocks: 4
; VGPRBlocks: 1
; NumSGPRsForWavesPerEU: 36
; NumVGPRsForWavesPerEU: 16
; Occupancy: 10
; WaveLimiterHint : 1
; COMPUTE_PGM_RSRC2:SCRATCH_EN: 1
; COMPUTE_PGM_RSRC2:USER_SGPR: 14
; COMPUTE_PGM_RSRC2:TRAP_HANDLER: 0
; COMPUTE_PGM_RSRC2:TGID_X_EN: 1
; COMPUTE_PGM_RSRC2:TGID_Y_EN: 0
; COMPUTE_PGM_RSRC2:TGID_Z_EN: 1
; COMPUTE_PGM_RSRC2:TIDIG_COMP_CNT: 0
	.section	.text._ZL31rocblas_trsm_small_right_deviceI19rocblas_complex_numIfES1_PKPKS1_PKPS1_Li20EEv13rocblas_fill_18rocblas_operation_17rocblas_diagonal_iiT0_T1_lilT2_lili,"axG",@progbits,_ZL31rocblas_trsm_small_right_deviceI19rocblas_complex_numIfES1_PKPKS1_PKPS1_Li20EEv13rocblas_fill_18rocblas_operation_17rocblas_diagonal_iiT0_T1_lilT2_lili,comdat
	.globl	_ZL31rocblas_trsm_small_right_deviceI19rocblas_complex_numIfES1_PKPKS1_PKPS1_Li20EEv13rocblas_fill_18rocblas_operation_17rocblas_diagonal_iiT0_T1_lilT2_lili ; -- Begin function _ZL31rocblas_trsm_small_right_deviceI19rocblas_complex_numIfES1_PKPKS1_PKPS1_Li20EEv13rocblas_fill_18rocblas_operation_17rocblas_diagonal_iiT0_T1_lilT2_lili
	.p2align	8
	.type	_ZL31rocblas_trsm_small_right_deviceI19rocblas_complex_numIfES1_PKPKS1_PKPS1_Li20EEv13rocblas_fill_18rocblas_operation_17rocblas_diagonal_iiT0_T1_lilT2_lili,@function
_ZL31rocblas_trsm_small_right_deviceI19rocblas_complex_numIfES1_PKPKS1_PKPS1_Li20EEv13rocblas_fill_18rocblas_operation_17rocblas_diagonal_iiT0_T1_lilT2_lili: ; @_ZL31rocblas_trsm_small_right_deviceI19rocblas_complex_numIfES1_PKPKS1_PKPS1_Li20EEv13rocblas_fill_18rocblas_operation_17rocblas_diagonal_iiT0_T1_lilT2_lili
; %bb.0:
	s_clause 0x1
	s_load_b128 s[16:19], s[0:1], 0x40
	s_load_b256 s[4:11], s[0:1], 0x0
	s_mov_b32 s12, s15
	s_mov_b32 s13, 0
	s_load_b32 s15, s[0:1], 0x68
	s_lshl_b64 s[24:25], s[12:13], 3
	s_mov_b32 s31, exec_lo
	s_waitcnt lgkmcnt(0)
	s_add_u32 s2, s16, s24
	s_addc_u32 s3, s17, s25
	s_min_i32 s11, s8, 20
	s_load_b64 s[2:3], s[2:3], 0x0
	s_add_i32 s30, s11, -1
	v_cmpx_gt_i32_e64 s11, v0
	s_cbranch_execz .LBB157_29
; %bb.1:
	s_clause 0x1
	s_load_b32 s16, s[0:1], 0x30
	s_load_b128 s[20:23], s[0:1], 0x20
	s_waitcnt lgkmcnt(0)
	s_ashr_i32 s17, s16, 31
	s_cmpk_lg_i32 s5, 0x71
	s_cselect_b32 s12, -1, 0
	s_add_u32 s20, s20, s24
	s_addc_u32 s21, s21, s25
	v_cndmask_b32_e64 v7, 0, 1, s12
	s_load_b64 s[20:21], s[20:21], 0x0
	s_cmp_lt_u32 s30, 3
	s_cbranch_scc1 .LBB157_20
; %bb.2:
	v_lshlrev_b32_e32 v8, 3, v0
	s_lshl_b64 s[24:25], s[22:23], 3
	s_mul_hi_i32 s33, s16, 24
	s_waitcnt lgkmcnt(0)
	s_add_u32 s13, s20, s24
	s_addc_u32 s24, s21, s25
	v_add_co_u32 v1, s13, s13, v8
	s_delay_alu instid0(VALU_DEP_1)
	v_add_co_ci_u32_e64 v2, null, s24, 0, s13
	s_and_b32 s13, s11, -4
	s_mul_i32 s34, s16, 24
	s_lshl_b64 s[24:25], s[16:17], 5
	s_lshl_b64 s[26:27], s[16:17], 4
	;; [unrolled: 1-line block ×3, first 2 shown]
	s_mov_b32 s35, 0
	s_branch .LBB157_4
.LBB157_3:                              ;   in Loop: Header=BB157_4 Depth=1
	global_load_b32 v3, v[5:6], off
	v_add_co_u32 v1, vcc_lo, v1, s24
	v_add_co_ci_u32_e32 v2, vcc_lo, s25, v2, vcc_lo
	s_add_i32 s35, s35, 4
	s_delay_alu instid0(SALU_CYCLE_1)
	s_cmp_eq_u32 s13, s35
	s_waitcnt vmcnt(0)
	ds_store_b64 v8, v[3:4] offset:480
	v_add_nc_u32_e32 v8, 0x280, v8
	s_cbranch_scc1 .LBB157_20
.LBB157_4:                              ; =>This Inner Loop Header: Depth=1
	s_and_b32 vcc_lo, exec_lo, s12
	s_cbranch_vccz .LBB157_6
; %bb.5:                                ;   in Loop: Header=BB157_4 Depth=1
	global_load_b32 v4, v[1:2], off offset:4
	s_cbranch_execz .LBB157_7
	s_branch .LBB157_8
.LBB157_6:                              ;   in Loop: Header=BB157_4 Depth=1
                                        ; implicit-def: $vgpr4
.LBB157_7:                              ;   in Loop: Header=BB157_4 Depth=1
	global_load_b32 v3, v[1:2], off offset:4
	s_waitcnt vmcnt(0)
	v_xor_b32_e32 v4, 0x80000000, v3
.LBB157_8:                              ;   in Loop: Header=BB157_4 Depth=1
	global_load_b32 v3, v[1:2], off
	v_add_co_u32 v5, vcc_lo, v1, s28
	v_add_co_ci_u32_e32 v6, vcc_lo, s29, v2, vcc_lo
	s_and_not1_b32 vcc_lo, exec_lo, s12
	s_waitcnt vmcnt(0)
	ds_store_b64 v8, v[3:4]
	s_cbranch_vccnz .LBB157_10
; %bb.9:                                ;   in Loop: Header=BB157_4 Depth=1
	global_load_b32 v4, v[5:6], off offset:4
	s_cbranch_execz .LBB157_11
	s_branch .LBB157_12
.LBB157_10:                             ;   in Loop: Header=BB157_4 Depth=1
                                        ; implicit-def: $vgpr4
.LBB157_11:                             ;   in Loop: Header=BB157_4 Depth=1
	global_load_b32 v3, v[5:6], off offset:4
	s_waitcnt vmcnt(0)
	v_xor_b32_e32 v4, 0x80000000, v3
.LBB157_12:                             ;   in Loop: Header=BB157_4 Depth=1
	global_load_b32 v3, v[5:6], off
	v_add_co_u32 v5, vcc_lo, v1, s26
	v_add_co_ci_u32_e32 v6, vcc_lo, s27, v2, vcc_lo
	s_and_not1_b32 vcc_lo, exec_lo, s12
	s_waitcnt vmcnt(0)
	ds_store_b64 v8, v[3:4] offset:160
	s_cbranch_vccnz .LBB157_14
; %bb.13:                               ;   in Loop: Header=BB157_4 Depth=1
	global_load_b32 v4, v[5:6], off offset:4
	s_cbranch_execz .LBB157_15
	s_branch .LBB157_16
.LBB157_14:                             ;   in Loop: Header=BB157_4 Depth=1
                                        ; implicit-def: $vgpr4
.LBB157_15:                             ;   in Loop: Header=BB157_4 Depth=1
	global_load_b32 v3, v[5:6], off offset:4
	s_waitcnt vmcnt(0)
	v_xor_b32_e32 v4, 0x80000000, v3
.LBB157_16:                             ;   in Loop: Header=BB157_4 Depth=1
	global_load_b32 v3, v[5:6], off
	v_add_co_u32 v5, vcc_lo, v1, s34
	v_add_co_ci_u32_e32 v6, vcc_lo, s33, v2, vcc_lo
	s_and_not1_b32 vcc_lo, exec_lo, s12
	s_waitcnt vmcnt(0)
	ds_store_b64 v8, v[3:4] offset:320
	s_cbranch_vccnz .LBB157_18
; %bb.17:                               ;   in Loop: Header=BB157_4 Depth=1
	global_load_b32 v4, v[5:6], off offset:4
	s_cbranch_execnz .LBB157_3
	s_branch .LBB157_19
.LBB157_18:                             ;   in Loop: Header=BB157_4 Depth=1
                                        ; implicit-def: $vgpr4
.LBB157_19:                             ;   in Loop: Header=BB157_4 Depth=1
	global_load_b32 v3, v[5:6], off offset:4
	s_waitcnt vmcnt(0)
	v_xor_b32_e32 v4, 0x80000000, v3
	s_branch .LBB157_3
.LBB157_20:
	s_and_b32 s24, s11, 3
	s_delay_alu instid0(SALU_CYCLE_1)
	s_cmp_eq_u32 s24, 0
	s_cbranch_scc1 .LBB157_27
; %bb.21:
	s_mul_i32 s12, s17, s13
	s_mul_hi_u32 s25, s16, s13
	s_mul_i32 s26, s16, s13
	s_add_i32 s27, s25, s12
	s_lshl_b64 s[22:23], s[22:23], 3
	s_lshl_b64 s[26:27], s[26:27], 3
	v_lshlrev_b32_e32 v1, 3, v0
	s_mul_i32 s12, s13, 0xa0
	s_add_u32 s13, s26, s22
	s_addc_u32 s22, s27, s23
	s_waitcnt lgkmcnt(0)
	s_add_u32 s13, s20, s13
	s_addc_u32 s20, s21, s22
	v_add_co_u32 v1, s13, s13, v1
	s_delay_alu instid0(VALU_DEP_1) | instskip(SKIP_1) | instid1(VALU_DEP_3)
	v_add_co_ci_u32_e64 v2, null, s20, 0, s13
	v_lshl_add_u32 v5, v0, 3, s12
	v_add_co_u32 v1, vcc_lo, v1, 4
	s_delay_alu instid0(VALU_DEP_3)
	v_add_co_ci_u32_e32 v2, vcc_lo, 0, v2, vcc_lo
	s_lshl_b64 s[12:13], s[16:17], 3
	s_set_inst_prefetch_distance 0x1
	s_branch .LBB157_23
	.p2align	6
.LBB157_22:                             ;   in Loop: Header=BB157_23 Depth=1
	global_load_b32 v3, v[1:2], off offset:-4
	v_add_co_u32 v1, vcc_lo, v1, s12
	v_add_co_ci_u32_e32 v2, vcc_lo, s13, v2, vcc_lo
	s_add_i32 s24, s24, -1
	s_delay_alu instid0(SALU_CYCLE_1)
	s_cmp_lg_u32 s24, 0
	s_waitcnt vmcnt(0)
	ds_store_b64 v5, v[3:4]
	v_add_nc_u32_e32 v5, 0xa0, v5
	s_cbranch_scc0 .LBB157_27
.LBB157_23:                             ; =>This Inner Loop Header: Depth=1
	v_cmp_ne_u32_e32 vcc_lo, 1, v7
	s_mov_b32 s16, -1
                                        ; implicit-def: $vgpr4
	s_cbranch_vccnz .LBB157_25
; %bb.24:                               ;   in Loop: Header=BB157_23 Depth=1
	global_load_b32 v4, v[1:2], off
	s_mov_b32 s16, 0
.LBB157_25:                             ;   in Loop: Header=BB157_23 Depth=1
	s_delay_alu instid0(SALU_CYCLE_1)
	s_and_not1_b32 vcc_lo, exec_lo, s16
	s_cbranch_vccnz .LBB157_22
; %bb.26:                               ;   in Loop: Header=BB157_23 Depth=1
	global_load_b32 v3, v[1:2], off
	s_waitcnt vmcnt(0)
	v_xor_b32_e32 v4, 0x80000000, v3
	s_branch .LBB157_22
.LBB157_27:
	s_set_inst_prefetch_distance 0x2
	s_cmpk_eq_i32 s6, 0x84
	s_cbranch_scc0 .LBB157_29
; %bb.28:
	v_mul_u32_u24_e32 v2, 21, v0
	v_mov_b32_e32 v1, 1.0
	s_delay_alu instid0(VALU_DEP_2)
	v_dual_mov_b32 v2, 0 :: v_dual_lshlrev_b32 v3, 3, v2
	ds_store_b64 v3, v[1:2]
.LBB157_29:
	s_or_b32 exec_lo, exec_lo, s31
	s_load_b32 s0, s[0:1], 0x50
	s_lshl_b64 s[12:13], s[18:19], 3
	s_mul_i32 s16, s14, 0xffffffec
	s_waitcnt lgkmcnt(0)
	s_add_u32 s1, s2, s12
	s_addc_u32 s6, s3, s13
	s_add_i32 s15, s15, -1
	s_add_i32 s16, s16, s7
	s_cmp_ge_u32 s14, s15
	s_mul_hi_i32 s17, s14, 0xa0
	s_cselect_b32 s7, s16, 20
	s_mul_i32 s16, s14, 0xa0
	v_cmp_gt_i32_e32 vcc_lo, s7, v0
	s_add_u32 s18, s1, s16
	s_addc_u32 s19, s6, s17
	s_cmp_gt_i32 s8, 0
	s_mov_b32 s22, 0
	s_cselect_b32 s1, -1, 0
	s_delay_alu instid0(SALU_CYCLE_1) | instskip(NEXT) | instid1(SALU_CYCLE_1)
	s_and_b32 s20, vcc_lo, s1
	s_and_saveexec_b32 s21, s20
	s_cbranch_execz .LBB157_36
; %bb.30:
	s_ashr_i32 s1, s0, 31
	s_cmp_lt_u32 s8, 4
	s_cbranch_scc1 .LBB157_33
; %bb.31:
	v_lshlrev_b32_e32 v1, 3, v0
	v_lshl_add_u32 v3, v0, 3, 0xc80
	s_and_b32 s22, s8, 0x7ffffffc
	s_lshl_b64 s[14:15], s[0:1], 3
	s_mov_b32 s23, 0
	v_add_co_u32 v1, s6, s18, v1
	s_delay_alu instid0(VALU_DEP_1)
	v_add_co_ci_u32_e64 v2, null, s19, 0, s6
	s_lshl_b64 s[6:7], s[0:1], 5
.LBB157_32:                             ; =>This Inner Loop Header: Depth=1
	s_delay_alu instid0(VALU_DEP_2) | instskip(NEXT) | instid1(VALU_DEP_2)
	v_add_co_u32 v4, vcc_lo, v1, s14
	v_add_co_ci_u32_e32 v5, vcc_lo, s15, v2, vcc_lo
	global_load_b64 v[6:7], v[1:2], off
	v_add_co_u32 v8, vcc_lo, v4, s14
	v_add_co_ci_u32_e32 v9, vcc_lo, s15, v5, vcc_lo
	global_load_b64 v[4:5], v[4:5], off
	v_add_co_u32 v10, vcc_lo, v8, s14
	v_add_co_ci_u32_e32 v11, vcc_lo, s15, v9, vcc_lo
	v_add_co_u32 v1, vcc_lo, v1, s6
	s_clause 0x1
	global_load_b64 v[8:9], v[8:9], off
	global_load_b64 v[10:11], v[10:11], off
	v_add_co_ci_u32_e32 v2, vcc_lo, s7, v2, vcc_lo
	s_add_i32 s23, s23, 4
	s_delay_alu instid0(SALU_CYCLE_1)
	s_cmp_lg_u32 s22, s23
	s_waitcnt vmcnt(3)
	v_mul_f32_e32 v12, s10, v7
	s_waitcnt vmcnt(2)
	v_dual_mul_f32 v13, s9, v7 :: v_dual_mul_f32 v14, s10, v5
	v_mul_f32_e32 v7, s9, v5
	s_delay_alu instid0(VALU_DEP_3) | instskip(NEXT) | instid1(VALU_DEP_3)
	v_fma_f32 v12, s9, v6, -v12
	v_fmac_f32_e32 v13, s10, v6
	s_delay_alu instid0(VALU_DEP_4)
	v_fma_f32 v6, s9, v4, -v14
	s_waitcnt vmcnt(0)
	v_dual_fmac_f32 v7, s10, v4 :: v_dual_mul_f32 v14, s10, v11
	v_mul_f32_e32 v4, s10, v9
	v_mul_f32_e32 v5, s9, v9
	;; [unrolled: 1-line block ×3, first 2 shown]
	s_delay_alu instid0(VALU_DEP_3) | instskip(NEXT) | instid1(VALU_DEP_3)
	v_fma_f32 v4, s9, v8, -v4
	v_fmac_f32_e32 v5, s10, v8
	v_fma_f32 v8, s9, v10, -v14
	s_delay_alu instid0(VALU_DEP_4)
	v_fmac_f32_e32 v9, s10, v10
	ds_store_2addr_b64 v3, v[12:13], v[6:7] offset1:20
	ds_store_2addr_b64 v3, v[4:5], v[8:9] offset0:40 offset1:60
	v_add_nc_u32_e32 v3, 0x280, v3
	s_cbranch_scc1 .LBB157_32
.LBB157_33:
	s_and_b32 s14, s8, 3
	s_delay_alu instid0(SALU_CYCLE_1)
	s_cmp_eq_u32 s14, 0
	s_cbranch_scc1 .LBB157_36
; %bb.34:
	s_mul_hi_i32 s7, s0, s22
	s_mul_i32 s6, s0, s22
	v_lshlrev_b32_e32 v1, 3, v0
	s_lshl_b64 s[6:7], s[6:7], 3
	s_mul_i32 s15, s22, 0xa0
	s_add_u32 s6, s6, s16
	s_addc_u32 s7, s7, s17
	s_add_u32 s6, s6, s12
	s_addc_u32 s7, s7, s13
	;; [unrolled: 2-line block ×3, first 2 shown]
	v_add_co_u32 v2, s6, s6, v1
	s_delay_alu instid0(VALU_DEP_1) | instskip(SKIP_1) | instid1(VALU_DEP_3)
	v_add_co_ci_u32_e64 v4, null, s7, 0, s6
	v_add3_u32 v3, s15, v1, 0xc80
	v_add_co_u32 v1, vcc_lo, v2, 4
	s_delay_alu instid0(VALU_DEP_3)
	v_add_co_ci_u32_e32 v2, vcc_lo, 0, v4, vcc_lo
	s_lshl_b64 s[6:7], s[0:1], 3
	.p2align	6
.LBB157_35:                             ; =>This Inner Loop Header: Depth=1
	global_load_b64 v[4:5], v[1:2], off offset:-4
	v_add_co_u32 v1, vcc_lo, v1, s6
	v_add_co_ci_u32_e32 v2, vcc_lo, s7, v2, vcc_lo
	s_add_i32 s14, s14, -1
	s_delay_alu instid0(SALU_CYCLE_1) | instskip(SKIP_2) | instid1(VALU_DEP_1)
	s_cmp_lg_u32 s14, 0
	s_waitcnt vmcnt(0)
	v_mul_f32_e32 v6, s9, v5
	v_dual_mul_f32 v7, s10, v5 :: v_dual_fmac_f32 v6, s10, v4
	s_delay_alu instid0(VALU_DEP_1)
	v_fma_f32 v5, s9, v4, -v7
	ds_store_b64 v3, v[5:6]
	v_add_nc_u32_e32 v3, 0xa0, v3
	s_cbranch_scc1 .LBB157_35
.LBB157_36:
	s_or_b32 exec_lo, exec_lo, s21
	s_cmpk_eq_i32 s5, 0x6f
	s_waitcnt lgkmcnt(0)
	s_cselect_b32 s1, -1, 0
	s_cmpk_eq_i32 s4, 0x79
	; wave barrier
	buffer_gl0_inv
	s_cselect_b32 s6, -1, 0
	s_cmpk_lg_i32 s4, 0x79
	s_cselect_b32 s5, -1, 0
	s_and_b32 s6, s6, s1
	s_delay_alu instid0(SALU_CYCLE_1)
	s_and_not1_b32 vcc_lo, exec_lo, s6
	s_mov_b32 s6, -1
	s_cbranch_vccz .LBB157_144
; %bb.37:
	s_cmpk_lg_i32 s4, 0x7a
	s_cselect_b32 s4, -1, 0
	s_xor_b32 s1, s1, -1
	s_delay_alu instid0(SALU_CYCLE_1)
	s_or_b32 s4, s4, s1
	s_cmp_gt_i32 s8, 3
	s_cselect_b32 s1, -1, 0
	s_and_b32 vcc_lo, exec_lo, s4
	s_mov_b32 s4, -1
	s_cbranch_vccz .LBB157_111
; %bb.38:
	s_and_not1_b32 vcc_lo, exec_lo, s5
	s_cbranch_vccnz .LBB157_78
; %bb.39:
	s_and_not1_b32 vcc_lo, exec_lo, s1
	s_mov_b32 s6, 0
	s_cbranch_vccnz .LBB157_62
; %bb.40:
	v_lshl_add_u32 v13, v0, 3, 0xc80
	s_mov_b32 s4, 0
	s_mov_b32 s5, 0
.LBB157_41:                             ; =>This Loop Header: Depth=1
                                        ;     Child Loop BB157_43 Depth 2
	s_delay_alu instid0(SALU_CYCLE_1) | instskip(NEXT) | instid1(SALU_CYCLE_1)
	s_mul_i32 s9, s5, 20
	s_add_i32 s6, s9, 40
	s_add_i32 s7, s9, 20
	v_add_lshl_u32 v7, s6, v0, 3
	v_add_lshl_u32 v8, s9, v0, 3
	v_add_lshl_u32 v9, s7, v0, 3
	s_cmp_eq_u32 s5, 0
	s_delay_alu instid0(VALU_DEP_3)
	v_add_nc_u32_e32 v1, 0x800, v7
	ds_load_b64 v[5:6], v8 offset:3200
	ds_load_b64 v[11:12], v9 offset:3200
	ds_load_2addr_b64 v[1:4], v1 offset0:144 offset1:164
	s_cbranch_scc1 .LBB157_44
; %bb.42:                               ;   in Loop: Header=BB157_41 Depth=1
	v_mov_b32_e32 v10, v13
	s_mov_b32 s9, 0
	s_mov_b32 s10, s4
.LBB157_43:                             ;   Parent Loop BB157_41 Depth=1
                                        ; =>  This Inner Loop Header: Depth=2
	ds_load_2addr_b64 v[14:17], v10 offset1:20
	v_mov_b32_e32 v30, s10
	s_add_i32 s9, s9, 2
	s_addk_i32 s10, 0x140
	s_cmp_ge_u32 s9, s5
	ds_load_b128 v[18:21], v30
	ds_load_b128 v[22:25], v30 offset:16
	ds_load_b128 v[26:29], v30 offset:160
	;; [unrolled: 1-line block ×3, first 2 shown]
	s_waitcnt lgkmcnt(3)
	v_dual_mul_f32 v35, v18, v15 :: v_dual_add_nc_u32 v10, 0x140, v10
	s_waitcnt lgkmcnt(2)
	v_mul_f32_e32 v37, v23, v15
	s_waitcnt lgkmcnt(1)
	v_dual_mul_f32 v38, v25, v15 :: v_dual_mul_f32 v39, v27, v17
	v_dual_mul_f32 v25, v25, v14 :: v_dual_mul_f32 v40, v26, v17
	v_mul_f32_e32 v34, v19, v15
	v_dual_mul_f32 v36, v21, v15 :: v_dual_mul_f32 v23, v23, v14
	v_mul_f32_e32 v21, v21, v14
	s_delay_alu instid0(VALU_DEP_4)
	v_fmac_f32_e32 v25, v24, v15
	v_fmac_f32_e32 v35, v19, v14
	v_dual_mul_f32 v41, v29, v17 :: v_dual_fmac_f32 v40, v27, v16
	s_waitcnt lgkmcnt(0)
	v_dual_mul_f32 v29, v29, v16 :: v_dual_mul_f32 v42, v31, v17
	v_dual_sub_f32 v4, v4, v25 :: v_dual_mul_f32 v31, v31, v16
	v_sub_f32_e32 v6, v6, v35
	v_fmac_f32_e32 v21, v20, v15
	v_fma_f32 v18, v18, v14, -v34
	v_fma_f32 v19, v20, v14, -v36
	;; [unrolled: 1-line block ×3, first 2 shown]
	v_sub_f32_e32 v6, v6, v40
	v_fma_f32 v14, v24, v14, -v38
	v_fmac_f32_e32 v31, v30, v17
	v_fmac_f32_e32 v29, v28, v17
	;; [unrolled: 1-line block ×3, first 2 shown]
	v_mul_f32_e32 v43, v33, v17
	v_dual_mul_f32 v33, v33, v16 :: v_dual_sub_f32 v12, v12, v21
	v_fma_f32 v15, v26, v16, -v39
	v_fma_f32 v22, v28, v16, -v41
	;; [unrolled: 1-line block ×3, first 2 shown]
	s_delay_alu instid0(VALU_DEP_4) | instskip(SKIP_3) | instid1(VALU_DEP_4)
	v_fmac_f32_e32 v33, v32, v17
	v_sub_f32_e32 v5, v5, v18
	v_sub_f32_e32 v11, v11, v19
	;; [unrolled: 1-line block ×3, first 2 shown]
	v_dual_sub_f32 v3, v3, v14 :: v_dual_sub_f32 v4, v4, v33
	v_sub_f32_e32 v12, v12, v29
	v_sub_f32_e32 v2, v2, v23
	v_fma_f32 v16, v32, v16, -v43
	v_sub_f32_e32 v5, v5, v15
	v_sub_f32_e32 v11, v11, v22
	s_delay_alu instid0(VALU_DEP_4) | instskip(NEXT) | instid1(VALU_DEP_4)
	v_dual_sub_f32 v1, v1, v24 :: v_dual_sub_f32 v2, v2, v31
	v_sub_f32_e32 v3, v3, v16
	s_cbranch_scc0 .LBB157_43
.LBB157_44:                             ;   in Loop: Header=BB157_41 Depth=1
	s_mul_i32 s9, s5, 0xa8
	v_add_nc_u32_e32 v16, 0xc80, v8
	v_dual_mov_b32 v7, s9 :: v_dual_add_nc_u32 v14, 0xc80, v7
	v_add_nc_u32_e32 v15, 0xc80, v9
	ds_load_b64 v[7:8], v7
	s_waitcnt lgkmcnt(0)
	v_cmp_gt_f32_e32 vcc_lo, 0, v7
	v_cndmask_b32_e64 v9, v7, -v7, vcc_lo
	v_cmp_gt_f32_e32 vcc_lo, 0, v8
	v_cndmask_b32_e64 v10, v8, -v8, vcc_lo
	s_delay_alu instid0(VALU_DEP_1)
	v_cmp_ngt_f32_e32 vcc_lo, v9, v10
	s_cbranch_vccz .LBB157_46
; %bb.45:                               ;   in Loop: Header=BB157_41 Depth=1
	v_div_scale_f32 v9, null, v8, v8, v7
	v_div_scale_f32 v18, vcc_lo, v7, v8, v7
	s_delay_alu instid0(VALU_DEP_2) | instskip(SKIP_2) | instid1(VALU_DEP_1)
	v_rcp_f32_e32 v10, v9
	s_waitcnt_depctr 0xfff
	v_fma_f32 v17, -v9, v10, 1.0
	v_fmac_f32_e32 v10, v17, v10
	s_delay_alu instid0(VALU_DEP_1) | instskip(NEXT) | instid1(VALU_DEP_1)
	v_mul_f32_e32 v17, v18, v10
	v_fma_f32 v19, -v9, v17, v18
	s_delay_alu instid0(VALU_DEP_1) | instskip(NEXT) | instid1(VALU_DEP_1)
	v_fmac_f32_e32 v17, v19, v10
	v_fma_f32 v9, -v9, v17, v18
	s_delay_alu instid0(VALU_DEP_1) | instskip(NEXT) | instid1(VALU_DEP_1)
	v_div_fmas_f32 v9, v9, v10, v17
	v_div_fixup_f32 v9, v9, v8, v7
	s_delay_alu instid0(VALU_DEP_1) | instskip(NEXT) | instid1(VALU_DEP_1)
	v_fma_f32 v10, v7, v9, v8
	v_div_scale_f32 v17, null, v10, v10, 1.0
	v_div_scale_f32 v20, vcc_lo, 1.0, v10, 1.0
	s_delay_alu instid0(VALU_DEP_2) | instskip(SKIP_2) | instid1(VALU_DEP_1)
	v_rcp_f32_e32 v18, v17
	s_waitcnt_depctr 0xfff
	v_fma_f32 v19, -v17, v18, 1.0
	v_fmac_f32_e32 v18, v19, v18
	s_delay_alu instid0(VALU_DEP_1) | instskip(NEXT) | instid1(VALU_DEP_1)
	v_mul_f32_e32 v19, v20, v18
	v_fma_f32 v21, -v17, v19, v20
	s_delay_alu instid0(VALU_DEP_1) | instskip(NEXT) | instid1(VALU_DEP_1)
	v_fmac_f32_e32 v19, v21, v18
	v_fma_f32 v17, -v17, v19, v20
	s_delay_alu instid0(VALU_DEP_1) | instskip(SKIP_1) | instid1(VALU_DEP_2)
	v_div_fmas_f32 v17, v17, v18, v19
	v_fma_f32 v18, v5, v9, v6
	v_div_fixup_f32 v10, v17, v10, 1.0
	v_fma_f32 v17, v6, v9, -v5
	s_delay_alu instid0(VALU_DEP_2) | instskip(NEXT) | instid1(VALU_DEP_2)
	v_mul_f32_e32 v9, v18, v10
	v_mul_f32_e32 v10, v17, v10
	s_cbranch_execz .LBB157_47
	s_branch .LBB157_48
.LBB157_46:                             ;   in Loop: Header=BB157_41 Depth=1
                                        ; implicit-def: $vgpr10
.LBB157_47:                             ;   in Loop: Header=BB157_41 Depth=1
	v_div_scale_f32 v9, null, v7, v7, v8
	v_div_scale_f32 v18, vcc_lo, v8, v7, v8
	s_delay_alu instid0(VALU_DEP_2) | instskip(SKIP_2) | instid1(VALU_DEP_1)
	v_rcp_f32_e32 v10, v9
	s_waitcnt_depctr 0xfff
	v_fma_f32 v17, -v9, v10, 1.0
	v_fmac_f32_e32 v10, v17, v10
	s_delay_alu instid0(VALU_DEP_1) | instskip(NEXT) | instid1(VALU_DEP_1)
	v_mul_f32_e32 v17, v18, v10
	v_fma_f32 v19, -v9, v17, v18
	s_delay_alu instid0(VALU_DEP_1) | instskip(NEXT) | instid1(VALU_DEP_1)
	v_fmac_f32_e32 v17, v19, v10
	v_fma_f32 v9, -v9, v17, v18
	s_delay_alu instid0(VALU_DEP_1) | instskip(NEXT) | instid1(VALU_DEP_1)
	v_div_fmas_f32 v9, v9, v10, v17
	v_div_fixup_f32 v9, v9, v7, v8
	s_delay_alu instid0(VALU_DEP_1) | instskip(NEXT) | instid1(VALU_DEP_1)
	v_fmac_f32_e32 v7, v8, v9
	v_div_scale_f32 v8, null, v7, v7, 1.0
	v_div_scale_f32 v18, vcc_lo, 1.0, v7, 1.0
	s_delay_alu instid0(VALU_DEP_2) | instskip(SKIP_2) | instid1(VALU_DEP_1)
	v_rcp_f32_e32 v10, v8
	s_waitcnt_depctr 0xfff
	v_fma_f32 v17, -v8, v10, 1.0
	v_fmac_f32_e32 v10, v17, v10
	s_delay_alu instid0(VALU_DEP_1) | instskip(NEXT) | instid1(VALU_DEP_1)
	v_mul_f32_e32 v17, v18, v10
	v_fma_f32 v19, -v8, v17, v18
	s_delay_alu instid0(VALU_DEP_1) | instskip(NEXT) | instid1(VALU_DEP_1)
	v_fmac_f32_e32 v17, v19, v10
	v_fma_f32 v8, -v8, v17, v18
	s_delay_alu instid0(VALU_DEP_1) | instskip(SKIP_2) | instid1(VALU_DEP_3)
	v_div_fmas_f32 v8, v8, v10, v17
	v_fma_f32 v10, v6, v9, v5
	v_fma_f32 v5, -v5, v9, v6
	v_div_fixup_f32 v7, v8, v7, 1.0
	s_delay_alu instid0(VALU_DEP_1) | instskip(NEXT) | instid1(VALU_DEP_3)
	v_mul_f32_e32 v9, v10, v7
	v_mul_f32_e32 v10, v5, v7
.LBB157_48:                             ;   in Loop: Header=BB157_41 Depth=1
	v_mov_b32_e32 v5, s9
	ds_store_b64 v16, v[9:10]
	ds_load_2addr_b64 v[5:8], v5 offset0:1 offset1:21
	s_waitcnt lgkmcnt(0)
	v_cmp_gt_f32_e32 vcc_lo, 0, v7
	v_mul_f32_e32 v17, v10, v6
	v_mul_f32_e32 v6, v9, v6
	v_cndmask_b32_e64 v18, v7, -v7, vcc_lo
	v_cmp_gt_f32_e32 vcc_lo, 0, v8
	s_delay_alu instid0(VALU_DEP_4) | instskip(NEXT) | instid1(VALU_DEP_4)
	v_fma_f32 v17, v9, v5, -v17
	v_fmac_f32_e32 v6, v10, v5
	v_cndmask_b32_e64 v19, v8, -v8, vcc_lo
	s_delay_alu instid0(VALU_DEP_2) | instskip(NEXT) | instid1(VALU_DEP_2)
	v_dual_sub_f32 v5, v11, v17 :: v_dual_sub_f32 v6, v12, v6
	v_cmp_ngt_f32_e32 vcc_lo, v18, v19
	s_cbranch_vccz .LBB157_50
; %bb.49:                               ;   in Loop: Header=BB157_41 Depth=1
	v_div_scale_f32 v11, null, v8, v8, v7
	v_div_scale_f32 v17, vcc_lo, v7, v8, v7
	s_delay_alu instid0(VALU_DEP_2) | instskip(SKIP_2) | instid1(VALU_DEP_1)
	v_rcp_f32_e32 v12, v11
	s_waitcnt_depctr 0xfff
	v_fma_f32 v16, -v11, v12, 1.0
	v_fmac_f32_e32 v12, v16, v12
	s_delay_alu instid0(VALU_DEP_1) | instskip(NEXT) | instid1(VALU_DEP_1)
	v_mul_f32_e32 v16, v17, v12
	v_fma_f32 v18, -v11, v16, v17
	s_delay_alu instid0(VALU_DEP_1) | instskip(NEXT) | instid1(VALU_DEP_1)
	v_fmac_f32_e32 v16, v18, v12
	v_fma_f32 v11, -v11, v16, v17
	s_delay_alu instid0(VALU_DEP_1) | instskip(NEXT) | instid1(VALU_DEP_1)
	v_div_fmas_f32 v11, v11, v12, v16
	v_div_fixup_f32 v11, v11, v8, v7
	s_delay_alu instid0(VALU_DEP_1) | instskip(NEXT) | instid1(VALU_DEP_1)
	v_fma_f32 v12, v7, v11, v8
	v_div_scale_f32 v16, null, v12, v12, 1.0
	v_div_scale_f32 v19, vcc_lo, 1.0, v12, 1.0
	s_delay_alu instid0(VALU_DEP_2) | instskip(SKIP_2) | instid1(VALU_DEP_1)
	v_rcp_f32_e32 v17, v16
	s_waitcnt_depctr 0xfff
	v_fma_f32 v18, -v16, v17, 1.0
	v_fmac_f32_e32 v17, v18, v17
	s_delay_alu instid0(VALU_DEP_1) | instskip(NEXT) | instid1(VALU_DEP_1)
	v_mul_f32_e32 v18, v19, v17
	v_fma_f32 v20, -v16, v18, v19
	s_delay_alu instid0(VALU_DEP_1) | instskip(NEXT) | instid1(VALU_DEP_1)
	v_fmac_f32_e32 v18, v20, v17
	v_fma_f32 v16, -v16, v18, v19
	s_delay_alu instid0(VALU_DEP_1) | instskip(SKIP_1) | instid1(VALU_DEP_2)
	v_div_fmas_f32 v16, v16, v17, v18
	v_fma_f32 v17, v11, v5, v6
	v_div_fixup_f32 v12, v16, v12, 1.0
	v_fma_f32 v16, v11, v6, -v5
	s_delay_alu instid0(VALU_DEP_2) | instskip(NEXT) | instid1(VALU_DEP_2)
	v_mul_f32_e32 v11, v17, v12
	v_mul_f32_e32 v12, v16, v12
	s_cbranch_execz .LBB157_51
	s_branch .LBB157_52
.LBB157_50:                             ;   in Loop: Header=BB157_41 Depth=1
                                        ; implicit-def: $vgpr12
.LBB157_51:                             ;   in Loop: Header=BB157_41 Depth=1
	v_div_scale_f32 v11, null, v7, v7, v8
	v_div_scale_f32 v17, vcc_lo, v8, v7, v8
	s_delay_alu instid0(VALU_DEP_2) | instskip(SKIP_2) | instid1(VALU_DEP_1)
	v_rcp_f32_e32 v12, v11
	s_waitcnt_depctr 0xfff
	v_fma_f32 v16, -v11, v12, 1.0
	v_fmac_f32_e32 v12, v16, v12
	s_delay_alu instid0(VALU_DEP_1) | instskip(NEXT) | instid1(VALU_DEP_1)
	v_mul_f32_e32 v16, v17, v12
	v_fma_f32 v18, -v11, v16, v17
	s_delay_alu instid0(VALU_DEP_1) | instskip(NEXT) | instid1(VALU_DEP_1)
	v_fmac_f32_e32 v16, v18, v12
	v_fma_f32 v11, -v11, v16, v17
	s_delay_alu instid0(VALU_DEP_1) | instskip(NEXT) | instid1(VALU_DEP_1)
	v_div_fmas_f32 v11, v11, v12, v16
	v_div_fixup_f32 v11, v11, v7, v8
	s_delay_alu instid0(VALU_DEP_1) | instskip(NEXT) | instid1(VALU_DEP_1)
	v_fmac_f32_e32 v7, v8, v11
	v_div_scale_f32 v8, null, v7, v7, 1.0
	v_div_scale_f32 v17, vcc_lo, 1.0, v7, 1.0
	s_delay_alu instid0(VALU_DEP_2) | instskip(SKIP_2) | instid1(VALU_DEP_1)
	v_rcp_f32_e32 v12, v8
	s_waitcnt_depctr 0xfff
	v_fma_f32 v16, -v8, v12, 1.0
	v_fmac_f32_e32 v12, v16, v12
	s_delay_alu instid0(VALU_DEP_1) | instskip(NEXT) | instid1(VALU_DEP_1)
	v_mul_f32_e32 v16, v17, v12
	v_fma_f32 v18, -v8, v16, v17
	s_delay_alu instid0(VALU_DEP_1) | instskip(NEXT) | instid1(VALU_DEP_1)
	v_fmac_f32_e32 v16, v18, v12
	v_fma_f32 v8, -v8, v16, v17
	s_delay_alu instid0(VALU_DEP_1) | instskip(SKIP_2) | instid1(VALU_DEP_3)
	v_div_fmas_f32 v8, v8, v12, v16
	v_fma_f32 v12, v11, v6, v5
	v_fma_f32 v5, -v11, v5, v6
	v_div_fixup_f32 v7, v8, v7, 1.0
	s_delay_alu instid0(VALU_DEP_1) | instskip(NEXT) | instid1(VALU_DEP_3)
	v_mul_f32_e32 v11, v12, v7
	v_mul_f32_e32 v12, v5, v7
.LBB157_52:                             ;   in Loop: Header=BB157_41 Depth=1
	s_add_i32 s7, s7, s5
	s_delay_alu instid0(SALU_CYCLE_1) | instskip(NEXT) | instid1(SALU_CYCLE_1)
	s_lshl_b32 s7, s7, 3
	v_dual_mov_b32 v5, s9 :: v_dual_mov_b32 v16, s7
	ds_load_2addr_b64 v[5:8], v5 offset0:2 offset1:42
	ds_load_b64 v[16:17], v16 offset:16
	ds_store_b64 v15, v[11:12]
	s_waitcnt lgkmcnt(2)
	v_mul_f32_e32 v18, v10, v6
	v_cmp_gt_f32_e32 vcc_lo, 0, v7
	s_waitcnt lgkmcnt(1)
	v_mul_f32_e32 v20, v12, v17
	v_dual_mul_f32 v17, v11, v17 :: v_dual_mul_f32 v6, v9, v6
	v_fma_f32 v18, v9, v5, -v18
	v_cndmask_b32_e64 v19, v7, -v7, vcc_lo
	v_cmp_gt_f32_e32 vcc_lo, 0, v8
	s_delay_alu instid0(VALU_DEP_4) | instskip(NEXT) | instid1(VALU_DEP_4)
	v_fmac_f32_e32 v17, v12, v16
	v_sub_f32_e32 v1, v1, v18
	v_fma_f32 v20, v11, v16, -v20
	v_fmac_f32_e32 v6, v10, v5
	v_cndmask_b32_e64 v5, v8, -v8, vcc_lo
	s_delay_alu instid0(VALU_DEP_1) | instskip(NEXT) | instid1(VALU_DEP_3)
	v_cmp_ngt_f32_e32 vcc_lo, v19, v5
	v_dual_sub_f32 v5, v1, v20 :: v_dual_sub_f32 v2, v2, v6
	s_delay_alu instid0(VALU_DEP_1)
	v_sub_f32_e32 v6, v2, v17
	s_cbranch_vccz .LBB157_54
; %bb.53:                               ;   in Loop: Header=BB157_41 Depth=1
	v_div_scale_f32 v1, null, v8, v8, v7
	v_div_scale_f32 v16, vcc_lo, v7, v8, v7
	s_delay_alu instid0(VALU_DEP_2) | instskip(SKIP_2) | instid1(VALU_DEP_1)
	v_rcp_f32_e32 v2, v1
	s_waitcnt_depctr 0xfff
	v_fma_f32 v15, -v1, v2, 1.0
	v_fmac_f32_e32 v2, v15, v2
	s_delay_alu instid0(VALU_DEP_1) | instskip(NEXT) | instid1(VALU_DEP_1)
	v_mul_f32_e32 v15, v16, v2
	v_fma_f32 v17, -v1, v15, v16
	s_delay_alu instid0(VALU_DEP_1) | instskip(NEXT) | instid1(VALU_DEP_1)
	v_fmac_f32_e32 v15, v17, v2
	v_fma_f32 v1, -v1, v15, v16
	s_delay_alu instid0(VALU_DEP_1) | instskip(NEXT) | instid1(VALU_DEP_1)
	v_div_fmas_f32 v1, v1, v2, v15
	v_div_fixup_f32 v1, v1, v8, v7
	s_delay_alu instid0(VALU_DEP_1) | instskip(NEXT) | instid1(VALU_DEP_1)
	v_fma_f32 v2, v7, v1, v8
	v_div_scale_f32 v15, null, v2, v2, 1.0
	v_div_scale_f32 v18, vcc_lo, 1.0, v2, 1.0
	s_delay_alu instid0(VALU_DEP_2) | instskip(SKIP_2) | instid1(VALU_DEP_1)
	v_rcp_f32_e32 v16, v15
	s_waitcnt_depctr 0xfff
	v_fma_f32 v17, -v15, v16, 1.0
	v_fmac_f32_e32 v16, v17, v16
	s_delay_alu instid0(VALU_DEP_1) | instskip(NEXT) | instid1(VALU_DEP_1)
	v_mul_f32_e32 v17, v18, v16
	v_fma_f32 v19, -v15, v17, v18
	s_delay_alu instid0(VALU_DEP_1) | instskip(NEXT) | instid1(VALU_DEP_1)
	v_fmac_f32_e32 v17, v19, v16
	v_fma_f32 v15, -v15, v17, v18
	s_delay_alu instid0(VALU_DEP_1) | instskip(SKIP_1) | instid1(VALU_DEP_2)
	v_div_fmas_f32 v15, v15, v16, v17
	v_fma_f32 v16, v1, v5, v6
	v_div_fixup_f32 v2, v15, v2, 1.0
	v_fma_f32 v15, v1, v6, -v5
	s_delay_alu instid0(VALU_DEP_2) | instskip(NEXT) | instid1(VALU_DEP_2)
	v_mul_f32_e32 v1, v16, v2
	v_mul_f32_e32 v2, v15, v2
	s_cbranch_execz .LBB157_55
	s_branch .LBB157_56
.LBB157_54:                             ;   in Loop: Header=BB157_41 Depth=1
                                        ; implicit-def: $vgpr2
.LBB157_55:                             ;   in Loop: Header=BB157_41 Depth=1
	v_div_scale_f32 v1, null, v7, v7, v8
	v_div_scale_f32 v16, vcc_lo, v8, v7, v8
	s_delay_alu instid0(VALU_DEP_2) | instskip(SKIP_2) | instid1(VALU_DEP_1)
	v_rcp_f32_e32 v2, v1
	s_waitcnt_depctr 0xfff
	v_fma_f32 v15, -v1, v2, 1.0
	v_fmac_f32_e32 v2, v15, v2
	s_delay_alu instid0(VALU_DEP_1) | instskip(NEXT) | instid1(VALU_DEP_1)
	v_mul_f32_e32 v15, v16, v2
	v_fma_f32 v17, -v1, v15, v16
	s_delay_alu instid0(VALU_DEP_1) | instskip(NEXT) | instid1(VALU_DEP_1)
	v_fmac_f32_e32 v15, v17, v2
	v_fma_f32 v1, -v1, v15, v16
	s_delay_alu instid0(VALU_DEP_1) | instskip(NEXT) | instid1(VALU_DEP_1)
	v_div_fmas_f32 v1, v1, v2, v15
	v_div_fixup_f32 v1, v1, v7, v8
	s_delay_alu instid0(VALU_DEP_1) | instskip(NEXT) | instid1(VALU_DEP_1)
	v_fmac_f32_e32 v7, v8, v1
	v_div_scale_f32 v2, null, v7, v7, 1.0
	v_div_scale_f32 v16, vcc_lo, 1.0, v7, 1.0
	s_delay_alu instid0(VALU_DEP_2) | instskip(SKIP_2) | instid1(VALU_DEP_1)
	v_rcp_f32_e32 v8, v2
	s_waitcnt_depctr 0xfff
	v_fma_f32 v15, -v2, v8, 1.0
	v_fmac_f32_e32 v8, v15, v8
	s_delay_alu instid0(VALU_DEP_1) | instskip(NEXT) | instid1(VALU_DEP_1)
	v_mul_f32_e32 v15, v16, v8
	v_fma_f32 v17, -v2, v15, v16
	s_delay_alu instid0(VALU_DEP_1) | instskip(NEXT) | instid1(VALU_DEP_1)
	v_fmac_f32_e32 v15, v17, v8
	v_fma_f32 v2, -v2, v15, v16
	s_delay_alu instid0(VALU_DEP_1) | instskip(SKIP_2) | instid1(VALU_DEP_3)
	v_div_fmas_f32 v2, v2, v8, v15
	v_fma_f32 v8, v1, v6, v5
	v_fma_f32 v5, -v1, v5, v6
	v_div_fixup_f32 v2, v2, v7, 1.0
	s_delay_alu instid0(VALU_DEP_1) | instskip(NEXT) | instid1(VALU_DEP_3)
	v_mul_f32_e32 v1, v8, v2
	v_mul_f32_e32 v2, v5, v2
.LBB157_56:                             ;   in Loop: Header=BB157_41 Depth=1
	s_add_i32 s6, s6, s5
	v_mov_b32_e32 v5, s9
	s_lshl_b32 s6, s6, 3
	v_mov_b32_e32 v15, s7
	v_mov_b32_e32 v17, s6
	ds_load_2addr_b64 v[5:8], v5 offset0:3 offset1:63
	ds_load_b64 v[15:16], v15 offset:24
	ds_load_b64 v[17:18], v17 offset:24
	ds_store_b64 v14, v[1:2]
	s_waitcnt lgkmcnt(3)
	v_cmp_gt_f32_e32 vcc_lo, 0, v7
	s_waitcnt lgkmcnt(2)
	v_mul_f32_e32 v20, v12, v16
	v_dual_mul_f32 v16, v11, v16 :: v_dual_mul_f32 v19, v10, v6
	v_mul_f32_e32 v6, v9, v6
	v_cndmask_b32_e64 v21, v7, -v7, vcc_lo
	v_cmp_gt_f32_e32 vcc_lo, 0, v8
	s_delay_alu instid0(VALU_DEP_4)
	v_fmac_f32_e32 v16, v12, v15
	v_fma_f32 v9, v9, v5, -v19
	s_waitcnt lgkmcnt(1)
	v_dual_fmac_f32 v6, v10, v5 :: v_dual_mul_f32 v5, v1, v18
	v_mul_f32_e32 v22, v2, v18
	v_fma_f32 v10, v11, v15, -v20
	s_delay_alu instid0(VALU_DEP_3) | instskip(NEXT) | instid1(VALU_DEP_4)
	v_dual_sub_f32 v3, v3, v9 :: v_dual_sub_f32 v4, v4, v6
	v_fmac_f32_e32 v5, v2, v17
	v_cndmask_b32_e64 v6, v8, -v8, vcc_lo
	v_fma_f32 v9, v1, v17, -v22
	s_delay_alu instid0(VALU_DEP_4) | instskip(NEXT) | instid1(VALU_DEP_3)
	v_dual_sub_f32 v3, v3, v10 :: v_dual_sub_f32 v4, v4, v16
	v_cmp_ngt_f32_e32 vcc_lo, v21, v6
	s_delay_alu instid0(VALU_DEP_2) | instskip(NEXT) | instid1(VALU_DEP_3)
	v_sub_f32_e32 v3, v3, v9
	v_sub_f32_e32 v4, v4, v5
	s_cbranch_vccz .LBB157_58
; %bb.57:                               ;   in Loop: Header=BB157_41 Depth=1
	v_div_scale_f32 v1, null, v8, v8, v7
	v_div_scale_f32 v6, vcc_lo, v7, v8, v7
	s_delay_alu instid0(VALU_DEP_2) | instskip(SKIP_2) | instid1(VALU_DEP_1)
	v_rcp_f32_e32 v2, v1
	s_waitcnt_depctr 0xfff
	v_fma_f32 v5, -v1, v2, 1.0
	v_fmac_f32_e32 v2, v5, v2
	s_delay_alu instid0(VALU_DEP_1) | instskip(NEXT) | instid1(VALU_DEP_1)
	v_mul_f32_e32 v5, v6, v2
	v_fma_f32 v9, -v1, v5, v6
	s_delay_alu instid0(VALU_DEP_1) | instskip(NEXT) | instid1(VALU_DEP_1)
	v_fmac_f32_e32 v5, v9, v2
	v_fma_f32 v1, -v1, v5, v6
	s_delay_alu instid0(VALU_DEP_1) | instskip(NEXT) | instid1(VALU_DEP_1)
	v_div_fmas_f32 v1, v1, v2, v5
	v_div_fixup_f32 v1, v1, v8, v7
	s_delay_alu instid0(VALU_DEP_1) | instskip(NEXT) | instid1(VALU_DEP_1)
	v_fma_f32 v2, v7, v1, v8
	v_div_scale_f32 v5, null, v2, v2, 1.0
	v_div_scale_f32 v10, vcc_lo, 1.0, v2, 1.0
	s_delay_alu instid0(VALU_DEP_2) | instskip(SKIP_2) | instid1(VALU_DEP_1)
	v_rcp_f32_e32 v6, v5
	s_waitcnt_depctr 0xfff
	v_fma_f32 v9, -v5, v6, 1.0
	v_fmac_f32_e32 v6, v9, v6
	s_delay_alu instid0(VALU_DEP_1) | instskip(NEXT) | instid1(VALU_DEP_1)
	v_mul_f32_e32 v9, v10, v6
	v_fma_f32 v11, -v5, v9, v10
	s_delay_alu instid0(VALU_DEP_1) | instskip(NEXT) | instid1(VALU_DEP_1)
	v_fmac_f32_e32 v9, v11, v6
	v_fma_f32 v5, -v5, v9, v10
	s_delay_alu instid0(VALU_DEP_1) | instskip(SKIP_1) | instid1(VALU_DEP_2)
	v_div_fmas_f32 v5, v5, v6, v9
	v_fma_f32 v6, v1, v3, v4
	v_div_fixup_f32 v2, v5, v2, 1.0
	v_fma_f32 v5, v1, v4, -v3
	s_delay_alu instid0(VALU_DEP_2) | instskip(NEXT) | instid1(VALU_DEP_2)
	v_mul_f32_e32 v1, v6, v2
	v_mul_f32_e32 v2, v5, v2
	s_cbranch_execz .LBB157_59
	s_branch .LBB157_60
.LBB157_58:                             ;   in Loop: Header=BB157_41 Depth=1
                                        ; implicit-def: $vgpr2
.LBB157_59:                             ;   in Loop: Header=BB157_41 Depth=1
	v_div_scale_f32 v1, null, v7, v7, v8
	v_div_scale_f32 v6, vcc_lo, v8, v7, v8
	s_delay_alu instid0(VALU_DEP_2) | instskip(SKIP_2) | instid1(VALU_DEP_1)
	v_rcp_f32_e32 v2, v1
	s_waitcnt_depctr 0xfff
	v_fma_f32 v5, -v1, v2, 1.0
	v_fmac_f32_e32 v2, v5, v2
	s_delay_alu instid0(VALU_DEP_1) | instskip(NEXT) | instid1(VALU_DEP_1)
	v_mul_f32_e32 v5, v6, v2
	v_fma_f32 v9, -v1, v5, v6
	s_delay_alu instid0(VALU_DEP_1) | instskip(NEXT) | instid1(VALU_DEP_1)
	v_fmac_f32_e32 v5, v9, v2
	v_fma_f32 v1, -v1, v5, v6
	s_delay_alu instid0(VALU_DEP_1) | instskip(NEXT) | instid1(VALU_DEP_1)
	v_div_fmas_f32 v1, v1, v2, v5
	v_div_fixup_f32 v1, v1, v7, v8
	s_delay_alu instid0(VALU_DEP_1) | instskip(NEXT) | instid1(VALU_DEP_1)
	v_fmac_f32_e32 v7, v8, v1
	v_div_scale_f32 v2, null, v7, v7, 1.0
	v_div_scale_f32 v8, vcc_lo, 1.0, v7, 1.0
	s_delay_alu instid0(VALU_DEP_2) | instskip(SKIP_2) | instid1(VALU_DEP_1)
	v_rcp_f32_e32 v5, v2
	s_waitcnt_depctr 0xfff
	v_fma_f32 v6, -v2, v5, 1.0
	v_fmac_f32_e32 v5, v6, v5
	s_delay_alu instid0(VALU_DEP_1) | instskip(NEXT) | instid1(VALU_DEP_1)
	v_mul_f32_e32 v6, v8, v5
	v_fma_f32 v9, -v2, v6, v8
	s_delay_alu instid0(VALU_DEP_1) | instskip(NEXT) | instid1(VALU_DEP_1)
	v_fmac_f32_e32 v6, v9, v5
	v_fma_f32 v2, -v2, v6, v8
	s_delay_alu instid0(VALU_DEP_1) | instskip(SKIP_2) | instid1(VALU_DEP_3)
	v_div_fmas_f32 v2, v2, v5, v6
	v_fma_f32 v5, v1, v4, v3
	v_fma_f32 v3, -v1, v3, v4
	v_div_fixup_f32 v2, v2, v7, 1.0
	s_delay_alu instid0(VALU_DEP_1) | instskip(NEXT) | instid1(VALU_DEP_3)
	v_mul_f32_e32 v1, v5, v2
	v_mul_f32_e32 v2, v3, v2
.LBB157_60:                             ;   in Loop: Header=BB157_41 Depth=1
	s_add_i32 s6, s5, 4
	s_add_i32 s5, s5, 7
	;; [unrolled: 1-line block ×3, first 2 shown]
	s_cmp_ge_i32 s5, s11
	ds_store_b64 v14, v[1:2] offset:160
	s_cbranch_scc1 .LBB157_62
; %bb.61:                               ;   in Loop: Header=BB157_41 Depth=1
	s_mov_b32 s5, s6
	s_branch .LBB157_41
.LBB157_62:
	s_cmp_ge_i32 s6, s11
	s_cbranch_scc1 .LBB157_77
; %bb.63:
	v_lshl_add_u32 v7, v0, 3, 0xc80
	s_add_i32 s4, s6, -1
	s_lshl_b32 s5, s6, 3
	s_mov_b32 s7, 0
	s_mov_b32 s9, s6
	s_branch .LBB157_65
.LBB157_64:                             ;   in Loop: Header=BB157_65 Depth=1
	v_add_nc_u16 v1, s9, 1
	s_add_i32 s6, s6, 1
	s_add_i32 s7, s7, 1
	s_add_i32 s5, s5, 8
	s_cmp_ge_i32 s6, s11
	v_readfirstlane_b32 s9, v1
	ds_store_b64 v8, v[5:6]
	s_cbranch_scc1 .LBB157_77
.LBB157_65:                             ; =>This Loop Header: Depth=1
                                        ;     Child Loop BB157_68 Depth 2
                                        ;     Child Loop BB157_72 Depth 2
	s_mul_i32 s10, s6, 20
	s_cmp_eq_u32 s6, 0
	v_add_lshl_u32 v3, s10, v0, 3
	ds_load_b64 v[1:2], v3 offset:3200
	s_cbranch_scc1 .LBB157_73
; %bb.66:                               ;   in Loop: Header=BB157_65 Depth=1
	s_add_i32 s10, s4, s7
	s_delay_alu instid0(SALU_CYCLE_1)
	s_cmp_lt_u32 s10, 3
	s_cbranch_scc1 .LBB157_70
; %bb.67:                               ;   in Loop: Header=BB157_65 Depth=1
	v_mov_b32_e32 v4, v7
	s_and_b32 s10, s6, -4
	s_mov_b32 s14, 0
	s_mov_b32 s15, s5
	s_set_inst_prefetch_distance 0x1
	.p2align	6
.LBB157_68:                             ;   Parent Loop BB157_65 Depth=1
                                        ; =>  This Inner Loop Header: Depth=2
	v_mov_b32_e32 v5, s15
	s_add_i32 s14, s14, 4
	s_addk_i32 s15, 0x280
	s_cmp_eq_u32 s10, s14
	ds_load_2addr_b64 v[8:11], v4 offset1:20
	ds_load_2addr_b64 v[12:15], v5 offset1:20
	ds_load_2addr_b64 v[16:19], v4 offset0:40 offset1:60
	ds_load_2addr_b64 v[20:23], v5 offset0:40 offset1:60
	v_add_nc_u32_e32 v4, 0x280, v4
	s_waitcnt lgkmcnt(2)
	v_mul_f32_e32 v6, v12, v9
	v_mul_f32_e32 v5, v13, v9
	s_waitcnt lgkmcnt(0)
	v_dual_mul_f32 v9, v15, v11 :: v_dual_mul_f32 v24, v21, v17
	s_delay_alu instid0(VALU_DEP_3) | instskip(SKIP_2) | instid1(VALU_DEP_4)
	v_dual_mul_f32 v11, v14, v11 :: v_dual_fmac_f32 v6, v13, v8
	v_mul_f32_e32 v17, v20, v17
	v_fma_f32 v5, v12, v8, -v5
	v_fma_f32 v9, v14, v10, -v9
	v_mul_f32_e32 v8, v23, v19
	s_delay_alu instid0(VALU_DEP_4)
	v_dual_sub_f32 v2, v2, v6 :: v_dual_fmac_f32 v17, v21, v16
	v_fmac_f32_e32 v11, v15, v10
	v_sub_f32_e32 v1, v1, v5
	v_mul_f32_e32 v5, v22, v19
	v_fma_f32 v6, v20, v16, -v24
	v_fma_f32 v8, v22, v18, -v8
	s_delay_alu instid0(VALU_DEP_4) | instskip(NEXT) | instid1(VALU_DEP_1)
	v_dual_sub_f32 v2, v2, v11 :: v_dual_sub_f32 v1, v1, v9
	v_dual_fmac_f32 v5, v23, v18 :: v_dual_sub_f32 v2, v2, v17
	s_delay_alu instid0(VALU_DEP_1) | instskip(NEXT) | instid1(VALU_DEP_1)
	v_dual_sub_f32 v1, v1, v6 :: v_dual_sub_f32 v2, v2, v5
	v_sub_f32_e32 v1, v1, v8
	s_cbranch_scc0 .LBB157_68
; %bb.69:                               ;   in Loop: Header=BB157_65 Depth=1
	s_set_inst_prefetch_distance 0x2
	s_and_b32 s14, s6, 3
	s_delay_alu instid0(SALU_CYCLE_1)
	s_cmp_eq_u32 s14, 0
	s_cbranch_scc0 .LBB157_71
	s_branch .LBB157_73
.LBB157_70:                             ;   in Loop: Header=BB157_65 Depth=1
	s_mov_b32 s10, 0
	s_and_b32 s14, s6, 3
	s_delay_alu instid0(SALU_CYCLE_1)
	s_cmp_eq_u32 s14, 0
	s_cbranch_scc1 .LBB157_73
.LBB157_71:                             ;   in Loop: Header=BB157_65 Depth=1
	s_and_b32 s14, s9, 3
	s_mulk_i32 s10, 0xa0
	.p2align	6
.LBB157_72:                             ;   Parent Loop BB157_65 Depth=1
                                        ; =>  This Inner Loop Header: Depth=2
	s_delay_alu instid0(SALU_CYCLE_1)
	s_add_i32 s15, s5, s10
	v_add_nc_u32_e32 v4, s10, v7
	v_mov_b32_e32 v6, s15
	s_add_i32 s14, s14, -1
	s_addk_i32 s10, 0xa0
	s_cmp_lg_u32 s14, 0
	ds_load_b64 v[4:5], v4
	ds_load_b64 v[8:9], v6
	s_waitcnt lgkmcnt(0)
	v_mul_f32_e32 v6, v9, v5
	v_mul_f32_e32 v5, v8, v5
	s_delay_alu instid0(VALU_DEP_2) | instskip(NEXT) | instid1(VALU_DEP_2)
	v_fma_f32 v6, v8, v4, -v6
	v_fmac_f32_e32 v5, v9, v4
	s_delay_alu instid0(VALU_DEP_1)
	v_dual_sub_f32 v1, v1, v6 :: v_dual_sub_f32 v2, v2, v5
	s_cbranch_scc1 .LBB157_72
.LBB157_73:                             ;   in Loop: Header=BB157_65 Depth=1
	s_mul_i32 s10, s6, 0xa8
	s_delay_alu instid0(SALU_CYCLE_1)
	v_dual_mov_b32 v3, s10 :: v_dual_add_nc_u32 v8, 0xc80, v3
	ds_load_b64 v[3:4], v3
	s_waitcnt lgkmcnt(0)
	v_cmp_gt_f32_e32 vcc_lo, 0, v3
	v_cndmask_b32_e64 v5, v3, -v3, vcc_lo
	v_cmp_gt_f32_e32 vcc_lo, 0, v4
	v_cndmask_b32_e64 v6, v4, -v4, vcc_lo
	s_delay_alu instid0(VALU_DEP_1)
	v_cmp_ngt_f32_e32 vcc_lo, v5, v6
	s_cbranch_vccz .LBB157_75
; %bb.74:                               ;   in Loop: Header=BB157_65 Depth=1
	v_div_scale_f32 v5, null, v4, v4, v3
	v_div_scale_f32 v10, vcc_lo, v3, v4, v3
	s_delay_alu instid0(VALU_DEP_2) | instskip(SKIP_2) | instid1(VALU_DEP_1)
	v_rcp_f32_e32 v6, v5
	s_waitcnt_depctr 0xfff
	v_fma_f32 v9, -v5, v6, 1.0
	v_fmac_f32_e32 v6, v9, v6
	s_delay_alu instid0(VALU_DEP_1) | instskip(NEXT) | instid1(VALU_DEP_1)
	v_mul_f32_e32 v9, v10, v6
	v_fma_f32 v11, -v5, v9, v10
	s_delay_alu instid0(VALU_DEP_1) | instskip(NEXT) | instid1(VALU_DEP_1)
	v_fmac_f32_e32 v9, v11, v6
	v_fma_f32 v5, -v5, v9, v10
	s_delay_alu instid0(VALU_DEP_1) | instskip(NEXT) | instid1(VALU_DEP_1)
	v_div_fmas_f32 v5, v5, v6, v9
	v_div_fixup_f32 v5, v5, v4, v3
	s_delay_alu instid0(VALU_DEP_1) | instskip(NEXT) | instid1(VALU_DEP_1)
	v_fma_f32 v6, v3, v5, v4
	v_div_scale_f32 v9, null, v6, v6, 1.0
	v_div_scale_f32 v12, vcc_lo, 1.0, v6, 1.0
	s_delay_alu instid0(VALU_DEP_2) | instskip(SKIP_2) | instid1(VALU_DEP_1)
	v_rcp_f32_e32 v10, v9
	s_waitcnt_depctr 0xfff
	v_fma_f32 v11, -v9, v10, 1.0
	v_fmac_f32_e32 v10, v11, v10
	s_delay_alu instid0(VALU_DEP_1) | instskip(NEXT) | instid1(VALU_DEP_1)
	v_mul_f32_e32 v11, v12, v10
	v_fma_f32 v13, -v9, v11, v12
	s_delay_alu instid0(VALU_DEP_1) | instskip(NEXT) | instid1(VALU_DEP_1)
	v_fmac_f32_e32 v11, v13, v10
	v_fma_f32 v9, -v9, v11, v12
	s_delay_alu instid0(VALU_DEP_1) | instskip(SKIP_1) | instid1(VALU_DEP_2)
	v_div_fmas_f32 v9, v9, v10, v11
	v_fma_f32 v10, v1, v5, v2
	v_div_fixup_f32 v6, v9, v6, 1.0
	v_fma_f32 v9, v2, v5, -v1
	s_delay_alu instid0(VALU_DEP_2) | instskip(NEXT) | instid1(VALU_DEP_2)
	v_mul_f32_e32 v5, v10, v6
	v_mul_f32_e32 v6, v9, v6
	s_cbranch_execnz .LBB157_64
	s_branch .LBB157_76
.LBB157_75:                             ;   in Loop: Header=BB157_65 Depth=1
                                        ; implicit-def: $vgpr5
.LBB157_76:                             ;   in Loop: Header=BB157_65 Depth=1
	v_div_scale_f32 v5, null, v3, v3, v4
	v_div_scale_f32 v10, vcc_lo, v4, v3, v4
	s_delay_alu instid0(VALU_DEP_2) | instskip(SKIP_2) | instid1(VALU_DEP_1)
	v_rcp_f32_e32 v6, v5
	s_waitcnt_depctr 0xfff
	v_fma_f32 v9, -v5, v6, 1.0
	v_fmac_f32_e32 v6, v9, v6
	s_delay_alu instid0(VALU_DEP_1) | instskip(NEXT) | instid1(VALU_DEP_1)
	v_mul_f32_e32 v9, v10, v6
	v_fma_f32 v11, -v5, v9, v10
	s_delay_alu instid0(VALU_DEP_1) | instskip(NEXT) | instid1(VALU_DEP_1)
	v_fmac_f32_e32 v9, v11, v6
	v_fma_f32 v5, -v5, v9, v10
	s_delay_alu instid0(VALU_DEP_1) | instskip(NEXT) | instid1(VALU_DEP_1)
	v_div_fmas_f32 v5, v5, v6, v9
	v_div_fixup_f32 v5, v5, v3, v4
	s_delay_alu instid0(VALU_DEP_1) | instskip(NEXT) | instid1(VALU_DEP_1)
	v_fmac_f32_e32 v3, v4, v5
	v_div_scale_f32 v4, null, v3, v3, 1.0
	v_div_scale_f32 v10, vcc_lo, 1.0, v3, 1.0
	s_delay_alu instid0(VALU_DEP_2) | instskip(SKIP_2) | instid1(VALU_DEP_1)
	v_rcp_f32_e32 v6, v4
	s_waitcnt_depctr 0xfff
	v_fma_f32 v9, -v4, v6, 1.0
	v_fmac_f32_e32 v6, v9, v6
	s_delay_alu instid0(VALU_DEP_1) | instskip(NEXT) | instid1(VALU_DEP_1)
	v_mul_f32_e32 v9, v10, v6
	v_fma_f32 v11, -v4, v9, v10
	s_delay_alu instid0(VALU_DEP_1) | instskip(NEXT) | instid1(VALU_DEP_1)
	v_fmac_f32_e32 v9, v11, v6
	v_fma_f32 v4, -v4, v9, v10
	s_delay_alu instid0(VALU_DEP_1) | instskip(SKIP_2) | instid1(VALU_DEP_3)
	v_div_fmas_f32 v4, v4, v6, v9
	v_fma_f32 v6, v2, v5, v1
	v_fma_f32 v1, -v1, v5, v2
	v_div_fixup_f32 v3, v4, v3, 1.0
	s_delay_alu instid0(VALU_DEP_1) | instskip(NEXT) | instid1(VALU_DEP_3)
	v_mul_f32_e32 v5, v6, v3
	v_mul_f32_e32 v6, v1, v3
	s_branch .LBB157_64
.LBB157_77:
	s_mov_b32 s4, 0
.LBB157_78:
	s_delay_alu instid0(SALU_CYCLE_1)
	s_and_b32 vcc_lo, exec_lo, s4
	s_cbranch_vccz .LBB157_110
; %bb.79:
	s_and_not1_b32 vcc_lo, exec_lo, s1
	s_mov_b32 s6, s30
	s_cbranch_vccnz .LBB157_101
; %bb.80:
	v_lshlrev_b32_e32 v1, 3, v0
	s_mul_i32 s4, s11, 0xa0
	s_mov_b32 s5, s30
	s_delay_alu instid0(VALU_DEP_1) | instskip(SKIP_1) | instid1(SALU_CYCLE_1)
	v_add3_u32 v13, s4, v1, 0xb40
	s_mul_i32 s4, s11, 0xa8
	s_addk_i32 s4, 0xfea0
.LBB157_81:                             ; =>This Loop Header: Depth=1
                                        ;     Child Loop BB157_82 Depth 2
	s_mul_i32 s7, s5, 20
	s_mov_b32 s10, s4
	s_sub_i32 s6, s7, 40
	s_sub_i32 s9, s7, 20
	v_add_lshl_u32 v5, s6, v0, 3
	v_add_lshl_u32 v6, s7, v0, 3
	;; [unrolled: 1-line block ×3, first 2 shown]
	s_cmp_le_i32 s30, s5
	s_mov_b32 s14, s30
	v_dual_mov_b32 v12, v13 :: v_dual_add_nc_u32 v1, 0x800, v5
	ds_load_b64 v[9:10], v6 offset:3200
	ds_load_b64 v[7:8], v11 offset:3200
	ds_load_2addr_b64 v[1:4], v1 offset0:124 offset1:144
	s_cbranch_scc1 .LBB157_83
.LBB157_82:                             ;   Parent Loop BB157_81 Depth=1
                                        ; =>  This Inner Loop Header: Depth=2
	ds_load_2addr_b64 v[14:17], v12 offset1:20
	v_mov_b32_e32 v30, s10
	s_add_i32 s14, s14, -2
	s_addk_i32 s10, 0xfec0
	s_cmp_le_i32 s14, s5
	ds_load_2addr_b64 v[18:21], v30 offset0:22 offset1:23
	ds_load_2addr_b64 v[22:25], v30 offset0:20 offset1:21
	;; [unrolled: 1-line block ×3, first 2 shown]
	ds_load_2addr_b64 v[30:33], v30 offset1:1
	s_waitcnt lgkmcnt(3)
	v_dual_mul_f32 v35, v20, v17 :: v_dual_add_nc_u32 v12, 0xfffffec0, v12
	s_waitcnt lgkmcnt(2)
	v_mul_f32_e32 v37, v25, v17
	s_waitcnt lgkmcnt(1)
	v_dual_mul_f32 v38, v23, v17 :: v_dual_mul_f32 v39, v29, v15
	v_dual_mul_f32 v23, v23, v16 :: v_dual_mul_f32 v40, v28, v15
	v_dual_mul_f32 v36, v19, v17 :: v_dual_mul_f32 v25, v25, v16
	v_mul_f32_e32 v41, v27, v15
	s_delay_alu instid0(VALU_DEP_3) | instskip(SKIP_3) | instid1(VALU_DEP_3)
	v_dual_fmac_f32 v23, v22, v17 :: v_dual_fmac_f32 v40, v29, v14
	v_fmac_f32_e32 v35, v21, v16
	s_waitcnt lgkmcnt(0)
	v_dual_mul_f32 v27, v27, v14 :: v_dual_mul_f32 v42, v33, v15
	v_dual_sub_f32 v2, v2, v23 :: v_dual_mul_f32 v33, v33, v14
	s_delay_alu instid0(VALU_DEP_3) | instskip(SKIP_1) | instid1(VALU_DEP_2)
	v_dual_sub_f32 v10, v10, v35 :: v_dual_fmac_f32 v25, v24, v17
	v_dual_mul_f32 v34, v21, v17 :: v_dual_mul_f32 v19, v19, v16
	v_dual_fmac_f32 v33, v32, v15 :: v_dual_sub_f32 v10, v10, v40
	s_delay_alu instid0(VALU_DEP_3) | instskip(NEXT) | instid1(VALU_DEP_3)
	v_dual_mul_f32 v43, v31, v15 :: v_dual_sub_f32 v4, v4, v25
	v_fma_f32 v20, v20, v16, -v34
	v_fma_f32 v21, v18, v16, -v36
	s_delay_alu instid0(VALU_DEP_3)
	v_dual_fmac_f32 v27, v26, v15 :: v_dual_sub_f32 v4, v4, v33
	v_fmac_f32_e32 v19, v18, v17
	v_mul_f32_e32 v31, v31, v14
	v_fma_f32 v18, v24, v16, -v37
	v_fma_f32 v16, v22, v16, -v38
	v_fma_f32 v17, v28, v14, -v39
	v_sub_f32_e32 v8, v8, v19
	v_fma_f32 v22, v26, v14, -v41
	v_fma_f32 v24, v32, v14, -v42
	v_fma_f32 v14, v30, v14, -v43
	v_fmac_f32_e32 v31, v30, v15
	v_sub_f32_e32 v9, v9, v20
	v_sub_f32_e32 v7, v7, v21
	;; [unrolled: 1-line block ×3, first 2 shown]
	s_delay_alu instid0(VALU_DEP_4) | instskip(NEXT) | instid1(VALU_DEP_4)
	v_dual_sub_f32 v1, v1, v16 :: v_dual_sub_f32 v2, v2, v31
	v_sub_f32_e32 v9, v9, v17
	s_delay_alu instid0(VALU_DEP_4) | instskip(NEXT) | instid1(VALU_DEP_4)
	v_dual_sub_f32 v7, v7, v22 :: v_dual_sub_f32 v8, v8, v27
	v_sub_f32_e32 v3, v3, v24
	s_delay_alu instid0(VALU_DEP_4)
	v_sub_f32_e32 v1, v1, v14
	s_cbranch_scc0 .LBB157_82
.LBB157_83:                             ;   in Loop: Header=BB157_81 Depth=1
	s_mul_i32 s10, s5, 0xa8
	v_add_nc_u32_e32 v16, 0xc80, v11
	v_add_nc_u32_e32 v15, 0xc80, v5
	v_dual_mov_b32 v5, s10 :: v_dual_add_nc_u32 v14, 0xbe0, v5
	v_add_nc_u32_e32 v17, 0xc80, v6
	ds_load_b64 v[11:12], v5
	s_waitcnt lgkmcnt(0)
	v_cmp_gt_f32_e32 vcc_lo, 0, v11
	v_cndmask_b32_e64 v5, v11, -v11, vcc_lo
	v_cmp_gt_f32_e32 vcc_lo, 0, v12
	v_cndmask_b32_e64 v6, v12, -v12, vcc_lo
	s_delay_alu instid0(VALU_DEP_1)
	v_cmp_ngt_f32_e32 vcc_lo, v5, v6
	s_cbranch_vccz .LBB157_85
; %bb.84:                               ;   in Loop: Header=BB157_81 Depth=1
	v_div_scale_f32 v5, null, v12, v12, v11
	v_div_scale_f32 v19, vcc_lo, v11, v12, v11
	s_delay_alu instid0(VALU_DEP_2) | instskip(SKIP_2) | instid1(VALU_DEP_1)
	v_rcp_f32_e32 v6, v5
	s_waitcnt_depctr 0xfff
	v_fma_f32 v18, -v5, v6, 1.0
	v_fmac_f32_e32 v6, v18, v6
	s_delay_alu instid0(VALU_DEP_1) | instskip(NEXT) | instid1(VALU_DEP_1)
	v_mul_f32_e32 v18, v19, v6
	v_fma_f32 v20, -v5, v18, v19
	s_delay_alu instid0(VALU_DEP_1) | instskip(NEXT) | instid1(VALU_DEP_1)
	v_fmac_f32_e32 v18, v20, v6
	v_fma_f32 v5, -v5, v18, v19
	s_delay_alu instid0(VALU_DEP_1) | instskip(NEXT) | instid1(VALU_DEP_1)
	v_div_fmas_f32 v5, v5, v6, v18
	v_div_fixup_f32 v5, v5, v12, v11
	s_delay_alu instid0(VALU_DEP_1) | instskip(NEXT) | instid1(VALU_DEP_1)
	v_fma_f32 v6, v11, v5, v12
	v_div_scale_f32 v18, null, v6, v6, 1.0
	v_div_scale_f32 v21, vcc_lo, 1.0, v6, 1.0
	s_delay_alu instid0(VALU_DEP_2) | instskip(SKIP_2) | instid1(VALU_DEP_1)
	v_rcp_f32_e32 v19, v18
	s_waitcnt_depctr 0xfff
	v_fma_f32 v20, -v18, v19, 1.0
	v_fmac_f32_e32 v19, v20, v19
	s_delay_alu instid0(VALU_DEP_1) | instskip(NEXT) | instid1(VALU_DEP_1)
	v_mul_f32_e32 v20, v21, v19
	v_fma_f32 v22, -v18, v20, v21
	s_delay_alu instid0(VALU_DEP_1) | instskip(NEXT) | instid1(VALU_DEP_1)
	v_fmac_f32_e32 v20, v22, v19
	v_fma_f32 v18, -v18, v20, v21
	s_delay_alu instid0(VALU_DEP_1) | instskip(SKIP_1) | instid1(VALU_DEP_2)
	v_div_fmas_f32 v18, v18, v19, v20
	v_fma_f32 v19, v9, v5, v10
	v_div_fixup_f32 v6, v18, v6, 1.0
	v_fma_f32 v18, v10, v5, -v9
	s_delay_alu instid0(VALU_DEP_2) | instskip(NEXT) | instid1(VALU_DEP_2)
	v_mul_f32_e32 v5, v19, v6
	v_mul_f32_e32 v6, v18, v6
	s_cbranch_execz .LBB157_86
	s_branch .LBB157_87
.LBB157_85:                             ;   in Loop: Header=BB157_81 Depth=1
                                        ; implicit-def: $vgpr6
.LBB157_86:                             ;   in Loop: Header=BB157_81 Depth=1
	v_div_scale_f32 v5, null, v11, v11, v12
	v_div_scale_f32 v19, vcc_lo, v12, v11, v12
	s_delay_alu instid0(VALU_DEP_2) | instskip(SKIP_2) | instid1(VALU_DEP_1)
	v_rcp_f32_e32 v6, v5
	s_waitcnt_depctr 0xfff
	v_fma_f32 v18, -v5, v6, 1.0
	v_fmac_f32_e32 v6, v18, v6
	s_delay_alu instid0(VALU_DEP_1) | instskip(NEXT) | instid1(VALU_DEP_1)
	v_mul_f32_e32 v18, v19, v6
	v_fma_f32 v20, -v5, v18, v19
	s_delay_alu instid0(VALU_DEP_1) | instskip(NEXT) | instid1(VALU_DEP_1)
	v_fmac_f32_e32 v18, v20, v6
	v_fma_f32 v5, -v5, v18, v19
	s_delay_alu instid0(VALU_DEP_1) | instskip(NEXT) | instid1(VALU_DEP_1)
	v_div_fmas_f32 v5, v5, v6, v18
	v_div_fixup_f32 v5, v5, v11, v12
	s_delay_alu instid0(VALU_DEP_1) | instskip(NEXT) | instid1(VALU_DEP_1)
	v_fmac_f32_e32 v11, v12, v5
	v_div_scale_f32 v6, null, v11, v11, 1.0
	v_div_scale_f32 v19, vcc_lo, 1.0, v11, 1.0
	s_delay_alu instid0(VALU_DEP_2) | instskip(SKIP_2) | instid1(VALU_DEP_1)
	v_rcp_f32_e32 v12, v6
	s_waitcnt_depctr 0xfff
	v_fma_f32 v18, -v6, v12, 1.0
	v_fmac_f32_e32 v12, v18, v12
	s_delay_alu instid0(VALU_DEP_1) | instskip(NEXT) | instid1(VALU_DEP_1)
	v_mul_f32_e32 v18, v19, v12
	v_fma_f32 v20, -v6, v18, v19
	s_delay_alu instid0(VALU_DEP_1) | instskip(NEXT) | instid1(VALU_DEP_1)
	v_fmac_f32_e32 v18, v20, v12
	v_fma_f32 v6, -v6, v18, v19
	s_delay_alu instid0(VALU_DEP_1) | instskip(SKIP_2) | instid1(VALU_DEP_3)
	v_div_fmas_f32 v6, v6, v12, v18
	v_fma_f32 v12, v10, v5, v9
	v_fma_f32 v9, -v9, v5, v10
	v_div_fixup_f32 v6, v6, v11, 1.0
	s_delay_alu instid0(VALU_DEP_1) | instskip(NEXT) | instid1(VALU_DEP_3)
	v_mul_f32_e32 v5, v12, v6
	v_mul_f32_e32 v6, v9, v6
.LBB157_87:                             ;   in Loop: Header=BB157_81 Depth=1
	s_add_i32 s14, s5, s7
	s_addk_i32 s10, 0xff58
	s_lshl_b32 s14, s14, 3
	v_mov_b32_e32 v10, s10
	s_add_i32 s14, s14, -8
	s_delay_alu instid0(SALU_CYCLE_1)
	v_mov_b32_e32 v9, s14
	ds_load_b64 v[11:12], v9
	ds_load_b64 v[9:10], v10
	ds_store_b64 v17, v[5:6]
	s_waitcnt lgkmcnt(2)
	v_mul_f32_e32 v18, v6, v12
	s_waitcnt lgkmcnt(1)
	v_cmp_gt_f32_e32 vcc_lo, 0, v9
	s_delay_alu instid0(VALU_DEP_2) | instskip(SKIP_4) | instid1(VALU_DEP_2)
	v_fma_f32 v18, v5, v11, -v18
	v_cndmask_b32_e64 v19, v9, -v9, vcc_lo
	v_cmp_gt_f32_e32 vcc_lo, 0, v10
	v_mul_f32_e32 v12, v5, v12
	v_cndmask_b32_e64 v20, v10, -v10, vcc_lo
	v_dual_fmac_f32 v12, v6, v11 :: v_dual_sub_f32 v11, v7, v18
	s_delay_alu instid0(VALU_DEP_2) | instskip(NEXT) | instid1(VALU_DEP_2)
	v_cmp_ngt_f32_e32 vcc_lo, v19, v20
	v_sub_f32_e32 v12, v8, v12
	s_cbranch_vccz .LBB157_89
; %bb.88:                               ;   in Loop: Header=BB157_81 Depth=1
	v_div_scale_f32 v7, null, v10, v10, v9
	v_div_scale_f32 v18, vcc_lo, v9, v10, v9
	s_delay_alu instid0(VALU_DEP_2) | instskip(SKIP_2) | instid1(VALU_DEP_1)
	v_rcp_f32_e32 v8, v7
	s_waitcnt_depctr 0xfff
	v_fma_f32 v17, -v7, v8, 1.0
	v_fmac_f32_e32 v8, v17, v8
	s_delay_alu instid0(VALU_DEP_1) | instskip(NEXT) | instid1(VALU_DEP_1)
	v_mul_f32_e32 v17, v18, v8
	v_fma_f32 v19, -v7, v17, v18
	s_delay_alu instid0(VALU_DEP_1) | instskip(NEXT) | instid1(VALU_DEP_1)
	v_fmac_f32_e32 v17, v19, v8
	v_fma_f32 v7, -v7, v17, v18
	s_delay_alu instid0(VALU_DEP_1) | instskip(NEXT) | instid1(VALU_DEP_1)
	v_div_fmas_f32 v7, v7, v8, v17
	v_div_fixup_f32 v7, v7, v10, v9
	s_delay_alu instid0(VALU_DEP_1) | instskip(NEXT) | instid1(VALU_DEP_1)
	v_fma_f32 v8, v9, v7, v10
	v_div_scale_f32 v17, null, v8, v8, 1.0
	v_div_scale_f32 v20, vcc_lo, 1.0, v8, 1.0
	s_delay_alu instid0(VALU_DEP_2) | instskip(SKIP_2) | instid1(VALU_DEP_1)
	v_rcp_f32_e32 v18, v17
	s_waitcnt_depctr 0xfff
	v_fma_f32 v19, -v17, v18, 1.0
	v_fmac_f32_e32 v18, v19, v18
	s_delay_alu instid0(VALU_DEP_1) | instskip(NEXT) | instid1(VALU_DEP_1)
	v_mul_f32_e32 v19, v20, v18
	v_fma_f32 v21, -v17, v19, v20
	s_delay_alu instid0(VALU_DEP_1) | instskip(NEXT) | instid1(VALU_DEP_1)
	v_fmac_f32_e32 v19, v21, v18
	v_fma_f32 v17, -v17, v19, v20
	s_delay_alu instid0(VALU_DEP_1) | instskip(SKIP_1) | instid1(VALU_DEP_2)
	v_div_fmas_f32 v17, v17, v18, v19
	v_fma_f32 v18, v7, v11, v12
	v_div_fixup_f32 v8, v17, v8, 1.0
	v_fma_f32 v17, v7, v12, -v11
	s_delay_alu instid0(VALU_DEP_2) | instskip(NEXT) | instid1(VALU_DEP_2)
	v_mul_f32_e32 v7, v18, v8
	v_mul_f32_e32 v8, v17, v8
	s_cbranch_execz .LBB157_90
	s_branch .LBB157_91
.LBB157_89:                             ;   in Loop: Header=BB157_81 Depth=1
                                        ; implicit-def: $vgpr8
.LBB157_90:                             ;   in Loop: Header=BB157_81 Depth=1
	v_div_scale_f32 v7, null, v9, v9, v10
	v_div_scale_f32 v18, vcc_lo, v10, v9, v10
	s_delay_alu instid0(VALU_DEP_2) | instskip(SKIP_2) | instid1(VALU_DEP_1)
	v_rcp_f32_e32 v8, v7
	s_waitcnt_depctr 0xfff
	v_fma_f32 v17, -v7, v8, 1.0
	v_fmac_f32_e32 v8, v17, v8
	s_delay_alu instid0(VALU_DEP_1) | instskip(NEXT) | instid1(VALU_DEP_1)
	v_mul_f32_e32 v17, v18, v8
	v_fma_f32 v19, -v7, v17, v18
	s_delay_alu instid0(VALU_DEP_1) | instskip(NEXT) | instid1(VALU_DEP_1)
	v_fmac_f32_e32 v17, v19, v8
	v_fma_f32 v7, -v7, v17, v18
	s_delay_alu instid0(VALU_DEP_1) | instskip(NEXT) | instid1(VALU_DEP_1)
	v_div_fmas_f32 v7, v7, v8, v17
	v_div_fixup_f32 v7, v7, v9, v10
	s_delay_alu instid0(VALU_DEP_1) | instskip(NEXT) | instid1(VALU_DEP_1)
	v_fmac_f32_e32 v9, v10, v7
	v_div_scale_f32 v8, null, v9, v9, 1.0
	v_div_scale_f32 v18, vcc_lo, 1.0, v9, 1.0
	s_delay_alu instid0(VALU_DEP_2) | instskip(SKIP_2) | instid1(VALU_DEP_1)
	v_rcp_f32_e32 v10, v8
	s_waitcnt_depctr 0xfff
	v_fma_f32 v17, -v8, v10, 1.0
	v_fmac_f32_e32 v10, v17, v10
	s_delay_alu instid0(VALU_DEP_1) | instskip(NEXT) | instid1(VALU_DEP_1)
	v_mul_f32_e32 v17, v18, v10
	v_fma_f32 v19, -v8, v17, v18
	s_delay_alu instid0(VALU_DEP_1) | instskip(NEXT) | instid1(VALU_DEP_1)
	v_fmac_f32_e32 v17, v19, v10
	v_fma_f32 v8, -v8, v17, v18
	s_delay_alu instid0(VALU_DEP_1) | instskip(SKIP_1) | instid1(VALU_DEP_2)
	v_div_fmas_f32 v8, v8, v10, v17
	v_fma_f32 v10, v7, v12, v11
	v_div_fixup_f32 v8, v8, v9, 1.0
	v_fma_f32 v9, -v7, v11, v12
	s_delay_alu instid0(VALU_DEP_2) | instskip(NEXT) | instid1(VALU_DEP_2)
	v_mul_f32_e32 v7, v10, v8
	v_mul_f32_e32 v8, v9, v8
.LBB157_91:                             ;   in Loop: Header=BB157_81 Depth=1
	s_add_i32 s14, s5, -2
	s_addk_i32 s10, 0xff58
	s_add_i32 s15, s7, s14
	s_add_i32 s14, s9, s14
	s_lshl_b32 s15, s15, 3
	s_lshl_b32 s14, s14, 3
	s_delay_alu instid0(SALU_CYCLE_1)
	v_dual_mov_b32 v9, s15 :: v_dual_mov_b32 v10, s14
	v_mov_b32_e32 v19, s10
	ds_load_b64 v[11:12], v9
	ds_load_b64 v[17:18], v10
	;; [unrolled: 1-line block ×3, first 2 shown]
	ds_store_b64 v16, v[7:8]
	s_waitcnt lgkmcnt(2)
	v_dual_mul_f32 v19, v6, v12 :: v_dual_mul_f32 v20, v8, v18
	s_waitcnt lgkmcnt(1)
	v_cmp_gt_f32_e32 vcc_lo, 0, v9
	v_mul_f32_e32 v12, v5, v12
	v_mul_f32_e32 v18, v7, v18
	v_fma_f32 v19, v5, v11, -v19
	v_fma_f32 v20, v7, v17, -v20
	v_cndmask_b32_e64 v21, v9, -v9, vcc_lo
	v_cmp_gt_f32_e32 vcc_lo, 0, v10
	s_delay_alu instid0(VALU_DEP_4) | instskip(SKIP_2) | instid1(VALU_DEP_3)
	v_dual_fmac_f32 v18, v8, v17 :: v_dual_sub_f32 v3, v3, v19
	v_fmac_f32_e32 v12, v6, v11
	v_cndmask_b32_e64 v11, v10, -v10, vcc_lo
	v_sub_f32_e32 v3, v3, v20
	s_delay_alu instid0(VALU_DEP_3) | instskip(NEXT) | instid1(VALU_DEP_3)
	v_sub_f32_e32 v4, v4, v12
	v_cmp_ngt_f32_e32 vcc_lo, v21, v11
	s_delay_alu instid0(VALU_DEP_2)
	v_sub_f32_e32 v4, v4, v18
	s_cbranch_vccz .LBB157_93
; %bb.92:                               ;   in Loop: Header=BB157_81 Depth=1
	v_div_scale_f32 v11, null, v10, v10, v9
	v_div_scale_f32 v17, vcc_lo, v9, v10, v9
	s_delay_alu instid0(VALU_DEP_2) | instskip(SKIP_2) | instid1(VALU_DEP_1)
	v_rcp_f32_e32 v12, v11
	s_waitcnt_depctr 0xfff
	v_fma_f32 v16, -v11, v12, 1.0
	v_fmac_f32_e32 v12, v16, v12
	s_delay_alu instid0(VALU_DEP_1) | instskip(NEXT) | instid1(VALU_DEP_1)
	v_mul_f32_e32 v16, v17, v12
	v_fma_f32 v18, -v11, v16, v17
	s_delay_alu instid0(VALU_DEP_1) | instskip(NEXT) | instid1(VALU_DEP_1)
	v_fmac_f32_e32 v16, v18, v12
	v_fma_f32 v11, -v11, v16, v17
	s_delay_alu instid0(VALU_DEP_1) | instskip(NEXT) | instid1(VALU_DEP_1)
	v_div_fmas_f32 v11, v11, v12, v16
	v_div_fixup_f32 v11, v11, v10, v9
	s_delay_alu instid0(VALU_DEP_1) | instskip(NEXT) | instid1(VALU_DEP_1)
	v_fma_f32 v12, v9, v11, v10
	v_div_scale_f32 v16, null, v12, v12, 1.0
	v_div_scale_f32 v19, vcc_lo, 1.0, v12, 1.0
	s_delay_alu instid0(VALU_DEP_2) | instskip(SKIP_2) | instid1(VALU_DEP_1)
	v_rcp_f32_e32 v17, v16
	s_waitcnt_depctr 0xfff
	v_fma_f32 v18, -v16, v17, 1.0
	v_fmac_f32_e32 v17, v18, v17
	s_delay_alu instid0(VALU_DEP_1) | instskip(NEXT) | instid1(VALU_DEP_1)
	v_mul_f32_e32 v18, v19, v17
	v_fma_f32 v20, -v16, v18, v19
	s_delay_alu instid0(VALU_DEP_1) | instskip(NEXT) | instid1(VALU_DEP_1)
	v_fmac_f32_e32 v18, v20, v17
	v_fma_f32 v16, -v16, v18, v19
	s_delay_alu instid0(VALU_DEP_1) | instskip(SKIP_1) | instid1(VALU_DEP_2)
	v_div_fmas_f32 v16, v16, v17, v18
	v_fma_f32 v17, v11, v3, v4
	v_div_fixup_f32 v12, v16, v12, 1.0
	v_fma_f32 v16, v11, v4, -v3
	s_delay_alu instid0(VALU_DEP_2) | instskip(NEXT) | instid1(VALU_DEP_2)
	v_mul_f32_e32 v11, v17, v12
	v_mul_f32_e32 v12, v16, v12
	s_cbranch_execz .LBB157_94
	s_branch .LBB157_95
.LBB157_93:                             ;   in Loop: Header=BB157_81 Depth=1
                                        ; implicit-def: $vgpr12
.LBB157_94:                             ;   in Loop: Header=BB157_81 Depth=1
	v_div_scale_f32 v11, null, v9, v9, v10
	v_div_scale_f32 v17, vcc_lo, v10, v9, v10
	s_delay_alu instid0(VALU_DEP_2) | instskip(SKIP_2) | instid1(VALU_DEP_1)
	v_rcp_f32_e32 v12, v11
	s_waitcnt_depctr 0xfff
	v_fma_f32 v16, -v11, v12, 1.0
	v_fmac_f32_e32 v12, v16, v12
	s_delay_alu instid0(VALU_DEP_1) | instskip(NEXT) | instid1(VALU_DEP_1)
	v_mul_f32_e32 v16, v17, v12
	v_fma_f32 v18, -v11, v16, v17
	s_delay_alu instid0(VALU_DEP_1) | instskip(NEXT) | instid1(VALU_DEP_1)
	v_fmac_f32_e32 v16, v18, v12
	v_fma_f32 v11, -v11, v16, v17
	s_delay_alu instid0(VALU_DEP_1) | instskip(NEXT) | instid1(VALU_DEP_1)
	v_div_fmas_f32 v11, v11, v12, v16
	v_div_fixup_f32 v11, v11, v9, v10
	s_delay_alu instid0(VALU_DEP_1) | instskip(NEXT) | instid1(VALU_DEP_1)
	v_fmac_f32_e32 v9, v10, v11
	v_div_scale_f32 v10, null, v9, v9, 1.0
	v_div_scale_f32 v17, vcc_lo, 1.0, v9, 1.0
	s_delay_alu instid0(VALU_DEP_2) | instskip(SKIP_2) | instid1(VALU_DEP_1)
	v_rcp_f32_e32 v12, v10
	s_waitcnt_depctr 0xfff
	v_fma_f32 v16, -v10, v12, 1.0
	v_fmac_f32_e32 v12, v16, v12
	s_delay_alu instid0(VALU_DEP_1) | instskip(NEXT) | instid1(VALU_DEP_1)
	v_mul_f32_e32 v16, v17, v12
	v_fma_f32 v18, -v10, v16, v17
	s_delay_alu instid0(VALU_DEP_1) | instskip(NEXT) | instid1(VALU_DEP_1)
	v_fmac_f32_e32 v16, v18, v12
	v_fma_f32 v10, -v10, v16, v17
	s_delay_alu instid0(VALU_DEP_1) | instskip(SKIP_2) | instid1(VALU_DEP_3)
	v_div_fmas_f32 v10, v10, v12, v16
	v_fma_f32 v12, v11, v4, v3
	v_fma_f32 v3, -v11, v3, v4
	v_div_fixup_f32 v9, v10, v9, 1.0
	s_delay_alu instid0(VALU_DEP_1) | instskip(NEXT) | instid1(VALU_DEP_3)
	v_mul_f32_e32 v11, v12, v9
	v_mul_f32_e32 v12, v3, v9
.LBB157_95:                             ;   in Loop: Header=BB157_81 Depth=1
	s_add_i32 s14, s5, -3
	s_delay_alu instid0(SALU_CYCLE_1) | instskip(SKIP_3) | instid1(SALU_CYCLE_1)
	s_add_i32 s7, s7, s14
	s_add_i32 s9, s9, s14
	s_lshl_b32 s7, s7, 3
	s_lshl_b32 s9, s9, 3
	v_dual_mov_b32 v3, s7 :: v_dual_mov_b32 v4, s9
	s_add_i32 s6, s6, s14
	s_delay_alu instid0(SALU_CYCLE_1) | instskip(SKIP_4) | instid1(SALU_CYCLE_1)
	s_lshl_b32 s6, s6, 3
	ds_load_b64 v[9:10], v3
	ds_load_b64 v[16:17], v4
	v_mov_b32_e32 v18, s6
	s_add_i32 s6, s10, 0xffffff58
	v_mov_b32_e32 v3, s6
	ds_load_b64 v[18:19], v18
	ds_load_b64 v[3:4], v3
	ds_store_b64 v15, v[11:12]
	s_waitcnt lgkmcnt(3)
	v_dual_mul_f32 v20, v6, v10 :: v_dual_mul_f32 v21, v8, v17
	v_dual_mul_f32 v10, v5, v10 :: v_dual_mul_f32 v17, v7, v17
	s_delay_alu instid0(VALU_DEP_2) | instskip(NEXT) | instid1(VALU_DEP_3)
	v_fma_f32 v5, v5, v9, -v20
	v_fma_f32 v7, v7, v16, -v21
	s_delay_alu instid0(VALU_DEP_3)
	v_fmac_f32_e32 v10, v6, v9
	s_waitcnt lgkmcnt(2)
	v_mul_f32_e32 v22, v12, v19
	s_waitcnt lgkmcnt(1)
	v_cmp_gt_f32_e32 vcc_lo, 0, v3
	v_sub_f32_e32 v1, v1, v5
	v_mul_f32_e32 v19, v11, v19
	v_dual_fmac_f32 v17, v8, v16 :: v_dual_sub_f32 v2, v2, v10
	v_cndmask_b32_e64 v6, v3, -v3, vcc_lo
	v_cmp_gt_f32_e32 vcc_lo, 0, v4
	v_fma_f32 v8, v11, v18, -v22
	s_delay_alu instid0(VALU_DEP_4) | instskip(SKIP_2) | instid1(VALU_DEP_1)
	v_dual_fmac_f32 v19, v12, v18 :: v_dual_sub_f32 v2, v2, v17
	v_sub_f32_e32 v1, v1, v7
	v_cndmask_b32_e64 v5, v4, -v4, vcc_lo
	v_cmp_ngt_f32_e32 vcc_lo, v6, v5
	s_delay_alu instid0(VALU_DEP_3)
	v_dual_sub_f32 v5, v1, v8 :: v_dual_sub_f32 v6, v2, v19
	s_cbranch_vccz .LBB157_97
; %bb.96:                               ;   in Loop: Header=BB157_81 Depth=1
	v_div_scale_f32 v1, null, v4, v4, v3
	v_div_scale_f32 v8, vcc_lo, v3, v4, v3
	s_delay_alu instid0(VALU_DEP_2) | instskip(SKIP_2) | instid1(VALU_DEP_1)
	v_rcp_f32_e32 v2, v1
	s_waitcnt_depctr 0xfff
	v_fma_f32 v7, -v1, v2, 1.0
	v_fmac_f32_e32 v2, v7, v2
	s_delay_alu instid0(VALU_DEP_1) | instskip(NEXT) | instid1(VALU_DEP_1)
	v_mul_f32_e32 v7, v8, v2
	v_fma_f32 v9, -v1, v7, v8
	s_delay_alu instid0(VALU_DEP_1) | instskip(NEXT) | instid1(VALU_DEP_1)
	v_fmac_f32_e32 v7, v9, v2
	v_fma_f32 v1, -v1, v7, v8
	s_delay_alu instid0(VALU_DEP_1) | instskip(NEXT) | instid1(VALU_DEP_1)
	v_div_fmas_f32 v1, v1, v2, v7
	v_div_fixup_f32 v1, v1, v4, v3
	s_delay_alu instid0(VALU_DEP_1) | instskip(NEXT) | instid1(VALU_DEP_1)
	v_fma_f32 v2, v3, v1, v4
	v_div_scale_f32 v7, null, v2, v2, 1.0
	v_div_scale_f32 v10, vcc_lo, 1.0, v2, 1.0
	s_delay_alu instid0(VALU_DEP_2) | instskip(SKIP_2) | instid1(VALU_DEP_1)
	v_rcp_f32_e32 v8, v7
	s_waitcnt_depctr 0xfff
	v_fma_f32 v9, -v7, v8, 1.0
	v_fmac_f32_e32 v8, v9, v8
	s_delay_alu instid0(VALU_DEP_1) | instskip(NEXT) | instid1(VALU_DEP_1)
	v_mul_f32_e32 v9, v10, v8
	v_fma_f32 v11, -v7, v9, v10
	s_delay_alu instid0(VALU_DEP_1) | instskip(NEXT) | instid1(VALU_DEP_1)
	v_fmac_f32_e32 v9, v11, v8
	v_fma_f32 v7, -v7, v9, v10
	s_delay_alu instid0(VALU_DEP_1) | instskip(SKIP_1) | instid1(VALU_DEP_2)
	v_div_fmas_f32 v7, v7, v8, v9
	v_fma_f32 v8, v1, v5, v6
	v_div_fixup_f32 v2, v7, v2, 1.0
	v_fma_f32 v7, v1, v6, -v5
	s_delay_alu instid0(VALU_DEP_2) | instskip(NEXT) | instid1(VALU_DEP_2)
	v_mul_f32_e32 v1, v8, v2
	v_mul_f32_e32 v2, v7, v2
	s_cbranch_execz .LBB157_98
	s_branch .LBB157_99
.LBB157_97:                             ;   in Loop: Header=BB157_81 Depth=1
                                        ; implicit-def: $vgpr2
.LBB157_98:                             ;   in Loop: Header=BB157_81 Depth=1
	v_div_scale_f32 v1, null, v3, v3, v4
	v_div_scale_f32 v8, vcc_lo, v4, v3, v4
	s_delay_alu instid0(VALU_DEP_2) | instskip(SKIP_2) | instid1(VALU_DEP_1)
	v_rcp_f32_e32 v2, v1
	s_waitcnt_depctr 0xfff
	v_fma_f32 v7, -v1, v2, 1.0
	v_fmac_f32_e32 v2, v7, v2
	s_delay_alu instid0(VALU_DEP_1) | instskip(NEXT) | instid1(VALU_DEP_1)
	v_mul_f32_e32 v7, v8, v2
	v_fma_f32 v9, -v1, v7, v8
	s_delay_alu instid0(VALU_DEP_1) | instskip(NEXT) | instid1(VALU_DEP_1)
	v_fmac_f32_e32 v7, v9, v2
	v_fma_f32 v1, -v1, v7, v8
	s_delay_alu instid0(VALU_DEP_1) | instskip(NEXT) | instid1(VALU_DEP_1)
	v_div_fmas_f32 v1, v1, v2, v7
	v_div_fixup_f32 v1, v1, v3, v4
	s_delay_alu instid0(VALU_DEP_1) | instskip(NEXT) | instid1(VALU_DEP_1)
	v_fmac_f32_e32 v3, v4, v1
	v_div_scale_f32 v2, null, v3, v3, 1.0
	v_div_scale_f32 v8, vcc_lo, 1.0, v3, 1.0
	s_delay_alu instid0(VALU_DEP_2) | instskip(SKIP_2) | instid1(VALU_DEP_1)
	v_rcp_f32_e32 v4, v2
	s_waitcnt_depctr 0xfff
	v_fma_f32 v7, -v2, v4, 1.0
	v_fmac_f32_e32 v4, v7, v4
	s_delay_alu instid0(VALU_DEP_1) | instskip(NEXT) | instid1(VALU_DEP_1)
	v_mul_f32_e32 v7, v8, v4
	v_fma_f32 v9, -v2, v7, v8
	s_delay_alu instid0(VALU_DEP_1) | instskip(NEXT) | instid1(VALU_DEP_1)
	v_fmac_f32_e32 v7, v9, v4
	v_fma_f32 v2, -v2, v7, v8
	s_delay_alu instid0(VALU_DEP_1) | instskip(SKIP_1) | instid1(VALU_DEP_2)
	v_div_fmas_f32 v2, v2, v4, v7
	v_fma_f32 v4, v1, v6, v5
	v_div_fixup_f32 v2, v2, v3, 1.0
	v_fma_f32 v3, -v1, v5, v6
	s_delay_alu instid0(VALU_DEP_2) | instskip(NEXT) | instid1(VALU_DEP_2)
	v_mul_f32_e32 v1, v4, v2
	v_mul_f32_e32 v2, v3, v2
.LBB157_99:                             ;   in Loop: Header=BB157_81 Depth=1
	s_add_i32 s6, s5, -4
	s_sub_i32 s4, s4, 32
	s_cmp_lt_i32 s5, 7
	ds_store_b64 v14, v[1:2]
	s_cbranch_scc1 .LBB157_101
; %bb.100:                              ;   in Loop: Header=BB157_81 Depth=1
	s_mov_b32 s5, s6
	s_branch .LBB157_81
.LBB157_101:
	s_cmp_lt_i32 s6, 0
	s_cbranch_scc1 .LBB157_110
; %bb.102:
	v_lshlrev_b32_e32 v1, 3, v0
	s_mul_i32 s4, s11, 0xa0
	s_lshl_b32 s5, s6, 3
	s_delay_alu instid0(VALU_DEP_1) | instskip(SKIP_1) | instid1(SALU_CYCLE_1)
	v_add3_u32 v7, s4, v1, 0xbe0
	s_add_i32 s4, s4, s5
	s_addk_i32 s4, 0xff60
	s_branch .LBB157_104
.LBB157_103:                            ;   in Loop: Header=BB157_104 Depth=1
	s_add_i32 s5, s6, -1
	s_add_i32 s4, s4, -8
	s_cmp_lt_i32 s6, 1
	s_mov_b32 s6, s5
	ds_store_b64 v8, v[5:6]
	s_cbranch_scc1 .LBB157_110
.LBB157_104:                            ; =>This Loop Header: Depth=1
                                        ;     Child Loop BB157_105 Depth 2
	s_mul_i32 s5, s6, 20
	v_mov_b32_e32 v4, v7
	v_add_lshl_u32 v3, s5, v0, 3
	s_cmp_le_i32 s30, s6
	s_mov_b32 s5, s4
	s_mov_b32 s7, s30
	ds_load_b64 v[1:2], v3 offset:3200
	s_cbranch_scc1 .LBB157_106
	.p2align	6
.LBB157_105:                            ;   Parent Loop BB157_104 Depth=1
                                        ; =>  This Inner Loop Header: Depth=2
	v_mov_b32_e32 v8, s5
	s_add_i32 s7, s7, -1
	s_addk_i32 s5, 0xff60
	s_cmp_le_i32 s7, s6
	ds_load_b64 v[5:6], v4
	ds_load_b64 v[8:9], v8
	v_add_nc_u32_e32 v4, 0xffffff60, v4
	s_waitcnt lgkmcnt(0)
	v_mul_f32_e32 v10, v9, v6
	v_mul_f32_e32 v6, v8, v6
	s_delay_alu instid0(VALU_DEP_2) | instskip(NEXT) | instid1(VALU_DEP_1)
	v_fma_f32 v8, v8, v5, -v10
	v_sub_f32_e32 v1, v1, v8
	s_delay_alu instid0(VALU_DEP_3) | instskip(NEXT) | instid1(VALU_DEP_1)
	v_fmac_f32_e32 v6, v9, v5
	v_sub_f32_e32 v2, v2, v6
	s_cbranch_scc0 .LBB157_105
.LBB157_106:                            ;   in Loop: Header=BB157_104 Depth=1
	s_mul_i32 s5, s6, 0xa8
	s_delay_alu instid0(SALU_CYCLE_1)
	v_dual_mov_b32 v3, s5 :: v_dual_add_nc_u32 v8, 0xc80, v3
	ds_load_b64 v[3:4], v3
	s_waitcnt lgkmcnt(0)
	v_cmp_gt_f32_e32 vcc_lo, 0, v3
	v_cndmask_b32_e64 v5, v3, -v3, vcc_lo
	v_cmp_gt_f32_e32 vcc_lo, 0, v4
	v_cndmask_b32_e64 v6, v4, -v4, vcc_lo
	s_delay_alu instid0(VALU_DEP_1)
	v_cmp_ngt_f32_e32 vcc_lo, v5, v6
	s_cbranch_vccz .LBB157_108
; %bb.107:                              ;   in Loop: Header=BB157_104 Depth=1
	v_div_scale_f32 v5, null, v4, v4, v3
	v_div_scale_f32 v10, vcc_lo, v3, v4, v3
	s_delay_alu instid0(VALU_DEP_2) | instskip(SKIP_2) | instid1(VALU_DEP_1)
	v_rcp_f32_e32 v6, v5
	s_waitcnt_depctr 0xfff
	v_fma_f32 v9, -v5, v6, 1.0
	v_fmac_f32_e32 v6, v9, v6
	s_delay_alu instid0(VALU_DEP_1) | instskip(NEXT) | instid1(VALU_DEP_1)
	v_mul_f32_e32 v9, v10, v6
	v_fma_f32 v11, -v5, v9, v10
	s_delay_alu instid0(VALU_DEP_1) | instskip(NEXT) | instid1(VALU_DEP_1)
	v_fmac_f32_e32 v9, v11, v6
	v_fma_f32 v5, -v5, v9, v10
	s_delay_alu instid0(VALU_DEP_1) | instskip(NEXT) | instid1(VALU_DEP_1)
	v_div_fmas_f32 v5, v5, v6, v9
	v_div_fixup_f32 v5, v5, v4, v3
	s_delay_alu instid0(VALU_DEP_1) | instskip(NEXT) | instid1(VALU_DEP_1)
	v_fma_f32 v6, v3, v5, v4
	v_div_scale_f32 v9, null, v6, v6, 1.0
	v_div_scale_f32 v12, vcc_lo, 1.0, v6, 1.0
	s_delay_alu instid0(VALU_DEP_2) | instskip(SKIP_2) | instid1(VALU_DEP_1)
	v_rcp_f32_e32 v10, v9
	s_waitcnt_depctr 0xfff
	v_fma_f32 v11, -v9, v10, 1.0
	v_fmac_f32_e32 v10, v11, v10
	s_delay_alu instid0(VALU_DEP_1) | instskip(NEXT) | instid1(VALU_DEP_1)
	v_mul_f32_e32 v11, v12, v10
	v_fma_f32 v13, -v9, v11, v12
	s_delay_alu instid0(VALU_DEP_1) | instskip(NEXT) | instid1(VALU_DEP_1)
	v_fmac_f32_e32 v11, v13, v10
	v_fma_f32 v9, -v9, v11, v12
	s_delay_alu instid0(VALU_DEP_1) | instskip(SKIP_1) | instid1(VALU_DEP_2)
	v_div_fmas_f32 v9, v9, v10, v11
	v_fma_f32 v10, v1, v5, v2
	v_div_fixup_f32 v6, v9, v6, 1.0
	v_fma_f32 v9, v2, v5, -v1
	s_delay_alu instid0(VALU_DEP_2) | instskip(NEXT) | instid1(VALU_DEP_2)
	v_mul_f32_e32 v5, v10, v6
	v_mul_f32_e32 v6, v9, v6
	s_cbranch_execnz .LBB157_103
	s_branch .LBB157_109
.LBB157_108:                            ;   in Loop: Header=BB157_104 Depth=1
                                        ; implicit-def: $vgpr5
.LBB157_109:                            ;   in Loop: Header=BB157_104 Depth=1
	v_div_scale_f32 v5, null, v3, v3, v4
	v_div_scale_f32 v10, vcc_lo, v4, v3, v4
	s_delay_alu instid0(VALU_DEP_2) | instskip(SKIP_2) | instid1(VALU_DEP_1)
	v_rcp_f32_e32 v6, v5
	s_waitcnt_depctr 0xfff
	v_fma_f32 v9, -v5, v6, 1.0
	v_fmac_f32_e32 v6, v9, v6
	s_delay_alu instid0(VALU_DEP_1) | instskip(NEXT) | instid1(VALU_DEP_1)
	v_mul_f32_e32 v9, v10, v6
	v_fma_f32 v11, -v5, v9, v10
	s_delay_alu instid0(VALU_DEP_1) | instskip(NEXT) | instid1(VALU_DEP_1)
	v_fmac_f32_e32 v9, v11, v6
	v_fma_f32 v5, -v5, v9, v10
	s_delay_alu instid0(VALU_DEP_1) | instskip(NEXT) | instid1(VALU_DEP_1)
	v_div_fmas_f32 v5, v5, v6, v9
	v_div_fixup_f32 v5, v5, v3, v4
	s_delay_alu instid0(VALU_DEP_1) | instskip(NEXT) | instid1(VALU_DEP_1)
	v_fmac_f32_e32 v3, v4, v5
	v_div_scale_f32 v4, null, v3, v3, 1.0
	v_div_scale_f32 v10, vcc_lo, 1.0, v3, 1.0
	s_delay_alu instid0(VALU_DEP_2) | instskip(SKIP_2) | instid1(VALU_DEP_1)
	v_rcp_f32_e32 v6, v4
	s_waitcnt_depctr 0xfff
	v_fma_f32 v9, -v4, v6, 1.0
	v_fmac_f32_e32 v6, v9, v6
	s_delay_alu instid0(VALU_DEP_1) | instskip(NEXT) | instid1(VALU_DEP_1)
	v_mul_f32_e32 v9, v10, v6
	v_fma_f32 v11, -v4, v9, v10
	s_delay_alu instid0(VALU_DEP_1) | instskip(NEXT) | instid1(VALU_DEP_1)
	v_fmac_f32_e32 v9, v11, v6
	v_fma_f32 v4, -v4, v9, v10
	s_delay_alu instid0(VALU_DEP_1) | instskip(SKIP_2) | instid1(VALU_DEP_3)
	v_div_fmas_f32 v4, v4, v6, v9
	v_fma_f32 v6, v2, v5, v1
	v_fma_f32 v1, -v1, v5, v2
	v_div_fixup_f32 v3, v4, v3, 1.0
	s_delay_alu instid0(VALU_DEP_1) | instskip(NEXT) | instid1(VALU_DEP_3)
	v_mul_f32_e32 v5, v6, v3
	v_mul_f32_e32 v6, v1, v3
	s_branch .LBB157_103
.LBB157_110:
	s_mov_b32 s4, 0
.LBB157_111:
	s_delay_alu instid0(SALU_CYCLE_1)
	s_and_not1_b32 vcc_lo, exec_lo, s4
	s_cbranch_vccnz .LBB157_143
; %bb.112:
	s_and_not1_b32 vcc_lo, exec_lo, s1
	s_mul_i32 s1, s11, 0xa0
	s_mov_b32 s6, s30
	s_cbranch_vccnz .LBB157_134
; %bb.113:
	v_lshlrev_b32_e32 v1, 3, v0
	s_mul_i32 s4, s11, 0xa8
	s_mov_b32 s5, s30
	s_addk_i32 s4, 0xfd70
	s_delay_alu instid0(VALU_DEP_1)
	v_add3_u32 v13, s1, v1, 0xb40
.LBB157_114:                            ; =>This Loop Header: Depth=1
                                        ;     Child Loop BB157_115 Depth 2
	s_mul_i32 s6, s5, 20
	s_delay_alu instid0(VALU_DEP_1)
	v_mov_b32_e32 v14, v13
	s_sub_i32 s9, s6, 20
	v_add_lshl_u32 v3, s6, v0, 3
	s_sub_i32 s7, s6, 40
	v_add_lshl_u32 v4, s9, v0, 3
	;; [unrolled: 2-line block ×3, first 2 shown]
	v_add_lshl_u32 v10, s6, v0, 3
	ds_load_b64 v[1:2], v3 offset:3200
	ds_load_b64 v[11:12], v4 offset:3200
	;; [unrolled: 1-line block ×4, first 2 shown]
	s_cmp_le_i32 s30, s5
	s_mov_b32 s9, s4
	s_mov_b32 s10, s30
	s_cbranch_scc1 .LBB157_116
.LBB157_115:                            ;   Parent Loop BB157_114 Depth=1
                                        ; =>  This Inner Loop Header: Depth=2
	v_mov_b32_e32 v31, s9
	ds_load_2addr_b64 v[15:18], v14 offset1:20
	v_add_nc_u32_e32 v14, 0xfffffec0, v14
	s_add_i32 s10, s10, -2
	s_add_i32 s9, s9, -16
	ds_load_2addr_b64 v[19:22], v31 offset0:60 offset1:61
	ds_load_2addr_b64 v[23:26], v31 offset0:40 offset1:41
	;; [unrolled: 1-line block ×3, first 2 shown]
	ds_load_2addr_b64 v[31:34], v31 offset1:1
	s_cmp_le_i32 s10, s5
	s_waitcnt lgkmcnt(3)
	v_dual_mul_f32 v35, v22, v18 :: v_dual_mul_f32 v40, v20, v16
	v_dual_mul_f32 v36, v21, v18 :: v_dual_mul_f32 v41, v19, v16
	s_waitcnt lgkmcnt(2)
	v_dual_mul_f32 v37, v26, v18 :: v_dual_mul_f32 v42, v24, v16
	s_waitcnt lgkmcnt(1)
	v_dual_mul_f32 v26, v26, v17 :: v_dual_mul_f32 v43, v28, v16
	v_dual_mul_f32 v38, v30, v18 :: v_dual_fmac_f32 v41, v20, v15
	v_fma_f32 v21, v21, v17, -v35
	s_waitcnt lgkmcnt(0)
	v_dual_mul_f32 v39, v34, v18 :: v_dual_mul_f32 v24, v24, v15
	v_mul_f32_e32 v28, v28, v15
	v_fmac_f32_e32 v36, v22, v17
	v_fma_f32 v22, v25, v17, -v37
	v_mul_f32_e32 v30, v30, v17
	v_fma_f32 v20, v27, v15, -v43
	v_fmac_f32_e32 v26, v25, v18
	v_fma_f32 v25, v29, v17, -v38
	v_sub_f32_e32 v1, v1, v21
	v_mul_f32_e32 v34, v34, v17
	v_mul_f32_e32 v44, v32, v16
	v_fma_f32 v17, v33, v17, -v39
	v_dual_sub_f32 v7, v7, v25 :: v_dual_mul_f32 v32, v32, v15
	s_delay_alu instid0(VALU_DEP_4) | instskip(SKIP_1) | instid1(VALU_DEP_4)
	v_fmac_f32_e32 v34, v33, v18
	v_sub_f32_e32 v11, v11, v22
	v_sub_f32_e32 v5, v5, v17
	v_fmac_f32_e32 v30, v29, v18
	v_fma_f32 v18, v19, v15, -v40
	v_fma_f32 v19, v23, v15, -v42
	v_fmac_f32_e32 v28, v27, v16
	v_fma_f32 v15, v31, v15, -v44
	v_fmac_f32_e32 v24, v23, v16
	v_fmac_f32_e32 v32, v31, v16
	v_sub_f32_e32 v8, v8, v30
	s_delay_alu instid0(VALU_DEP_4) | instskip(SKIP_2) | instid1(VALU_DEP_4)
	v_dual_sub_f32 v6, v6, v34 :: v_dual_sub_f32 v5, v5, v15
	v_dual_sub_f32 v11, v11, v19 :: v_dual_sub_f32 v2, v2, v36
	;; [unrolled: 1-line block ×4, first 2 shown]
	s_delay_alu instid0(VALU_DEP_3) | instskip(SKIP_1) | instid1(VALU_DEP_4)
	v_sub_f32_e32 v2, v2, v41
	v_sub_f32_e32 v6, v6, v32
	v_sub_f32_e32 v12, v12, v24
	s_cbranch_scc0 .LBB157_115
.LBB157_116:                            ;   in Loop: Header=BB157_114 Depth=1
	s_mul_i32 s9, s5, 0xa8
	v_add_nc_u32_e32 v17, 0xc80, v3
	v_dual_mov_b32 v3, s9 :: v_dual_add_nc_u32 v16, 0xc80, v4
	v_add_nc_u32_e32 v15, 0xc80, v9
	v_add_nc_u32_e32 v14, 0xc80, v10
	ds_load_b64 v[3:4], v3
	s_waitcnt lgkmcnt(0)
	v_cmp_gt_f32_e32 vcc_lo, 0, v3
	v_cndmask_b32_e64 v9, v3, -v3, vcc_lo
	v_cmp_gt_f32_e32 vcc_lo, 0, v4
	v_cndmask_b32_e64 v10, v4, -v4, vcc_lo
	s_delay_alu instid0(VALU_DEP_1)
	v_cmp_ngt_f32_e32 vcc_lo, v9, v10
	s_cbranch_vccz .LBB157_118
; %bb.117:                              ;   in Loop: Header=BB157_114 Depth=1
	v_div_scale_f32 v9, null, v4, v4, v3
	v_div_scale_f32 v19, vcc_lo, v3, v4, v3
	s_delay_alu instid0(VALU_DEP_2) | instskip(SKIP_2) | instid1(VALU_DEP_1)
	v_rcp_f32_e32 v10, v9
	s_waitcnt_depctr 0xfff
	v_fma_f32 v18, -v9, v10, 1.0
	v_fmac_f32_e32 v10, v18, v10
	s_delay_alu instid0(VALU_DEP_1) | instskip(NEXT) | instid1(VALU_DEP_1)
	v_mul_f32_e32 v18, v19, v10
	v_fma_f32 v20, -v9, v18, v19
	s_delay_alu instid0(VALU_DEP_1) | instskip(NEXT) | instid1(VALU_DEP_1)
	v_fmac_f32_e32 v18, v20, v10
	v_fma_f32 v9, -v9, v18, v19
	s_delay_alu instid0(VALU_DEP_1) | instskip(NEXT) | instid1(VALU_DEP_1)
	v_div_fmas_f32 v9, v9, v10, v18
	v_div_fixup_f32 v9, v9, v4, v3
	s_delay_alu instid0(VALU_DEP_1) | instskip(NEXT) | instid1(VALU_DEP_1)
	v_fma_f32 v10, v3, v9, v4
	v_div_scale_f32 v18, null, v10, v10, 1.0
	v_div_scale_f32 v21, vcc_lo, 1.0, v10, 1.0
	s_delay_alu instid0(VALU_DEP_2) | instskip(SKIP_2) | instid1(VALU_DEP_1)
	v_rcp_f32_e32 v19, v18
	s_waitcnt_depctr 0xfff
	v_fma_f32 v20, -v18, v19, 1.0
	v_fmac_f32_e32 v19, v20, v19
	s_delay_alu instid0(VALU_DEP_1) | instskip(NEXT) | instid1(VALU_DEP_1)
	v_mul_f32_e32 v20, v21, v19
	v_fma_f32 v22, -v18, v20, v21
	s_delay_alu instid0(VALU_DEP_1) | instskip(NEXT) | instid1(VALU_DEP_1)
	v_fmac_f32_e32 v20, v22, v19
	v_fma_f32 v18, -v18, v20, v21
	s_delay_alu instid0(VALU_DEP_1) | instskip(SKIP_1) | instid1(VALU_DEP_2)
	v_div_fmas_f32 v18, v18, v19, v20
	v_fma_f32 v19, v1, v9, v2
	v_div_fixup_f32 v10, v18, v10, 1.0
	v_fma_f32 v18, v2, v9, -v1
	s_delay_alu instid0(VALU_DEP_2) | instskip(NEXT) | instid1(VALU_DEP_2)
	v_mul_f32_e32 v9, v19, v10
	v_mul_f32_e32 v10, v18, v10
	s_cbranch_execz .LBB157_119
	s_branch .LBB157_120
.LBB157_118:                            ;   in Loop: Header=BB157_114 Depth=1
                                        ; implicit-def: $vgpr10
.LBB157_119:                            ;   in Loop: Header=BB157_114 Depth=1
	v_div_scale_f32 v9, null, v3, v3, v4
	v_div_scale_f32 v19, vcc_lo, v4, v3, v4
	s_delay_alu instid0(VALU_DEP_2) | instskip(SKIP_2) | instid1(VALU_DEP_1)
	v_rcp_f32_e32 v10, v9
	s_waitcnt_depctr 0xfff
	v_fma_f32 v18, -v9, v10, 1.0
	v_fmac_f32_e32 v10, v18, v10
	s_delay_alu instid0(VALU_DEP_1) | instskip(NEXT) | instid1(VALU_DEP_1)
	v_mul_f32_e32 v18, v19, v10
	v_fma_f32 v20, -v9, v18, v19
	s_delay_alu instid0(VALU_DEP_1) | instskip(NEXT) | instid1(VALU_DEP_1)
	v_fmac_f32_e32 v18, v20, v10
	v_fma_f32 v9, -v9, v18, v19
	s_delay_alu instid0(VALU_DEP_1) | instskip(NEXT) | instid1(VALU_DEP_1)
	v_div_fmas_f32 v9, v9, v10, v18
	v_div_fixup_f32 v9, v9, v3, v4
	s_delay_alu instid0(VALU_DEP_1) | instskip(NEXT) | instid1(VALU_DEP_1)
	v_fmac_f32_e32 v3, v4, v9
	v_div_scale_f32 v4, null, v3, v3, 1.0
	v_div_scale_f32 v19, vcc_lo, 1.0, v3, 1.0
	s_delay_alu instid0(VALU_DEP_2) | instskip(SKIP_2) | instid1(VALU_DEP_1)
	v_rcp_f32_e32 v10, v4
	s_waitcnt_depctr 0xfff
	v_fma_f32 v18, -v4, v10, 1.0
	v_fmac_f32_e32 v10, v18, v10
	s_delay_alu instid0(VALU_DEP_1) | instskip(NEXT) | instid1(VALU_DEP_1)
	v_mul_f32_e32 v18, v19, v10
	v_fma_f32 v20, -v4, v18, v19
	s_delay_alu instid0(VALU_DEP_1) | instskip(NEXT) | instid1(VALU_DEP_1)
	v_fmac_f32_e32 v18, v20, v10
	v_fma_f32 v4, -v4, v18, v19
	s_delay_alu instid0(VALU_DEP_1) | instskip(SKIP_2) | instid1(VALU_DEP_3)
	v_div_fmas_f32 v4, v4, v10, v18
	v_fma_f32 v10, v2, v9, v1
	v_fma_f32 v1, -v1, v9, v2
	v_div_fixup_f32 v3, v4, v3, 1.0
	s_delay_alu instid0(VALU_DEP_1) | instskip(NEXT) | instid1(VALU_DEP_3)
	v_mul_f32_e32 v9, v10, v3
	v_mul_f32_e32 v10, v1, v3
.LBB157_120:                            ;   in Loop: Header=BB157_114 Depth=1
	s_addk_i32 s9, 0xff58
	ds_store_b64 v17, v[9:10]
	v_mov_b32_e32 v1, s9
	ds_load_2addr_b64 v[1:4], v1 offset1:1
	s_waitcnt lgkmcnt(0)
	v_mul_f32_e32 v18, v10, v4
	v_cmp_gt_f32_e32 vcc_lo, 0, v1
	s_delay_alu instid0(VALU_DEP_2) | instskip(SKIP_4) | instid1(VALU_DEP_2)
	v_fma_f32 v18, v9, v3, -v18
	v_cndmask_b32_e64 v19, v1, -v1, vcc_lo
	v_cmp_gt_f32_e32 vcc_lo, 0, v2
	v_mul_f32_e32 v4, v9, v4
	v_cndmask_b32_e64 v20, v2, -v2, vcc_lo
	v_dual_fmac_f32 v4, v10, v3 :: v_dual_sub_f32 v3, v11, v18
	s_delay_alu instid0(VALU_DEP_2) | instskip(NEXT) | instid1(VALU_DEP_2)
	v_cmp_ngt_f32_e32 vcc_lo, v19, v20
	v_sub_f32_e32 v4, v12, v4
	s_cbranch_vccz .LBB157_122
; %bb.121:                              ;   in Loop: Header=BB157_114 Depth=1
	v_div_scale_f32 v11, null, v2, v2, v1
	v_div_scale_f32 v18, vcc_lo, v1, v2, v1
	s_delay_alu instid0(VALU_DEP_2) | instskip(SKIP_2) | instid1(VALU_DEP_1)
	v_rcp_f32_e32 v12, v11
	s_waitcnt_depctr 0xfff
	v_fma_f32 v17, -v11, v12, 1.0
	v_fmac_f32_e32 v12, v17, v12
	s_delay_alu instid0(VALU_DEP_1) | instskip(NEXT) | instid1(VALU_DEP_1)
	v_mul_f32_e32 v17, v18, v12
	v_fma_f32 v19, -v11, v17, v18
	s_delay_alu instid0(VALU_DEP_1) | instskip(NEXT) | instid1(VALU_DEP_1)
	v_fmac_f32_e32 v17, v19, v12
	v_fma_f32 v11, -v11, v17, v18
	s_delay_alu instid0(VALU_DEP_1) | instskip(NEXT) | instid1(VALU_DEP_1)
	v_div_fmas_f32 v11, v11, v12, v17
	v_div_fixup_f32 v11, v11, v2, v1
	s_delay_alu instid0(VALU_DEP_1) | instskip(NEXT) | instid1(VALU_DEP_1)
	v_fma_f32 v12, v1, v11, v2
	v_div_scale_f32 v17, null, v12, v12, 1.0
	v_div_scale_f32 v20, vcc_lo, 1.0, v12, 1.0
	s_delay_alu instid0(VALU_DEP_2) | instskip(SKIP_2) | instid1(VALU_DEP_1)
	v_rcp_f32_e32 v18, v17
	s_waitcnt_depctr 0xfff
	v_fma_f32 v19, -v17, v18, 1.0
	v_fmac_f32_e32 v18, v19, v18
	s_delay_alu instid0(VALU_DEP_1) | instskip(NEXT) | instid1(VALU_DEP_1)
	v_mul_f32_e32 v19, v20, v18
	v_fma_f32 v21, -v17, v19, v20
	s_delay_alu instid0(VALU_DEP_1) | instskip(NEXT) | instid1(VALU_DEP_1)
	v_fmac_f32_e32 v19, v21, v18
	v_fma_f32 v17, -v17, v19, v20
	s_delay_alu instid0(VALU_DEP_1) | instskip(SKIP_1) | instid1(VALU_DEP_2)
	v_div_fmas_f32 v17, v17, v18, v19
	v_fma_f32 v18, v11, v3, v4
	v_div_fixup_f32 v12, v17, v12, 1.0
	v_fma_f32 v17, v11, v4, -v3
	s_delay_alu instid0(VALU_DEP_2) | instskip(NEXT) | instid1(VALU_DEP_2)
	v_mul_f32_e32 v11, v18, v12
	v_mul_f32_e32 v12, v17, v12
	s_cbranch_execz .LBB157_123
	s_branch .LBB157_124
.LBB157_122:                            ;   in Loop: Header=BB157_114 Depth=1
                                        ; implicit-def: $vgpr12
.LBB157_123:                            ;   in Loop: Header=BB157_114 Depth=1
	v_div_scale_f32 v11, null, v1, v1, v2
	v_div_scale_f32 v18, vcc_lo, v2, v1, v2
	s_delay_alu instid0(VALU_DEP_2) | instskip(SKIP_2) | instid1(VALU_DEP_1)
	v_rcp_f32_e32 v12, v11
	s_waitcnt_depctr 0xfff
	v_fma_f32 v17, -v11, v12, 1.0
	v_fmac_f32_e32 v12, v17, v12
	s_delay_alu instid0(VALU_DEP_1) | instskip(NEXT) | instid1(VALU_DEP_1)
	v_mul_f32_e32 v17, v18, v12
	v_fma_f32 v19, -v11, v17, v18
	s_delay_alu instid0(VALU_DEP_1) | instskip(NEXT) | instid1(VALU_DEP_1)
	v_fmac_f32_e32 v17, v19, v12
	v_fma_f32 v11, -v11, v17, v18
	s_delay_alu instid0(VALU_DEP_1) | instskip(NEXT) | instid1(VALU_DEP_1)
	v_div_fmas_f32 v11, v11, v12, v17
	v_div_fixup_f32 v11, v11, v1, v2
	s_delay_alu instid0(VALU_DEP_1) | instskip(NEXT) | instid1(VALU_DEP_1)
	v_fmac_f32_e32 v1, v2, v11
	v_div_scale_f32 v2, null, v1, v1, 1.0
	v_div_scale_f32 v18, vcc_lo, 1.0, v1, 1.0
	s_delay_alu instid0(VALU_DEP_2) | instskip(SKIP_2) | instid1(VALU_DEP_1)
	v_rcp_f32_e32 v12, v2
	s_waitcnt_depctr 0xfff
	v_fma_f32 v17, -v2, v12, 1.0
	v_fmac_f32_e32 v12, v17, v12
	s_delay_alu instid0(VALU_DEP_1) | instskip(NEXT) | instid1(VALU_DEP_1)
	v_mul_f32_e32 v17, v18, v12
	v_fma_f32 v19, -v2, v17, v18
	s_delay_alu instid0(VALU_DEP_1) | instskip(NEXT) | instid1(VALU_DEP_1)
	v_fmac_f32_e32 v17, v19, v12
	v_fma_f32 v2, -v2, v17, v18
	s_delay_alu instid0(VALU_DEP_1) | instskip(SKIP_1) | instid1(VALU_DEP_2)
	v_div_fmas_f32 v2, v2, v12, v17
	v_fma_f32 v12, v11, v4, v3
	v_div_fixup_f32 v1, v2, v1, 1.0
	v_fma_f32 v2, -v11, v3, v4
	s_delay_alu instid0(VALU_DEP_2) | instskip(NEXT) | instid1(VALU_DEP_2)
	v_mul_f32_e32 v11, v12, v1
	v_mul_f32_e32 v12, v2, v1
.LBB157_124:                            ;   in Loop: Header=BB157_114 Depth=1
	s_add_i32 s7, s7, s5
	s_delay_alu instid0(SALU_CYCLE_1) | instskip(SKIP_1) | instid1(SALU_CYCLE_1)
	s_lshl_b32 s10, s7, 3
	s_add_i32 s7, s9, 0xffffff58
	v_dual_mov_b32 v1, s10 :: v_dual_mov_b32 v2, s7
	ds_load_b64 v[17:18], v1
	ds_load_2addr_b64 v[1:4], v2 offset1:1
	ds_store_b64 v16, v[11:12]
	s_waitcnt lgkmcnt(1)
	v_dual_mul_f32 v19, v10, v18 :: v_dual_mul_f32 v20, v12, v4
	v_cmp_gt_f32_e32 vcc_lo, 0, v1
	v_mul_f32_e32 v4, v11, v4
	s_delay_alu instid0(VALU_DEP_3)
	v_fma_f32 v19, v9, v17, -v19
	v_mul_f32_e32 v18, v9, v18
	v_cndmask_b32_e64 v21, v1, -v1, vcc_lo
	v_cmp_gt_f32_e32 vcc_lo, 0, v2
	v_fma_f32 v20, v11, v3, -v20
	v_fmac_f32_e32 v4, v12, v3
	v_dual_sub_f32 v3, v7, v19 :: v_dual_fmac_f32 v18, v10, v17
	v_cndmask_b32_e64 v17, v2, -v2, vcc_lo
	s_delay_alu instid0(VALU_DEP_2) | instskip(NEXT) | instid1(VALU_DEP_3)
	v_sub_f32_e32 v3, v3, v20
	v_sub_f32_e32 v7, v8, v18
	s_delay_alu instid0(VALU_DEP_3) | instskip(NEXT) | instid1(VALU_DEP_2)
	v_cmp_ngt_f32_e32 vcc_lo, v21, v17
	v_sub_f32_e32 v4, v7, v4
	s_cbranch_vccz .LBB157_126
; %bb.125:                              ;   in Loop: Header=BB157_114 Depth=1
	v_div_scale_f32 v7, null, v2, v2, v1
	v_div_scale_f32 v17, vcc_lo, v1, v2, v1
	s_delay_alu instid0(VALU_DEP_2) | instskip(SKIP_2) | instid1(VALU_DEP_1)
	v_rcp_f32_e32 v8, v7
	s_waitcnt_depctr 0xfff
	v_fma_f32 v16, -v7, v8, 1.0
	v_fmac_f32_e32 v8, v16, v8
	s_delay_alu instid0(VALU_DEP_1) | instskip(NEXT) | instid1(VALU_DEP_1)
	v_mul_f32_e32 v16, v17, v8
	v_fma_f32 v18, -v7, v16, v17
	s_delay_alu instid0(VALU_DEP_1) | instskip(NEXT) | instid1(VALU_DEP_1)
	v_fmac_f32_e32 v16, v18, v8
	v_fma_f32 v7, -v7, v16, v17
	s_delay_alu instid0(VALU_DEP_1) | instskip(NEXT) | instid1(VALU_DEP_1)
	v_div_fmas_f32 v7, v7, v8, v16
	v_div_fixup_f32 v7, v7, v2, v1
	s_delay_alu instid0(VALU_DEP_1) | instskip(NEXT) | instid1(VALU_DEP_1)
	v_fma_f32 v8, v1, v7, v2
	v_div_scale_f32 v16, null, v8, v8, 1.0
	v_div_scale_f32 v19, vcc_lo, 1.0, v8, 1.0
	s_delay_alu instid0(VALU_DEP_2) | instskip(SKIP_2) | instid1(VALU_DEP_1)
	v_rcp_f32_e32 v17, v16
	s_waitcnt_depctr 0xfff
	v_fma_f32 v18, -v16, v17, 1.0
	v_fmac_f32_e32 v17, v18, v17
	s_delay_alu instid0(VALU_DEP_1) | instskip(NEXT) | instid1(VALU_DEP_1)
	v_mul_f32_e32 v18, v19, v17
	v_fma_f32 v20, -v16, v18, v19
	s_delay_alu instid0(VALU_DEP_1) | instskip(NEXT) | instid1(VALU_DEP_1)
	v_fmac_f32_e32 v18, v20, v17
	v_fma_f32 v16, -v16, v18, v19
	s_delay_alu instid0(VALU_DEP_1) | instskip(SKIP_1) | instid1(VALU_DEP_2)
	v_div_fmas_f32 v16, v16, v17, v18
	v_fma_f32 v17, v7, v3, v4
	v_div_fixup_f32 v8, v16, v8, 1.0
	v_fma_f32 v16, v7, v4, -v3
	s_delay_alu instid0(VALU_DEP_2) | instskip(NEXT) | instid1(VALU_DEP_2)
	v_mul_f32_e32 v7, v17, v8
	v_mul_f32_e32 v8, v16, v8
	s_cbranch_execz .LBB157_127
	s_branch .LBB157_128
.LBB157_126:                            ;   in Loop: Header=BB157_114 Depth=1
                                        ; implicit-def: $vgpr8
.LBB157_127:                            ;   in Loop: Header=BB157_114 Depth=1
	v_div_scale_f32 v7, null, v1, v1, v2
	v_div_scale_f32 v17, vcc_lo, v2, v1, v2
	s_delay_alu instid0(VALU_DEP_2) | instskip(SKIP_2) | instid1(VALU_DEP_1)
	v_rcp_f32_e32 v8, v7
	s_waitcnt_depctr 0xfff
	v_fma_f32 v16, -v7, v8, 1.0
	v_fmac_f32_e32 v8, v16, v8
	s_delay_alu instid0(VALU_DEP_1) | instskip(NEXT) | instid1(VALU_DEP_1)
	v_mul_f32_e32 v16, v17, v8
	v_fma_f32 v18, -v7, v16, v17
	s_delay_alu instid0(VALU_DEP_1) | instskip(NEXT) | instid1(VALU_DEP_1)
	v_fmac_f32_e32 v16, v18, v8
	v_fma_f32 v7, -v7, v16, v17
	s_delay_alu instid0(VALU_DEP_1) | instskip(NEXT) | instid1(VALU_DEP_1)
	v_div_fmas_f32 v7, v7, v8, v16
	v_div_fixup_f32 v7, v7, v1, v2
	s_delay_alu instid0(VALU_DEP_1) | instskip(NEXT) | instid1(VALU_DEP_1)
	v_fmac_f32_e32 v1, v2, v7
	v_div_scale_f32 v2, null, v1, v1, 1.0
	v_div_scale_f32 v17, vcc_lo, 1.0, v1, 1.0
	s_delay_alu instid0(VALU_DEP_2) | instskip(SKIP_2) | instid1(VALU_DEP_1)
	v_rcp_f32_e32 v8, v2
	s_waitcnt_depctr 0xfff
	v_fma_f32 v16, -v2, v8, 1.0
	v_fmac_f32_e32 v8, v16, v8
	s_delay_alu instid0(VALU_DEP_1) | instskip(NEXT) | instid1(VALU_DEP_1)
	v_mul_f32_e32 v16, v17, v8
	v_fma_f32 v18, -v2, v16, v17
	s_delay_alu instid0(VALU_DEP_1) | instskip(NEXT) | instid1(VALU_DEP_1)
	v_fmac_f32_e32 v16, v18, v8
	v_fma_f32 v2, -v2, v16, v17
	s_delay_alu instid0(VALU_DEP_1) | instskip(SKIP_1) | instid1(VALU_DEP_2)
	v_div_fmas_f32 v2, v2, v8, v16
	v_fma_f32 v8, v7, v4, v3
	v_div_fixup_f32 v1, v2, v1, 1.0
	v_fma_f32 v2, -v7, v3, v4
	s_delay_alu instid0(VALU_DEP_2) | instskip(NEXT) | instid1(VALU_DEP_2)
	v_mul_f32_e32 v7, v8, v1
	v_mul_f32_e32 v8, v2, v1
.LBB157_128:                            ;   in Loop: Header=BB157_114 Depth=1
	s_add_i32 s6, s5, s6
	s_delay_alu instid0(SALU_CYCLE_1) | instskip(NEXT) | instid1(SALU_CYCLE_1)
	s_lshl_b32 s6, s6, 3
	s_add_i32 s6, s6, -8
	s_delay_alu instid0(SALU_CYCLE_1) | instskip(SKIP_1) | instid1(SALU_CYCLE_1)
	v_mov_b32_e32 v1, s6
	s_add_i32 s6, s7, 0xffffff58
	v_mov_b32_e32 v2, s6
	ds_load_2addr_b64 v[16:19], v1 offset1:1
	ds_load_2addr_b64 v[1:4], v2 offset1:1
	ds_store_b64 v15, v[7:8]
	s_waitcnt lgkmcnt(2)
	v_dual_mul_f32 v20, v10, v19 :: v_dual_mul_f32 v21, v12, v17
	s_waitcnt lgkmcnt(1)
	v_dual_mul_f32 v19, v9, v19 :: v_dual_mul_f32 v22, v8, v4
	v_cmp_gt_f32_e32 vcc_lo, 0, v1
	v_mul_f32_e32 v4, v7, v4
	v_fma_f32 v9, v9, v18, -v20
	s_delay_alu instid0(VALU_DEP_4) | instskip(SKIP_4) | instid1(VALU_DEP_4)
	v_fmac_f32_e32 v19, v10, v18
	v_mul_f32_e32 v17, v11, v17
	v_cndmask_b32_e64 v10, v1, -v1, vcc_lo
	v_cmp_gt_f32_e32 vcc_lo, 0, v2
	v_fma_f32 v11, v11, v16, -v21
	v_dual_sub_f32 v6, v6, v19 :: v_dual_fmac_f32 v17, v12, v16
	v_dual_sub_f32 v5, v5, v9 :: v_dual_fmac_f32 v4, v8, v3
	v_cndmask_b32_e64 v9, v2, -v2, vcc_lo
	v_fma_f32 v12, v7, v3, -v22
	s_delay_alu instid0(VALU_DEP_3) | instskip(NEXT) | instid1(VALU_DEP_3)
	v_dual_sub_f32 v6, v6, v17 :: v_dual_sub_f32 v3, v5, v11
	v_cmp_ngt_f32_e32 vcc_lo, v10, v9
	s_delay_alu instid0(VALU_DEP_2) | instskip(NEXT) | instid1(VALU_DEP_3)
	v_sub_f32_e32 v6, v6, v4
	v_sub_f32_e32 v5, v3, v12
	s_cbranch_vccz .LBB157_130
; %bb.129:                              ;   in Loop: Header=BB157_114 Depth=1
	v_div_scale_f32 v3, null, v2, v2, v1
	v_div_scale_f32 v8, vcc_lo, v1, v2, v1
	s_delay_alu instid0(VALU_DEP_2) | instskip(SKIP_2) | instid1(VALU_DEP_1)
	v_rcp_f32_e32 v4, v3
	s_waitcnt_depctr 0xfff
	v_fma_f32 v7, -v3, v4, 1.0
	v_fmac_f32_e32 v4, v7, v4
	s_delay_alu instid0(VALU_DEP_1) | instskip(NEXT) | instid1(VALU_DEP_1)
	v_mul_f32_e32 v7, v8, v4
	v_fma_f32 v9, -v3, v7, v8
	s_delay_alu instid0(VALU_DEP_1) | instskip(NEXT) | instid1(VALU_DEP_1)
	v_fmac_f32_e32 v7, v9, v4
	v_fma_f32 v3, -v3, v7, v8
	s_delay_alu instid0(VALU_DEP_1) | instskip(NEXT) | instid1(VALU_DEP_1)
	v_div_fmas_f32 v3, v3, v4, v7
	v_div_fixup_f32 v3, v3, v2, v1
	s_delay_alu instid0(VALU_DEP_1) | instskip(NEXT) | instid1(VALU_DEP_1)
	v_fma_f32 v4, v1, v3, v2
	v_div_scale_f32 v7, null, v4, v4, 1.0
	v_div_scale_f32 v10, vcc_lo, 1.0, v4, 1.0
	s_delay_alu instid0(VALU_DEP_2) | instskip(SKIP_2) | instid1(VALU_DEP_1)
	v_rcp_f32_e32 v8, v7
	s_waitcnt_depctr 0xfff
	v_fma_f32 v9, -v7, v8, 1.0
	v_fmac_f32_e32 v8, v9, v8
	s_delay_alu instid0(VALU_DEP_1) | instskip(NEXT) | instid1(VALU_DEP_1)
	v_mul_f32_e32 v9, v10, v8
	v_fma_f32 v11, -v7, v9, v10
	s_delay_alu instid0(VALU_DEP_1) | instskip(NEXT) | instid1(VALU_DEP_1)
	v_fmac_f32_e32 v9, v11, v8
	v_fma_f32 v7, -v7, v9, v10
	s_delay_alu instid0(VALU_DEP_1) | instskip(SKIP_1) | instid1(VALU_DEP_2)
	v_div_fmas_f32 v7, v7, v8, v9
	v_fma_f32 v8, v3, v5, v6
	v_div_fixup_f32 v4, v7, v4, 1.0
	v_fma_f32 v7, v3, v6, -v5
	s_delay_alu instid0(VALU_DEP_2) | instskip(NEXT) | instid1(VALU_DEP_2)
	v_mul_f32_e32 v3, v8, v4
	v_mul_f32_e32 v4, v7, v4
	s_cbranch_execz .LBB157_131
	s_branch .LBB157_132
.LBB157_130:                            ;   in Loop: Header=BB157_114 Depth=1
                                        ; implicit-def: $vgpr4
.LBB157_131:                            ;   in Loop: Header=BB157_114 Depth=1
	v_div_scale_f32 v3, null, v1, v1, v2
	v_div_scale_f32 v8, vcc_lo, v2, v1, v2
	s_delay_alu instid0(VALU_DEP_2) | instskip(SKIP_2) | instid1(VALU_DEP_1)
	v_rcp_f32_e32 v4, v3
	s_waitcnt_depctr 0xfff
	v_fma_f32 v7, -v3, v4, 1.0
	v_fmac_f32_e32 v4, v7, v4
	s_delay_alu instid0(VALU_DEP_1) | instskip(NEXT) | instid1(VALU_DEP_1)
	v_mul_f32_e32 v7, v8, v4
	v_fma_f32 v9, -v3, v7, v8
	s_delay_alu instid0(VALU_DEP_1) | instskip(NEXT) | instid1(VALU_DEP_1)
	v_fmac_f32_e32 v7, v9, v4
	v_fma_f32 v3, -v3, v7, v8
	s_delay_alu instid0(VALU_DEP_1) | instskip(NEXT) | instid1(VALU_DEP_1)
	v_div_fmas_f32 v3, v3, v4, v7
	v_div_fixup_f32 v3, v3, v1, v2
	s_delay_alu instid0(VALU_DEP_1) | instskip(NEXT) | instid1(VALU_DEP_1)
	v_fmac_f32_e32 v1, v2, v3
	v_div_scale_f32 v2, null, v1, v1, 1.0
	v_div_scale_f32 v8, vcc_lo, 1.0, v1, 1.0
	s_delay_alu instid0(VALU_DEP_2) | instskip(SKIP_2) | instid1(VALU_DEP_1)
	v_rcp_f32_e32 v4, v2
	s_waitcnt_depctr 0xfff
	v_fma_f32 v7, -v2, v4, 1.0
	v_fmac_f32_e32 v4, v7, v4
	s_delay_alu instid0(VALU_DEP_1) | instskip(NEXT) | instid1(VALU_DEP_1)
	v_mul_f32_e32 v7, v8, v4
	v_fma_f32 v9, -v2, v7, v8
	s_delay_alu instid0(VALU_DEP_1) | instskip(NEXT) | instid1(VALU_DEP_1)
	v_fmac_f32_e32 v7, v9, v4
	v_fma_f32 v2, -v2, v7, v8
	s_delay_alu instid0(VALU_DEP_1) | instskip(SKIP_1) | instid1(VALU_DEP_2)
	v_div_fmas_f32 v2, v2, v4, v7
	v_fma_f32 v4, v3, v6, v5
	v_div_fixup_f32 v1, v2, v1, 1.0
	v_fma_f32 v2, -v3, v5, v6
	s_delay_alu instid0(VALU_DEP_2) | instskip(NEXT) | instid1(VALU_DEP_2)
	v_mul_f32_e32 v3, v4, v1
	v_mul_f32_e32 v4, v2, v1
.LBB157_132:                            ;   in Loop: Header=BB157_114 Depth=1
	s_add_i32 s6, s5, -4
	s_addk_i32 s4, 0xfd80
	s_cmp_lt_i32 s5, 7
	ds_store_b64 v14, v[3:4]
	s_cbranch_scc1 .LBB157_134
; %bb.133:                              ;   in Loop: Header=BB157_114 Depth=1
	s_mov_b32 s5, s6
	s_branch .LBB157_114
.LBB157_134:
	s_cmp_lt_i32 s6, 0
	s_cbranch_scc1 .LBB157_143
; %bb.135:
	v_lshlrev_b32_e32 v1, 3, v0
	s_mul_i32 s4, s6, 0xa0
	s_lshl_b32 s5, s11, 3
	s_delay_alu instid0(VALU_DEP_1) | instskip(SKIP_1) | instid1(SALU_CYCLE_1)
	v_add3_u32 v7, s1, v1, 0xbe0
	s_add_i32 s1, s4, s5
	s_add_i32 s1, s1, -8
	s_branch .LBB157_137
.LBB157_136:                            ;   in Loop: Header=BB157_137 Depth=1
	s_add_i32 s4, s6, -1
	s_addk_i32 s1, 0xff60
	s_cmp_lt_i32 s6, 1
	s_mov_b32 s6, s4
	ds_store_b64 v8, v[5:6]
	s_cbranch_scc1 .LBB157_143
.LBB157_137:                            ; =>This Loop Header: Depth=1
                                        ;     Child Loop BB157_138 Depth 2
	s_mul_i32 s4, s6, 20
	v_mov_b32_e32 v4, v7
	v_add_lshl_u32 v3, s4, v0, 3
	s_cmp_le_i32 s30, s6
	s_mov_b32 s4, s1
	s_mov_b32 s5, s30
	ds_load_b64 v[1:2], v3 offset:3200
	s_cbranch_scc1 .LBB157_139
	.p2align	6
.LBB157_138:                            ;   Parent Loop BB157_137 Depth=1
                                        ; =>  This Inner Loop Header: Depth=2
	v_mov_b32_e32 v8, s4
	s_add_i32 s5, s5, -1
	s_add_i32 s4, s4, -8
	s_cmp_le_i32 s5, s6
	ds_load_b64 v[5:6], v4
	ds_load_b64 v[8:9], v8
	v_add_nc_u32_e32 v4, 0xffffff60, v4
	s_waitcnt lgkmcnt(0)
	v_mul_f32_e32 v10, v9, v6
	v_mul_f32_e32 v6, v8, v6
	s_delay_alu instid0(VALU_DEP_2) | instskip(NEXT) | instid1(VALU_DEP_1)
	v_fma_f32 v8, v8, v5, -v10
	v_sub_f32_e32 v1, v1, v8
	s_delay_alu instid0(VALU_DEP_3) | instskip(NEXT) | instid1(VALU_DEP_1)
	v_fmac_f32_e32 v6, v9, v5
	v_sub_f32_e32 v2, v2, v6
	s_cbranch_scc0 .LBB157_138
.LBB157_139:                            ;   in Loop: Header=BB157_137 Depth=1
	s_mul_i32 s4, s6, 0xa8
	s_delay_alu instid0(SALU_CYCLE_1)
	v_dual_mov_b32 v3, s4 :: v_dual_add_nc_u32 v8, 0xc80, v3
	ds_load_b64 v[3:4], v3
	s_waitcnt lgkmcnt(0)
	v_cmp_gt_f32_e32 vcc_lo, 0, v3
	v_cndmask_b32_e64 v5, v3, -v3, vcc_lo
	v_cmp_gt_f32_e32 vcc_lo, 0, v4
	v_cndmask_b32_e64 v6, v4, -v4, vcc_lo
	s_delay_alu instid0(VALU_DEP_1)
	v_cmp_ngt_f32_e32 vcc_lo, v5, v6
	s_cbranch_vccz .LBB157_141
; %bb.140:                              ;   in Loop: Header=BB157_137 Depth=1
	v_div_scale_f32 v5, null, v4, v4, v3
	v_div_scale_f32 v10, vcc_lo, v3, v4, v3
	s_delay_alu instid0(VALU_DEP_2) | instskip(SKIP_2) | instid1(VALU_DEP_1)
	v_rcp_f32_e32 v6, v5
	s_waitcnt_depctr 0xfff
	v_fma_f32 v9, -v5, v6, 1.0
	v_fmac_f32_e32 v6, v9, v6
	s_delay_alu instid0(VALU_DEP_1) | instskip(NEXT) | instid1(VALU_DEP_1)
	v_mul_f32_e32 v9, v10, v6
	v_fma_f32 v11, -v5, v9, v10
	s_delay_alu instid0(VALU_DEP_1) | instskip(NEXT) | instid1(VALU_DEP_1)
	v_fmac_f32_e32 v9, v11, v6
	v_fma_f32 v5, -v5, v9, v10
	s_delay_alu instid0(VALU_DEP_1) | instskip(NEXT) | instid1(VALU_DEP_1)
	v_div_fmas_f32 v5, v5, v6, v9
	v_div_fixup_f32 v5, v5, v4, v3
	s_delay_alu instid0(VALU_DEP_1) | instskip(NEXT) | instid1(VALU_DEP_1)
	v_fma_f32 v6, v3, v5, v4
	v_div_scale_f32 v9, null, v6, v6, 1.0
	v_div_scale_f32 v12, vcc_lo, 1.0, v6, 1.0
	s_delay_alu instid0(VALU_DEP_2) | instskip(SKIP_2) | instid1(VALU_DEP_1)
	v_rcp_f32_e32 v10, v9
	s_waitcnt_depctr 0xfff
	v_fma_f32 v11, -v9, v10, 1.0
	v_fmac_f32_e32 v10, v11, v10
	s_delay_alu instid0(VALU_DEP_1) | instskip(NEXT) | instid1(VALU_DEP_1)
	v_mul_f32_e32 v11, v12, v10
	v_fma_f32 v13, -v9, v11, v12
	s_delay_alu instid0(VALU_DEP_1) | instskip(NEXT) | instid1(VALU_DEP_1)
	v_fmac_f32_e32 v11, v13, v10
	v_fma_f32 v9, -v9, v11, v12
	s_delay_alu instid0(VALU_DEP_1) | instskip(SKIP_1) | instid1(VALU_DEP_2)
	v_div_fmas_f32 v9, v9, v10, v11
	v_fma_f32 v10, v1, v5, v2
	v_div_fixup_f32 v6, v9, v6, 1.0
	v_fma_f32 v9, v2, v5, -v1
	s_delay_alu instid0(VALU_DEP_2) | instskip(NEXT) | instid1(VALU_DEP_2)
	v_mul_f32_e32 v5, v10, v6
	v_mul_f32_e32 v6, v9, v6
	s_cbranch_execnz .LBB157_136
	s_branch .LBB157_142
.LBB157_141:                            ;   in Loop: Header=BB157_137 Depth=1
                                        ; implicit-def: $vgpr5
.LBB157_142:                            ;   in Loop: Header=BB157_137 Depth=1
	v_div_scale_f32 v5, null, v3, v3, v4
	v_div_scale_f32 v10, vcc_lo, v4, v3, v4
	s_delay_alu instid0(VALU_DEP_2) | instskip(SKIP_2) | instid1(VALU_DEP_1)
	v_rcp_f32_e32 v6, v5
	s_waitcnt_depctr 0xfff
	v_fma_f32 v9, -v5, v6, 1.0
	v_fmac_f32_e32 v6, v9, v6
	s_delay_alu instid0(VALU_DEP_1) | instskip(NEXT) | instid1(VALU_DEP_1)
	v_mul_f32_e32 v9, v10, v6
	v_fma_f32 v11, -v5, v9, v10
	s_delay_alu instid0(VALU_DEP_1) | instskip(NEXT) | instid1(VALU_DEP_1)
	v_fmac_f32_e32 v9, v11, v6
	v_fma_f32 v5, -v5, v9, v10
	s_delay_alu instid0(VALU_DEP_1) | instskip(NEXT) | instid1(VALU_DEP_1)
	v_div_fmas_f32 v5, v5, v6, v9
	v_div_fixup_f32 v5, v5, v3, v4
	s_delay_alu instid0(VALU_DEP_1) | instskip(NEXT) | instid1(VALU_DEP_1)
	v_fmac_f32_e32 v3, v4, v5
	v_div_scale_f32 v4, null, v3, v3, 1.0
	v_div_scale_f32 v10, vcc_lo, 1.0, v3, 1.0
	s_delay_alu instid0(VALU_DEP_2) | instskip(SKIP_2) | instid1(VALU_DEP_1)
	v_rcp_f32_e32 v6, v4
	s_waitcnt_depctr 0xfff
	v_fma_f32 v9, -v4, v6, 1.0
	v_fmac_f32_e32 v6, v9, v6
	s_delay_alu instid0(VALU_DEP_1) | instskip(NEXT) | instid1(VALU_DEP_1)
	v_mul_f32_e32 v9, v10, v6
	v_fma_f32 v11, -v4, v9, v10
	s_delay_alu instid0(VALU_DEP_1) | instskip(NEXT) | instid1(VALU_DEP_1)
	v_fmac_f32_e32 v9, v11, v6
	v_fma_f32 v4, -v4, v9, v10
	s_delay_alu instid0(VALU_DEP_1) | instskip(SKIP_2) | instid1(VALU_DEP_3)
	v_div_fmas_f32 v4, v4, v6, v9
	v_fma_f32 v6, v2, v5, v1
	v_fma_f32 v1, -v1, v5, v2
	v_div_fixup_f32 v3, v4, v3, 1.0
	s_delay_alu instid0(VALU_DEP_1) | instskip(NEXT) | instid1(VALU_DEP_3)
	v_mul_f32_e32 v5, v6, v3
	v_mul_f32_e32 v6, v1, v3
	s_branch .LBB157_136
.LBB157_143:
	s_mov_b32 s6, 0
.LBB157_144:
	s_delay_alu instid0(SALU_CYCLE_1)
	s_and_not1_b32 vcc_lo, exec_lo, s6
	s_cbranch_vccnz .LBB157_183
; %bb.145:
	s_cmp_lt_i32 s8, 4
	s_mov_b32 s5, 0
	s_cbranch_scc1 .LBB157_168
; %bb.146:
	v_lshl_add_u32 v13, v0, 3, 0xc80
	s_mov_b32 s1, 0
	s_mov_b32 s4, 0
.LBB157_147:                            ; =>This Loop Header: Depth=1
                                        ;     Child Loop BB157_149 Depth 2
	s_delay_alu instid0(SALU_CYCLE_1) | instskip(NEXT) | instid1(SALU_CYCLE_1)
	s_mul_i32 s5, s4, 20
	s_add_i32 s7, s5, 20
	v_add_lshl_u32 v3, s5, v0, 3
	s_add_i32 s6, s5, 40
	v_add_lshl_u32 v4, s7, v0, 3
	;; [unrolled: 2-line block ×3, first 2 shown]
	v_add_lshl_u32 v10, s5, v0, 3
	ds_load_b64 v[1:2], v3 offset:3200
	ds_load_b64 v[11:12], v4 offset:3200
	;; [unrolled: 1-line block ×4, first 2 shown]
	s_cmp_eq_u32 s4, 0
	s_cbranch_scc1 .LBB157_150
; %bb.148:                              ;   in Loop: Header=BB157_147 Depth=1
	v_mov_b32_e32 v14, v13
	s_mov_b32 s9, 0
	s_mov_b32 s10, s1
.LBB157_149:                            ;   Parent Loop BB157_147 Depth=1
                                        ; =>  This Inner Loop Header: Depth=2
	s_delay_alu instid0(SALU_CYCLE_1)
	v_mov_b32_e32 v31, s10
	ds_load_2addr_b64 v[15:18], v14 offset1:20
	v_add_nc_u32_e32 v14, 0x140, v14
	s_add_i32 s9, s9, 2
	s_add_i32 s10, s10, 16
	ds_load_b128 v[19:22], v31
	ds_load_b128 v[23:26], v31 offset:160
	ds_load_b128 v[27:30], v31 offset:320
	ds_load_b128 v[31:34], v31 offset:480
	s_cmp_ge_u32 s9, s4
	s_waitcnt lgkmcnt(3)
	v_dual_mul_f32 v35, v20, v16 :: v_dual_mul_f32 v40, v22, v18
	v_dual_mul_f32 v36, v19, v16 :: v_dual_mul_f32 v41, v21, v18
	s_waitcnt lgkmcnt(2)
	v_dual_mul_f32 v37, v24, v16 :: v_dual_mul_f32 v42, v26, v18
	s_waitcnt lgkmcnt(1)
	v_dual_mul_f32 v24, v24, v15 :: v_dual_mul_f32 v43, v30, v18
	v_dual_mul_f32 v38, v28, v16 :: v_dual_fmac_f32 v41, v22, v17
	s_waitcnt lgkmcnt(0)
	v_dual_mul_f32 v39, v32, v16 :: v_dual_mul_f32 v26, v26, v17
	v_fma_f32 v19, v19, v15, -v35
	v_mul_f32_e32 v30, v30, v17
	v_fmac_f32_e32 v36, v20, v15
	v_fma_f32 v20, v23, v15, -v37
	v_mul_f32_e32 v28, v28, v15
	v_fmac_f32_e32 v24, v23, v16
	v_fma_f32 v23, v27, v15, -v38
	v_dual_mul_f32 v44, v34, v18 :: v_dual_sub_f32 v1, v1, v19
	v_mul_f32_e32 v32, v32, v15
	v_fma_f32 v15, v31, v15, -v39
	v_mul_f32_e32 v34, v34, v17
	v_fma_f32 v22, v29, v17, -v43
	v_sub_f32_e32 v11, v11, v20
	s_delay_alu instid0(VALU_DEP_4)
	v_dual_fmac_f32 v28, v27, v16 :: v_dual_sub_f32 v5, v5, v15
	v_fmac_f32_e32 v32, v31, v16
	v_fma_f32 v16, v21, v17, -v40
	v_fma_f32 v21, v25, v17, -v42
	v_sub_f32_e32 v7, v7, v23
	v_fma_f32 v17, v33, v17, -v44
	v_fmac_f32_e32 v26, v25, v18
	v_fmac_f32_e32 v30, v29, v18
	v_fmac_f32_e32 v34, v33, v18
	v_sub_f32_e32 v8, v8, v28
	v_dual_sub_f32 v6, v6, v32 :: v_dual_sub_f32 v11, v11, v21
	v_dual_sub_f32 v2, v2, v36 :: v_dual_sub_f32 v7, v7, v22
	;; [unrolled: 1-line block ×3, first 2 shown]
	s_delay_alu instid0(VALU_DEP_2) | instskip(SKIP_2) | instid1(VALU_DEP_4)
	v_dual_sub_f32 v1, v1, v16 :: v_dual_sub_f32 v2, v2, v41
	v_sub_f32_e32 v8, v8, v30
	v_sub_f32_e32 v6, v6, v34
	;; [unrolled: 1-line block ×3, first 2 shown]
	s_cbranch_scc0 .LBB157_149
.LBB157_150:                            ;   in Loop: Header=BB157_147 Depth=1
	s_mul_i32 s9, s4, 0xa8
	v_add_nc_u32_e32 v17, 0xc80, v3
	v_dual_mov_b32 v3, s9 :: v_dual_add_nc_u32 v16, 0xc80, v4
	v_add_nc_u32_e32 v15, 0xc80, v9
	v_add_nc_u32_e32 v14, 0xc80, v10
	ds_load_b64 v[3:4], v3
	s_waitcnt lgkmcnt(0)
	v_cmp_gt_f32_e32 vcc_lo, 0, v3
	v_cndmask_b32_e64 v9, v3, -v3, vcc_lo
	v_cmp_gt_f32_e32 vcc_lo, 0, v4
	v_cndmask_b32_e64 v10, v4, -v4, vcc_lo
	s_delay_alu instid0(VALU_DEP_1)
	v_cmp_ngt_f32_e32 vcc_lo, v9, v10
	s_cbranch_vccz .LBB157_152
; %bb.151:                              ;   in Loop: Header=BB157_147 Depth=1
	v_div_scale_f32 v9, null, v4, v4, v3
	v_div_scale_f32 v19, vcc_lo, v3, v4, v3
	s_delay_alu instid0(VALU_DEP_2) | instskip(SKIP_2) | instid1(VALU_DEP_1)
	v_rcp_f32_e32 v10, v9
	s_waitcnt_depctr 0xfff
	v_fma_f32 v18, -v9, v10, 1.0
	v_fmac_f32_e32 v10, v18, v10
	s_delay_alu instid0(VALU_DEP_1) | instskip(NEXT) | instid1(VALU_DEP_1)
	v_mul_f32_e32 v18, v19, v10
	v_fma_f32 v20, -v9, v18, v19
	s_delay_alu instid0(VALU_DEP_1) | instskip(NEXT) | instid1(VALU_DEP_1)
	v_fmac_f32_e32 v18, v20, v10
	v_fma_f32 v9, -v9, v18, v19
	s_delay_alu instid0(VALU_DEP_1) | instskip(NEXT) | instid1(VALU_DEP_1)
	v_div_fmas_f32 v9, v9, v10, v18
	v_div_fixup_f32 v9, v9, v4, v3
	s_delay_alu instid0(VALU_DEP_1) | instskip(NEXT) | instid1(VALU_DEP_1)
	v_fma_f32 v10, v3, v9, v4
	v_div_scale_f32 v18, null, v10, v10, 1.0
	v_div_scale_f32 v21, vcc_lo, 1.0, v10, 1.0
	s_delay_alu instid0(VALU_DEP_2) | instskip(SKIP_2) | instid1(VALU_DEP_1)
	v_rcp_f32_e32 v19, v18
	s_waitcnt_depctr 0xfff
	v_fma_f32 v20, -v18, v19, 1.0
	v_fmac_f32_e32 v19, v20, v19
	s_delay_alu instid0(VALU_DEP_1) | instskip(NEXT) | instid1(VALU_DEP_1)
	v_mul_f32_e32 v20, v21, v19
	v_fma_f32 v22, -v18, v20, v21
	s_delay_alu instid0(VALU_DEP_1) | instskip(NEXT) | instid1(VALU_DEP_1)
	v_fmac_f32_e32 v20, v22, v19
	v_fma_f32 v18, -v18, v20, v21
	s_delay_alu instid0(VALU_DEP_1) | instskip(SKIP_1) | instid1(VALU_DEP_2)
	v_div_fmas_f32 v18, v18, v19, v20
	v_fma_f32 v19, v1, v9, v2
	v_div_fixup_f32 v10, v18, v10, 1.0
	v_fma_f32 v18, v2, v9, -v1
	s_delay_alu instid0(VALU_DEP_2) | instskip(NEXT) | instid1(VALU_DEP_2)
	v_mul_f32_e32 v9, v19, v10
	v_mul_f32_e32 v10, v18, v10
	s_cbranch_execz .LBB157_153
	s_branch .LBB157_154
.LBB157_152:                            ;   in Loop: Header=BB157_147 Depth=1
                                        ; implicit-def: $vgpr10
.LBB157_153:                            ;   in Loop: Header=BB157_147 Depth=1
	v_div_scale_f32 v9, null, v3, v3, v4
	v_div_scale_f32 v19, vcc_lo, v4, v3, v4
	s_delay_alu instid0(VALU_DEP_2) | instskip(SKIP_2) | instid1(VALU_DEP_1)
	v_rcp_f32_e32 v10, v9
	s_waitcnt_depctr 0xfff
	v_fma_f32 v18, -v9, v10, 1.0
	v_fmac_f32_e32 v10, v18, v10
	s_delay_alu instid0(VALU_DEP_1) | instskip(NEXT) | instid1(VALU_DEP_1)
	v_mul_f32_e32 v18, v19, v10
	v_fma_f32 v20, -v9, v18, v19
	s_delay_alu instid0(VALU_DEP_1) | instskip(NEXT) | instid1(VALU_DEP_1)
	v_fmac_f32_e32 v18, v20, v10
	v_fma_f32 v9, -v9, v18, v19
	s_delay_alu instid0(VALU_DEP_1) | instskip(NEXT) | instid1(VALU_DEP_1)
	v_div_fmas_f32 v9, v9, v10, v18
	v_div_fixup_f32 v9, v9, v3, v4
	s_delay_alu instid0(VALU_DEP_1) | instskip(NEXT) | instid1(VALU_DEP_1)
	v_fmac_f32_e32 v3, v4, v9
	v_div_scale_f32 v4, null, v3, v3, 1.0
	v_div_scale_f32 v19, vcc_lo, 1.0, v3, 1.0
	s_delay_alu instid0(VALU_DEP_2) | instskip(SKIP_2) | instid1(VALU_DEP_1)
	v_rcp_f32_e32 v10, v4
	s_waitcnt_depctr 0xfff
	v_fma_f32 v18, -v4, v10, 1.0
	v_fmac_f32_e32 v10, v18, v10
	s_delay_alu instid0(VALU_DEP_1) | instskip(NEXT) | instid1(VALU_DEP_1)
	v_mul_f32_e32 v18, v19, v10
	v_fma_f32 v20, -v4, v18, v19
	s_delay_alu instid0(VALU_DEP_1) | instskip(NEXT) | instid1(VALU_DEP_1)
	v_fmac_f32_e32 v18, v20, v10
	v_fma_f32 v4, -v4, v18, v19
	s_delay_alu instid0(VALU_DEP_1) | instskip(SKIP_2) | instid1(VALU_DEP_3)
	v_div_fmas_f32 v4, v4, v10, v18
	v_fma_f32 v10, v2, v9, v1
	v_fma_f32 v1, -v1, v9, v2
	v_div_fixup_f32 v3, v4, v3, 1.0
	s_delay_alu instid0(VALU_DEP_1) | instskip(NEXT) | instid1(VALU_DEP_3)
	v_mul_f32_e32 v9, v10, v3
	v_mul_f32_e32 v10, v1, v3
.LBB157_154:                            ;   in Loop: Header=BB157_147 Depth=1
	s_add_i32 s7, s7, s4
	ds_store_b64 v17, v[9:10]
	s_lshl_b32 s7, s7, 3
	s_delay_alu instid0(SALU_CYCLE_1)
	v_mov_b32_e32 v1, s7
	ds_load_b128 v[1:4], v1
	s_waitcnt lgkmcnt(0)
	v_mul_f32_e32 v18, v10, v2
	v_cmp_gt_f32_e32 vcc_lo, 0, v3
	v_mul_f32_e32 v2, v9, v2
	s_delay_alu instid0(VALU_DEP_3) | instskip(SKIP_2) | instid1(VALU_DEP_3)
	v_fma_f32 v18, v9, v1, -v18
	v_cndmask_b32_e64 v19, v3, -v3, vcc_lo
	v_cmp_gt_f32_e32 vcc_lo, 0, v4
	v_dual_fmac_f32 v2, v10, v1 :: v_dual_sub_f32 v1, v11, v18
	v_cndmask_b32_e64 v20, v4, -v4, vcc_lo
	s_delay_alu instid0(VALU_DEP_2) | instskip(NEXT) | instid1(VALU_DEP_2)
	v_sub_f32_e32 v2, v12, v2
	v_cmp_ngt_f32_e32 vcc_lo, v19, v20
	s_cbranch_vccz .LBB157_156
; %bb.155:                              ;   in Loop: Header=BB157_147 Depth=1
	v_div_scale_f32 v11, null, v4, v4, v3
	v_div_scale_f32 v18, vcc_lo, v3, v4, v3
	s_delay_alu instid0(VALU_DEP_2) | instskip(SKIP_2) | instid1(VALU_DEP_1)
	v_rcp_f32_e32 v12, v11
	s_waitcnt_depctr 0xfff
	v_fma_f32 v17, -v11, v12, 1.0
	v_fmac_f32_e32 v12, v17, v12
	s_delay_alu instid0(VALU_DEP_1) | instskip(NEXT) | instid1(VALU_DEP_1)
	v_mul_f32_e32 v17, v18, v12
	v_fma_f32 v19, -v11, v17, v18
	s_delay_alu instid0(VALU_DEP_1) | instskip(NEXT) | instid1(VALU_DEP_1)
	v_fmac_f32_e32 v17, v19, v12
	v_fma_f32 v11, -v11, v17, v18
	s_delay_alu instid0(VALU_DEP_1) | instskip(NEXT) | instid1(VALU_DEP_1)
	v_div_fmas_f32 v11, v11, v12, v17
	v_div_fixup_f32 v11, v11, v4, v3
	s_delay_alu instid0(VALU_DEP_1) | instskip(NEXT) | instid1(VALU_DEP_1)
	v_fma_f32 v12, v3, v11, v4
	v_div_scale_f32 v17, null, v12, v12, 1.0
	v_div_scale_f32 v20, vcc_lo, 1.0, v12, 1.0
	s_delay_alu instid0(VALU_DEP_2) | instskip(SKIP_2) | instid1(VALU_DEP_1)
	v_rcp_f32_e32 v18, v17
	s_waitcnt_depctr 0xfff
	v_fma_f32 v19, -v17, v18, 1.0
	v_fmac_f32_e32 v18, v19, v18
	s_delay_alu instid0(VALU_DEP_1) | instskip(NEXT) | instid1(VALU_DEP_1)
	v_mul_f32_e32 v19, v20, v18
	v_fma_f32 v21, -v17, v19, v20
	s_delay_alu instid0(VALU_DEP_1) | instskip(NEXT) | instid1(VALU_DEP_1)
	v_fmac_f32_e32 v19, v21, v18
	v_fma_f32 v17, -v17, v19, v20
	s_delay_alu instid0(VALU_DEP_1) | instskip(SKIP_1) | instid1(VALU_DEP_2)
	v_div_fmas_f32 v17, v17, v18, v19
	v_fma_f32 v18, v11, v1, v2
	v_div_fixup_f32 v12, v17, v12, 1.0
	v_fma_f32 v17, v11, v2, -v1
	s_delay_alu instid0(VALU_DEP_2) | instskip(NEXT) | instid1(VALU_DEP_2)
	v_mul_f32_e32 v11, v18, v12
	v_mul_f32_e32 v12, v17, v12
	s_cbranch_execz .LBB157_157
	s_branch .LBB157_158
.LBB157_156:                            ;   in Loop: Header=BB157_147 Depth=1
                                        ; implicit-def: $vgpr12
.LBB157_157:                            ;   in Loop: Header=BB157_147 Depth=1
	v_div_scale_f32 v11, null, v3, v3, v4
	v_div_scale_f32 v18, vcc_lo, v4, v3, v4
	s_delay_alu instid0(VALU_DEP_2) | instskip(SKIP_2) | instid1(VALU_DEP_1)
	v_rcp_f32_e32 v12, v11
	s_waitcnt_depctr 0xfff
	v_fma_f32 v17, -v11, v12, 1.0
	v_fmac_f32_e32 v12, v17, v12
	s_delay_alu instid0(VALU_DEP_1) | instskip(NEXT) | instid1(VALU_DEP_1)
	v_mul_f32_e32 v17, v18, v12
	v_fma_f32 v19, -v11, v17, v18
	s_delay_alu instid0(VALU_DEP_1) | instskip(NEXT) | instid1(VALU_DEP_1)
	v_fmac_f32_e32 v17, v19, v12
	v_fma_f32 v11, -v11, v17, v18
	s_delay_alu instid0(VALU_DEP_1) | instskip(NEXT) | instid1(VALU_DEP_1)
	v_div_fmas_f32 v11, v11, v12, v17
	v_div_fixup_f32 v11, v11, v3, v4
	s_delay_alu instid0(VALU_DEP_1) | instskip(NEXT) | instid1(VALU_DEP_1)
	v_fmac_f32_e32 v3, v4, v11
	v_div_scale_f32 v4, null, v3, v3, 1.0
	v_div_scale_f32 v18, vcc_lo, 1.0, v3, 1.0
	s_delay_alu instid0(VALU_DEP_2) | instskip(SKIP_2) | instid1(VALU_DEP_1)
	v_rcp_f32_e32 v12, v4
	s_waitcnt_depctr 0xfff
	v_fma_f32 v17, -v4, v12, 1.0
	v_fmac_f32_e32 v12, v17, v12
	s_delay_alu instid0(VALU_DEP_1) | instskip(NEXT) | instid1(VALU_DEP_1)
	v_mul_f32_e32 v17, v18, v12
	v_fma_f32 v19, -v4, v17, v18
	s_delay_alu instid0(VALU_DEP_1) | instskip(NEXT) | instid1(VALU_DEP_1)
	v_fmac_f32_e32 v17, v19, v12
	v_fma_f32 v4, -v4, v17, v18
	s_delay_alu instid0(VALU_DEP_1) | instskip(SKIP_2) | instid1(VALU_DEP_3)
	v_div_fmas_f32 v4, v4, v12, v17
	v_fma_f32 v12, v11, v2, v1
	v_fma_f32 v1, -v11, v1, v2
	v_div_fixup_f32 v3, v4, v3, 1.0
	s_delay_alu instid0(VALU_DEP_1) | instskip(NEXT) | instid1(VALU_DEP_3)
	v_mul_f32_e32 v11, v12, v3
	v_mul_f32_e32 v12, v1, v3
.LBB157_158:                            ;   in Loop: Header=BB157_147 Depth=1
	s_add_i32 s6, s6, s4
	v_mov_b32_e32 v2, s9
	s_lshl_b32 s6, s6, 3
	s_delay_alu instid0(SALU_CYCLE_1)
	v_mov_b32_e32 v1, s6
	ds_load_b128 v[17:20], v1
	ds_load_b64 v[1:2], v2 offset:336
	ds_store_b64 v16, v[11:12]
	s_waitcnt lgkmcnt(2)
	v_mul_f32_e32 v3, v10, v18
	s_waitcnt lgkmcnt(1)
	v_cmp_gt_f32_e32 vcc_lo, 0, v1
	v_mul_f32_e32 v4, v9, v18
	v_mul_f32_e32 v18, v12, v20
	;; [unrolled: 1-line block ×3, first 2 shown]
	v_fma_f32 v3, v9, v17, -v3
	v_cndmask_b32_e64 v21, v1, -v1, vcc_lo
	v_cmp_gt_f32_e32 vcc_lo, 0, v2
	v_fma_f32 v18, v11, v19, -v18
	v_fmac_f32_e32 v20, v12, v19
	v_dual_sub_f32 v3, v7, v3 :: v_dual_fmac_f32 v4, v10, v17
	v_cndmask_b32_e64 v17, v2, -v2, vcc_lo
	s_delay_alu instid0(VALU_DEP_2) | instskip(NEXT) | instid1(VALU_DEP_2)
	v_dual_sub_f32 v3, v3, v18 :: v_dual_sub_f32 v4, v8, v4
	v_cmp_ngt_f32_e32 vcc_lo, v21, v17
	s_delay_alu instid0(VALU_DEP_2)
	v_sub_f32_e32 v4, v4, v20
	s_cbranch_vccz .LBB157_160
; %bb.159:                              ;   in Loop: Header=BB157_147 Depth=1
	v_div_scale_f32 v7, null, v2, v2, v1
	v_div_scale_f32 v17, vcc_lo, v1, v2, v1
	s_delay_alu instid0(VALU_DEP_2) | instskip(SKIP_2) | instid1(VALU_DEP_1)
	v_rcp_f32_e32 v8, v7
	s_waitcnt_depctr 0xfff
	v_fma_f32 v16, -v7, v8, 1.0
	v_fmac_f32_e32 v8, v16, v8
	s_delay_alu instid0(VALU_DEP_1) | instskip(NEXT) | instid1(VALU_DEP_1)
	v_mul_f32_e32 v16, v17, v8
	v_fma_f32 v18, -v7, v16, v17
	s_delay_alu instid0(VALU_DEP_1) | instskip(NEXT) | instid1(VALU_DEP_1)
	v_fmac_f32_e32 v16, v18, v8
	v_fma_f32 v7, -v7, v16, v17
	s_delay_alu instid0(VALU_DEP_1) | instskip(NEXT) | instid1(VALU_DEP_1)
	v_div_fmas_f32 v7, v7, v8, v16
	v_div_fixup_f32 v7, v7, v2, v1
	s_delay_alu instid0(VALU_DEP_1) | instskip(NEXT) | instid1(VALU_DEP_1)
	v_fma_f32 v8, v1, v7, v2
	v_div_scale_f32 v16, null, v8, v8, 1.0
	v_div_scale_f32 v19, vcc_lo, 1.0, v8, 1.0
	s_delay_alu instid0(VALU_DEP_2) | instskip(SKIP_2) | instid1(VALU_DEP_1)
	v_rcp_f32_e32 v17, v16
	s_waitcnt_depctr 0xfff
	v_fma_f32 v18, -v16, v17, 1.0
	v_fmac_f32_e32 v17, v18, v17
	s_delay_alu instid0(VALU_DEP_1) | instskip(NEXT) | instid1(VALU_DEP_1)
	v_mul_f32_e32 v18, v19, v17
	v_fma_f32 v20, -v16, v18, v19
	s_delay_alu instid0(VALU_DEP_1) | instskip(NEXT) | instid1(VALU_DEP_1)
	v_fmac_f32_e32 v18, v20, v17
	v_fma_f32 v16, -v16, v18, v19
	s_delay_alu instid0(VALU_DEP_1) | instskip(SKIP_1) | instid1(VALU_DEP_2)
	v_div_fmas_f32 v16, v16, v17, v18
	v_fma_f32 v17, v7, v3, v4
	v_div_fixup_f32 v8, v16, v8, 1.0
	v_fma_f32 v16, v7, v4, -v3
	s_delay_alu instid0(VALU_DEP_2) | instskip(NEXT) | instid1(VALU_DEP_2)
	v_mul_f32_e32 v7, v17, v8
	v_mul_f32_e32 v8, v16, v8
	s_cbranch_execz .LBB157_161
	s_branch .LBB157_162
.LBB157_160:                            ;   in Loop: Header=BB157_147 Depth=1
                                        ; implicit-def: $vgpr8
.LBB157_161:                            ;   in Loop: Header=BB157_147 Depth=1
	v_div_scale_f32 v7, null, v1, v1, v2
	v_div_scale_f32 v17, vcc_lo, v2, v1, v2
	s_delay_alu instid0(VALU_DEP_2) | instskip(SKIP_2) | instid1(VALU_DEP_1)
	v_rcp_f32_e32 v8, v7
	s_waitcnt_depctr 0xfff
	v_fma_f32 v16, -v7, v8, 1.0
	v_fmac_f32_e32 v8, v16, v8
	s_delay_alu instid0(VALU_DEP_1) | instskip(NEXT) | instid1(VALU_DEP_1)
	v_mul_f32_e32 v16, v17, v8
	v_fma_f32 v18, -v7, v16, v17
	s_delay_alu instid0(VALU_DEP_1) | instskip(NEXT) | instid1(VALU_DEP_1)
	v_fmac_f32_e32 v16, v18, v8
	v_fma_f32 v7, -v7, v16, v17
	s_delay_alu instid0(VALU_DEP_1) | instskip(NEXT) | instid1(VALU_DEP_1)
	v_div_fmas_f32 v7, v7, v8, v16
	v_div_fixup_f32 v7, v7, v1, v2
	s_delay_alu instid0(VALU_DEP_1) | instskip(NEXT) | instid1(VALU_DEP_1)
	v_fmac_f32_e32 v1, v2, v7
	v_div_scale_f32 v2, null, v1, v1, 1.0
	v_div_scale_f32 v17, vcc_lo, 1.0, v1, 1.0
	s_delay_alu instid0(VALU_DEP_2) | instskip(SKIP_2) | instid1(VALU_DEP_1)
	v_rcp_f32_e32 v8, v2
	s_waitcnt_depctr 0xfff
	v_fma_f32 v16, -v2, v8, 1.0
	v_fmac_f32_e32 v8, v16, v8
	s_delay_alu instid0(VALU_DEP_1) | instskip(NEXT) | instid1(VALU_DEP_1)
	v_mul_f32_e32 v16, v17, v8
	v_fma_f32 v18, -v2, v16, v17
	s_delay_alu instid0(VALU_DEP_1) | instskip(NEXT) | instid1(VALU_DEP_1)
	v_fmac_f32_e32 v16, v18, v8
	v_fma_f32 v2, -v2, v16, v17
	s_delay_alu instid0(VALU_DEP_1) | instskip(SKIP_1) | instid1(VALU_DEP_2)
	v_div_fmas_f32 v2, v2, v8, v16
	v_fma_f32 v8, v7, v4, v3
	v_div_fixup_f32 v1, v2, v1, 1.0
	v_fma_f32 v2, -v7, v3, v4
	s_delay_alu instid0(VALU_DEP_2) | instskip(NEXT) | instid1(VALU_DEP_2)
	v_mul_f32_e32 v7, v8, v1
	v_mul_f32_e32 v8, v2, v1
.LBB157_162:                            ;   in Loop: Header=BB157_147 Depth=1
	s_add_i32 s5, s5, s4
	s_delay_alu instid0(SALU_CYCLE_1) | instskip(NEXT) | instid1(SALU_CYCLE_1)
	s_lshl_b32 s5, s5, 3
	v_mov_b32_e32 v1, s5
	ds_load_b128 v[16:19], v1
	ds_load_b128 v[1:4], v1 offset:16
	ds_store_b64 v15, v[7:8]
	s_waitcnt lgkmcnt(2)
	v_mul_f32_e32 v20, v10, v17
	s_waitcnt lgkmcnt(1)
	v_dual_mul_f32 v17, v9, v17 :: v_dual_mul_f32 v22, v8, v2
	v_dual_mul_f32 v21, v12, v19 :: v_dual_mul_f32 v2, v7, v2
	v_cmp_gt_f32_e32 vcc_lo, 0, v3
	v_fma_f32 v9, v9, v16, -v20
	s_delay_alu instid0(VALU_DEP_3) | instskip(SKIP_2) | instid1(VALU_DEP_3)
	v_dual_fmac_f32 v17, v10, v16 :: v_dual_fmac_f32 v2, v8, v1
	v_mul_f32_e32 v19, v11, v19
	v_cndmask_b32_e64 v10, v3, -v3, vcc_lo
	v_sub_f32_e32 v6, v6, v17
	v_cmp_gt_f32_e32 vcc_lo, 0, v4
	v_fma_f32 v11, v11, v18, -v21
	v_fmac_f32_e32 v19, v12, v18
	v_sub_f32_e32 v5, v5, v9
	v_fma_f32 v12, v7, v1, -v22
	v_cndmask_b32_e64 v9, v4, -v4, vcc_lo
	s_delay_alu instid0(VALU_DEP_4) | instskip(NEXT) | instid1(VALU_DEP_4)
	v_sub_f32_e32 v6, v6, v19
	v_sub_f32_e32 v1, v5, v11
	s_delay_alu instid0(VALU_DEP_3) | instskip(NEXT) | instid1(VALU_DEP_2)
	v_cmp_ngt_f32_e32 vcc_lo, v10, v9
	v_dual_sub_f32 v6, v6, v2 :: v_dual_sub_f32 v5, v1, v12
	s_cbranch_vccz .LBB157_164
; %bb.163:                              ;   in Loop: Header=BB157_147 Depth=1
	v_div_scale_f32 v1, null, v4, v4, v3
	v_div_scale_f32 v8, vcc_lo, v3, v4, v3
	s_delay_alu instid0(VALU_DEP_2) | instskip(SKIP_2) | instid1(VALU_DEP_1)
	v_rcp_f32_e32 v2, v1
	s_waitcnt_depctr 0xfff
	v_fma_f32 v7, -v1, v2, 1.0
	v_fmac_f32_e32 v2, v7, v2
	s_delay_alu instid0(VALU_DEP_1) | instskip(NEXT) | instid1(VALU_DEP_1)
	v_mul_f32_e32 v7, v8, v2
	v_fma_f32 v9, -v1, v7, v8
	s_delay_alu instid0(VALU_DEP_1) | instskip(NEXT) | instid1(VALU_DEP_1)
	v_fmac_f32_e32 v7, v9, v2
	v_fma_f32 v1, -v1, v7, v8
	s_delay_alu instid0(VALU_DEP_1) | instskip(NEXT) | instid1(VALU_DEP_1)
	v_div_fmas_f32 v1, v1, v2, v7
	v_div_fixup_f32 v1, v1, v4, v3
	s_delay_alu instid0(VALU_DEP_1) | instskip(NEXT) | instid1(VALU_DEP_1)
	v_fma_f32 v2, v3, v1, v4
	v_div_scale_f32 v7, null, v2, v2, 1.0
	v_div_scale_f32 v10, vcc_lo, 1.0, v2, 1.0
	s_delay_alu instid0(VALU_DEP_2) | instskip(SKIP_2) | instid1(VALU_DEP_1)
	v_rcp_f32_e32 v8, v7
	s_waitcnt_depctr 0xfff
	v_fma_f32 v9, -v7, v8, 1.0
	v_fmac_f32_e32 v8, v9, v8
	s_delay_alu instid0(VALU_DEP_1) | instskip(NEXT) | instid1(VALU_DEP_1)
	v_mul_f32_e32 v9, v10, v8
	v_fma_f32 v11, -v7, v9, v10
	s_delay_alu instid0(VALU_DEP_1) | instskip(NEXT) | instid1(VALU_DEP_1)
	v_fmac_f32_e32 v9, v11, v8
	v_fma_f32 v7, -v7, v9, v10
	s_delay_alu instid0(VALU_DEP_1) | instskip(SKIP_1) | instid1(VALU_DEP_2)
	v_div_fmas_f32 v7, v7, v8, v9
	v_fma_f32 v8, v1, v5, v6
	v_div_fixup_f32 v2, v7, v2, 1.0
	v_fma_f32 v7, v1, v6, -v5
	s_delay_alu instid0(VALU_DEP_2) | instskip(NEXT) | instid1(VALU_DEP_2)
	v_mul_f32_e32 v1, v8, v2
	v_mul_f32_e32 v2, v7, v2
	s_cbranch_execz .LBB157_165
	s_branch .LBB157_166
.LBB157_164:                            ;   in Loop: Header=BB157_147 Depth=1
                                        ; implicit-def: $vgpr2
.LBB157_165:                            ;   in Loop: Header=BB157_147 Depth=1
	v_div_scale_f32 v1, null, v3, v3, v4
	v_div_scale_f32 v8, vcc_lo, v4, v3, v4
	s_delay_alu instid0(VALU_DEP_2) | instskip(SKIP_2) | instid1(VALU_DEP_1)
	v_rcp_f32_e32 v2, v1
	s_waitcnt_depctr 0xfff
	v_fma_f32 v7, -v1, v2, 1.0
	v_fmac_f32_e32 v2, v7, v2
	s_delay_alu instid0(VALU_DEP_1) | instskip(NEXT) | instid1(VALU_DEP_1)
	v_mul_f32_e32 v7, v8, v2
	v_fma_f32 v9, -v1, v7, v8
	s_delay_alu instid0(VALU_DEP_1) | instskip(NEXT) | instid1(VALU_DEP_1)
	v_fmac_f32_e32 v7, v9, v2
	v_fma_f32 v1, -v1, v7, v8
	s_delay_alu instid0(VALU_DEP_1) | instskip(NEXT) | instid1(VALU_DEP_1)
	v_div_fmas_f32 v1, v1, v2, v7
	v_div_fixup_f32 v1, v1, v3, v4
	s_delay_alu instid0(VALU_DEP_1) | instskip(NEXT) | instid1(VALU_DEP_1)
	v_fmac_f32_e32 v3, v4, v1
	v_div_scale_f32 v2, null, v3, v3, 1.0
	v_div_scale_f32 v8, vcc_lo, 1.0, v3, 1.0
	s_delay_alu instid0(VALU_DEP_2) | instskip(SKIP_2) | instid1(VALU_DEP_1)
	v_rcp_f32_e32 v4, v2
	s_waitcnt_depctr 0xfff
	v_fma_f32 v7, -v2, v4, 1.0
	v_fmac_f32_e32 v4, v7, v4
	s_delay_alu instid0(VALU_DEP_1) | instskip(NEXT) | instid1(VALU_DEP_1)
	v_mul_f32_e32 v7, v8, v4
	v_fma_f32 v9, -v2, v7, v8
	s_delay_alu instid0(VALU_DEP_1) | instskip(NEXT) | instid1(VALU_DEP_1)
	v_fmac_f32_e32 v7, v9, v4
	v_fma_f32 v2, -v2, v7, v8
	s_delay_alu instid0(VALU_DEP_1) | instskip(SKIP_1) | instid1(VALU_DEP_2)
	v_div_fmas_f32 v2, v2, v4, v7
	v_fma_f32 v4, v1, v6, v5
	v_div_fixup_f32 v2, v2, v3, 1.0
	v_fma_f32 v3, -v1, v5, v6
	s_delay_alu instid0(VALU_DEP_2) | instskip(NEXT) | instid1(VALU_DEP_2)
	v_mul_f32_e32 v1, v4, v2
	v_mul_f32_e32 v2, v3, v2
.LBB157_166:                            ;   in Loop: Header=BB157_147 Depth=1
	s_add_i32 s5, s4, 4
	s_add_i32 s4, s4, 7
	s_addk_i32 s1, 0x280
	s_cmp_ge_i32 s4, s11
	ds_store_b64 v14, v[1:2]
	s_cbranch_scc1 .LBB157_168
; %bb.167:                              ;   in Loop: Header=BB157_147 Depth=1
	s_mov_b32 s4, s5
	s_branch .LBB157_147
.LBB157_168:
	s_cmp_ge_i32 s5, s11
	s_cbranch_scc1 .LBB157_183
; %bb.169:
	v_lshl_add_u32 v1, v0, 3, 0xc80
	s_add_i32 s1, s5, -1
	s_mul_i32 s4, s5, 0xa0
	s_mov_b32 s6, 0
	s_mov_b32 s7, s5
	s_branch .LBB157_171
.LBB157_170:                            ;   in Loop: Header=BB157_171 Depth=1
	v_add_nc_u16 v2, s7, 1
	s_add_i32 s5, s5, 1
	s_add_i32 s6, s6, 1
	s_addk_i32 s4, 0xa0
	s_cmp_ge_i32 s5, s11
	v_readfirstlane_b32 s7, v2
	ds_store_b64 v8, v[6:7]
	s_cbranch_scc1 .LBB157_183
.LBB157_171:                            ; =>This Loop Header: Depth=1
                                        ;     Child Loop BB157_174 Depth 2
                                        ;     Child Loop BB157_178 Depth 2
	s_mul_i32 s9, s5, 20
	s_cmp_eq_u32 s5, 0
	v_add_lshl_u32 v6, s9, v0, 3
	ds_load_b64 v[2:3], v6 offset:3200
	s_cbranch_scc1 .LBB157_179
; %bb.172:                              ;   in Loop: Header=BB157_171 Depth=1
	s_add_i32 s9, s1, s6
	s_delay_alu instid0(SALU_CYCLE_1)
	s_cmp_lt_u32 s9, 3
	s_cbranch_scc1 .LBB157_176
; %bb.173:                              ;   in Loop: Header=BB157_171 Depth=1
	v_mov_b32_e32 v4, v1
	s_and_b32 s9, s5, -4
	s_mov_b32 s10, 0
	s_mov_b32 s14, s4
	s_set_inst_prefetch_distance 0x1
	.p2align	6
.LBB157_174:                            ;   Parent Loop BB157_171 Depth=1
                                        ; =>  This Inner Loop Header: Depth=2
	v_mov_b32_e32 v5, s14
	s_add_i32 s10, s10, 4
	s_add_i32 s14, s14, 32
	s_cmp_eq_u32 s9, s10
	ds_load_2addr_b64 v[7:10], v4 offset1:20
	ds_load_b128 v[11:14], v5
	ds_load_2addr_b64 v[15:18], v4 offset0:40 offset1:60
	ds_load_b128 v[19:22], v5 offset:16
	v_add_nc_u32_e32 v4, 0x280, v4
	s_waitcnt lgkmcnt(2)
	v_mul_f32_e32 v5, v12, v8
	v_dual_mul_f32 v8, v11, v8 :: v_dual_mul_f32 v23, v14, v10
	s_waitcnt lgkmcnt(0)
	v_mul_f32_e32 v24, v20, v16
	v_mul_f32_e32 v10, v13, v10
	v_fma_f32 v5, v11, v7, -v5
	v_fmac_f32_e32 v8, v12, v7
	v_dual_mul_f32 v16, v19, v16 :: v_dual_mul_f32 v7, v22, v18
	v_fma_f32 v11, v13, v9, -v23
	s_delay_alu instid0(VALU_DEP_4) | instskip(NEXT) | instid1(VALU_DEP_4)
	v_dual_sub_f32 v2, v2, v5 :: v_dual_mul_f32 v5, v21, v18
	v_dual_fmac_f32 v10, v14, v9 :: v_dual_sub_f32 v3, v3, v8
	v_fma_f32 v8, v19, v15, -v24
	s_delay_alu instid0(VALU_DEP_3) | instskip(SKIP_1) | instid1(VALU_DEP_4)
	v_dual_fmac_f32 v16, v20, v15 :: v_dual_fmac_f32 v5, v22, v17
	v_fma_f32 v7, v21, v17, -v7
	v_dual_sub_f32 v3, v3, v10 :: v_dual_sub_f32 v2, v2, v11
	s_delay_alu instid0(VALU_DEP_1) | instskip(NEXT) | instid1(VALU_DEP_1)
	v_sub_f32_e32 v3, v3, v16
	v_dual_sub_f32 v2, v2, v8 :: v_dual_sub_f32 v3, v3, v5
	s_delay_alu instid0(VALU_DEP_1)
	v_sub_f32_e32 v2, v2, v7
	s_cbranch_scc0 .LBB157_174
; %bb.175:                              ;   in Loop: Header=BB157_171 Depth=1
	s_set_inst_prefetch_distance 0x2
	s_and_b32 s10, s5, 3
	s_delay_alu instid0(SALU_CYCLE_1)
	s_cmp_eq_u32 s10, 0
	s_cbranch_scc0 .LBB157_177
	s_branch .LBB157_179
.LBB157_176:                            ;   in Loop: Header=BB157_171 Depth=1
	s_mov_b32 s9, 0
	s_and_b32 s10, s5, 3
	s_delay_alu instid0(SALU_CYCLE_1)
	s_cmp_eq_u32 s10, 0
	s_cbranch_scc1 .LBB157_179
.LBB157_177:                            ;   in Loop: Header=BB157_171 Depth=1
	s_waitcnt lgkmcnt(0)
	v_mad_u64_u32 v[4:5], null, 0xa0, s9, v[1:2]
	s_and_b32 s10, s7, 3
	s_lshl_b32 s9, s9, 3
	.p2align	6
.LBB157_178:                            ;   Parent Loop BB157_171 Depth=1
                                        ; =>  This Inner Loop Header: Depth=2
	s_delay_alu instid0(SALU_CYCLE_1)
	s_add_i32 s14, s4, s9
	s_add_i32 s10, s10, -1
	v_mov_b32_e32 v5, s14
	s_add_i32 s9, s9, 8
	s_cmp_lg_u32 s10, 0
	ds_load_b64 v[7:8], v4
	ds_load_b64 v[9:10], v5
	v_add_nc_u32_e32 v4, 0xa0, v4
	s_waitcnt lgkmcnt(0)
	v_mul_f32_e32 v5, v10, v8
	v_mul_f32_e32 v8, v9, v8
	s_delay_alu instid0(VALU_DEP_2) | instskip(NEXT) | instid1(VALU_DEP_2)
	v_fma_f32 v5, v9, v7, -v5
	v_fmac_f32_e32 v8, v10, v7
	s_delay_alu instid0(VALU_DEP_1)
	v_dual_sub_f32 v2, v2, v5 :: v_dual_sub_f32 v3, v3, v8
	s_cbranch_scc1 .LBB157_178
.LBB157_179:                            ;   in Loop: Header=BB157_171 Depth=1
	s_mul_i32 s9, s5, 0xa8
	v_add_nc_u32_e32 v8, 0xc80, v6
	v_mov_b32_e32 v4, s9
	ds_load_b64 v[4:5], v4
	s_waitcnt lgkmcnt(0)
	v_cmp_gt_f32_e32 vcc_lo, 0, v4
	v_cndmask_b32_e64 v6, v4, -v4, vcc_lo
	v_cmp_gt_f32_e32 vcc_lo, 0, v5
	v_cndmask_b32_e64 v7, v5, -v5, vcc_lo
	s_delay_alu instid0(VALU_DEP_1)
	v_cmp_ngt_f32_e32 vcc_lo, v6, v7
	s_cbranch_vccz .LBB157_181
; %bb.180:                              ;   in Loop: Header=BB157_171 Depth=1
	v_div_scale_f32 v6, null, v5, v5, v4
	v_div_scale_f32 v10, vcc_lo, v4, v5, v4
	s_delay_alu instid0(VALU_DEP_2) | instskip(SKIP_2) | instid1(VALU_DEP_1)
	v_rcp_f32_e32 v7, v6
	s_waitcnt_depctr 0xfff
	v_fma_f32 v9, -v6, v7, 1.0
	v_fmac_f32_e32 v7, v9, v7
	s_delay_alu instid0(VALU_DEP_1) | instskip(NEXT) | instid1(VALU_DEP_1)
	v_mul_f32_e32 v9, v10, v7
	v_fma_f32 v11, -v6, v9, v10
	s_delay_alu instid0(VALU_DEP_1) | instskip(NEXT) | instid1(VALU_DEP_1)
	v_fmac_f32_e32 v9, v11, v7
	v_fma_f32 v6, -v6, v9, v10
	s_delay_alu instid0(VALU_DEP_1) | instskip(NEXT) | instid1(VALU_DEP_1)
	v_div_fmas_f32 v6, v6, v7, v9
	v_div_fixup_f32 v6, v6, v5, v4
	s_delay_alu instid0(VALU_DEP_1) | instskip(NEXT) | instid1(VALU_DEP_1)
	v_fma_f32 v7, v4, v6, v5
	v_div_scale_f32 v9, null, v7, v7, 1.0
	v_div_scale_f32 v12, vcc_lo, 1.0, v7, 1.0
	s_delay_alu instid0(VALU_DEP_2) | instskip(SKIP_2) | instid1(VALU_DEP_1)
	v_rcp_f32_e32 v10, v9
	s_waitcnt_depctr 0xfff
	v_fma_f32 v11, -v9, v10, 1.0
	v_fmac_f32_e32 v10, v11, v10
	s_delay_alu instid0(VALU_DEP_1) | instskip(NEXT) | instid1(VALU_DEP_1)
	v_mul_f32_e32 v11, v12, v10
	v_fma_f32 v13, -v9, v11, v12
	s_delay_alu instid0(VALU_DEP_1) | instskip(NEXT) | instid1(VALU_DEP_1)
	v_fmac_f32_e32 v11, v13, v10
	v_fma_f32 v9, -v9, v11, v12
	s_delay_alu instid0(VALU_DEP_1) | instskip(SKIP_1) | instid1(VALU_DEP_2)
	v_div_fmas_f32 v9, v9, v10, v11
	v_fma_f32 v10, v2, v6, v3
	v_div_fixup_f32 v7, v9, v7, 1.0
	v_fma_f32 v9, v3, v6, -v2
	s_delay_alu instid0(VALU_DEP_2) | instskip(NEXT) | instid1(VALU_DEP_2)
	v_mul_f32_e32 v6, v10, v7
	v_mul_f32_e32 v7, v9, v7
	s_cbranch_execnz .LBB157_170
	s_branch .LBB157_182
.LBB157_181:                            ;   in Loop: Header=BB157_171 Depth=1
                                        ; implicit-def: $vgpr6
.LBB157_182:                            ;   in Loop: Header=BB157_171 Depth=1
	v_div_scale_f32 v6, null, v4, v4, v5
	v_div_scale_f32 v10, vcc_lo, v5, v4, v5
	s_delay_alu instid0(VALU_DEP_2) | instskip(SKIP_2) | instid1(VALU_DEP_1)
	v_rcp_f32_e32 v7, v6
	s_waitcnt_depctr 0xfff
	v_fma_f32 v9, -v6, v7, 1.0
	v_fmac_f32_e32 v7, v9, v7
	s_delay_alu instid0(VALU_DEP_1) | instskip(NEXT) | instid1(VALU_DEP_1)
	v_mul_f32_e32 v9, v10, v7
	v_fma_f32 v11, -v6, v9, v10
	s_delay_alu instid0(VALU_DEP_1) | instskip(NEXT) | instid1(VALU_DEP_1)
	v_fmac_f32_e32 v9, v11, v7
	v_fma_f32 v6, -v6, v9, v10
	s_delay_alu instid0(VALU_DEP_1) | instskip(NEXT) | instid1(VALU_DEP_1)
	v_div_fmas_f32 v6, v6, v7, v9
	v_div_fixup_f32 v6, v6, v4, v5
	s_delay_alu instid0(VALU_DEP_1) | instskip(NEXT) | instid1(VALU_DEP_1)
	v_fmac_f32_e32 v4, v5, v6
	v_div_scale_f32 v5, null, v4, v4, 1.0
	v_div_scale_f32 v10, vcc_lo, 1.0, v4, 1.0
	s_delay_alu instid0(VALU_DEP_2) | instskip(SKIP_2) | instid1(VALU_DEP_1)
	v_rcp_f32_e32 v7, v5
	s_waitcnt_depctr 0xfff
	v_fma_f32 v9, -v5, v7, 1.0
	v_fmac_f32_e32 v7, v9, v7
	s_delay_alu instid0(VALU_DEP_1) | instskip(NEXT) | instid1(VALU_DEP_1)
	v_mul_f32_e32 v9, v10, v7
	v_fma_f32 v11, -v5, v9, v10
	s_delay_alu instid0(VALU_DEP_1) | instskip(NEXT) | instid1(VALU_DEP_1)
	v_fmac_f32_e32 v9, v11, v7
	v_fma_f32 v5, -v5, v9, v10
	s_delay_alu instid0(VALU_DEP_1) | instskip(SKIP_2) | instid1(VALU_DEP_3)
	v_div_fmas_f32 v5, v5, v7, v9
	v_fma_f32 v7, v3, v6, v2
	v_fma_f32 v2, -v2, v6, v3
	v_div_fixup_f32 v4, v5, v4, 1.0
	s_delay_alu instid0(VALU_DEP_1) | instskip(NEXT) | instid1(VALU_DEP_3)
	v_mul_f32_e32 v6, v7, v4
	v_mul_f32_e32 v7, v2, v4
	s_branch .LBB157_170
.LBB157_183:
	s_and_saveexec_b32 s1, s20
	s_cbranch_execz .LBB157_190
; %bb.184:
	v_lshlrev_b32_e32 v3, 3, v0
	s_ashr_i32 s1, s0, 31
	s_cmp_lt_u32 s8, 4
	s_mov_b32 s9, 0
	s_cbranch_scc1 .LBB157_187
; %bb.185:
	v_add_co_u32 v1, s4, s18, v3
	s_delay_alu instid0(VALU_DEP_1)
	v_add_co_ci_u32_e64 v2, null, s19, 0, s4
	v_lshl_add_u32 v0, v0, 3, 0xc80
	s_and_b32 s9, s8, 0x7ffffffc
	s_mul_hi_i32 s14, s0, 24
	s_mul_i32 s15, s0, 24
	s_lshl_b64 s[4:5], s[0:1], 5
	s_lshl_b64 s[6:7], s[0:1], 4
	;; [unrolled: 1-line block ×3, first 2 shown]
	s_mov_b32 s18, 0
	.p2align	6
.LBB157_186:                            ; =>This Inner Loop Header: Depth=1
	ds_load_2addr_b64 v[4:7], v0 offset1:20
	ds_load_2addr_b64 v[8:11], v0 offset0:40 offset1:60
	v_add_co_u32 v12, vcc_lo, v1, s10
	v_add_co_ci_u32_e32 v13, vcc_lo, s11, v2, vcc_lo
	v_add_co_u32 v14, vcc_lo, v1, s6
	v_add_co_ci_u32_e32 v15, vcc_lo, s7, v2, vcc_lo
	;; [unrolled: 2-line block ×3, first 2 shown]
	v_add_nc_u32_e32 v0, 0x280, v0
	s_add_i32 s18, s18, 4
	s_delay_alu instid0(SALU_CYCLE_1)
	s_cmp_lg_u32 s9, s18
	s_waitcnt lgkmcnt(1)
	global_store_b64 v[1:2], v[4:5], off
	v_add_co_u32 v1, vcc_lo, v1, s4
	v_add_co_ci_u32_e32 v2, vcc_lo, s5, v2, vcc_lo
	global_store_b64 v[12:13], v[6:7], off
	s_waitcnt lgkmcnt(0)
	s_clause 0x1
	global_store_b64 v[14:15], v[8:9], off
	global_store_b64 v[16:17], v[10:11], off
	s_cbranch_scc1 .LBB157_186
.LBB157_187:
	s_and_b32 s4, s8, 3
	s_delay_alu instid0(SALU_CYCLE_1)
	s_cmp_eq_u32 s4, 0
	s_cbranch_scc1 .LBB157_190
; %bb.188:
	s_mul_hi_i32 s7, s0, s9
	s_mul_i32 s6, s0, s9
	s_mul_i32 s5, s9, 0xa0
	s_lshl_b64 s[6:7], s[6:7], 3
	v_add3_u32 v2, s5, v3, 0xc80
	s_add_u32 s6, s6, s16
	s_addc_u32 s7, s7, s17
	s_add_u32 s6, s6, s12
	s_addc_u32 s7, s7, s13
	;; [unrolled: 2-line block ×3, first 2 shown]
	v_add_co_u32 v0, s2, s2, v3
	s_delay_alu instid0(VALU_DEP_1)
	v_add_co_ci_u32_e64 v1, null, s3, 0, s2
	s_lshl_b64 s[0:1], s[0:1], 3
.LBB157_189:                            ; =>This Inner Loop Header: Depth=1
	ds_load_b64 v[3:4], v2
	v_add_nc_u32_e32 v2, 0xa0, v2
	s_add_i32 s4, s4, -1
	s_delay_alu instid0(SALU_CYCLE_1)
	s_cmp_lg_u32 s4, 0
	s_waitcnt lgkmcnt(0)
	global_store_b64 v[0:1], v[3:4], off
	v_add_co_u32 v0, vcc_lo, v0, s0
	v_add_co_ci_u32_e32 v1, vcc_lo, s1, v1, vcc_lo
	s_cbranch_scc1 .LBB157_189
.LBB157_190:
	s_nop 0
	s_sendmsg sendmsg(MSG_DEALLOC_VGPRS)
	s_endpgm
	.section	.rodata,"a",@progbits
	.p2align	6, 0x0
	.amdhsa_kernel _ZL31rocblas_trsm_small_right_deviceI19rocblas_complex_numIfES1_PKPKS1_PKPS1_Li20EEv13rocblas_fill_18rocblas_operation_17rocblas_diagonal_iiT0_T1_lilT2_lili
		.amdhsa_group_segment_fixed_size 6400
		.amdhsa_private_segment_fixed_size 0
		.amdhsa_kernarg_size 360
		.amdhsa_user_sgpr_count 14
		.amdhsa_user_sgpr_dispatch_ptr 0
		.amdhsa_user_sgpr_queue_ptr 0
		.amdhsa_user_sgpr_kernarg_segment_ptr 1
		.amdhsa_user_sgpr_dispatch_id 0
		.amdhsa_user_sgpr_private_segment_size 0
		.amdhsa_wavefront_size32 1
		.amdhsa_uses_dynamic_stack 0
		.amdhsa_enable_private_segment 0
		.amdhsa_system_sgpr_workgroup_id_x 1
		.amdhsa_system_sgpr_workgroup_id_y 0
		.amdhsa_system_sgpr_workgroup_id_z 1
		.amdhsa_system_sgpr_workgroup_info 0
		.amdhsa_system_vgpr_workitem_id 0
		.amdhsa_next_free_vgpr 45
		.amdhsa_next_free_sgpr 36
		.amdhsa_reserve_vcc 1
		.amdhsa_float_round_mode_32 0
		.amdhsa_float_round_mode_16_64 0
		.amdhsa_float_denorm_mode_32 3
		.amdhsa_float_denorm_mode_16_64 3
		.amdhsa_dx10_clamp 1
		.amdhsa_ieee_mode 1
		.amdhsa_fp16_overflow 0
		.amdhsa_workgroup_processor_mode 1
		.amdhsa_memory_ordered 1
		.amdhsa_forward_progress 0
		.amdhsa_shared_vgpr_count 0
		.amdhsa_exception_fp_ieee_invalid_op 0
		.amdhsa_exception_fp_denorm_src 0
		.amdhsa_exception_fp_ieee_div_zero 0
		.amdhsa_exception_fp_ieee_overflow 0
		.amdhsa_exception_fp_ieee_underflow 0
		.amdhsa_exception_fp_ieee_inexact 0
		.amdhsa_exception_int_div_zero 0
	.end_amdhsa_kernel
	.section	.text._ZL31rocblas_trsm_small_right_deviceI19rocblas_complex_numIfES1_PKPKS1_PKPS1_Li20EEv13rocblas_fill_18rocblas_operation_17rocblas_diagonal_iiT0_T1_lilT2_lili,"axG",@progbits,_ZL31rocblas_trsm_small_right_deviceI19rocblas_complex_numIfES1_PKPKS1_PKPS1_Li20EEv13rocblas_fill_18rocblas_operation_17rocblas_diagonal_iiT0_T1_lilT2_lili,comdat
.Lfunc_end157:
	.size	_ZL31rocblas_trsm_small_right_deviceI19rocblas_complex_numIfES1_PKPKS1_PKPS1_Li20EEv13rocblas_fill_18rocblas_operation_17rocblas_diagonal_iiT0_T1_lilT2_lili, .Lfunc_end157-_ZL31rocblas_trsm_small_right_deviceI19rocblas_complex_numIfES1_PKPKS1_PKPS1_Li20EEv13rocblas_fill_18rocblas_operation_17rocblas_diagonal_iiT0_T1_lilT2_lili
                                        ; -- End function
	.section	.AMDGPU.csdata,"",@progbits
; Kernel info:
; codeLenInByte = 16952
; NumSgprs: 38
; NumVgprs: 45
; ScratchSize: 0
; MemoryBound: 0
; FloatMode: 240
; IeeeMode: 1
; LDSByteSize: 6400 bytes/workgroup (compile time only)
; SGPRBlocks: 4
; VGPRBlocks: 5
; NumSGPRsForWavesPerEU: 38
; NumVGPRsForWavesPerEU: 45
; Occupancy: 5
; WaveLimiterHint : 0
; COMPUTE_PGM_RSRC2:SCRATCH_EN: 0
; COMPUTE_PGM_RSRC2:USER_SGPR: 14
; COMPUTE_PGM_RSRC2:TRAP_HANDLER: 0
; COMPUTE_PGM_RSRC2:TGID_X_EN: 1
; COMPUTE_PGM_RSRC2:TGID_Y_EN: 0
; COMPUTE_PGM_RSRC2:TGID_Z_EN: 1
; COMPUTE_PGM_RSRC2:TIDIG_COMP_CNT: 0
	.section	.text._ZL38rocblas_trsm_small_left_device_sharedBILi24ELi24ELb0E19rocblas_complex_numIfES1_PKPKS1_PKPS1_Ev13rocblas_fill_18rocblas_operation_17rocblas_diagonal_iiT3_T4_lilT5_lili,"axG",@progbits,_ZL38rocblas_trsm_small_left_device_sharedBILi24ELi24ELb0E19rocblas_complex_numIfES1_PKPKS1_PKPS1_Ev13rocblas_fill_18rocblas_operation_17rocblas_diagonal_iiT3_T4_lilT5_lili,comdat
	.globl	_ZL38rocblas_trsm_small_left_device_sharedBILi24ELi24ELb0E19rocblas_complex_numIfES1_PKPKS1_PKPS1_Ev13rocblas_fill_18rocblas_operation_17rocblas_diagonal_iiT3_T4_lilT5_lili ; -- Begin function _ZL38rocblas_trsm_small_left_device_sharedBILi24ELi24ELb0E19rocblas_complex_numIfES1_PKPKS1_PKPS1_Ev13rocblas_fill_18rocblas_operation_17rocblas_diagonal_iiT3_T4_lilT5_lili
	.p2align	8
	.type	_ZL38rocblas_trsm_small_left_device_sharedBILi24ELi24ELb0E19rocblas_complex_numIfES1_PKPKS1_PKPS1_Ev13rocblas_fill_18rocblas_operation_17rocblas_diagonal_iiT3_T4_lilT5_lili,@function
_ZL38rocblas_trsm_small_left_device_sharedBILi24ELi24ELb0E19rocblas_complex_numIfES1_PKPKS1_PKPS1_Ev13rocblas_fill_18rocblas_operation_17rocblas_diagonal_iiT3_T4_lilT5_lili: ; @_ZL38rocblas_trsm_small_left_device_sharedBILi24ELi24ELb0E19rocblas_complex_numIfES1_PKPKS1_PKPS1_Ev13rocblas_fill_18rocblas_operation_17rocblas_diagonal_iiT3_T4_lilT5_lili
; %bb.0:
	s_clause 0x1
	s_load_b128 s[8:11], s[0:1], 0x40
	s_load_b128 s[4:7], s[0:1], 0x4
	s_mov_b32 s20, s15
	s_mov_b32 s21, 0
	s_load_b32 s15, s[0:1], 0x68
	s_lshl_b64 s[22:23], s[20:21], 3
	s_mov_b32 s29, exec_lo
	s_waitcnt lgkmcnt(0)
	s_add_u32 s2, s8, s22
	s_addc_u32 s3, s9, s23
	s_load_b64 s[12:13], s[0:1], 0x14
	s_load_b64 s[2:3], s[2:3], 0x0
	s_min_i32 s20, s6, 24
	s_delay_alu instid0(SALU_CYCLE_1)
	s_add_i32 s28, s20, -1
	v_cmpx_gt_i32_e64 s20, v0
	s_cbranch_execz .LBB158_35
; %bb.1:
	s_clause 0x1
	s_load_b32 s8, s[0:1], 0x30
	s_load_b128 s[16:19], s[0:1], 0x20
	s_waitcnt lgkmcnt(0)
	s_ashr_i32 s9, s8, 31
	s_cmpk_lg_i32 s4, 0x71
	s_cselect_b32 s30, -1, 0
	s_add_u32 s16, s16, s22
	s_addc_u32 s17, s17, s23
	v_cndmask_b32_e64 v7, 0, 1, s30
	s_load_b64 s[16:17], s[16:17], 0x0
	s_cmp_lt_u32 s28, 3
	s_cbranch_scc1 .LBB158_20
; %bb.2:
	v_lshlrev_b32_e32 v8, 3, v0
	s_lshl_b64 s[22:23], s[18:19], 3
	s_mul_hi_i32 s31, s8, 24
	s_waitcnt lgkmcnt(0)
	s_add_u32 s21, s16, s22
	s_addc_u32 s22, s17, s23
	v_add_co_u32 v1, s21, s21, v8
	s_delay_alu instid0(VALU_DEP_1)
	v_add_co_ci_u32_e64 v2, null, s22, 0, s21
	s_and_b32 s21, s20, -4
	s_mul_i32 s33, s8, 24
	s_lshl_b64 s[22:23], s[8:9], 5
	s_lshl_b64 s[24:25], s[8:9], 4
	;; [unrolled: 1-line block ×3, first 2 shown]
	s_mov_b32 s34, 0
	s_branch .LBB158_4
.LBB158_3:                              ;   in Loop: Header=BB158_4 Depth=1
	global_load_b32 v3, v[5:6], off
	v_add_co_u32 v1, vcc_lo, v1, s22
	v_add_co_ci_u32_e32 v2, vcc_lo, s23, v2, vcc_lo
	s_add_i32 s34, s34, 4
	s_delay_alu instid0(SALU_CYCLE_1)
	s_cmp_eq_u32 s21, s34
	s_waitcnt vmcnt(0)
	ds_store_b64 v8, v[3:4] offset:576
	v_add_nc_u32_e32 v8, 0x300, v8
	s_cbranch_scc1 .LBB158_20
.LBB158_4:                              ; =>This Inner Loop Header: Depth=1
	s_and_b32 vcc_lo, exec_lo, s30
	s_cbranch_vccz .LBB158_6
; %bb.5:                                ;   in Loop: Header=BB158_4 Depth=1
	global_load_b32 v4, v[1:2], off offset:4
	s_cbranch_execz .LBB158_7
	s_branch .LBB158_8
.LBB158_6:                              ;   in Loop: Header=BB158_4 Depth=1
                                        ; implicit-def: $vgpr4
.LBB158_7:                              ;   in Loop: Header=BB158_4 Depth=1
	global_load_b32 v3, v[1:2], off offset:4
	s_waitcnt vmcnt(0)
	v_xor_b32_e32 v4, 0x80000000, v3
.LBB158_8:                              ;   in Loop: Header=BB158_4 Depth=1
	global_load_b32 v3, v[1:2], off
	v_add_co_u32 v5, vcc_lo, v1, s26
	v_add_co_ci_u32_e32 v6, vcc_lo, s27, v2, vcc_lo
	s_and_not1_b32 vcc_lo, exec_lo, s30
	s_waitcnt vmcnt(0)
	ds_store_b64 v8, v[3:4]
	s_cbranch_vccnz .LBB158_10
; %bb.9:                                ;   in Loop: Header=BB158_4 Depth=1
	global_load_b32 v4, v[5:6], off offset:4
	s_cbranch_execz .LBB158_11
	s_branch .LBB158_12
.LBB158_10:                             ;   in Loop: Header=BB158_4 Depth=1
                                        ; implicit-def: $vgpr4
.LBB158_11:                             ;   in Loop: Header=BB158_4 Depth=1
	global_load_b32 v3, v[5:6], off offset:4
	s_waitcnt vmcnt(0)
	v_xor_b32_e32 v4, 0x80000000, v3
.LBB158_12:                             ;   in Loop: Header=BB158_4 Depth=1
	global_load_b32 v3, v[5:6], off
	v_add_co_u32 v5, vcc_lo, v1, s24
	v_add_co_ci_u32_e32 v6, vcc_lo, s25, v2, vcc_lo
	s_and_not1_b32 vcc_lo, exec_lo, s30
	s_waitcnt vmcnt(0)
	ds_store_b64 v8, v[3:4] offset:192
	s_cbranch_vccnz .LBB158_14
; %bb.13:                               ;   in Loop: Header=BB158_4 Depth=1
	global_load_b32 v4, v[5:6], off offset:4
	s_cbranch_execz .LBB158_15
	s_branch .LBB158_16
.LBB158_14:                             ;   in Loop: Header=BB158_4 Depth=1
                                        ; implicit-def: $vgpr4
.LBB158_15:                             ;   in Loop: Header=BB158_4 Depth=1
	global_load_b32 v3, v[5:6], off offset:4
	s_waitcnt vmcnt(0)
	v_xor_b32_e32 v4, 0x80000000, v3
.LBB158_16:                             ;   in Loop: Header=BB158_4 Depth=1
	global_load_b32 v3, v[5:6], off
	v_add_co_u32 v5, vcc_lo, v1, s33
	v_add_co_ci_u32_e32 v6, vcc_lo, s31, v2, vcc_lo
	s_and_not1_b32 vcc_lo, exec_lo, s30
	s_waitcnt vmcnt(0)
	ds_store_b64 v8, v[3:4] offset:384
	s_cbranch_vccnz .LBB158_18
; %bb.17:                               ;   in Loop: Header=BB158_4 Depth=1
	global_load_b32 v4, v[5:6], off offset:4
	s_cbranch_execnz .LBB158_3
	s_branch .LBB158_19
.LBB158_18:                             ;   in Loop: Header=BB158_4 Depth=1
                                        ; implicit-def: $vgpr4
.LBB158_19:                             ;   in Loop: Header=BB158_4 Depth=1
	global_load_b32 v3, v[5:6], off offset:4
	s_waitcnt vmcnt(0)
	v_xor_b32_e32 v4, 0x80000000, v3
	s_branch .LBB158_3
.LBB158_20:
	s_and_b32 s22, s20, 3
	s_delay_alu instid0(SALU_CYCLE_1)
	s_cmp_eq_u32 s22, 0
	s_cbranch_scc1 .LBB158_27
; %bb.21:
	s_mul_i32 s23, s9, s21
	s_mul_hi_u32 s25, s8, s21
	s_mul_i32 s24, s8, s21
	s_add_i32 s25, s25, s23
	s_lshl_b64 s[18:19], s[18:19], 3
	s_lshl_b64 s[24:25], s[24:25], 3
	v_lshlrev_b32_e32 v1, 3, v0
	s_add_u32 s18, s24, s18
	s_addc_u32 s19, s25, s19
	s_waitcnt lgkmcnt(0)
	s_add_u32 s16, s16, s18
	s_addc_u32 s17, s17, s19
	v_add_co_u32 v1, s16, s16, v1
	s_delay_alu instid0(VALU_DEP_1) | instskip(SKIP_1) | instid1(VALU_DEP_2)
	v_add_co_ci_u32_e64 v2, null, s17, 0, s16
	s_mulk_i32 s21, 0xc0
	v_add_co_u32 v1, vcc_lo, v1, 4
	v_lshl_add_u32 v5, v0, 3, s21
	s_delay_alu instid0(VALU_DEP_3)
	v_add_co_ci_u32_e32 v2, vcc_lo, 0, v2, vcc_lo
	s_lshl_b64 s[8:9], s[8:9], 3
	s_set_inst_prefetch_distance 0x1
	s_branch .LBB158_23
	.p2align	6
.LBB158_22:                             ;   in Loop: Header=BB158_23 Depth=1
	global_load_b32 v3, v[1:2], off offset:-4
	v_add_co_u32 v1, vcc_lo, v1, s8
	v_add_co_ci_u32_e32 v2, vcc_lo, s9, v2, vcc_lo
	s_add_i32 s22, s22, -1
	s_delay_alu instid0(SALU_CYCLE_1)
	s_cmp_lg_u32 s22, 0
	s_waitcnt vmcnt(0)
	ds_store_b64 v5, v[3:4]
	v_add_nc_u32_e32 v5, 0xc0, v5
	s_cbranch_scc0 .LBB158_27
.LBB158_23:                             ; =>This Inner Loop Header: Depth=1
	v_cmp_ne_u32_e32 vcc_lo, 1, v7
	s_mov_b32 s16, -1
                                        ; implicit-def: $vgpr4
	s_cbranch_vccnz .LBB158_25
; %bb.24:                               ;   in Loop: Header=BB158_23 Depth=1
	global_load_b32 v4, v[1:2], off
	s_mov_b32 s16, 0
.LBB158_25:                             ;   in Loop: Header=BB158_23 Depth=1
	s_delay_alu instid0(SALU_CYCLE_1)
	s_and_not1_b32 vcc_lo, exec_lo, s16
	s_cbranch_vccnz .LBB158_22
; %bb.26:                               ;   in Loop: Header=BB158_23 Depth=1
	global_load_b32 v3, v[1:2], off
	s_waitcnt vmcnt(0)
	v_xor_b32_e32 v4, 0x80000000, v3
	s_branch .LBB158_22
.LBB158_27:
	s_set_inst_prefetch_distance 0x2
	v_mul_u32_u24_e32 v1, 25, v0
	s_cmpk_lg_i32 s5, 0x84
	s_mov_b32 s5, -1
	s_delay_alu instid0(VALU_DEP_1)
	v_lshlrev_b32_e32 v5, 3, v1
	s_cbranch_scc0 .LBB158_33
; %bb.28:
	ds_load_b64 v[1:2], v5
	s_waitcnt lgkmcnt(0)
	v_cmp_gt_f32_e32 vcc_lo, 0, v1
	v_cndmask_b32_e64 v3, v1, -v1, vcc_lo
	v_cmp_gt_f32_e32 vcc_lo, 0, v2
	v_cndmask_b32_e64 v4, v2, -v2, vcc_lo
	s_delay_alu instid0(VALU_DEP_1) | instskip(SKIP_1) | instid1(SALU_CYCLE_1)
	v_cmp_ngt_f32_e32 vcc_lo, v3, v4
                                        ; implicit-def: $vgpr3
	s_and_saveexec_b32 s5, vcc_lo
	s_xor_b32 s5, exec_lo, s5
	s_cbranch_execz .LBB158_30
; %bb.29:
	v_div_scale_f32 v3, null, v2, v2, v1
	v_div_scale_f32 v7, vcc_lo, v1, v2, v1
	s_delay_alu instid0(VALU_DEP_2) | instskip(SKIP_2) | instid1(VALU_DEP_1)
	v_rcp_f32_e32 v4, v3
	s_waitcnt_depctr 0xfff
	v_fma_f32 v6, -v3, v4, 1.0
	v_fmac_f32_e32 v4, v6, v4
	s_delay_alu instid0(VALU_DEP_1) | instskip(NEXT) | instid1(VALU_DEP_1)
	v_mul_f32_e32 v6, v7, v4
	v_fma_f32 v8, -v3, v6, v7
	s_delay_alu instid0(VALU_DEP_1) | instskip(NEXT) | instid1(VALU_DEP_1)
	v_fmac_f32_e32 v6, v8, v4
	v_fma_f32 v3, -v3, v6, v7
	s_delay_alu instid0(VALU_DEP_1) | instskip(NEXT) | instid1(VALU_DEP_1)
	v_div_fmas_f32 v3, v3, v4, v6
	v_div_fixup_f32 v3, v3, v2, v1
	s_delay_alu instid0(VALU_DEP_1) | instskip(NEXT) | instid1(VALU_DEP_1)
	v_fmac_f32_e32 v2, v1, v3
	v_div_scale_f32 v1, null, v2, v2, 1.0
	v_div_scale_f32 v7, vcc_lo, 1.0, v2, 1.0
	s_delay_alu instid0(VALU_DEP_2) | instskip(SKIP_2) | instid1(VALU_DEP_1)
	v_rcp_f32_e32 v4, v1
	s_waitcnt_depctr 0xfff
	v_fma_f32 v6, -v1, v4, 1.0
	v_fmac_f32_e32 v4, v6, v4
	s_delay_alu instid0(VALU_DEP_1) | instskip(NEXT) | instid1(VALU_DEP_1)
	v_mul_f32_e32 v6, v7, v4
	v_fma_f32 v8, -v1, v6, v7
	s_delay_alu instid0(VALU_DEP_1) | instskip(NEXT) | instid1(VALU_DEP_1)
	v_fmac_f32_e32 v6, v8, v4
	v_fma_f32 v1, -v1, v6, v7
	s_delay_alu instid0(VALU_DEP_1) | instskip(SKIP_1) | instid1(VALU_DEP_2)
	v_div_fmas_f32 v1, v1, v4, v6
	v_add_f32_e32 v4, 0, v3
	v_div_fixup_f32 v1, v1, v2, 1.0
	v_fma_f32 v2, v3, 0, -1.0
	s_delay_alu instid0(VALU_DEP_2) | instskip(NEXT) | instid1(VALU_DEP_2)
	v_mul_f32_e32 v3, v4, v1
	v_mul_f32_e32 v4, v2, v1
                                        ; implicit-def: $vgpr1_vgpr2
.LBB158_30:
	s_and_not1_saveexec_b32 s5, s5
	s_cbranch_execz .LBB158_32
; %bb.31:
	v_div_scale_f32 v3, null, v1, v1, v2
	v_div_scale_f32 v7, vcc_lo, v2, v1, v2
	s_delay_alu instid0(VALU_DEP_2) | instskip(SKIP_2) | instid1(VALU_DEP_1)
	v_rcp_f32_e32 v4, v3
	s_waitcnt_depctr 0xfff
	v_fma_f32 v6, -v3, v4, 1.0
	v_fmac_f32_e32 v4, v6, v4
	s_delay_alu instid0(VALU_DEP_1) | instskip(NEXT) | instid1(VALU_DEP_1)
	v_mul_f32_e32 v6, v7, v4
	v_fma_f32 v8, -v3, v6, v7
	s_delay_alu instid0(VALU_DEP_1) | instskip(NEXT) | instid1(VALU_DEP_1)
	v_fmac_f32_e32 v6, v8, v4
	v_fma_f32 v3, -v3, v6, v7
	s_delay_alu instid0(VALU_DEP_1) | instskip(NEXT) | instid1(VALU_DEP_1)
	v_div_fmas_f32 v3, v3, v4, v6
	v_div_fixup_f32 v4, v3, v1, v2
	s_delay_alu instid0(VALU_DEP_1) | instskip(NEXT) | instid1(VALU_DEP_1)
	v_fmac_f32_e32 v1, v2, v4
	v_div_scale_f32 v2, null, v1, v1, 1.0
	v_div_scale_f32 v7, vcc_lo, 1.0, v1, 1.0
	s_delay_alu instid0(VALU_DEP_2) | instskip(SKIP_2) | instid1(VALU_DEP_1)
	v_rcp_f32_e32 v3, v2
	s_waitcnt_depctr 0xfff
	v_fma_f32 v6, -v2, v3, 1.0
	v_fmac_f32_e32 v3, v6, v3
	s_delay_alu instid0(VALU_DEP_1) | instskip(NEXT) | instid1(VALU_DEP_1)
	v_mul_f32_e32 v6, v7, v3
	v_fma_f32 v8, -v2, v6, v7
	s_delay_alu instid0(VALU_DEP_1) | instskip(NEXT) | instid1(VALU_DEP_1)
	v_fmac_f32_e32 v6, v8, v3
	v_fma_f32 v2, -v2, v6, v7
	s_delay_alu instid0(VALU_DEP_1) | instskip(SKIP_1) | instid1(VALU_DEP_2)
	v_div_fmas_f32 v2, v2, v3, v6
	v_fma_f32 v3, v4, 0, 1.0
	v_div_fixup_f32 v1, v2, v1, 1.0
	s_delay_alu instid0(VALU_DEP_1)
	v_mul_f32_e32 v3, v3, v1
	v_mul_f32_e64 v4, -v4, v1
.LBB158_32:
	s_or_b32 exec_lo, exec_lo, s5
	s_mov_b32 s5, 0
	ds_store_b64 v5, v[3:4]
.LBB158_33:
	s_and_b32 vcc_lo, exec_lo, s5
	s_cbranch_vccz .LBB158_35
; %bb.34:
	v_dual_mov_b32 v1, 1.0 :: v_dual_mov_b32 v2, 0
	ds_store_b64 v5, v[1:2]
.LBB158_35:
	s_or_b32 exec_lo, exec_lo, s29
	s_waitcnt lgkmcnt(0)
	s_load_b32 s16, s[0:1], 0x50
	s_lshl_b64 s[0:1], s[10:11], 3
	s_mul_i32 s5, s14, 0xffffffe8
	s_mul_i32 s8, s14, 24
	s_waitcnt lgkmcnt(0)
	s_ashr_i32 s17, s16, 31
	s_add_u32 s18, s2, s0
	s_addc_u32 s19, s3, s1
	s_add_i32 s15, s15, -1
	s_add_i32 s5, s5, s7
	s_mul_hi_i32 s11, s16, s8
	s_cmp_ge_u32 s14, s15
	s_mul_i32 s10, s16, s8
	s_cselect_b32 s5, s5, 24
	s_lshl_b64 s[10:11], s[10:11], 3
	s_ashr_i32 s9, s8, 31
	s_add_u32 s7, s18, s10
	s_addc_u32 s18, s19, s11
	v_cmp_gt_i32_e32 vcc_lo, s5, v0
	s_cmp_gt_i32 s6, 0
	s_mov_b32 s10, 0
	s_cselect_b32 s5, -1, 0
	s_delay_alu instid0(SALU_CYCLE_1) | instskip(NEXT) | instid1(SALU_CYCLE_1)
	s_and_b32 s19, vcc_lo, s5
	s_and_saveexec_b32 s5, s19
	s_cbranch_execz .LBB158_42
; %bb.36:
	s_cmp_lt_i32 s6, 8
	s_cbranch_scc1 .LBB158_39
; %bb.37:
	v_mad_i64_i32 v[1:2], null, s16, v0, 0
	v_lshl_or_b32 v3, v0, 3, 0x1200
	s_lshl_b32 s10, s20, 3
	s_mov_b64 s[14:15], 0
	s_and_b32 s11, s10, 0xc0
	s_mov_b32 s10, 0
	s_delay_alu instid0(VALU_DEP_2) | instskip(NEXT) | instid1(VALU_DEP_1)
	v_lshlrev_b64 v[1:2], 3, v[1:2]
	v_add_co_u32 v1, vcc_lo, s7, v1
	s_delay_alu instid0(VALU_DEP_2)
	v_add_co_ci_u32_e32 v2, vcc_lo, s18, v2, vcc_lo
.LBB158_38:                             ; =>This Inner Loop Header: Depth=1
	s_delay_alu instid0(VALU_DEP_2) | instskip(NEXT) | instid1(VALU_DEP_2)
	v_add_co_u32 v16, vcc_lo, v1, s14
	v_add_co_ci_u32_e32 v17, vcc_lo, s15, v2, vcc_lo
	s_add_i32 s10, s10, 8
	s_add_u32 s14, s14, 64
	s_addc_u32 s15, s15, 0
	s_clause 0x3
	global_load_b128 v[4:7], v[16:17], off
	global_load_b128 v[8:11], v[16:17], off offset:16
	global_load_b128 v[12:15], v[16:17], off offset:32
	global_load_b128 v[16:19], v[16:17], off offset:48
	s_cmp_lg_u32 s11, s14
	s_waitcnt vmcnt(3)
	v_dual_mul_f32 v21, s13, v5 :: v_dual_mul_f32 v22, s13, v7
	v_dual_mul_f32 v20, s12, v5 :: v_dual_mul_f32 v5, s12, v7
	s_waitcnt vmcnt(2)
	v_dual_mul_f32 v23, s13, v9 :: v_dual_mul_f32 v24, s13, v11
	s_waitcnt vmcnt(1)
	v_dual_mul_f32 v7, s12, v9 :: v_dual_mul_f32 v26, s13, v15
	v_dual_mul_f32 v9, s12, v11 :: v_dual_fmac_f32 v20, s13, v4
	s_waitcnt vmcnt(0)
	v_dual_mul_f32 v25, s13, v13 :: v_dual_mul_f32 v28, s13, v19
	v_mul_f32_e32 v11, s12, v13
	v_mul_f32_e32 v13, s12, v15
	;; [unrolled: 1-line block ×5, first 2 shown]
	v_fma_f32 v19, s12, v4, -v21
	v_fma_f32 v4, s12, v6, -v22
	v_fmac_f32_e32 v5, s13, v6
	v_fma_f32 v6, s12, v8, -v23
	v_fmac_f32_e32 v7, s13, v8
	;; [unrolled: 2-line block ×7, first 2 shown]
	ds_store_2addr_b64 v3, v[19:20], v[4:5] offset1:24
	ds_store_2addr_b64 v3, v[6:7], v[8:9] offset0:48 offset1:72
	ds_store_2addr_b64 v3, v[10:11], v[12:13] offset0:96 offset1:120
	;; [unrolled: 1-line block ×3, first 2 shown]
	v_add_nc_u32_e32 v3, 0x600, v3
	s_cbranch_scc1 .LBB158_38
.LBB158_39:
	s_and_b32 s14, s20, 7
	s_mov_b32 s11, 0
	s_cmp_eq_u32 s14, 0
	s_cbranch_scc1 .LBB158_42
; %bb.40:
	v_lshlrev_b32_e32 v3, 3, v0
	s_lshl_b64 s[22:23], s[8:9], 3
	s_lshl_b64 s[24:25], s[10:11], 3
	s_mulk_i32 s10, 0xc0
	s_delay_alu instid0(VALU_DEP_1) | instskip(NEXT) | instid1(VALU_DEP_1)
	v_add_co_u32 v4, s11, s22, v3
	v_add_co_ci_u32_e64 v5, null, s23, 0, s11
	s_add_u32 s11, s2, s24
	s_addc_u32 s15, s3, s25
	s_add_u32 s22, s11, s0
	s_addc_u32 s23, s15, s1
	v_mul_lo_u32 v5, v5, s16
	v_mad_u64_u32 v[1:2], null, v4, s16, s[22:23]
	v_mul_lo_u32 v4, v4, s17
	v_add3_u32 v3, s10, v3, 0x1200
	s_delay_alu instid0(VALU_DEP_3) | instskip(NEXT) | instid1(VALU_DEP_3)
	v_add_co_u32 v1, vcc_lo, v1, 4
	v_add3_u32 v2, v5, v2, v4
	s_delay_alu instid0(VALU_DEP_1)
	v_add_co_ci_u32_e32 v2, vcc_lo, 0, v2, vcc_lo
	.p2align	6
.LBB158_41:                             ; =>This Inner Loop Header: Depth=1
	global_load_b64 v[4:5], v[1:2], off offset:-4
	v_add_co_u32 v1, vcc_lo, v1, 8
	v_add_co_ci_u32_e32 v2, vcc_lo, 0, v2, vcc_lo
	s_add_i32 s14, s14, -1
	s_delay_alu instid0(SALU_CYCLE_1) | instskip(SKIP_2) | instid1(VALU_DEP_1)
	s_cmp_lg_u32 s14, 0
	s_waitcnt vmcnt(0)
	v_mul_f32_e32 v6, s12, v5
	v_dual_mul_f32 v7, s13, v5 :: v_dual_fmac_f32 v6, s13, v4
	s_delay_alu instid0(VALU_DEP_1)
	v_fma_f32 v5, s12, v4, -v7
	ds_store_b64 v3, v[5:6]
	v_add_nc_u32_e32 v3, 0xc0, v3
	s_cbranch_scc1 .LBB158_41
.LBB158_42:
	s_or_b32 exec_lo, exec_lo, s5
	v_or_b32_e64 v5, 0, 4
	s_cmpk_eq_i32 s4, 0x6f
	s_mov_b32 s4, -1
	s_waitcnt vmcnt(0) lgkmcnt(0)
	s_waitcnt_vscnt null, 0x0
	; wave barrier
	s_waitcnt lgkmcnt(0)
	buffer_gl0_inv
	s_cbranch_scc1 .LBB158_64
; %bb.43:
	v_lshl_or_b32 v3, v0, 3, 0x1200
	s_mov_b32 s5, 0
	s_delay_alu instid0(SALU_CYCLE_1)
	s_mov_b32 s4, s5
	s_mov_b32 s10, s5
	s_branch .LBB158_45
.LBB158_44:                             ;   in Loop: Header=BB158_45 Depth=1
	s_cmp_ge_i32 s10, s20
	s_cselect_b32 s11, -1, 0
	s_add_i32 s4, s4, 1
	s_delay_alu instid0(SALU_CYCLE_1) | instskip(SKIP_1) | instid1(SALU_CYCLE_1)
	s_cmp_eq_u32 s4, 3
	s_cselect_b32 s12, -1, 0
	s_or_b32 s11, s11, s12
	s_delay_alu instid0(SALU_CYCLE_1)
	s_and_not1_b32 vcc_lo, exec_lo, s11
	s_cbranch_vccz .LBB158_63
.LBB158_45:                             ; =>This Loop Header: Depth=1
                                        ;     Child Loop BB158_48 Depth 2
                                        ;       Child Loop BB158_49 Depth 3
                                        ;       Child Loop BB158_52 Depth 3
                                        ;         Child Loop BB158_53 Depth 4
                                        ;       Child Loop BB158_57 Depth 3
                                        ;         Child Loop BB158_59 Depth 4
	s_getpc_b64 s[12:13]
	s_add_u32 s12, s12, __const._ZL38rocblas_trsm_small_left_device_sharedBILi24ELi24ELb0E19rocblas_complex_numIfES1_PKPKS1_PKPS1_Ev13rocblas_fill_18rocblas_operation_17rocblas_diagonal_iiT3_T4_lilT5_lili.step_sizes@rel32@lo+4
	s_addc_u32 s13, s13, __const._ZL38rocblas_trsm_small_left_device_sharedBILi24ELi24ELb0E19rocblas_complex_numIfES1_PKPKS1_PKPS1_Ev13rocblas_fill_18rocblas_operation_17rocblas_diagonal_iiT3_T4_lilT5_lili.step_sizes@rel32@hi+12
	s_lshl_b64 s[14:15], s[4:5], 2
	s_delay_alu instid0(SALU_CYCLE_1) | instskip(SKIP_4) | instid1(SALU_CYCLE_1)
	s_add_u32 s12, s14, s12
	s_addc_u32 s13, s15, s13
	s_load_b32 s11, s[12:13], 0x0
	s_waitcnt lgkmcnt(0)
	s_add_i32 s12, s11, -1
	s_add_i32 s13, s12, s10
	s_delay_alu instid0(SALU_CYCLE_1)
	s_cmp_ge_i32 s13, s20
	s_cbranch_scc1 .LBB158_44
; %bb.46:                               ;   in Loop: Header=BB158_45 Depth=1
	s_mul_i32 s13, s10, 0xc0
	s_max_i32 s14, s11, 1
	v_add_nc_u32_e32 v4, s13, v3
	s_mul_i32 s15, s11, 0xc0
	s_mul_i32 s21, s10, 0xc8
	;; [unrolled: 1-line block ×3, first 2 shown]
	s_branch .LBB158_48
.LBB158_47:                             ;   in Loop: Header=BB158_48 Depth=2
	s_add_i32 s10, s10, s11
	v_add_nc_u32_e32 v4, s15, v4
	s_add_i32 s23, s12, s10
	s_add_i32 s13, s13, s15
	;; [unrolled: 1-line block ×3, first 2 shown]
	s_cmp_ge_i32 s23, s20
	s_cbranch_scc1 .LBB158_44
.LBB158_48:                             ;   Parent Loop BB158_45 Depth=1
                                        ; =>  This Loop Header: Depth=2
                                        ;       Child Loop BB158_49 Depth 3
                                        ;       Child Loop BB158_52 Depth 3
                                        ;         Child Loop BB158_53 Depth 4
                                        ;       Child Loop BB158_57 Depth 3
                                        ;         Child Loop BB158_59 Depth 4
	v_dual_mov_b32 v1, 0 :: v_dual_mov_b32 v2, v4
	s_mov_b32 s23, s14
.LBB158_49:                             ;   Parent Loop BB158_45 Depth=1
                                        ;     Parent Loop BB158_48 Depth=2
                                        ; =>    This Inner Loop Header: Depth=3
	ds_load_b64 v[6:7], v2
	v_add_nc_u32_e32 v2, 0xc0, v2
	s_add_i32 s23, s23, -1
	s_delay_alu instid0(SALU_CYCLE_1)
	s_cmp_eq_u32 s23, 0
	s_waitcnt lgkmcnt(0)
	scratch_store_b64 v1, v[6:7], off
	v_add_nc_u32_e32 v1, 8, v1
	s_cbranch_scc0 .LBB158_49
; %bb.50:                               ;   in Loop: Header=BB158_48 Depth=2
	s_cmp_lt_i32 s10, 1
	s_cbranch_scc1 .LBB158_55
; %bb.51:                               ;   in Loop: Header=BB158_48 Depth=2
	s_mov_b32 s23, 0
	s_mov_b32 s24, s13
	.p2align	6
.LBB158_52:                             ;   Parent Loop BB158_45 Depth=1
                                        ;     Parent Loop BB158_48 Depth=2
                                        ; =>    This Loop Header: Depth=3
                                        ;         Child Loop BB158_53 Depth 4
	s_mul_i32 s25, s23, 24
	v_mov_b32_e32 v6, v5
	v_add_lshl_u32 v1, s25, v0, 3
	s_mov_b32 s25, s24
	s_mov_b32 s26, s14
	ds_load_b64 v[1:2], v1 offset:4608
	.p2align	6
.LBB158_53:                             ;   Parent Loop BB158_45 Depth=1
                                        ;     Parent Loop BB158_48 Depth=2
                                        ;       Parent Loop BB158_52 Depth=3
                                        ; =>      This Inner Loop Header: Depth=4
	scratch_load_b64 v[7:8], v6, off offset:-4
	v_mov_b32_e32 v9, s25
	s_add_i32 s26, s26, -1
	s_addk_i32 s25, 0xc0
	s_cmp_eq_u32 s26, 0
	ds_load_b64 v[9:10], v9
	s_waitcnt lgkmcnt(0)
	v_mul_f32_e32 v11, v10, v2
	v_mul_f32_e32 v10, v10, v1
	s_delay_alu instid0(VALU_DEP_2) | instskip(SKIP_1) | instid1(VALU_DEP_1)
	v_fma_f32 v11, v9, v1, -v11
	s_waitcnt vmcnt(0)
	v_dual_fmac_f32 v10, v9, v2 :: v_dual_sub_f32 v7, v7, v11
	s_delay_alu instid0(VALU_DEP_1)
	v_sub_f32_e32 v8, v8, v10
	scratch_store_b64 v6, v[7:8], off offset:-4
	v_add_nc_u32_e32 v6, 8, v6
	s_cbranch_scc0 .LBB158_53
; %bb.54:                               ;   in Loop: Header=BB158_52 Depth=3
	s_add_i32 s23, s23, 1
	s_add_i32 s24, s24, 8
	s_cmp_ge_i32 s23, s10
	s_cbranch_scc0 .LBB158_52
.LBB158_55:                             ;   in Loop: Header=BB158_48 Depth=2
	s_mul_i32 s23, s10, 24
	s_mov_b32 s24, 0
	s_mov_b32 s25, s21
	s_branch .LBB158_57
.LBB158_56:                             ;   in Loop: Header=BB158_57 Depth=3
	s_mulk_i32 s27, 0xc8
	s_addk_i32 s25, 0xc0
	v_mov_b32_e32 v6, s27
	s_lshl_b32 s27, s24, 3
	s_add_i32 s24, s24, 1
	ds_load_b64 v[6:7], v6
	s_waitcnt vmcnt(0) lgkmcnt(0)
	v_mul_f32_e32 v8, v7, v2
	v_mul_f32_e32 v9, v6, v2
	v_add_lshl_u32 v2, s26, v0, 3
	s_add_i32 s26, s27, 0
	s_cmp_eq_u32 s24, s14
	v_fma_f32 v8, v6, v1, -v8
	v_fmac_f32_e32 v9, v7, v1
	scratch_store_b64 off, v[8:9], s26
	ds_store_b64 v2, v[8:9] offset:4608
	s_cbranch_scc1 .LBB158_47
.LBB158_57:                             ;   Parent Loop BB158_45 Depth=1
                                        ;     Parent Loop BB158_48 Depth=2
                                        ; =>    This Loop Header: Depth=3
                                        ;         Child Loop BB158_59 Depth 4
	s_cmp_lg_u32 s24, 0
	s_cbranch_scc0 .LBB158_61
; %bb.58:                               ;   in Loop: Header=BB158_57 Depth=3
	s_lshl_b32 s26, s24, 3
	v_mov_b32_e32 v7, 0
	s_add_i32 s27, s26, 0
	v_add_nc_u32_e64 v6, s26, 0
	scratch_load_b64 v[1:2], off, s27
	s_add_i32 s27, s24, s10
	s_mov_b32 s29, 0
	s_mul_i32 s26, s27, 24
	s_mov_b32 s30, s25
	.p2align	6
.LBB158_59:                             ;   Parent Loop BB158_45 Depth=1
                                        ;     Parent Loop BB158_48 Depth=2
                                        ;       Parent Loop BB158_57 Depth=3
                                        ; =>      This Inner Loop Header: Depth=4
	scratch_load_b64 v[8:9], v7, off
	v_mov_b32_e32 v10, s30
	s_add_i32 s29, s29, 1
	s_add_i32 s30, s30, 8
	s_cmp_ge_u32 s29, s24
	v_add_nc_u32_e32 v7, 8, v7
	ds_load_b64 v[10:11], v10
	s_waitcnt vmcnt(0) lgkmcnt(0)
	v_mul_f32_e32 v12, v11, v9
	v_mul_f32_e32 v9, v10, v9
	s_delay_alu instid0(VALU_DEP_2) | instskip(NEXT) | instid1(VALU_DEP_2)
	v_fma_f32 v10, v10, v8, -v12
	v_fmac_f32_e32 v9, v11, v8
	s_delay_alu instid0(VALU_DEP_1)
	v_dual_sub_f32 v1, v1, v10 :: v_dual_sub_f32 v2, v2, v9
	scratch_store_b64 v6, v[1:2], off
	s_cbranch_scc0 .LBB158_59
; %bb.60:                               ;   in Loop: Header=BB158_57 Depth=3
	s_branch .LBB158_56
.LBB158_61:                             ;   in Loop: Header=BB158_57 Depth=3
                                        ; implicit-def: $vgpr1
                                        ; implicit-def: $sgpr27
                                        ; implicit-def: $sgpr26
	s_cbranch_execz .LBB158_56
; %bb.62:                               ;   in Loop: Header=BB158_57 Depth=3
	scratch_load_b64 v[1:2], off, off
	s_mov_b32 s26, s23
	s_mov_b32 s27, s10
	s_branch .LBB158_56
.LBB158_63:
	s_mov_b32 s4, 0
.LBB158_64:
	s_delay_alu instid0(SALU_CYCLE_1)
	s_and_b32 vcc_lo, exec_lo, s4
	s_cbranch_vccz .LBB158_84
; %bb.65:
	v_lshl_or_b32 v1, v0, 3, 0x1200
	s_mul_i32 s10, s20, 0xc0
	s_mov_b32 s5, 0
	s_addk_i32 s10, 0xff40
	s_mov_b32 s4, s5
	s_mov_b32 s11, s28
	s_branch .LBB158_67
.LBB158_66:                             ;   in Loop: Header=BB158_67 Depth=1
	s_cmp_lt_i32 s11, 0
	s_cselect_b32 s12, -1, 0
	s_add_i32 s4, s4, 1
	s_delay_alu instid0(SALU_CYCLE_1) | instskip(SKIP_1) | instid1(SALU_CYCLE_1)
	s_cmp_eq_u32 s4, 3
	s_cselect_b32 s13, -1, 0
	s_or_b32 s12, s12, s13
	s_delay_alu instid0(SALU_CYCLE_1)
	s_and_b32 vcc_lo, exec_lo, s12
	s_cbranch_vccnz .LBB158_84
.LBB158_67:                             ; =>This Loop Header: Depth=1
                                        ;     Child Loop BB158_70 Depth 2
                                        ;       Child Loop BB158_71 Depth 3
                                        ;       Child Loop BB158_73 Depth 3
                                        ;         Child Loop BB158_74 Depth 4
                                        ;       Child Loop BB158_78 Depth 3
                                        ;         Child Loop BB158_80 Depth 4
	s_getpc_b64 s[12:13]
	s_add_u32 s12, s12, __const._ZL38rocblas_trsm_small_left_device_sharedBILi24ELi24ELb0E19rocblas_complex_numIfES1_PKPKS1_PKPS1_Ev13rocblas_fill_18rocblas_operation_17rocblas_diagonal_iiT3_T4_lilT5_lili.step_sizes@rel32@lo+4
	s_addc_u32 s13, s13, __const._ZL38rocblas_trsm_small_left_device_sharedBILi24ELi24ELb0E19rocblas_complex_numIfES1_PKPKS1_PKPS1_Ev13rocblas_fill_18rocblas_operation_17rocblas_diagonal_iiT3_T4_lilT5_lili.step_sizes@rel32@hi+12
	s_lshl_b64 s[14:15], s[4:5], 2
	s_delay_alu instid0(SALU_CYCLE_1) | instskip(SKIP_4) | instid1(SALU_CYCLE_1)
	s_add_u32 s12, s14, s12
	s_addc_u32 s13, s15, s13
	s_load_b32 s12, s[12:13], 0x0
	s_waitcnt lgkmcnt(0)
	s_add_i32 s13, s12, -1
	s_cmp_lt_i32 s11, s13
	s_cbranch_scc1 .LBB158_66
; %bb.68:                               ;   in Loop: Header=BB158_67 Depth=1
	v_mad_u64_u32 v[2:3], null, 0xc0, s11, v[1:2]
	s_lshl_b32 s21, s11, 3
	s_lshl_b32 s22, s12, 3
	s_max_i32 s14, s12, 1
	s_mul_i32 s15, s12, 0xffffff40
	s_add_i32 s21, s10, s21
	s_sub_i32 s22, 0, s22
	s_mul_i32 s23, s11, 0xc8
	s_mul_i32 s24, s12, 0xffffff38
	s_branch .LBB158_70
.LBB158_69:                             ;   in Loop: Header=BB158_70 Depth=2
	v_add_nc_u32_e32 v2, s15, v2
	s_sub_i32 s11, s11, s12
	s_add_i32 s21, s21, s22
	s_add_i32 s23, s23, s24
	s_cmp_lt_i32 s11, s13
	s_cbranch_scc1 .LBB158_66
.LBB158_70:                             ;   Parent Loop BB158_67 Depth=1
                                        ; =>  This Loop Header: Depth=2
                                        ;       Child Loop BB158_71 Depth 3
                                        ;       Child Loop BB158_73 Depth 3
                                        ;         Child Loop BB158_74 Depth 4
                                        ;       Child Loop BB158_78 Depth 3
                                        ;         Child Loop BB158_80 Depth 4
	v_dual_mov_b32 v3, 0 :: v_dual_mov_b32 v4, v2
	s_mov_b32 s25, s14
.LBB158_71:                             ;   Parent Loop BB158_67 Depth=1
                                        ;     Parent Loop BB158_70 Depth=2
                                        ; =>    This Inner Loop Header: Depth=3
	ds_load_b64 v[6:7], v4
	v_add_nc_u32_e32 v4, 0xffffff40, v4
	s_add_i32 s25, s25, -1
	s_delay_alu instid0(SALU_CYCLE_1)
	s_cmp_eq_u32 s25, 0
	s_waitcnt lgkmcnt(0)
	scratch_store_b64 v3, v[6:7], off
	v_add_nc_u32_e32 v3, 8, v3
	s_cbranch_scc0 .LBB158_71
; %bb.72:                               ;   in Loop: Header=BB158_70 Depth=2
	s_cmp_le_i32 s28, s11
	s_mov_b32 s25, s21
	s_mov_b32 s26, s28
	s_cbranch_scc1 .LBB158_76
	.p2align	6
.LBB158_73:                             ;   Parent Loop BB158_67 Depth=1
                                        ;     Parent Loop BB158_70 Depth=2
                                        ; =>    This Loop Header: Depth=3
                                        ;         Child Loop BB158_74 Depth 4
	s_mul_i32 s27, s26, 24
	v_mov_b32_e32 v6, v5
	v_add_lshl_u32 v3, s27, v0, 3
	s_mov_b32 s27, s14
	s_mov_b32 s29, s25
	ds_load_b64 v[3:4], v3 offset:4608
	.p2align	6
.LBB158_74:                             ;   Parent Loop BB158_67 Depth=1
                                        ;     Parent Loop BB158_70 Depth=2
                                        ;       Parent Loop BB158_73 Depth=3
                                        ; =>      This Inner Loop Header: Depth=4
	scratch_load_b64 v[7:8], v6, off offset:-4
	v_mov_b32_e32 v9, s29
	s_add_i32 s27, s27, -1
	s_add_i32 s29, s29, -8
	s_cmp_eq_u32 s27, 0
	ds_load_b64 v[9:10], v9
	s_waitcnt lgkmcnt(0)
	v_mul_f32_e32 v11, v10, v4
	v_mul_f32_e32 v10, v10, v3
	s_delay_alu instid0(VALU_DEP_1) | instskip(SKIP_1) | instid1(VALU_DEP_1)
	v_fmac_f32_e32 v10, v9, v4
	s_waitcnt vmcnt(0)
	v_sub_f32_e32 v8, v8, v10
	v_fma_f32 v11, v9, v3, -v11
	s_delay_alu instid0(VALU_DEP_1)
	v_sub_f32_e32 v7, v7, v11
	scratch_store_b64 v6, v[7:8], off offset:-4
	v_add_nc_u32_e32 v6, 8, v6
	s_cbranch_scc0 .LBB158_74
; %bb.75:                               ;   in Loop: Header=BB158_73 Depth=3
	s_add_i32 s26, s26, -1
	s_addk_i32 s25, 0xff40
	s_cmp_le_i32 s26, s11
	s_cbranch_scc0 .LBB158_73
.LBB158_76:                             ;   in Loop: Header=BB158_70 Depth=2
	s_mov_b32 s25, 0
	s_mov_b32 s26, s23
	s_branch .LBB158_78
.LBB158_77:                             ;   in Loop: Header=BB158_78 Depth=3
	s_mul_i32 s29, s27, 0xc8
	s_mul_i32 s27, s27, 24
	v_mov_b32_e32 v6, s29
	s_lshl_b32 s29, s25, 3
	s_add_i32 s25, s25, 1
	s_add_i32 s26, s26, -8
	ds_load_b64 v[6:7], v6
	s_waitcnt vmcnt(0) lgkmcnt(0)
	v_mul_f32_e32 v8, v7, v4
	v_mul_f32_e32 v9, v6, v4
	s_delay_alu instid0(VALU_DEP_2) | instskip(NEXT) | instid1(VALU_DEP_2)
	v_fma_f32 v8, v6, v3, -v8
	v_fmac_f32_e32 v9, v7, v3
	v_add_lshl_u32 v3, s27, v0, 3
	s_add_i32 s27, s29, 0
	s_cmp_eq_u32 s25, s14
	scratch_store_b64 off, v[8:9], s27
	ds_store_b64 v3, v[8:9] offset:4608
	s_cbranch_scc1 .LBB158_69
.LBB158_78:                             ;   Parent Loop BB158_67 Depth=1
                                        ;     Parent Loop BB158_70 Depth=2
                                        ; =>    This Loop Header: Depth=3
                                        ;         Child Loop BB158_80 Depth 4
	s_cmp_lg_u32 s25, 0
	s_cbranch_scc0 .LBB158_82
; %bb.79:                               ;   in Loop: Header=BB158_78 Depth=3
	s_lshl_b32 s27, s25, 3
	v_mov_b32_e32 v7, 0
	s_add_i32 s29, s27, 0
	v_add_nc_u32_e64 v6, s27, 0
	scratch_load_b64 v[3:4], off, s29
	s_sub_i32 s27, s11, s25
	s_mov_b32 s29, 0
	s_mov_b32 s30, s26
	.p2align	6
.LBB158_80:                             ;   Parent Loop BB158_67 Depth=1
                                        ;     Parent Loop BB158_70 Depth=2
                                        ;       Parent Loop BB158_78 Depth=3
                                        ; =>      This Inner Loop Header: Depth=4
	scratch_load_b64 v[8:9], v7, off
	v_mov_b32_e32 v10, s30
	s_add_i32 s29, s29, 1
	s_addk_i32 s30, 0xff40
	s_cmp_ge_u32 s29, s25
	v_add_nc_u32_e32 v7, 8, v7
	ds_load_b64 v[10:11], v10
	s_waitcnt vmcnt(0) lgkmcnt(0)
	v_mul_f32_e32 v12, v11, v9
	v_mul_f32_e32 v9, v10, v9
	s_delay_alu instid0(VALU_DEP_2) | instskip(NEXT) | instid1(VALU_DEP_2)
	v_fma_f32 v10, v10, v8, -v12
	v_fmac_f32_e32 v9, v11, v8
	s_delay_alu instid0(VALU_DEP_1)
	v_dual_sub_f32 v3, v3, v10 :: v_dual_sub_f32 v4, v4, v9
	scratch_store_b64 v6, v[3:4], off
	s_cbranch_scc0 .LBB158_80
; %bb.81:                               ;   in Loop: Header=BB158_78 Depth=3
	s_branch .LBB158_77
.LBB158_82:                             ;   in Loop: Header=BB158_78 Depth=3
                                        ; implicit-def: $vgpr3
                                        ; implicit-def: $sgpr27
	s_cbranch_execz .LBB158_77
; %bb.83:                               ;   in Loop: Header=BB158_78 Depth=3
	scratch_load_b64 v[3:4], off, off
	s_mov_b32 s27, s11
	s_branch .LBB158_77
.LBB158_84:
	s_waitcnt vmcnt(0) lgkmcnt(0)
	s_waitcnt_vscnt null, 0x0
	; wave barrier
	s_waitcnt lgkmcnt(0)
	s_waitcnt_vscnt null, 0x0
	buffer_gl0_inv
	s_and_saveexec_b32 s4, s19
	s_cbranch_execz .LBB158_91
; %bb.85:
	s_cmp_lt_i32 s6, 8
	s_mov_b32 s4, 0
	s_cbranch_scc1 .LBB158_88
; %bb.86:
	v_mad_i64_i32 v[1:2], null, s16, v0, 0
	v_lshl_or_b32 v3, v0, 3, 0x1200
	s_lshl_b32 s4, s20, 3
	s_delay_alu instid0(SALU_CYCLE_1) | instskip(SKIP_1) | instid1(VALU_DEP_2)
	s_and_b32 s5, s4, 0xc0
	s_mov_b32 s4, 0
	v_lshlrev_b64 v[1:2], 3, v[1:2]
	s_delay_alu instid0(VALU_DEP_1) | instskip(NEXT) | instid1(VALU_DEP_2)
	v_add_co_u32 v1, vcc_lo, s7, v1
	v_add_co_ci_u32_e32 v2, vcc_lo, s18, v2, vcc_lo
	s_mov_b64 s[6:7], 0
	.p2align	6
.LBB158_87:                             ; =>This Inner Loop Header: Depth=1
	ds_load_2addr_b64 v[4:7], v3 offset1:24
	ds_load_2addr_b64 v[8:11], v3 offset0:48 offset1:72
	ds_load_2addr_b64 v[12:15], v3 offset0:96 offset1:120
	;; [unrolled: 1-line block ×3, first 2 shown]
	v_add_co_u32 v20, vcc_lo, v1, s6
	v_add_co_ci_u32_e32 v21, vcc_lo, s7, v2, vcc_lo
	s_add_i32 s4, s4, 8
	v_add_nc_u32_e32 v3, 0x600, v3
	s_add_u32 s6, s6, 64
	s_addc_u32 s7, s7, 0
	s_cmp_lg_u32 s5, s6
	s_waitcnt lgkmcnt(3)
	global_store_b128 v[20:21], v[4:7], off
	s_waitcnt lgkmcnt(2)
	global_store_b128 v[20:21], v[8:11], off offset:16
	s_waitcnt lgkmcnt(1)
	global_store_b128 v[20:21], v[12:15], off offset:32
	;; [unrolled: 2-line block ×3, first 2 shown]
	s_cbranch_scc1 .LBB158_87
.LBB158_88:
	s_and_b32 s6, s20, 7
	s_mov_b32 s5, 0
	s_cmp_eq_u32 s6, 0
	s_cbranch_scc1 .LBB158_91
; %bb.89:
	v_lshlrev_b32_e32 v2, 3, v0
	s_lshl_b64 s[8:9], s[8:9], 3
	s_lshl_b64 s[10:11], s[4:5], 3
	s_delay_alu instid0(SALU_CYCLE_1) | instskip(NEXT) | instid1(VALU_DEP_1)
	s_add_u32 s2, s2, s10
	v_add_co_u32 v3, s5, s8, v2
	s_delay_alu instid0(VALU_DEP_1) | instskip(SKIP_3) | instid1(VALU_DEP_1)
	v_add_co_ci_u32_e64 v4, null, s9, 0, s5
	s_addc_u32 s3, s3, s11
	s_add_u32 s0, s2, s0
	s_addc_u32 s1, s3, s1
	v_mul_lo_u32 v4, v4, s16
	v_mad_u64_u32 v[0:1], null, v3, s16, s[0:1]
	v_mul_lo_u32 v3, v3, s17
	s_mul_i32 s0, s4, 0xc0
	s_delay_alu instid0(SALU_CYCLE_1) | instskip(NEXT) | instid1(VALU_DEP_2)
	v_add3_u32 v2, s0, v2, 0x1200
	v_add3_u32 v1, v4, v1, v3
.LBB158_90:                             ; =>This Inner Loop Header: Depth=1
	ds_load_b64 v[3:4], v2
	v_add_nc_u32_e32 v2, 0xc0, v2
	s_add_i32 s6, s6, -1
	s_delay_alu instid0(SALU_CYCLE_1)
	s_cmp_lg_u32 s6, 0
	s_waitcnt lgkmcnt(0)
	global_store_b64 v[0:1], v[3:4], off
	v_add_co_u32 v0, vcc_lo, v0, 8
	v_add_co_ci_u32_e32 v1, vcc_lo, 0, v1, vcc_lo
	s_cbranch_scc1 .LBB158_90
.LBB158_91:
	s_nop 0
	s_sendmsg sendmsg(MSG_DEALLOC_VGPRS)
	s_endpgm
	.section	.rodata,"a",@progbits
	.p2align	6, 0x0
	.amdhsa_kernel _ZL38rocblas_trsm_small_left_device_sharedBILi24ELi24ELb0E19rocblas_complex_numIfES1_PKPKS1_PKPS1_Ev13rocblas_fill_18rocblas_operation_17rocblas_diagonal_iiT3_T4_lilT5_lili
		.amdhsa_group_segment_fixed_size 9216
		.amdhsa_private_segment_fixed_size 208
		.amdhsa_kernarg_size 360
		.amdhsa_user_sgpr_count 14
		.amdhsa_user_sgpr_dispatch_ptr 0
		.amdhsa_user_sgpr_queue_ptr 0
		.amdhsa_user_sgpr_kernarg_segment_ptr 1
		.amdhsa_user_sgpr_dispatch_id 0
		.amdhsa_user_sgpr_private_segment_size 0
		.amdhsa_wavefront_size32 1
		.amdhsa_uses_dynamic_stack 0
		.amdhsa_enable_private_segment 1
		.amdhsa_system_sgpr_workgroup_id_x 1
		.amdhsa_system_sgpr_workgroup_id_y 0
		.amdhsa_system_sgpr_workgroup_id_z 1
		.amdhsa_system_sgpr_workgroup_info 0
		.amdhsa_system_vgpr_workitem_id 0
		.amdhsa_next_free_vgpr 29
		.amdhsa_next_free_sgpr 35
		.amdhsa_reserve_vcc 1
		.amdhsa_float_round_mode_32 0
		.amdhsa_float_round_mode_16_64 0
		.amdhsa_float_denorm_mode_32 3
		.amdhsa_float_denorm_mode_16_64 3
		.amdhsa_dx10_clamp 1
		.amdhsa_ieee_mode 1
		.amdhsa_fp16_overflow 0
		.amdhsa_workgroup_processor_mode 1
		.amdhsa_memory_ordered 1
		.amdhsa_forward_progress 0
		.amdhsa_shared_vgpr_count 0
		.amdhsa_exception_fp_ieee_invalid_op 0
		.amdhsa_exception_fp_denorm_src 0
		.amdhsa_exception_fp_ieee_div_zero 0
		.amdhsa_exception_fp_ieee_overflow 0
		.amdhsa_exception_fp_ieee_underflow 0
		.amdhsa_exception_fp_ieee_inexact 0
		.amdhsa_exception_int_div_zero 0
	.end_amdhsa_kernel
	.section	.text._ZL38rocblas_trsm_small_left_device_sharedBILi24ELi24ELb0E19rocblas_complex_numIfES1_PKPKS1_PKPS1_Ev13rocblas_fill_18rocblas_operation_17rocblas_diagonal_iiT3_T4_lilT5_lili,"axG",@progbits,_ZL38rocblas_trsm_small_left_device_sharedBILi24ELi24ELb0E19rocblas_complex_numIfES1_PKPKS1_PKPS1_Ev13rocblas_fill_18rocblas_operation_17rocblas_diagonal_iiT3_T4_lilT5_lili,comdat
.Lfunc_end158:
	.size	_ZL38rocblas_trsm_small_left_device_sharedBILi24ELi24ELb0E19rocblas_complex_numIfES1_PKPKS1_PKPS1_Ev13rocblas_fill_18rocblas_operation_17rocblas_diagonal_iiT3_T4_lilT5_lili, .Lfunc_end158-_ZL38rocblas_trsm_small_left_device_sharedBILi24ELi24ELb0E19rocblas_complex_numIfES1_PKPKS1_PKPS1_Ev13rocblas_fill_18rocblas_operation_17rocblas_diagonal_iiT3_T4_lilT5_lili
                                        ; -- End function
	.section	.AMDGPU.csdata,"",@progbits
; Kernel info:
; codeLenInByte = 3964
; NumSgprs: 37
; NumVgprs: 29
; ScratchSize: 208
; MemoryBound: 0
; FloatMode: 240
; IeeeMode: 1
; LDSByteSize: 9216 bytes/workgroup (compile time only)
; SGPRBlocks: 4
; VGPRBlocks: 3
; NumSGPRsForWavesPerEU: 37
; NumVGPRsForWavesPerEU: 29
; Occupancy: 4
; WaveLimiterHint : 1
; COMPUTE_PGM_RSRC2:SCRATCH_EN: 1
; COMPUTE_PGM_RSRC2:USER_SGPR: 14
; COMPUTE_PGM_RSRC2:TRAP_HANDLER: 0
; COMPUTE_PGM_RSRC2:TGID_X_EN: 1
; COMPUTE_PGM_RSRC2:TGID_Y_EN: 0
; COMPUTE_PGM_RSRC2:TGID_Z_EN: 1
; COMPUTE_PGM_RSRC2:TIDIG_COMP_CNT: 0
	.section	.text._ZL30rocblas_trsm_small_left_deviceILi24ELi24ELb0E19rocblas_complex_numIfES1_PKPKS1_PKPS1_Ev13rocblas_fill_18rocblas_operation_17rocblas_diagonal_iiT3_T4_lilT5_lili,"axG",@progbits,_ZL30rocblas_trsm_small_left_deviceILi24ELi24ELb0E19rocblas_complex_numIfES1_PKPKS1_PKPS1_Ev13rocblas_fill_18rocblas_operation_17rocblas_diagonal_iiT3_T4_lilT5_lili,comdat
	.globl	_ZL30rocblas_trsm_small_left_deviceILi24ELi24ELb0E19rocblas_complex_numIfES1_PKPKS1_PKPS1_Ev13rocblas_fill_18rocblas_operation_17rocblas_diagonal_iiT3_T4_lilT5_lili ; -- Begin function _ZL30rocblas_trsm_small_left_deviceILi24ELi24ELb0E19rocblas_complex_numIfES1_PKPKS1_PKPS1_Ev13rocblas_fill_18rocblas_operation_17rocblas_diagonal_iiT3_T4_lilT5_lili
	.p2align	8
	.type	_ZL30rocblas_trsm_small_left_deviceILi24ELi24ELb0E19rocblas_complex_numIfES1_PKPKS1_PKPS1_Ev13rocblas_fill_18rocblas_operation_17rocblas_diagonal_iiT3_T4_lilT5_lili,@function
_ZL30rocblas_trsm_small_left_deviceILi24ELi24ELb0E19rocblas_complex_numIfES1_PKPKS1_PKPS1_Ev13rocblas_fill_18rocblas_operation_17rocblas_diagonal_iiT3_T4_lilT5_lili: ; @_ZL30rocblas_trsm_small_left_deviceILi24ELi24ELb0E19rocblas_complex_numIfES1_PKPKS1_PKPS1_Ev13rocblas_fill_18rocblas_operation_17rocblas_diagonal_iiT3_T4_lilT5_lili
; %bb.0:
	s_clause 0x1
	s_load_b128 s[8:11], s[0:1], 0x40
	s_load_b128 s[4:7], s[0:1], 0x4
	s_mov_b32 s12, s15
	s_mov_b32 s13, 0
	s_load_b32 s15, s[0:1], 0x68
	s_lshl_b64 s[22:23], s[12:13], 3
	s_waitcnt lgkmcnt(0)
	s_add_u32 s8, s8, s22
	s_addc_u32 s9, s9, s23
	s_load_b64 s[2:3], s[0:1], 0x14
	s_load_b64 s[8:9], s[8:9], 0x0
	s_min_i32 s29, s6, 24
	s_mov_b32 s6, exec_lo
	s_add_i32 s28, s29, -1
	v_cmpx_gt_i32_e64 s29, v0
	s_cbranch_execz .LBB159_35
; %bb.1:
	s_clause 0x1
	s_load_b32 s20, s[0:1], 0x30
	s_load_b128 s[16:19], s[0:1], 0x20
	v_lshlrev_b32_e32 v8, 3, v0
	s_waitcnt lgkmcnt(0)
	s_ashr_i32 s21, s20, 31
	s_cmpk_lg_i32 s4, 0x71
	s_cselect_b32 s12, -1, 0
	s_add_u32 s16, s16, s22
	s_addc_u32 s17, s17, s23
	v_cndmask_b32_e64 v7, 0, 1, s12
	s_load_b64 s[16:17], s[16:17], 0x0
	s_cmp_lt_u32 s28, 3
	s_cbranch_scc1 .LBB159_20
; %bb.2:
	s_lshl_b64 s[22:23], s[18:19], 3
	v_mov_b32_e32 v9, v8
	s_waitcnt lgkmcnt(0)
	s_add_u32 s13, s16, s22
	s_addc_u32 s22, s17, s23
	v_add_co_u32 v1, s13, s13, v8
	s_delay_alu instid0(VALU_DEP_1)
	v_add_co_ci_u32_e64 v2, null, s22, 0, s13
	s_and_b32 s13, s29, -4
	s_mul_hi_i32 s30, s20, 24
	s_mul_i32 s31, s20, 24
	s_lshl_b64 s[22:23], s[20:21], 5
	s_lshl_b64 s[24:25], s[20:21], 4
	;; [unrolled: 1-line block ×3, first 2 shown]
	s_mov_b32 s33, 0
	s_branch .LBB159_4
.LBB159_3:                              ;   in Loop: Header=BB159_4 Depth=1
	global_load_b32 v3, v[5:6], off
	v_add_co_u32 v1, vcc_lo, v1, s22
	v_add_co_ci_u32_e32 v2, vcc_lo, s23, v2, vcc_lo
	s_add_i32 s33, s33, 4
	s_delay_alu instid0(SALU_CYCLE_1)
	s_cmp_eq_u32 s13, s33
	s_waitcnt vmcnt(0)
	ds_store_b64 v9, v[3:4] offset:576
	v_add_nc_u32_e32 v9, 0x300, v9
	s_cbranch_scc1 .LBB159_20
.LBB159_4:                              ; =>This Inner Loop Header: Depth=1
	s_and_b32 vcc_lo, exec_lo, s12
	s_cbranch_vccz .LBB159_6
; %bb.5:                                ;   in Loop: Header=BB159_4 Depth=1
	global_load_b32 v4, v[1:2], off offset:4
	s_cbranch_execz .LBB159_7
	s_branch .LBB159_8
.LBB159_6:                              ;   in Loop: Header=BB159_4 Depth=1
                                        ; implicit-def: $vgpr4
.LBB159_7:                              ;   in Loop: Header=BB159_4 Depth=1
	global_load_b32 v3, v[1:2], off offset:4
	s_waitcnt vmcnt(0)
	v_xor_b32_e32 v4, 0x80000000, v3
.LBB159_8:                              ;   in Loop: Header=BB159_4 Depth=1
	global_load_b32 v3, v[1:2], off
	v_add_co_u32 v5, vcc_lo, v1, s26
	v_add_co_ci_u32_e32 v6, vcc_lo, s27, v2, vcc_lo
	s_and_not1_b32 vcc_lo, exec_lo, s12
	s_waitcnt vmcnt(0)
	ds_store_b64 v9, v[3:4]
	s_cbranch_vccnz .LBB159_10
; %bb.9:                                ;   in Loop: Header=BB159_4 Depth=1
	global_load_b32 v4, v[5:6], off offset:4
	s_cbranch_execz .LBB159_11
	s_branch .LBB159_12
.LBB159_10:                             ;   in Loop: Header=BB159_4 Depth=1
                                        ; implicit-def: $vgpr4
.LBB159_11:                             ;   in Loop: Header=BB159_4 Depth=1
	global_load_b32 v3, v[5:6], off offset:4
	s_waitcnt vmcnt(0)
	v_xor_b32_e32 v4, 0x80000000, v3
.LBB159_12:                             ;   in Loop: Header=BB159_4 Depth=1
	global_load_b32 v3, v[5:6], off
	v_add_co_u32 v5, vcc_lo, v1, s24
	v_add_co_ci_u32_e32 v6, vcc_lo, s25, v2, vcc_lo
	s_and_not1_b32 vcc_lo, exec_lo, s12
	s_waitcnt vmcnt(0)
	ds_store_b64 v9, v[3:4] offset:192
	s_cbranch_vccnz .LBB159_14
; %bb.13:                               ;   in Loop: Header=BB159_4 Depth=1
	global_load_b32 v4, v[5:6], off offset:4
	s_cbranch_execz .LBB159_15
	s_branch .LBB159_16
.LBB159_14:                             ;   in Loop: Header=BB159_4 Depth=1
                                        ; implicit-def: $vgpr4
.LBB159_15:                             ;   in Loop: Header=BB159_4 Depth=1
	global_load_b32 v3, v[5:6], off offset:4
	s_waitcnt vmcnt(0)
	v_xor_b32_e32 v4, 0x80000000, v3
.LBB159_16:                             ;   in Loop: Header=BB159_4 Depth=1
	global_load_b32 v3, v[5:6], off
	v_add_co_u32 v5, vcc_lo, v1, s31
	v_add_co_ci_u32_e32 v6, vcc_lo, s30, v2, vcc_lo
	s_and_not1_b32 vcc_lo, exec_lo, s12
	s_waitcnt vmcnt(0)
	ds_store_b64 v9, v[3:4] offset:384
	s_cbranch_vccnz .LBB159_18
; %bb.17:                               ;   in Loop: Header=BB159_4 Depth=1
	global_load_b32 v4, v[5:6], off offset:4
	s_cbranch_execnz .LBB159_3
	s_branch .LBB159_19
.LBB159_18:                             ;   in Loop: Header=BB159_4 Depth=1
                                        ; implicit-def: $vgpr4
.LBB159_19:                             ;   in Loop: Header=BB159_4 Depth=1
	global_load_b32 v3, v[5:6], off offset:4
	s_waitcnt vmcnt(0)
	v_xor_b32_e32 v4, 0x80000000, v3
	s_branch .LBB159_3
.LBB159_20:
	s_and_b32 s22, s29, 3
	s_delay_alu instid0(SALU_CYCLE_1)
	s_cmp_eq_u32 s22, 0
	s_cbranch_scc1 .LBB159_27
; %bb.21:
	s_mul_i32 s12, s21, s13
	s_mul_hi_u32 s23, s20, s13
	s_mul_i32 s24, s20, s13
	s_add_i32 s25, s23, s12
	s_lshl_b64 s[18:19], s[18:19], 3
	s_lshl_b64 s[24:25], s[24:25], 3
	s_mul_i32 s12, s13, 0xc0
	s_add_u32 s13, s24, s18
	s_addc_u32 s18, s25, s19
	s_waitcnt lgkmcnt(0)
	s_add_u32 s13, s16, s13
	s_addc_u32 s16, s17, s18
	v_add_co_u32 v1, s13, s13, v8
	s_delay_alu instid0(VALU_DEP_1) | instskip(SKIP_1) | instid1(VALU_DEP_3)
	v_add_co_ci_u32_e64 v2, null, s16, 0, s13
	v_lshl_add_u32 v5, v0, 3, s12
	v_add_co_u32 v1, vcc_lo, v1, 4
	s_delay_alu instid0(VALU_DEP_3)
	v_add_co_ci_u32_e32 v2, vcc_lo, 0, v2, vcc_lo
	s_lshl_b64 s[12:13], s[20:21], 3
	s_set_inst_prefetch_distance 0x1
	s_branch .LBB159_23
	.p2align	6
.LBB159_22:                             ;   in Loop: Header=BB159_23 Depth=1
	global_load_b32 v3, v[1:2], off offset:-4
	v_add_co_u32 v1, vcc_lo, v1, s12
	v_add_co_ci_u32_e32 v2, vcc_lo, s13, v2, vcc_lo
	s_add_i32 s22, s22, -1
	s_delay_alu instid0(SALU_CYCLE_1)
	s_cmp_lg_u32 s22, 0
	s_waitcnt vmcnt(0)
	ds_store_b64 v5, v[3:4]
	v_add_nc_u32_e32 v5, 0xc0, v5
	s_cbranch_scc0 .LBB159_27
.LBB159_23:                             ; =>This Inner Loop Header: Depth=1
	v_cmp_ne_u32_e32 vcc_lo, 1, v7
	s_mov_b32 s16, -1
                                        ; implicit-def: $vgpr4
	s_cbranch_vccnz .LBB159_25
; %bb.24:                               ;   in Loop: Header=BB159_23 Depth=1
	global_load_b32 v4, v[1:2], off
	s_mov_b32 s16, 0
.LBB159_25:                             ;   in Loop: Header=BB159_23 Depth=1
	s_delay_alu instid0(SALU_CYCLE_1)
	s_and_not1_b32 vcc_lo, exec_lo, s16
	s_cbranch_vccnz .LBB159_22
; %bb.26:                               ;   in Loop: Header=BB159_23 Depth=1
	global_load_b32 v3, v[1:2], off
	s_waitcnt vmcnt(0)
	v_xor_b32_e32 v4, 0x80000000, v3
	s_branch .LBB159_22
.LBB159_27:
	s_set_inst_prefetch_distance 0x2
	v_mul_u32_u24_e32 v1, 25, v0
	s_cmpk_lg_i32 s5, 0x84
	s_mov_b32 s5, -1
	s_delay_alu instid0(VALU_DEP_1)
	v_lshlrev_b32_e32 v5, 3, v1
	s_cbranch_scc0 .LBB159_33
; %bb.28:
	ds_load_b64 v[1:2], v5
	s_waitcnt lgkmcnt(0)
	v_cmp_gt_f32_e32 vcc_lo, 0, v1
	v_cndmask_b32_e64 v3, v1, -v1, vcc_lo
	v_cmp_gt_f32_e32 vcc_lo, 0, v2
	v_cndmask_b32_e64 v4, v2, -v2, vcc_lo
	s_delay_alu instid0(VALU_DEP_1) | instskip(SKIP_1) | instid1(SALU_CYCLE_1)
	v_cmp_ngt_f32_e32 vcc_lo, v3, v4
                                        ; implicit-def: $vgpr3
	s_and_saveexec_b32 s5, vcc_lo
	s_xor_b32 s5, exec_lo, s5
	s_cbranch_execz .LBB159_30
; %bb.29:
	v_div_scale_f32 v3, null, v2, v2, v1
	v_div_scale_f32 v7, vcc_lo, v1, v2, v1
	s_delay_alu instid0(VALU_DEP_2) | instskip(SKIP_2) | instid1(VALU_DEP_1)
	v_rcp_f32_e32 v4, v3
	s_waitcnt_depctr 0xfff
	v_fma_f32 v6, -v3, v4, 1.0
	v_fmac_f32_e32 v4, v6, v4
	s_delay_alu instid0(VALU_DEP_1) | instskip(NEXT) | instid1(VALU_DEP_1)
	v_mul_f32_e32 v6, v7, v4
	v_fma_f32 v8, -v3, v6, v7
	s_delay_alu instid0(VALU_DEP_1) | instskip(NEXT) | instid1(VALU_DEP_1)
	v_fmac_f32_e32 v6, v8, v4
	v_fma_f32 v3, -v3, v6, v7
	s_delay_alu instid0(VALU_DEP_1) | instskip(NEXT) | instid1(VALU_DEP_1)
	v_div_fmas_f32 v3, v3, v4, v6
	v_div_fixup_f32 v3, v3, v2, v1
	s_delay_alu instid0(VALU_DEP_1) | instskip(NEXT) | instid1(VALU_DEP_1)
	v_fmac_f32_e32 v2, v1, v3
	v_div_scale_f32 v1, null, v2, v2, 1.0
	v_div_scale_f32 v7, vcc_lo, 1.0, v2, 1.0
	s_delay_alu instid0(VALU_DEP_2) | instskip(SKIP_2) | instid1(VALU_DEP_1)
	v_rcp_f32_e32 v4, v1
	s_waitcnt_depctr 0xfff
	v_fma_f32 v6, -v1, v4, 1.0
	v_fmac_f32_e32 v4, v6, v4
	s_delay_alu instid0(VALU_DEP_1) | instskip(NEXT) | instid1(VALU_DEP_1)
	v_mul_f32_e32 v6, v7, v4
	v_fma_f32 v8, -v1, v6, v7
	s_delay_alu instid0(VALU_DEP_1) | instskip(NEXT) | instid1(VALU_DEP_1)
	v_fmac_f32_e32 v6, v8, v4
	v_fma_f32 v1, -v1, v6, v7
	s_delay_alu instid0(VALU_DEP_1) | instskip(SKIP_1) | instid1(VALU_DEP_2)
	v_div_fmas_f32 v1, v1, v4, v6
	v_add_f32_e32 v4, 0, v3
	v_div_fixup_f32 v1, v1, v2, 1.0
	v_fma_f32 v2, v3, 0, -1.0
	s_delay_alu instid0(VALU_DEP_2) | instskip(NEXT) | instid1(VALU_DEP_2)
	v_mul_f32_e32 v3, v4, v1
	v_mul_f32_e32 v4, v2, v1
                                        ; implicit-def: $vgpr1_vgpr2
.LBB159_30:
	s_and_not1_saveexec_b32 s5, s5
	s_cbranch_execz .LBB159_32
; %bb.31:
	v_div_scale_f32 v3, null, v1, v1, v2
	v_div_scale_f32 v7, vcc_lo, v2, v1, v2
	s_delay_alu instid0(VALU_DEP_2) | instskip(SKIP_2) | instid1(VALU_DEP_1)
	v_rcp_f32_e32 v4, v3
	s_waitcnt_depctr 0xfff
	v_fma_f32 v6, -v3, v4, 1.0
	v_fmac_f32_e32 v4, v6, v4
	s_delay_alu instid0(VALU_DEP_1) | instskip(NEXT) | instid1(VALU_DEP_1)
	v_mul_f32_e32 v6, v7, v4
	v_fma_f32 v8, -v3, v6, v7
	s_delay_alu instid0(VALU_DEP_1) | instskip(NEXT) | instid1(VALU_DEP_1)
	v_fmac_f32_e32 v6, v8, v4
	v_fma_f32 v3, -v3, v6, v7
	s_delay_alu instid0(VALU_DEP_1) | instskip(NEXT) | instid1(VALU_DEP_1)
	v_div_fmas_f32 v3, v3, v4, v6
	v_div_fixup_f32 v4, v3, v1, v2
	s_delay_alu instid0(VALU_DEP_1) | instskip(NEXT) | instid1(VALU_DEP_1)
	v_fmac_f32_e32 v1, v2, v4
	v_div_scale_f32 v2, null, v1, v1, 1.0
	v_div_scale_f32 v7, vcc_lo, 1.0, v1, 1.0
	s_delay_alu instid0(VALU_DEP_2) | instskip(SKIP_2) | instid1(VALU_DEP_1)
	v_rcp_f32_e32 v3, v2
	s_waitcnt_depctr 0xfff
	v_fma_f32 v6, -v2, v3, 1.0
	v_fmac_f32_e32 v3, v6, v3
	s_delay_alu instid0(VALU_DEP_1) | instskip(NEXT) | instid1(VALU_DEP_1)
	v_mul_f32_e32 v6, v7, v3
	v_fma_f32 v8, -v2, v6, v7
	s_delay_alu instid0(VALU_DEP_1) | instskip(NEXT) | instid1(VALU_DEP_1)
	v_fmac_f32_e32 v6, v8, v3
	v_fma_f32 v2, -v2, v6, v7
	s_delay_alu instid0(VALU_DEP_1) | instskip(SKIP_1) | instid1(VALU_DEP_2)
	v_div_fmas_f32 v2, v2, v3, v6
	v_fma_f32 v3, v4, 0, 1.0
	v_div_fixup_f32 v1, v2, v1, 1.0
	s_delay_alu instid0(VALU_DEP_1)
	v_mul_f32_e32 v3, v3, v1
	v_mul_f32_e64 v4, -v4, v1
.LBB159_32:
	s_or_b32 exec_lo, exec_lo, s5
	s_mov_b32 s5, 0
	ds_store_b64 v5, v[3:4]
.LBB159_33:
	s_and_b32 vcc_lo, exec_lo, s5
	s_cbranch_vccz .LBB159_35
; %bb.34:
	v_dual_mov_b32 v1, 1.0 :: v_dual_mov_b32 v2, 0
	ds_store_b64 v5, v[1:2]
.LBB159_35:
	s_or_b32 exec_lo, exec_lo, s6
	s_mul_i32 s5, s14, 0xffffffe8
	s_add_i32 s15, s15, -1
	s_add_i32 s5, s5, s7
	s_cmp_ge_u32 s14, s15
	s_waitcnt lgkmcnt(0)
	s_cselect_b32 s5, s5, 24
	; wave barrier
	buffer_gl0_inv
	v_cmp_gt_i32_e32 vcc_lo, s5, v0
	s_mov_b32 s5, -1
	s_and_saveexec_b32 s6, vcc_lo
	s_cbranch_execz .LBB159_78
; %bb.36:
	s_load_b32 s0, s[0:1], 0x50
	v_mad_u64_u32 v[1:2], null, s14, 24, v[0:1]
	v_or_b32_e64 v8, 0, 4
	s_waitcnt lgkmcnt(0)
	s_delay_alu instid0(VALU_DEP_2) | instskip(SKIP_1) | instid1(SALU_CYCLE_1)
	v_mad_i64_i32 v[2:3], null, s0, v1, 0
	s_lshl_b64 s[0:1], s[10:11], 3
	s_add_u32 s6, s8, s0
	s_addc_u32 s7, s9, s1
	s_cmpk_eq_i32 s4, 0x6f
	s_delay_alu instid0(VALU_DEP_1) | instskip(NEXT) | instid1(VALU_DEP_1)
	v_lshlrev_b64 v[0:1], 3, v[2:3]
	v_add_co_u32 v6, vcc_lo, s6, v0
	s_delay_alu instid0(VALU_DEP_2)
	v_add_co_ci_u32_e32 v7, vcc_lo, s7, v1, vcc_lo
	s_cbranch_scc1 .LBB159_58
; %bb.37:
	s_add_u32 s4, s8, s0
	s_addc_u32 s5, s9, s1
	v_add_co_u32 v2, vcc_lo, s4, v0
	v_add_co_ci_u32_e32 v3, vcc_lo, s5, v1, vcc_lo
	s_mov_b32 s5, 0
	s_delay_alu instid0(VALU_DEP_2) | instskip(NEXT) | instid1(VALU_DEP_2)
	v_add_co_u32 v9, vcc_lo, v2, 4
	v_add_co_ci_u32_e32 v10, vcc_lo, 0, v3, vcc_lo
	s_mov_b32 s6, s5
	s_mov_b32 s10, s5
	s_branch .LBB159_39
.LBB159_38:                             ;   in Loop: Header=BB159_39 Depth=1
	s_cmp_ge_i32 s10, s29
	s_cselect_b32 s4, -1, 0
	s_add_i32 s6, s6, 1
	s_delay_alu instid0(SALU_CYCLE_1) | instskip(SKIP_1) | instid1(SALU_CYCLE_1)
	s_cmp_eq_u32 s6, 3
	s_cselect_b32 s7, -1, 0
	s_or_b32 s4, s4, s7
	s_delay_alu instid0(SALU_CYCLE_1)
	s_and_not1_b32 vcc_lo, exec_lo, s4
	s_cbranch_vccz .LBB159_57
.LBB159_39:                             ; =>This Loop Header: Depth=1
                                        ;     Child Loop BB159_42 Depth 2
                                        ;       Child Loop BB159_43 Depth 3
                                        ;       Child Loop BB159_46 Depth 3
                                        ;         Child Loop BB159_47 Depth 4
                                        ;       Child Loop BB159_51 Depth 3
                                        ;         Child Loop BB159_53 Depth 4
	s_mov_b32 s7, s5
	s_getpc_b64 s[12:13]
	s_add_u32 s12, s12, __const._ZL30rocblas_trsm_small_left_deviceILi24ELi24ELb0E19rocblas_complex_numIfES1_PKPKS1_PKPS1_Ev13rocblas_fill_18rocblas_operation_17rocblas_diagonal_iiT3_T4_lilT5_lili.step_sizes@rel32@lo+4
	s_addc_u32 s13, s13, __const._ZL30rocblas_trsm_small_left_deviceILi24ELi24ELb0E19rocblas_complex_numIfES1_PKPKS1_PKPS1_Ev13rocblas_fill_18rocblas_operation_17rocblas_diagonal_iiT3_T4_lilT5_lili.step_sizes@rel32@hi+12
	s_lshl_b64 s[14:15], s[6:7], 2
	s_delay_alu instid0(SALU_CYCLE_1) | instskip(SKIP_4) | instid1(SALU_CYCLE_1)
	s_add_u32 s12, s14, s12
	s_addc_u32 s13, s15, s13
	s_load_b32 s12, s[12:13], 0x0
	s_waitcnt lgkmcnt(0)
	s_add_i32 s7, s12, -1
	s_add_i32 s4, s7, s10
	s_delay_alu instid0(SALU_CYCLE_1)
	s_cmp_ge_i32 s4, s29
	s_cbranch_scc1 .LBB159_38
; %bb.40:                               ;   in Loop: Header=BB159_39 Depth=1
	s_ashr_i32 s11, s10, 31
	s_ashr_i32 s13, s12, 31
	s_lshl_b64 s[14:15], s[10:11], 3
	s_max_i32 s18, s12, 1
	v_add_co_u32 v2, vcc_lo, v9, s14
	v_add_co_ci_u32_e32 v3, vcc_lo, s15, v10, vcc_lo
	s_lshl_b64 s[14:15], s[12:13], 3
	s_mul_i32 s11, s10, 0xc0
	s_mul_i32 s13, s12, 0xc0
	;; [unrolled: 1-line block ×4, first 2 shown]
	s_branch .LBB159_42
.LBB159_41:                             ;   in Loop: Header=BB159_42 Depth=2
	v_add_co_u32 v2, vcc_lo, v2, s14
	s_add_i32 s10, s10, s12
	v_add_co_ci_u32_e32 v3, vcc_lo, s15, v3, vcc_lo
	s_add_i32 s4, s7, s10
	s_add_i32 s11, s11, s13
	;; [unrolled: 1-line block ×3, first 2 shown]
	s_cmp_ge_i32 s4, s29
	s_cbranch_scc1 .LBB159_38
.LBB159_42:                             ;   Parent Loop BB159_39 Depth=1
                                        ; =>  This Loop Header: Depth=2
                                        ;       Child Loop BB159_43 Depth 3
                                        ;       Child Loop BB159_46 Depth 3
                                        ;         Child Loop BB159_47 Depth 4
                                        ;       Child Loop BB159_51 Depth 3
                                        ;         Child Loop BB159_53 Depth 4
	v_dual_mov_b32 v5, v3 :: v_dual_mov_b32 v4, v2
	s_mov_b32 s4, 4
	s_mov_b32 s16, s18
	.p2align	6
.LBB159_43:                             ;   Parent Loop BB159_39 Depth=1
                                        ;     Parent Loop BB159_42 Depth=2
                                        ; =>    This Inner Loop Header: Depth=3
	global_load_b64 v[11:12], v[4:5], off offset:-4
	v_add_co_u32 v4, vcc_lo, v4, 8
	v_add_co_ci_u32_e32 v5, vcc_lo, 0, v5, vcc_lo
	s_add_i32 s16, s16, -1
	s_add_i32 s17, s4, 0
	s_add_i32 s4, s4, 8
	s_cmp_eq_u32 s16, 0
	s_waitcnt vmcnt(0)
	v_mul_f32_e32 v13, s2, v12
	s_delay_alu instid0(VALU_DEP_1) | instskip(NEXT) | instid1(VALU_DEP_1)
	v_dual_mul_f32 v14, s3, v12 :: v_dual_fmac_f32 v13, s3, v11
	v_fma_f32 v12, v11, s2, -v14
	scratch_store_b64 off, v[12:13], s17 offset:-4
	s_cbranch_scc0 .LBB159_43
; %bb.44:                               ;   in Loop: Header=BB159_42 Depth=2
	s_cmp_lt_i32 s10, 1
	s_cbranch_scc1 .LBB159_49
; %bb.45:                               ;   in Loop: Header=BB159_42 Depth=2
	s_mov_b32 s4, 0
	s_mov_b32 s16, s11
	.p2align	6
.LBB159_46:                             ;   Parent Loop BB159_39 Depth=1
                                        ;     Parent Loop BB159_42 Depth=2
                                        ; =>    This Loop Header: Depth=3
                                        ;         Child Loop BB159_47 Depth 4
	s_lshl_b64 s[22:23], s[4:5], 3
	v_mov_b32_e32 v11, v8
	v_add_co_u32 v4, vcc_lo, v6, s22
	v_add_co_ci_u32_e32 v5, vcc_lo, s23, v7, vcc_lo
	s_mov_b32 s17, s16
	s_mov_b32 s21, s18
	global_load_b64 v[4:5], v[4:5], off
	.p2align	6
.LBB159_47:                             ;   Parent Loop BB159_39 Depth=1
                                        ;     Parent Loop BB159_42 Depth=2
                                        ;       Parent Loop BB159_46 Depth=3
                                        ; =>      This Inner Loop Header: Depth=4
	scratch_load_b64 v[12:13], v11, off offset:-4
	v_mov_b32_e32 v14, s17
	s_add_i32 s21, s21, -1
	s_addk_i32 s17, 0xc0
	s_cmp_eq_u32 s21, 0
	ds_load_b64 v[14:15], v14
	s_waitcnt vmcnt(1) lgkmcnt(0)
	v_mul_f32_e32 v16, v15, v5
	v_mul_f32_e32 v15, v15, v4
	s_delay_alu instid0(VALU_DEP_1) | instskip(SKIP_1) | instid1(VALU_DEP_1)
	v_fmac_f32_e32 v15, v14, v5
	s_waitcnt vmcnt(0)
	v_sub_f32_e32 v13, v13, v15
	v_fma_f32 v16, v14, v4, -v16
	s_delay_alu instid0(VALU_DEP_1)
	v_sub_f32_e32 v12, v12, v16
	scratch_store_b64 v11, v[12:13], off offset:-4
	v_add_nc_u32_e32 v11, 8, v11
	s_cbranch_scc0 .LBB159_47
; %bb.48:                               ;   in Loop: Header=BB159_46 Depth=3
	s_add_i32 s4, s4, 1
	s_add_i32 s16, s16, 8
	s_cmp_ge_i32 s4, s10
	s_cbranch_scc0 .LBB159_46
.LBB159_49:                             ;   in Loop: Header=BB159_42 Depth=2
	s_mov_b32 s4, 0
	s_mov_b32 s21, s19
	s_branch .LBB159_51
.LBB159_50:                             ;   in Loop: Header=BB159_51 Depth=3
	s_mul_i32 s17, s16, 0xc8
	s_lshl_b32 s22, s4, 3
	v_mov_b32_e32 v11, s17
	s_ashr_i32 s17, s16, 31
	s_add_i32 s4, s4, 1
	s_lshl_b64 s[16:17], s[16:17], 3
	s_addk_i32 s21, 0xc0
	ds_load_b64 v[11:12], v11
	s_waitcnt vmcnt(0) lgkmcnt(0)
	v_mul_f32_e32 v13, v12, v5
	v_mul_f32_e32 v14, v11, v5
	s_delay_alu instid0(VALU_DEP_2) | instskip(NEXT) | instid1(VALU_DEP_2)
	v_fma_f32 v13, v11, v4, -v13
	v_fmac_f32_e32 v14, v12, v4
	v_add_co_u32 v4, vcc_lo, v6, s16
	v_add_co_ci_u32_e32 v5, vcc_lo, s17, v7, vcc_lo
	s_add_i32 s16, s22, 0
	s_cmp_eq_u32 s4, s18
	scratch_store_b64 off, v[13:14], s16
	global_store_b64 v[4:5], v[13:14], off
	s_cbranch_scc1 .LBB159_41
.LBB159_51:                             ;   Parent Loop BB159_39 Depth=1
                                        ;     Parent Loop BB159_42 Depth=2
                                        ; =>    This Loop Header: Depth=3
                                        ;         Child Loop BB159_53 Depth 4
	s_cmp_lg_u32 s4, 0
	s_cbranch_scc0 .LBB159_55
; %bb.52:                               ;   in Loop: Header=BB159_51 Depth=3
	s_lshl_b32 s16, s4, 3
	v_mov_b32_e32 v12, 0
	s_add_i32 s17, s16, 0
	v_add_nc_u32_e64 v11, s16, 0
	scratch_load_b64 v[4:5], off, s17
	s_add_i32 s16, s4, s10
	s_mov_b32 s17, 0
	s_mov_b32 s22, s21
	.p2align	6
.LBB159_53:                             ;   Parent Loop BB159_39 Depth=1
                                        ;     Parent Loop BB159_42 Depth=2
                                        ;       Parent Loop BB159_51 Depth=3
                                        ; =>      This Inner Loop Header: Depth=4
	scratch_load_b64 v[13:14], v12, off
	v_mov_b32_e32 v15, s22
	s_add_i32 s17, s17, 1
	s_add_i32 s22, s22, 8
	s_cmp_ge_u32 s17, s4
	v_add_nc_u32_e32 v12, 8, v12
	ds_load_b64 v[15:16], v15
	s_waitcnt vmcnt(0) lgkmcnt(0)
	v_mul_f32_e32 v17, v16, v14
	v_mul_f32_e32 v14, v15, v14
	s_delay_alu instid0(VALU_DEP_2) | instskip(NEXT) | instid1(VALU_DEP_2)
	v_fma_f32 v15, v15, v13, -v17
	v_fmac_f32_e32 v14, v16, v13
	s_delay_alu instid0(VALU_DEP_1)
	v_dual_sub_f32 v4, v4, v15 :: v_dual_sub_f32 v5, v5, v14
	scratch_store_b64 v11, v[4:5], off
	s_cbranch_scc0 .LBB159_53
; %bb.54:                               ;   in Loop: Header=BB159_51 Depth=3
	s_branch .LBB159_50
.LBB159_55:                             ;   in Loop: Header=BB159_51 Depth=3
                                        ; implicit-def: $vgpr4
                                        ; implicit-def: $sgpr16
	s_cbranch_execz .LBB159_50
; %bb.56:                               ;   in Loop: Header=BB159_51 Depth=3
	scratch_load_b64 v[4:5], off, off
	s_mov_b32 s16, s10
	s_branch .LBB159_50
.LBB159_57:
	s_mov_b32 s5, 0
.LBB159_58:
	s_delay_alu instid0(SALU_CYCLE_1)
	s_and_b32 vcc_lo, exec_lo, s5
	s_cbranch_vccz .LBB159_78
; %bb.59:
	s_add_u32 s0, s8, s0
	s_addc_u32 s1, s9, s1
	v_add_co_u32 v0, vcc_lo, s0, v0
	v_add_co_ci_u32_e32 v1, vcc_lo, s1, v1, vcc_lo
	s_mul_i32 s10, s29, 0xc0
	s_delay_alu instid0(VALU_DEP_2) | instskip(NEXT) | instid1(VALU_DEP_2)
	v_add_co_u32 v2, vcc_lo, v0, 4
	v_add_co_ci_u32_e32 v3, vcc_lo, 0, v1, vcc_lo
	s_mov_b32 s1, 0
	s_addk_i32 s10, 0xff40
	s_mov_b32 s4, s28
	s_mov_b32 s0, s1
	s_branch .LBB159_61
.LBB159_60:                             ;   in Loop: Header=BB159_61 Depth=1
	s_cmp_lt_i32 s4, 0
	s_cselect_b32 s5, -1, 0
	s_add_i32 s0, s0, 1
	s_delay_alu instid0(SALU_CYCLE_1) | instskip(SKIP_1) | instid1(SALU_CYCLE_1)
	s_cmp_eq_u32 s0, 3
	s_cselect_b32 s6, -1, 0
	s_or_b32 s5, s5, s6
	s_delay_alu instid0(SALU_CYCLE_1)
	s_and_b32 vcc_lo, exec_lo, s5
	s_cbranch_vccnz .LBB159_78
.LBB159_61:                             ; =>This Loop Header: Depth=1
                                        ;     Child Loop BB159_64 Depth 2
                                        ;       Child Loop BB159_65 Depth 3
                                        ;       Child Loop BB159_67 Depth 3
                                        ;         Child Loop BB159_68 Depth 4
                                        ;       Child Loop BB159_72 Depth 3
                                        ;         Child Loop BB159_74 Depth 4
	s_getpc_b64 s[6:7]
	s_add_u32 s6, s6, __const._ZL30rocblas_trsm_small_left_deviceILi24ELi24ELb0E19rocblas_complex_numIfES1_PKPKS1_PKPS1_Ev13rocblas_fill_18rocblas_operation_17rocblas_diagonal_iiT3_T4_lilT5_lili.step_sizes@rel32@lo+4
	s_addc_u32 s7, s7, __const._ZL30rocblas_trsm_small_left_deviceILi24ELi24ELb0E19rocblas_complex_numIfES1_PKPKS1_PKPS1_Ev13rocblas_fill_18rocblas_operation_17rocblas_diagonal_iiT3_T4_lilT5_lili.step_sizes@rel32@hi+12
	s_lshl_b64 s[8:9], s[0:1], 2
	s_delay_alu instid0(SALU_CYCLE_1) | instskip(SKIP_4) | instid1(SALU_CYCLE_1)
	s_add_u32 s6, s8, s6
	s_addc_u32 s7, s9, s7
	s_load_b32 s11, s[6:7], 0x0
	s_waitcnt lgkmcnt(0)
	s_add_i32 s12, s11, -1
	s_cmp_lt_i32 s4, s12
	s_cbranch_scc1 .LBB159_60
; %bb.62:                               ;   in Loop: Header=BB159_61 Depth=1
	s_lshl_b32 s5, s4, 3
	s_lshl_b32 s6, s11, 3
	s_max_i32 s13, s11, 1
	s_add_i32 s14, s10, s5
	s_sub_i32 s15, 0, s6
	s_mul_i32 s16, s4, 0xc8
	s_mul_i32 s17, s11, 0xffffff38
	s_branch .LBB159_64
.LBB159_63:                             ;   in Loop: Header=BB159_64 Depth=2
	s_sub_i32 s4, s4, s11
	s_add_i32 s14, s14, s15
	s_add_i32 s16, s16, s17
	s_cmp_lt_i32 s4, s12
	s_cbranch_scc1 .LBB159_60
.LBB159_64:                             ;   Parent Loop BB159_61 Depth=1
                                        ; =>  This Loop Header: Depth=2
                                        ;       Child Loop BB159_65 Depth 3
                                        ;       Child Loop BB159_67 Depth 3
                                        ;         Child Loop BB159_68 Depth 4
                                        ;       Child Loop BB159_72 Depth 3
                                        ;         Child Loop BB159_74 Depth 4
	s_ashr_i32 s5, s4, 31
	s_delay_alu instid0(SALU_CYCLE_1) | instskip(NEXT) | instid1(SALU_CYCLE_1)
	s_lshl_b64 s[6:7], s[4:5], 3
	v_add_co_u32 v0, vcc_lo, v2, s6
	v_add_co_ci_u32_e32 v1, vcc_lo, s7, v3, vcc_lo
	s_mov_b32 s6, 4
	s_mov_b32 s7, s13
	.p2align	6
.LBB159_65:                             ;   Parent Loop BB159_61 Depth=1
                                        ;     Parent Loop BB159_64 Depth=2
                                        ; =>    This Inner Loop Header: Depth=3
	global_load_b64 v[4:5], v[0:1], off offset:-4
	v_add_co_u32 v0, vcc_lo, v0, -8
	v_add_co_ci_u32_e32 v1, vcc_lo, -1, v1, vcc_lo
	s_add_i32 s7, s7, -1
	s_add_i32 s8, s6, 0
	s_add_i32 s6, s6, 8
	s_cmp_eq_u32 s7, 0
	s_waitcnt vmcnt(0)
	v_mul_f32_e32 v10, s2, v5
	s_delay_alu instid0(VALU_DEP_1) | instskip(NEXT) | instid1(VALU_DEP_1)
	v_dual_mul_f32 v9, s3, v5 :: v_dual_fmac_f32 v10, s3, v4
	v_fma_f32 v9, v4, s2, -v9
	scratch_store_b64 off, v[9:10], s8 offset:-4
	s_cbranch_scc0 .LBB159_65
; %bb.66:                               ;   in Loop: Header=BB159_64 Depth=2
	s_cmp_le_i32 s28, s4
	s_mov_b32 s8, s14
	s_mov_b32 s6, s28
	s_cbranch_scc1 .LBB159_70
	.p2align	6
.LBB159_67:                             ;   Parent Loop BB159_61 Depth=1
                                        ;     Parent Loop BB159_64 Depth=2
                                        ; =>    This Loop Header: Depth=3
                                        ;         Child Loop BB159_68 Depth 4
	s_ashr_i32 s7, s6, 31
	v_mov_b32_e32 v4, v8
	s_lshl_b64 s[18:19], s[6:7], 3
	s_mov_b32 s7, s13
	v_add_co_u32 v0, vcc_lo, v6, s18
	v_add_co_ci_u32_e32 v1, vcc_lo, s19, v7, vcc_lo
	s_mov_b32 s9, s8
	global_load_b64 v[0:1], v[0:1], off
	.p2align	6
.LBB159_68:                             ;   Parent Loop BB159_61 Depth=1
                                        ;     Parent Loop BB159_64 Depth=2
                                        ;       Parent Loop BB159_67 Depth=3
                                        ; =>      This Inner Loop Header: Depth=4
	scratch_load_b64 v[9:10], v4, off offset:-4
	v_mov_b32_e32 v5, s9
	s_add_i32 s7, s7, -1
	s_add_i32 s9, s9, -8
	s_cmp_eq_u32 s7, 0
	ds_load_b64 v[11:12], v5
	s_waitcnt vmcnt(1) lgkmcnt(0)
	v_mul_f32_e32 v5, v12, v1
	v_mul_f32_e32 v12, v12, v0
	s_delay_alu instid0(VALU_DEP_1) | instskip(SKIP_1) | instid1(VALU_DEP_1)
	v_fmac_f32_e32 v12, v11, v1
	s_waitcnt vmcnt(0)
	v_sub_f32_e32 v10, v10, v12
	v_fma_f32 v5, v11, v0, -v5
	s_delay_alu instid0(VALU_DEP_1)
	v_sub_f32_e32 v9, v9, v5
	scratch_store_b64 v4, v[9:10], off offset:-4
	v_add_nc_u32_e32 v4, 8, v4
	s_cbranch_scc0 .LBB159_68
; %bb.69:                               ;   in Loop: Header=BB159_67 Depth=3
	s_add_i32 s6, s6, -1
	s_addk_i32 s8, 0xff40
	s_cmp_le_i32 s6, s4
	s_cbranch_scc0 .LBB159_67
.LBB159_70:                             ;   in Loop: Header=BB159_64 Depth=2
	s_mov_b32 s18, 0
	s_mov_b32 s19, s16
	s_branch .LBB159_72
.LBB159_71:                             ;   in Loop: Header=BB159_72 Depth=3
	s_mulk_i32 s8, 0xc8
	s_lshl_b64 s[6:7], s[6:7], 3
	v_mov_b32_e32 v4, s8
	s_lshl_b32 s8, s18, 3
	s_add_i32 s18, s18, 1
	s_add_i32 s19, s19, -8
	ds_load_b64 v[4:5], v4
	s_waitcnt vmcnt(0) lgkmcnt(0)
	v_mul_f32_e32 v9, v5, v1
	v_mul_f32_e32 v10, v4, v1
	s_delay_alu instid0(VALU_DEP_2) | instskip(NEXT) | instid1(VALU_DEP_2)
	v_fma_f32 v9, v4, v0, -v9
	v_fmac_f32_e32 v10, v5, v0
	v_add_co_u32 v0, vcc_lo, v6, s6
	v_add_co_ci_u32_e32 v1, vcc_lo, s7, v7, vcc_lo
	s_add_i32 s6, s8, 0
	s_cmp_eq_u32 s18, s13
	scratch_store_b64 off, v[9:10], s6
	global_store_b64 v[0:1], v[9:10], off
	s_cbranch_scc1 .LBB159_63
.LBB159_72:                             ;   Parent Loop BB159_61 Depth=1
                                        ;     Parent Loop BB159_64 Depth=2
                                        ; =>    This Loop Header: Depth=3
                                        ;         Child Loop BB159_74 Depth 4
	s_cmp_lg_u32 s18, 0
	s_cbranch_scc0 .LBB159_76
; %bb.73:                               ;   in Loop: Header=BB159_72 Depth=3
	s_lshl_b32 s6, s18, 3
	v_mov_b32_e32 v5, 0
	s_add_i32 s7, s6, 0
	v_add_nc_u32_e64 v4, s6, 0
	scratch_load_b64 v[0:1], off, s7
	s_mov_b32 s6, 0
	s_mov_b32 s7, s19
	.p2align	6
.LBB159_74:                             ;   Parent Loop BB159_61 Depth=1
                                        ;     Parent Loop BB159_64 Depth=2
                                        ;       Parent Loop BB159_72 Depth=3
                                        ; =>      This Inner Loop Header: Depth=4
	scratch_load_b64 v[9:10], v5, off
	v_mov_b32_e32 v11, s7
	s_add_i32 s6, s6, 1
	s_addk_i32 s7, 0xff40
	s_cmp_ge_u32 s6, s18
	v_add_nc_u32_e32 v5, 8, v5
	ds_load_b64 v[11:12], v11
	s_waitcnt vmcnt(0) lgkmcnt(0)
	v_mul_f32_e32 v13, v12, v10
	v_mul_f32_e32 v10, v11, v10
	s_delay_alu instid0(VALU_DEP_2) | instskip(NEXT) | instid1(VALU_DEP_2)
	v_fma_f32 v11, v11, v9, -v13
	v_fmac_f32_e32 v10, v12, v9
	s_delay_alu instid0(VALU_DEP_1)
	v_dual_sub_f32 v0, v0, v11 :: v_dual_sub_f32 v1, v1, v10
	scratch_store_b64 v4, v[0:1], off
	s_cbranch_scc0 .LBB159_74
; %bb.75:                               ;   in Loop: Header=BB159_72 Depth=3
	s_sub_i32 s8, s4, s18
	s_delay_alu instid0(SALU_CYCLE_1) | instskip(NEXT) | instid1(SALU_CYCLE_1)
	s_ashr_i32 s9, s8, 31
	s_mov_b64 s[6:7], s[8:9]
	s_branch .LBB159_71
.LBB159_76:                             ;   in Loop: Header=BB159_72 Depth=3
                                        ; implicit-def: $vgpr0
                                        ; implicit-def: $sgpr8
                                        ; implicit-def: $sgpr6_sgpr7
	s_cbranch_execz .LBB159_71
; %bb.77:                               ;   in Loop: Header=BB159_72 Depth=3
	scratch_load_b64 v[0:1], off, off
	s_mov_b64 s[6:7], s[4:5]
	s_mov_b32 s8, s4
	s_branch .LBB159_71
.LBB159_78:
	s_endpgm
	.section	.rodata,"a",@progbits
	.p2align	6, 0x0
	.amdhsa_kernel _ZL30rocblas_trsm_small_left_deviceILi24ELi24ELb0E19rocblas_complex_numIfES1_PKPKS1_PKPS1_Ev13rocblas_fill_18rocblas_operation_17rocblas_diagonal_iiT3_T4_lilT5_lili
		.amdhsa_group_segment_fixed_size 4608
		.amdhsa_private_segment_fixed_size 208
		.amdhsa_kernarg_size 360
		.amdhsa_user_sgpr_count 14
		.amdhsa_user_sgpr_dispatch_ptr 0
		.amdhsa_user_sgpr_queue_ptr 0
		.amdhsa_user_sgpr_kernarg_segment_ptr 1
		.amdhsa_user_sgpr_dispatch_id 0
		.amdhsa_user_sgpr_private_segment_size 0
		.amdhsa_wavefront_size32 1
		.amdhsa_uses_dynamic_stack 0
		.amdhsa_enable_private_segment 1
		.amdhsa_system_sgpr_workgroup_id_x 1
		.amdhsa_system_sgpr_workgroup_id_y 0
		.amdhsa_system_sgpr_workgroup_id_z 1
		.amdhsa_system_sgpr_workgroup_info 0
		.amdhsa_system_vgpr_workitem_id 0
		.amdhsa_next_free_vgpr 18
		.amdhsa_next_free_sgpr 34
		.amdhsa_reserve_vcc 1
		.amdhsa_float_round_mode_32 0
		.amdhsa_float_round_mode_16_64 0
		.amdhsa_float_denorm_mode_32 3
		.amdhsa_float_denorm_mode_16_64 3
		.amdhsa_dx10_clamp 1
		.amdhsa_ieee_mode 1
		.amdhsa_fp16_overflow 0
		.amdhsa_workgroup_processor_mode 1
		.amdhsa_memory_ordered 1
		.amdhsa_forward_progress 0
		.amdhsa_shared_vgpr_count 0
		.amdhsa_exception_fp_ieee_invalid_op 0
		.amdhsa_exception_fp_denorm_src 0
		.amdhsa_exception_fp_ieee_div_zero 0
		.amdhsa_exception_fp_ieee_overflow 0
		.amdhsa_exception_fp_ieee_underflow 0
		.amdhsa_exception_fp_ieee_inexact 0
		.amdhsa_exception_int_div_zero 0
	.end_amdhsa_kernel
	.section	.text._ZL30rocblas_trsm_small_left_deviceILi24ELi24ELb0E19rocblas_complex_numIfES1_PKPKS1_PKPS1_Ev13rocblas_fill_18rocblas_operation_17rocblas_diagonal_iiT3_T4_lilT5_lili,"axG",@progbits,_ZL30rocblas_trsm_small_left_deviceILi24ELi24ELb0E19rocblas_complex_numIfES1_PKPKS1_PKPS1_Ev13rocblas_fill_18rocblas_operation_17rocblas_diagonal_iiT3_T4_lilT5_lili,comdat
.Lfunc_end159:
	.size	_ZL30rocblas_trsm_small_left_deviceILi24ELi24ELb0E19rocblas_complex_numIfES1_PKPKS1_PKPS1_Ev13rocblas_fill_18rocblas_operation_17rocblas_diagonal_iiT3_T4_lilT5_lili, .Lfunc_end159-_ZL30rocblas_trsm_small_left_deviceILi24ELi24ELb0E19rocblas_complex_numIfES1_PKPKS1_PKPS1_Ev13rocblas_fill_18rocblas_operation_17rocblas_diagonal_iiT3_T4_lilT5_lili
                                        ; -- End function
	.section	.AMDGPU.csdata,"",@progbits
; Kernel info:
; codeLenInByte = 3120
; NumSgprs: 36
; NumVgprs: 18
; ScratchSize: 208
; MemoryBound: 0
; FloatMode: 240
; IeeeMode: 1
; LDSByteSize: 4608 bytes/workgroup (compile time only)
; SGPRBlocks: 4
; VGPRBlocks: 2
; NumSGPRsForWavesPerEU: 36
; NumVGPRsForWavesPerEU: 18
; Occupancy: 7
; WaveLimiterHint : 1
; COMPUTE_PGM_RSRC2:SCRATCH_EN: 1
; COMPUTE_PGM_RSRC2:USER_SGPR: 14
; COMPUTE_PGM_RSRC2:TRAP_HANDLER: 0
; COMPUTE_PGM_RSRC2:TGID_X_EN: 1
; COMPUTE_PGM_RSRC2:TGID_Y_EN: 0
; COMPUTE_PGM_RSRC2:TGID_Z_EN: 1
; COMPUTE_PGM_RSRC2:TIDIG_COMP_CNT: 0
	.section	.text._ZL38rocblas_trsm_small_left_device_sharedBILi24ELi24ELb1E19rocblas_complex_numIfES1_PKPKS1_PKPS1_Ev13rocblas_fill_18rocblas_operation_17rocblas_diagonal_iiT3_T4_lilT5_lili,"axG",@progbits,_ZL38rocblas_trsm_small_left_device_sharedBILi24ELi24ELb1E19rocblas_complex_numIfES1_PKPKS1_PKPS1_Ev13rocblas_fill_18rocblas_operation_17rocblas_diagonal_iiT3_T4_lilT5_lili,comdat
	.globl	_ZL38rocblas_trsm_small_left_device_sharedBILi24ELi24ELb1E19rocblas_complex_numIfES1_PKPKS1_PKPS1_Ev13rocblas_fill_18rocblas_operation_17rocblas_diagonal_iiT3_T4_lilT5_lili ; -- Begin function _ZL38rocblas_trsm_small_left_device_sharedBILi24ELi24ELb1E19rocblas_complex_numIfES1_PKPKS1_PKPS1_Ev13rocblas_fill_18rocblas_operation_17rocblas_diagonal_iiT3_T4_lilT5_lili
	.p2align	8
	.type	_ZL38rocblas_trsm_small_left_device_sharedBILi24ELi24ELb1E19rocblas_complex_numIfES1_PKPKS1_PKPS1_Ev13rocblas_fill_18rocblas_operation_17rocblas_diagonal_iiT3_T4_lilT5_lili,@function
_ZL38rocblas_trsm_small_left_device_sharedBILi24ELi24ELb1E19rocblas_complex_numIfES1_PKPKS1_PKPS1_Ev13rocblas_fill_18rocblas_operation_17rocblas_diagonal_iiT3_T4_lilT5_lili: ; @_ZL38rocblas_trsm_small_left_device_sharedBILi24ELi24ELb1E19rocblas_complex_numIfES1_PKPKS1_PKPS1_Ev13rocblas_fill_18rocblas_operation_17rocblas_diagonal_iiT3_T4_lilT5_lili
; %bb.0:
	s_clause 0x1
	s_load_b128 s[8:11], s[0:1], 0x40
	s_load_b128 s[4:7], s[0:1], 0x4
	s_mov_b32 s20, s15
	s_mov_b32 s21, 0
	s_load_b32 s15, s[0:1], 0x68
	s_lshl_b64 s[22:23], s[20:21], 3
	s_mov_b32 s29, exec_lo
	s_waitcnt lgkmcnt(0)
	s_add_u32 s2, s8, s22
	s_addc_u32 s3, s9, s23
	s_load_b64 s[12:13], s[0:1], 0x14
	s_load_b64 s[2:3], s[2:3], 0x0
	s_min_i32 s20, s6, 24
	s_delay_alu instid0(SALU_CYCLE_1)
	s_add_i32 s28, s20, -1
	v_cmpx_gt_i32_e64 s20, v0
	s_cbranch_execz .LBB160_35
; %bb.1:
	s_clause 0x1
	s_load_b32 s8, s[0:1], 0x30
	s_load_b128 s[16:19], s[0:1], 0x20
	s_waitcnt lgkmcnt(0)
	s_ashr_i32 s9, s8, 31
	s_cmpk_lg_i32 s4, 0x71
	s_cselect_b32 s30, -1, 0
	s_add_u32 s16, s16, s22
	s_addc_u32 s17, s17, s23
	v_cndmask_b32_e64 v7, 0, 1, s30
	s_load_b64 s[16:17], s[16:17], 0x0
	s_cmp_lt_u32 s28, 3
	s_cbranch_scc1 .LBB160_20
; %bb.2:
	v_lshlrev_b32_e32 v8, 3, v0
	s_lshl_b64 s[22:23], s[18:19], 3
	s_mul_hi_i32 s31, s8, 24
	s_waitcnt lgkmcnt(0)
	s_add_u32 s21, s16, s22
	s_addc_u32 s22, s17, s23
	v_add_co_u32 v1, s21, s21, v8
	s_delay_alu instid0(VALU_DEP_1)
	v_add_co_ci_u32_e64 v2, null, s22, 0, s21
	s_and_b32 s21, s20, -4
	s_mul_i32 s33, s8, 24
	s_lshl_b64 s[22:23], s[8:9], 5
	s_lshl_b64 s[24:25], s[8:9], 4
	;; [unrolled: 1-line block ×3, first 2 shown]
	s_mov_b32 s34, 0
	s_branch .LBB160_4
.LBB160_3:                              ;   in Loop: Header=BB160_4 Depth=1
	global_load_b32 v3, v[5:6], off
	v_add_co_u32 v1, vcc_lo, v1, s22
	v_add_co_ci_u32_e32 v2, vcc_lo, s23, v2, vcc_lo
	s_add_i32 s34, s34, 4
	s_delay_alu instid0(SALU_CYCLE_1)
	s_cmp_eq_u32 s21, s34
	s_waitcnt vmcnt(0)
	ds_store_b64 v8, v[3:4] offset:576
	v_add_nc_u32_e32 v8, 0x300, v8
	s_cbranch_scc1 .LBB160_20
.LBB160_4:                              ; =>This Inner Loop Header: Depth=1
	s_and_b32 vcc_lo, exec_lo, s30
	s_cbranch_vccz .LBB160_6
; %bb.5:                                ;   in Loop: Header=BB160_4 Depth=1
	global_load_b32 v4, v[1:2], off offset:4
	s_cbranch_execz .LBB160_7
	s_branch .LBB160_8
.LBB160_6:                              ;   in Loop: Header=BB160_4 Depth=1
                                        ; implicit-def: $vgpr4
.LBB160_7:                              ;   in Loop: Header=BB160_4 Depth=1
	global_load_b32 v3, v[1:2], off offset:4
	s_waitcnt vmcnt(0)
	v_xor_b32_e32 v4, 0x80000000, v3
.LBB160_8:                              ;   in Loop: Header=BB160_4 Depth=1
	global_load_b32 v3, v[1:2], off
	v_add_co_u32 v5, vcc_lo, v1, s26
	v_add_co_ci_u32_e32 v6, vcc_lo, s27, v2, vcc_lo
	s_and_not1_b32 vcc_lo, exec_lo, s30
	s_waitcnt vmcnt(0)
	ds_store_b64 v8, v[3:4]
	s_cbranch_vccnz .LBB160_10
; %bb.9:                                ;   in Loop: Header=BB160_4 Depth=1
	global_load_b32 v4, v[5:6], off offset:4
	s_cbranch_execz .LBB160_11
	s_branch .LBB160_12
.LBB160_10:                             ;   in Loop: Header=BB160_4 Depth=1
                                        ; implicit-def: $vgpr4
.LBB160_11:                             ;   in Loop: Header=BB160_4 Depth=1
	global_load_b32 v3, v[5:6], off offset:4
	s_waitcnt vmcnt(0)
	v_xor_b32_e32 v4, 0x80000000, v3
.LBB160_12:                             ;   in Loop: Header=BB160_4 Depth=1
	global_load_b32 v3, v[5:6], off
	v_add_co_u32 v5, vcc_lo, v1, s24
	v_add_co_ci_u32_e32 v6, vcc_lo, s25, v2, vcc_lo
	s_and_not1_b32 vcc_lo, exec_lo, s30
	s_waitcnt vmcnt(0)
	ds_store_b64 v8, v[3:4] offset:192
	s_cbranch_vccnz .LBB160_14
; %bb.13:                               ;   in Loop: Header=BB160_4 Depth=1
	global_load_b32 v4, v[5:6], off offset:4
	s_cbranch_execz .LBB160_15
	s_branch .LBB160_16
.LBB160_14:                             ;   in Loop: Header=BB160_4 Depth=1
                                        ; implicit-def: $vgpr4
.LBB160_15:                             ;   in Loop: Header=BB160_4 Depth=1
	global_load_b32 v3, v[5:6], off offset:4
	s_waitcnt vmcnt(0)
	v_xor_b32_e32 v4, 0x80000000, v3
.LBB160_16:                             ;   in Loop: Header=BB160_4 Depth=1
	global_load_b32 v3, v[5:6], off
	v_add_co_u32 v5, vcc_lo, v1, s33
	v_add_co_ci_u32_e32 v6, vcc_lo, s31, v2, vcc_lo
	s_and_not1_b32 vcc_lo, exec_lo, s30
	s_waitcnt vmcnt(0)
	ds_store_b64 v8, v[3:4] offset:384
	s_cbranch_vccnz .LBB160_18
; %bb.17:                               ;   in Loop: Header=BB160_4 Depth=1
	global_load_b32 v4, v[5:6], off offset:4
	s_cbranch_execnz .LBB160_3
	s_branch .LBB160_19
.LBB160_18:                             ;   in Loop: Header=BB160_4 Depth=1
                                        ; implicit-def: $vgpr4
.LBB160_19:                             ;   in Loop: Header=BB160_4 Depth=1
	global_load_b32 v3, v[5:6], off offset:4
	s_waitcnt vmcnt(0)
	v_xor_b32_e32 v4, 0x80000000, v3
	s_branch .LBB160_3
.LBB160_20:
	s_and_b32 s22, s20, 3
	s_delay_alu instid0(SALU_CYCLE_1)
	s_cmp_eq_u32 s22, 0
	s_cbranch_scc1 .LBB160_27
; %bb.21:
	s_mul_i32 s23, s9, s21
	s_mul_hi_u32 s25, s8, s21
	s_mul_i32 s24, s8, s21
	s_add_i32 s25, s25, s23
	s_lshl_b64 s[18:19], s[18:19], 3
	s_lshl_b64 s[24:25], s[24:25], 3
	v_lshlrev_b32_e32 v1, 3, v0
	s_add_u32 s18, s24, s18
	s_addc_u32 s19, s25, s19
	s_waitcnt lgkmcnt(0)
	s_add_u32 s16, s16, s18
	s_addc_u32 s17, s17, s19
	v_add_co_u32 v1, s16, s16, v1
	s_delay_alu instid0(VALU_DEP_1) | instskip(SKIP_1) | instid1(VALU_DEP_2)
	v_add_co_ci_u32_e64 v2, null, s17, 0, s16
	s_mulk_i32 s21, 0xc0
	v_add_co_u32 v1, vcc_lo, v1, 4
	v_lshl_add_u32 v5, v0, 3, s21
	s_delay_alu instid0(VALU_DEP_3)
	v_add_co_ci_u32_e32 v2, vcc_lo, 0, v2, vcc_lo
	s_lshl_b64 s[8:9], s[8:9], 3
	s_set_inst_prefetch_distance 0x1
	s_branch .LBB160_23
	.p2align	6
.LBB160_22:                             ;   in Loop: Header=BB160_23 Depth=1
	global_load_b32 v3, v[1:2], off offset:-4
	v_add_co_u32 v1, vcc_lo, v1, s8
	v_add_co_ci_u32_e32 v2, vcc_lo, s9, v2, vcc_lo
	s_add_i32 s22, s22, -1
	s_delay_alu instid0(SALU_CYCLE_1)
	s_cmp_lg_u32 s22, 0
	s_waitcnt vmcnt(0)
	ds_store_b64 v5, v[3:4]
	v_add_nc_u32_e32 v5, 0xc0, v5
	s_cbranch_scc0 .LBB160_27
.LBB160_23:                             ; =>This Inner Loop Header: Depth=1
	v_cmp_ne_u32_e32 vcc_lo, 1, v7
	s_mov_b32 s16, -1
                                        ; implicit-def: $vgpr4
	s_cbranch_vccnz .LBB160_25
; %bb.24:                               ;   in Loop: Header=BB160_23 Depth=1
	global_load_b32 v4, v[1:2], off
	s_mov_b32 s16, 0
.LBB160_25:                             ;   in Loop: Header=BB160_23 Depth=1
	s_delay_alu instid0(SALU_CYCLE_1)
	s_and_not1_b32 vcc_lo, exec_lo, s16
	s_cbranch_vccnz .LBB160_22
; %bb.26:                               ;   in Loop: Header=BB160_23 Depth=1
	global_load_b32 v3, v[1:2], off
	s_waitcnt vmcnt(0)
	v_xor_b32_e32 v4, 0x80000000, v3
	s_branch .LBB160_22
.LBB160_27:
	s_set_inst_prefetch_distance 0x2
	v_mul_u32_u24_e32 v1, 25, v0
	s_cmpk_lg_i32 s5, 0x84
	s_mov_b32 s5, -1
	s_delay_alu instid0(VALU_DEP_1)
	v_lshlrev_b32_e32 v5, 3, v1
	s_cbranch_scc0 .LBB160_33
; %bb.28:
	ds_load_b64 v[1:2], v5
	s_waitcnt lgkmcnt(0)
	v_cmp_gt_f32_e32 vcc_lo, 0, v1
	v_cndmask_b32_e64 v3, v1, -v1, vcc_lo
	v_cmp_gt_f32_e32 vcc_lo, 0, v2
	v_cndmask_b32_e64 v4, v2, -v2, vcc_lo
	s_delay_alu instid0(VALU_DEP_1) | instskip(SKIP_1) | instid1(SALU_CYCLE_1)
	v_cmp_ngt_f32_e32 vcc_lo, v3, v4
                                        ; implicit-def: $vgpr3
	s_and_saveexec_b32 s5, vcc_lo
	s_xor_b32 s5, exec_lo, s5
	s_cbranch_execz .LBB160_30
; %bb.29:
	v_div_scale_f32 v3, null, v2, v2, v1
	v_div_scale_f32 v7, vcc_lo, v1, v2, v1
	s_delay_alu instid0(VALU_DEP_2) | instskip(SKIP_2) | instid1(VALU_DEP_1)
	v_rcp_f32_e32 v4, v3
	s_waitcnt_depctr 0xfff
	v_fma_f32 v6, -v3, v4, 1.0
	v_fmac_f32_e32 v4, v6, v4
	s_delay_alu instid0(VALU_DEP_1) | instskip(NEXT) | instid1(VALU_DEP_1)
	v_mul_f32_e32 v6, v7, v4
	v_fma_f32 v8, -v3, v6, v7
	s_delay_alu instid0(VALU_DEP_1) | instskip(NEXT) | instid1(VALU_DEP_1)
	v_fmac_f32_e32 v6, v8, v4
	v_fma_f32 v3, -v3, v6, v7
	s_delay_alu instid0(VALU_DEP_1) | instskip(NEXT) | instid1(VALU_DEP_1)
	v_div_fmas_f32 v3, v3, v4, v6
	v_div_fixup_f32 v3, v3, v2, v1
	s_delay_alu instid0(VALU_DEP_1) | instskip(NEXT) | instid1(VALU_DEP_1)
	v_fmac_f32_e32 v2, v1, v3
	v_div_scale_f32 v1, null, v2, v2, 1.0
	v_div_scale_f32 v7, vcc_lo, 1.0, v2, 1.0
	s_delay_alu instid0(VALU_DEP_2) | instskip(SKIP_2) | instid1(VALU_DEP_1)
	v_rcp_f32_e32 v4, v1
	s_waitcnt_depctr 0xfff
	v_fma_f32 v6, -v1, v4, 1.0
	v_fmac_f32_e32 v4, v6, v4
	s_delay_alu instid0(VALU_DEP_1) | instskip(NEXT) | instid1(VALU_DEP_1)
	v_mul_f32_e32 v6, v7, v4
	v_fma_f32 v8, -v1, v6, v7
	s_delay_alu instid0(VALU_DEP_1) | instskip(NEXT) | instid1(VALU_DEP_1)
	v_fmac_f32_e32 v6, v8, v4
	v_fma_f32 v1, -v1, v6, v7
	s_delay_alu instid0(VALU_DEP_1) | instskip(SKIP_1) | instid1(VALU_DEP_2)
	v_div_fmas_f32 v1, v1, v4, v6
	v_add_f32_e32 v4, 0, v3
	v_div_fixup_f32 v1, v1, v2, 1.0
	v_fma_f32 v2, v3, 0, -1.0
	s_delay_alu instid0(VALU_DEP_2) | instskip(NEXT) | instid1(VALU_DEP_2)
	v_mul_f32_e32 v3, v4, v1
	v_mul_f32_e32 v4, v2, v1
                                        ; implicit-def: $vgpr1_vgpr2
.LBB160_30:
	s_and_not1_saveexec_b32 s5, s5
	s_cbranch_execz .LBB160_32
; %bb.31:
	v_div_scale_f32 v3, null, v1, v1, v2
	v_div_scale_f32 v7, vcc_lo, v2, v1, v2
	s_delay_alu instid0(VALU_DEP_2) | instskip(SKIP_2) | instid1(VALU_DEP_1)
	v_rcp_f32_e32 v4, v3
	s_waitcnt_depctr 0xfff
	v_fma_f32 v6, -v3, v4, 1.0
	v_fmac_f32_e32 v4, v6, v4
	s_delay_alu instid0(VALU_DEP_1) | instskip(NEXT) | instid1(VALU_DEP_1)
	v_mul_f32_e32 v6, v7, v4
	v_fma_f32 v8, -v3, v6, v7
	s_delay_alu instid0(VALU_DEP_1) | instskip(NEXT) | instid1(VALU_DEP_1)
	v_fmac_f32_e32 v6, v8, v4
	v_fma_f32 v3, -v3, v6, v7
	s_delay_alu instid0(VALU_DEP_1) | instskip(NEXT) | instid1(VALU_DEP_1)
	v_div_fmas_f32 v3, v3, v4, v6
	v_div_fixup_f32 v4, v3, v1, v2
	s_delay_alu instid0(VALU_DEP_1) | instskip(NEXT) | instid1(VALU_DEP_1)
	v_fmac_f32_e32 v1, v2, v4
	v_div_scale_f32 v2, null, v1, v1, 1.0
	v_div_scale_f32 v7, vcc_lo, 1.0, v1, 1.0
	s_delay_alu instid0(VALU_DEP_2) | instskip(SKIP_2) | instid1(VALU_DEP_1)
	v_rcp_f32_e32 v3, v2
	s_waitcnt_depctr 0xfff
	v_fma_f32 v6, -v2, v3, 1.0
	v_fmac_f32_e32 v3, v6, v3
	s_delay_alu instid0(VALU_DEP_1) | instskip(NEXT) | instid1(VALU_DEP_1)
	v_mul_f32_e32 v6, v7, v3
	v_fma_f32 v8, -v2, v6, v7
	s_delay_alu instid0(VALU_DEP_1) | instskip(NEXT) | instid1(VALU_DEP_1)
	v_fmac_f32_e32 v6, v8, v3
	v_fma_f32 v2, -v2, v6, v7
	s_delay_alu instid0(VALU_DEP_1) | instskip(SKIP_1) | instid1(VALU_DEP_2)
	v_div_fmas_f32 v2, v2, v3, v6
	v_fma_f32 v3, v4, 0, 1.0
	v_div_fixup_f32 v1, v2, v1, 1.0
	s_delay_alu instid0(VALU_DEP_1)
	v_mul_f32_e32 v3, v3, v1
	v_mul_f32_e64 v4, -v4, v1
.LBB160_32:
	s_or_b32 exec_lo, exec_lo, s5
	s_mov_b32 s5, 0
	ds_store_b64 v5, v[3:4]
.LBB160_33:
	s_and_b32 vcc_lo, exec_lo, s5
	s_cbranch_vccz .LBB160_35
; %bb.34:
	v_dual_mov_b32 v1, 1.0 :: v_dual_mov_b32 v2, 0
	ds_store_b64 v5, v[1:2]
.LBB160_35:
	s_or_b32 exec_lo, exec_lo, s29
	s_waitcnt lgkmcnt(0)
	s_load_b32 s16, s[0:1], 0x50
	s_lshl_b64 s[0:1], s[10:11], 3
	s_mul_i32 s5, s14, 0xffffffe8
	s_mul_i32 s8, s14, 24
	s_waitcnt lgkmcnt(0)
	s_ashr_i32 s17, s16, 31
	s_add_u32 s18, s2, s0
	s_addc_u32 s19, s3, s1
	s_add_i32 s15, s15, -1
	s_add_i32 s5, s5, s7
	s_mul_hi_i32 s11, s16, s8
	s_cmp_ge_u32 s14, s15
	s_mul_i32 s10, s16, s8
	s_cselect_b32 s5, s5, 24
	s_lshl_b64 s[10:11], s[10:11], 3
	s_ashr_i32 s9, s8, 31
	s_add_u32 s7, s18, s10
	s_addc_u32 s18, s19, s11
	v_cmp_gt_i32_e32 vcc_lo, s5, v0
	s_cmp_gt_i32 s6, 0
	s_mov_b32 s10, 0
	s_cselect_b32 s5, -1, 0
	s_delay_alu instid0(SALU_CYCLE_1) | instskip(NEXT) | instid1(SALU_CYCLE_1)
	s_and_b32 s19, vcc_lo, s5
	s_and_saveexec_b32 s5, s19
	s_cbranch_execz .LBB160_42
; %bb.36:
	s_cmp_lt_i32 s6, 8
	s_cbranch_scc1 .LBB160_39
; %bb.37:
	v_mad_i64_i32 v[1:2], null, s16, v0, 0
	v_lshl_or_b32 v3, v0, 3, 0x1200
	s_lshl_b32 s10, s20, 3
	s_mov_b64 s[14:15], 0
	s_and_b32 s11, s10, 0xc0
	s_mov_b32 s10, 0
	s_delay_alu instid0(VALU_DEP_2) | instskip(NEXT) | instid1(VALU_DEP_1)
	v_lshlrev_b64 v[1:2], 3, v[1:2]
	v_add_co_u32 v1, vcc_lo, s7, v1
	s_delay_alu instid0(VALU_DEP_2)
	v_add_co_ci_u32_e32 v2, vcc_lo, s18, v2, vcc_lo
.LBB160_38:                             ; =>This Inner Loop Header: Depth=1
	s_delay_alu instid0(VALU_DEP_2) | instskip(NEXT) | instid1(VALU_DEP_2)
	v_add_co_u32 v16, vcc_lo, v1, s14
	v_add_co_ci_u32_e32 v17, vcc_lo, s15, v2, vcc_lo
	s_add_i32 s10, s10, 8
	s_add_u32 s14, s14, 64
	s_addc_u32 s15, s15, 0
	s_clause 0x3
	global_load_b128 v[4:7], v[16:17], off
	global_load_b128 v[8:11], v[16:17], off offset:16
	global_load_b128 v[12:15], v[16:17], off offset:32
	;; [unrolled: 1-line block ×3, first 2 shown]
	s_cmp_lg_u32 s11, s14
	s_waitcnt vmcnt(3)
	v_dual_mul_f32 v21, s13, v5 :: v_dual_mul_f32 v22, s13, v7
	v_dual_mul_f32 v20, s12, v5 :: v_dual_mul_f32 v5, s12, v7
	s_waitcnt vmcnt(2)
	v_dual_mul_f32 v23, s13, v9 :: v_dual_mul_f32 v24, s13, v11
	s_waitcnt vmcnt(1)
	v_dual_mul_f32 v7, s12, v9 :: v_dual_mul_f32 v26, s13, v15
	v_dual_mul_f32 v9, s12, v11 :: v_dual_fmac_f32 v20, s13, v4
	s_waitcnt vmcnt(0)
	v_dual_mul_f32 v25, s13, v13 :: v_dual_mul_f32 v28, s13, v19
	v_mul_f32_e32 v11, s12, v13
	v_mul_f32_e32 v13, s12, v15
	;; [unrolled: 1-line block ×5, first 2 shown]
	v_fma_f32 v19, s12, v4, -v21
	v_fma_f32 v4, s12, v6, -v22
	v_fmac_f32_e32 v5, s13, v6
	v_fma_f32 v6, s12, v8, -v23
	v_fmac_f32_e32 v7, s13, v8
	;; [unrolled: 2-line block ×7, first 2 shown]
	ds_store_2addr_b64 v3, v[19:20], v[4:5] offset1:24
	ds_store_2addr_b64 v3, v[6:7], v[8:9] offset0:48 offset1:72
	ds_store_2addr_b64 v3, v[10:11], v[12:13] offset0:96 offset1:120
	;; [unrolled: 1-line block ×3, first 2 shown]
	v_add_nc_u32_e32 v3, 0x600, v3
	s_cbranch_scc1 .LBB160_38
.LBB160_39:
	s_and_b32 s14, s20, 7
	s_mov_b32 s11, 0
	s_cmp_eq_u32 s14, 0
	s_cbranch_scc1 .LBB160_42
; %bb.40:
	v_lshlrev_b32_e32 v3, 3, v0
	s_lshl_b64 s[22:23], s[8:9], 3
	s_lshl_b64 s[24:25], s[10:11], 3
	s_mulk_i32 s10, 0xc0
	s_delay_alu instid0(VALU_DEP_1) | instskip(NEXT) | instid1(VALU_DEP_1)
	v_add_co_u32 v4, s11, s22, v3
	v_add_co_ci_u32_e64 v5, null, s23, 0, s11
	s_add_u32 s11, s2, s24
	s_addc_u32 s15, s3, s25
	s_add_u32 s22, s11, s0
	s_addc_u32 s23, s15, s1
	v_mul_lo_u32 v5, v5, s16
	v_mad_u64_u32 v[1:2], null, v4, s16, s[22:23]
	v_mul_lo_u32 v4, v4, s17
	v_add3_u32 v3, s10, v3, 0x1200
	s_delay_alu instid0(VALU_DEP_3) | instskip(NEXT) | instid1(VALU_DEP_3)
	v_add_co_u32 v1, vcc_lo, v1, 4
	v_add3_u32 v2, v5, v2, v4
	s_delay_alu instid0(VALU_DEP_1)
	v_add_co_ci_u32_e32 v2, vcc_lo, 0, v2, vcc_lo
	.p2align	6
.LBB160_41:                             ; =>This Inner Loop Header: Depth=1
	global_load_b64 v[4:5], v[1:2], off offset:-4
	v_add_co_u32 v1, vcc_lo, v1, 8
	v_add_co_ci_u32_e32 v2, vcc_lo, 0, v2, vcc_lo
	s_add_i32 s14, s14, -1
	s_delay_alu instid0(SALU_CYCLE_1) | instskip(SKIP_2) | instid1(VALU_DEP_1)
	s_cmp_lg_u32 s14, 0
	s_waitcnt vmcnt(0)
	v_mul_f32_e32 v6, s12, v5
	v_dual_mul_f32 v7, s13, v5 :: v_dual_fmac_f32 v6, s13, v4
	s_delay_alu instid0(VALU_DEP_1)
	v_fma_f32 v5, s12, v4, -v7
	ds_store_b64 v3, v[5:6]
	v_add_nc_u32_e32 v3, 0xc0, v3
	s_cbranch_scc1 .LBB160_41
.LBB160_42:
	s_or_b32 exec_lo, exec_lo, s5
	v_or_b32_e64 v5, 0, 4
	s_cmpk_eq_i32 s4, 0x6f
	s_mov_b32 s4, -1
	s_waitcnt vmcnt(0) lgkmcnt(0)
	s_waitcnt_vscnt null, 0x0
	; wave barrier
	s_waitcnt lgkmcnt(0)
	buffer_gl0_inv
	s_cbranch_scc1 .LBB160_63
; %bb.43:
	v_lshl_or_b32 v3, v0, 3, 0x1200
	s_lshl_b32 s10, s20, 3
	s_mov_b32 s5, 0
	s_add_i32 s10, s10, -8
	s_mov_b32 s4, s5
	s_mov_b32 s11, s28
	s_branch .LBB160_45
.LBB160_44:                             ;   in Loop: Header=BB160_45 Depth=1
	s_cmp_lt_i32 s11, 0
	s_cselect_b32 s12, -1, 0
	s_add_i32 s4, s4, 1
	s_delay_alu instid0(SALU_CYCLE_1) | instskip(SKIP_1) | instid1(SALU_CYCLE_1)
	s_cmp_eq_u32 s4, 3
	s_cselect_b32 s13, -1, 0
	s_or_b32 s12, s12, s13
	s_delay_alu instid0(SALU_CYCLE_1)
	s_and_not1_b32 vcc_lo, exec_lo, s12
	s_cbranch_vccz .LBB160_62
.LBB160_45:                             ; =>This Loop Header: Depth=1
                                        ;     Child Loop BB160_48 Depth 2
                                        ;       Child Loop BB160_49 Depth 3
                                        ;       Child Loop BB160_51 Depth 3
                                        ;         Child Loop BB160_52 Depth 4
                                        ;       Child Loop BB160_56 Depth 3
                                        ;         Child Loop BB160_58 Depth 4
	s_getpc_b64 s[12:13]
	s_add_u32 s12, s12, __const._ZL38rocblas_trsm_small_left_device_sharedBILi24ELi24ELb1E19rocblas_complex_numIfES1_PKPKS1_PKPS1_Ev13rocblas_fill_18rocblas_operation_17rocblas_diagonal_iiT3_T4_lilT5_lili.step_sizes@rel32@lo+4
	s_addc_u32 s13, s13, __const._ZL38rocblas_trsm_small_left_device_sharedBILi24ELi24ELb1E19rocblas_complex_numIfES1_PKPKS1_PKPS1_Ev13rocblas_fill_18rocblas_operation_17rocblas_diagonal_iiT3_T4_lilT5_lili.step_sizes@rel32@hi+12
	s_lshl_b64 s[14:15], s[4:5], 2
	s_delay_alu instid0(SALU_CYCLE_1) | instskip(SKIP_4) | instid1(SALU_CYCLE_1)
	s_add_u32 s12, s14, s12
	s_addc_u32 s13, s15, s13
	s_load_b32 s12, s[12:13], 0x0
	s_waitcnt lgkmcnt(0)
	s_add_i32 s13, s12, -1
	s_cmp_lt_i32 s11, s13
	s_cbranch_scc1 .LBB160_44
; %bb.46:                               ;   in Loop: Header=BB160_45 Depth=1
	s_mul_i32 s21, s11, 0xc0
	s_max_i32 s14, s12, 1
	v_add_nc_u32_e32 v4, s21, v3
	s_mul_i32 s15, s12, 0xffffff40
	s_add_i32 s21, s10, s21
	s_mul_i32 s22, s11, 0xc8
	s_mul_i32 s23, s12, 0xffffff38
	s_branch .LBB160_48
.LBB160_47:                             ;   in Loop: Header=BB160_48 Depth=2
	v_add_nc_u32_e32 v4, s15, v4
	s_sub_i32 s11, s11, s12
	s_add_i32 s21, s21, s15
	s_add_i32 s22, s22, s23
	s_cmp_lt_i32 s11, s13
	s_cbranch_scc1 .LBB160_44
.LBB160_48:                             ;   Parent Loop BB160_45 Depth=1
                                        ; =>  This Loop Header: Depth=2
                                        ;       Child Loop BB160_49 Depth 3
                                        ;       Child Loop BB160_51 Depth 3
                                        ;         Child Loop BB160_52 Depth 4
                                        ;       Child Loop BB160_56 Depth 3
                                        ;         Child Loop BB160_58 Depth 4
	v_dual_mov_b32 v1, 0 :: v_dual_mov_b32 v2, v4
	s_mov_b32 s24, s14
.LBB160_49:                             ;   Parent Loop BB160_45 Depth=1
                                        ;     Parent Loop BB160_48 Depth=2
                                        ; =>    This Inner Loop Header: Depth=3
	ds_load_b64 v[6:7], v2
	v_add_nc_u32_e32 v2, 0xffffff40, v2
	s_add_i32 s24, s24, -1
	s_delay_alu instid0(SALU_CYCLE_1)
	s_cmp_eq_u32 s24, 0
	s_waitcnt lgkmcnt(0)
	scratch_store_b64 v1, v[6:7], off
	v_add_nc_u32_e32 v1, 8, v1
	s_cbranch_scc0 .LBB160_49
; %bb.50:                               ;   in Loop: Header=BB160_48 Depth=2
	s_cmp_le_i32 s28, s11
	s_mov_b32 s24, s21
	s_mov_b32 s25, s28
	s_cbranch_scc1 .LBB160_54
	.p2align	6
.LBB160_51:                             ;   Parent Loop BB160_45 Depth=1
                                        ;     Parent Loop BB160_48 Depth=2
                                        ; =>    This Loop Header: Depth=3
                                        ;         Child Loop BB160_52 Depth 4
	s_mul_i32 s26, s25, 24
	v_mov_b32_e32 v6, v5
	v_add_lshl_u32 v1, s26, v0, 3
	s_mov_b32 s26, s24
	s_mov_b32 s27, s14
	ds_load_b64 v[1:2], v1 offset:4608
	.p2align	6
.LBB160_52:                             ;   Parent Loop BB160_45 Depth=1
                                        ;     Parent Loop BB160_48 Depth=2
                                        ;       Parent Loop BB160_51 Depth=3
                                        ; =>      This Inner Loop Header: Depth=4
	scratch_load_b64 v[7:8], v6, off offset:-4
	v_mov_b32_e32 v9, s26
	s_add_i32 s27, s27, -1
	s_addk_i32 s26, 0xff40
	s_cmp_eq_u32 s27, 0
	ds_load_b64 v[9:10], v9
	s_waitcnt lgkmcnt(0)
	v_mul_f32_e32 v11, v10, v2
	v_mul_f32_e32 v10, v10, v1
	s_delay_alu instid0(VALU_DEP_2) | instskip(SKIP_1) | instid1(VALU_DEP_1)
	v_fma_f32 v11, v9, v1, -v11
	s_waitcnt vmcnt(0)
	v_dual_fmac_f32 v10, v9, v2 :: v_dual_sub_f32 v7, v7, v11
	s_delay_alu instid0(VALU_DEP_1)
	v_sub_f32_e32 v8, v8, v10
	scratch_store_b64 v6, v[7:8], off offset:-4
	v_add_nc_u32_e32 v6, 8, v6
	s_cbranch_scc0 .LBB160_52
; %bb.53:                               ;   in Loop: Header=BB160_51 Depth=3
	s_add_i32 s25, s25, -1
	s_add_i32 s24, s24, -8
	s_cmp_le_i32 s25, s11
	s_cbranch_scc0 .LBB160_51
.LBB160_54:                             ;   in Loop: Header=BB160_48 Depth=2
	s_mul_i32 s24, s11, 24
	s_mov_b32 s25, 0
	s_mov_b32 s26, s22
	s_branch .LBB160_56
.LBB160_55:                             ;   in Loop: Header=BB160_56 Depth=3
	s_mulk_i32 s29, 0xc8
	s_addk_i32 s26, 0xff40
	v_mov_b32_e32 v6, s29
	s_lshl_b32 s29, s25, 3
	s_add_i32 s25, s25, 1
	ds_load_b64 v[6:7], v6
	s_waitcnt vmcnt(0) lgkmcnt(0)
	v_mul_f32_e32 v8, v7, v2
	v_mul_f32_e32 v9, v6, v2
	v_add_lshl_u32 v2, s27, v0, 3
	s_add_i32 s27, s29, 0
	s_cmp_eq_u32 s25, s14
	v_fma_f32 v8, v6, v1, -v8
	v_fmac_f32_e32 v9, v7, v1
	scratch_store_b64 off, v[8:9], s27
	ds_store_b64 v2, v[8:9] offset:4608
	s_cbranch_scc1 .LBB160_47
.LBB160_56:                             ;   Parent Loop BB160_45 Depth=1
                                        ;     Parent Loop BB160_48 Depth=2
                                        ; =>    This Loop Header: Depth=3
                                        ;         Child Loop BB160_58 Depth 4
	s_cmp_lg_u32 s25, 0
	s_cbranch_scc0 .LBB160_60
; %bb.57:                               ;   in Loop: Header=BB160_56 Depth=3
	s_lshl_b32 s27, s25, 3
	v_mov_b32_e32 v7, 0
	s_add_i32 s29, s27, 0
	v_add_nc_u32_e64 v6, s27, 0
	scratch_load_b64 v[1:2], off, s29
	s_sub_i32 s29, s11, s25
	s_mov_b32 s30, 0
	s_mul_i32 s27, s29, 24
	s_mov_b32 s31, s26
	.p2align	6
.LBB160_58:                             ;   Parent Loop BB160_45 Depth=1
                                        ;     Parent Loop BB160_48 Depth=2
                                        ;       Parent Loop BB160_56 Depth=3
                                        ; =>      This Inner Loop Header: Depth=4
	scratch_load_b64 v[8:9], v7, off
	v_mov_b32_e32 v10, s31
	s_add_i32 s30, s30, 1
	s_add_i32 s31, s31, -8
	s_cmp_ge_u32 s30, s25
	v_add_nc_u32_e32 v7, 8, v7
	ds_load_b64 v[10:11], v10
	s_waitcnt vmcnt(0) lgkmcnt(0)
	v_mul_f32_e32 v12, v11, v9
	v_mul_f32_e32 v9, v10, v9
	s_delay_alu instid0(VALU_DEP_2) | instskip(NEXT) | instid1(VALU_DEP_2)
	v_fma_f32 v10, v10, v8, -v12
	v_fmac_f32_e32 v9, v11, v8
	s_delay_alu instid0(VALU_DEP_1)
	v_dual_sub_f32 v1, v1, v10 :: v_dual_sub_f32 v2, v2, v9
	scratch_store_b64 v6, v[1:2], off
	s_cbranch_scc0 .LBB160_58
; %bb.59:                               ;   in Loop: Header=BB160_56 Depth=3
	s_branch .LBB160_55
.LBB160_60:                             ;   in Loop: Header=BB160_56 Depth=3
                                        ; implicit-def: $vgpr1
                                        ; implicit-def: $sgpr29
                                        ; implicit-def: $sgpr27
	s_cbranch_execz .LBB160_55
; %bb.61:                               ;   in Loop: Header=BB160_56 Depth=3
	scratch_load_b64 v[1:2], off, off
	s_mov_b32 s27, s24
	s_mov_b32 s29, s11
	s_branch .LBB160_55
.LBB160_62:
	s_mov_b32 s4, 0
.LBB160_63:
	s_delay_alu instid0(SALU_CYCLE_1)
	s_and_b32 vcc_lo, exec_lo, s4
	s_cbranch_vccz .LBB160_84
; %bb.64:
	v_lshl_or_b32 v1, v0, 3, 0x1200
	s_mov_b32 s5, 0
	s_delay_alu instid0(SALU_CYCLE_1)
	s_mov_b32 s4, s5
	s_mov_b32 s10, s5
	s_branch .LBB160_66
.LBB160_65:                             ;   in Loop: Header=BB160_66 Depth=1
	s_cmp_ge_i32 s10, s20
	s_cselect_b32 s11, -1, 0
	s_add_i32 s4, s4, 1
	s_delay_alu instid0(SALU_CYCLE_1) | instskip(SKIP_1) | instid1(SALU_CYCLE_1)
	s_cmp_eq_u32 s4, 3
	s_cselect_b32 s12, -1, 0
	s_or_b32 s11, s11, s12
	s_delay_alu instid0(SALU_CYCLE_1)
	s_and_b32 vcc_lo, exec_lo, s11
	s_cbranch_vccnz .LBB160_84
.LBB160_66:                             ; =>This Loop Header: Depth=1
                                        ;     Child Loop BB160_69 Depth 2
                                        ;       Child Loop BB160_70 Depth 3
                                        ;       Child Loop BB160_73 Depth 3
                                        ;         Child Loop BB160_74 Depth 4
                                        ;       Child Loop BB160_78 Depth 3
                                        ;         Child Loop BB160_80 Depth 4
	s_getpc_b64 s[12:13]
	s_add_u32 s12, s12, __const._ZL38rocblas_trsm_small_left_device_sharedBILi24ELi24ELb1E19rocblas_complex_numIfES1_PKPKS1_PKPS1_Ev13rocblas_fill_18rocblas_operation_17rocblas_diagonal_iiT3_T4_lilT5_lili.step_sizes@rel32@lo+4
	s_addc_u32 s13, s13, __const._ZL38rocblas_trsm_small_left_device_sharedBILi24ELi24ELb1E19rocblas_complex_numIfES1_PKPKS1_PKPS1_Ev13rocblas_fill_18rocblas_operation_17rocblas_diagonal_iiT3_T4_lilT5_lili.step_sizes@rel32@hi+12
	s_lshl_b64 s[14:15], s[4:5], 2
	s_delay_alu instid0(SALU_CYCLE_1) | instskip(SKIP_4) | instid1(SALU_CYCLE_1)
	s_add_u32 s12, s14, s12
	s_addc_u32 s13, s15, s13
	s_load_b32 s11, s[12:13], 0x0
	s_waitcnt lgkmcnt(0)
	s_add_i32 s12, s11, -1
	s_add_i32 s13, s12, s10
	s_delay_alu instid0(SALU_CYCLE_1)
	s_cmp_ge_i32 s13, s20
	s_cbranch_scc1 .LBB160_65
; %bb.67:                               ;   in Loop: Header=BB160_66 Depth=1
	v_mad_u64_u32 v[2:3], null, 0xc0, s10, v[1:2]
	s_max_i32 s13, s11, 1
	s_mul_i32 s14, s11, 0xc0
	s_lshl_b32 s15, s10, 3
	s_lshl_b32 s21, s11, 3
	s_mul_i32 s22, s10, 0xc8
	s_mul_i32 s23, s11, 0xc8
	s_branch .LBB160_69
.LBB160_68:                             ;   in Loop: Header=BB160_69 Depth=2
	s_add_i32 s10, s10, s11
	v_add_nc_u32_e32 v2, s14, v2
	s_add_i32 s24, s12, s10
	s_add_i32 s15, s15, s21
	;; [unrolled: 1-line block ×3, first 2 shown]
	s_cmp_ge_i32 s24, s20
	s_cbranch_scc1 .LBB160_65
.LBB160_69:                             ;   Parent Loop BB160_66 Depth=1
                                        ; =>  This Loop Header: Depth=2
                                        ;       Child Loop BB160_70 Depth 3
                                        ;       Child Loop BB160_73 Depth 3
                                        ;         Child Loop BB160_74 Depth 4
                                        ;       Child Loop BB160_78 Depth 3
                                        ;         Child Loop BB160_80 Depth 4
	v_dual_mov_b32 v3, 0 :: v_dual_mov_b32 v4, v2
	s_mov_b32 s24, s13
.LBB160_70:                             ;   Parent Loop BB160_66 Depth=1
                                        ;     Parent Loop BB160_69 Depth=2
                                        ; =>    This Inner Loop Header: Depth=3
	ds_load_b64 v[6:7], v4
	v_add_nc_u32_e32 v4, 0xc0, v4
	s_add_i32 s24, s24, -1
	s_delay_alu instid0(SALU_CYCLE_1)
	s_cmp_eq_u32 s24, 0
	s_waitcnt lgkmcnt(0)
	scratch_store_b64 v3, v[6:7], off
	v_add_nc_u32_e32 v3, 8, v3
	s_cbranch_scc0 .LBB160_70
; %bb.71:                               ;   in Loop: Header=BB160_69 Depth=2
	s_cmp_lt_i32 s10, 1
	s_cbranch_scc1 .LBB160_76
; %bb.72:                               ;   in Loop: Header=BB160_69 Depth=2
	s_mov_b32 s24, 0
	s_mov_b32 s25, s15
	.p2align	6
.LBB160_73:                             ;   Parent Loop BB160_66 Depth=1
                                        ;     Parent Loop BB160_69 Depth=2
                                        ; =>    This Loop Header: Depth=3
                                        ;         Child Loop BB160_74 Depth 4
	s_mul_i32 s26, s24, 24
	v_mov_b32_e32 v6, v5
	v_add_lshl_u32 v3, s26, v0, 3
	s_mov_b32 s26, s25
	s_mov_b32 s27, s13
	ds_load_b64 v[3:4], v3 offset:4608
	.p2align	6
.LBB160_74:                             ;   Parent Loop BB160_66 Depth=1
                                        ;     Parent Loop BB160_69 Depth=2
                                        ;       Parent Loop BB160_73 Depth=3
                                        ; =>      This Inner Loop Header: Depth=4
	scratch_load_b64 v[7:8], v6, off offset:-4
	v_mov_b32_e32 v9, s26
	s_add_i32 s27, s27, -1
	s_add_i32 s26, s26, 8
	s_cmp_eq_u32 s27, 0
	ds_load_b64 v[9:10], v9
	s_waitcnt lgkmcnt(0)
	v_mul_f32_e32 v11, v10, v4
	v_mul_f32_e32 v10, v10, v3
	s_delay_alu instid0(VALU_DEP_1) | instskip(SKIP_1) | instid1(VALU_DEP_1)
	v_fmac_f32_e32 v10, v9, v4
	s_waitcnt vmcnt(0)
	v_sub_f32_e32 v8, v8, v10
	v_fma_f32 v11, v9, v3, -v11
	s_delay_alu instid0(VALU_DEP_1)
	v_sub_f32_e32 v7, v7, v11
	scratch_store_b64 v6, v[7:8], off offset:-4
	v_add_nc_u32_e32 v6, 8, v6
	s_cbranch_scc0 .LBB160_74
; %bb.75:                               ;   in Loop: Header=BB160_73 Depth=3
	s_add_i32 s24, s24, 1
	s_addk_i32 s25, 0xc0
	s_cmp_ge_i32 s24, s10
	s_cbranch_scc0 .LBB160_73
.LBB160_76:                             ;   in Loop: Header=BB160_69 Depth=2
	s_mov_b32 s24, 0
	s_mov_b32 s25, s22
	s_branch .LBB160_78
.LBB160_77:                             ;   in Loop: Header=BB160_78 Depth=3
	s_mul_i32 s27, s26, 0xc8
	s_mul_i32 s26, s26, 24
	v_mov_b32_e32 v6, s27
	s_lshl_b32 s27, s24, 3
	s_add_i32 s24, s24, 1
	s_add_i32 s25, s25, 8
	ds_load_b64 v[6:7], v6
	s_waitcnt vmcnt(0) lgkmcnt(0)
	v_mul_f32_e32 v8, v7, v4
	v_mul_f32_e32 v9, v6, v4
	s_delay_alu instid0(VALU_DEP_2) | instskip(NEXT) | instid1(VALU_DEP_2)
	v_fma_f32 v8, v6, v3, -v8
	v_fmac_f32_e32 v9, v7, v3
	v_add_lshl_u32 v3, s26, v0, 3
	s_add_i32 s26, s27, 0
	s_cmp_eq_u32 s24, s13
	scratch_store_b64 off, v[8:9], s26
	ds_store_b64 v3, v[8:9] offset:4608
	s_cbranch_scc1 .LBB160_68
.LBB160_78:                             ;   Parent Loop BB160_66 Depth=1
                                        ;     Parent Loop BB160_69 Depth=2
                                        ; =>    This Loop Header: Depth=3
                                        ;         Child Loop BB160_80 Depth 4
	s_cmp_lg_u32 s24, 0
	s_cbranch_scc0 .LBB160_82
; %bb.79:                               ;   in Loop: Header=BB160_78 Depth=3
	s_lshl_b32 s26, s24, 3
	v_mov_b32_e32 v7, 0
	s_add_i32 s27, s26, 0
	v_add_nc_u32_e64 v6, s26, 0
	scratch_load_b64 v[3:4], off, s27
	s_add_i32 s26, s24, s10
	s_mov_b32 s27, 0
	s_mov_b32 s28, s25
	.p2align	6
.LBB160_80:                             ;   Parent Loop BB160_66 Depth=1
                                        ;     Parent Loop BB160_69 Depth=2
                                        ;       Parent Loop BB160_78 Depth=3
                                        ; =>      This Inner Loop Header: Depth=4
	scratch_load_b64 v[8:9], v7, off
	v_mov_b32_e32 v10, s28
	s_add_i32 s27, s27, 1
	s_addk_i32 s28, 0xc0
	s_cmp_ge_u32 s27, s24
	v_add_nc_u32_e32 v7, 8, v7
	ds_load_b64 v[10:11], v10
	s_waitcnt vmcnt(0) lgkmcnt(0)
	v_mul_f32_e32 v12, v11, v9
	v_mul_f32_e32 v9, v10, v9
	s_delay_alu instid0(VALU_DEP_2) | instskip(NEXT) | instid1(VALU_DEP_2)
	v_fma_f32 v10, v10, v8, -v12
	v_fmac_f32_e32 v9, v11, v8
	s_delay_alu instid0(VALU_DEP_1)
	v_dual_sub_f32 v3, v3, v10 :: v_dual_sub_f32 v4, v4, v9
	scratch_store_b64 v6, v[3:4], off
	s_cbranch_scc0 .LBB160_80
; %bb.81:                               ;   in Loop: Header=BB160_78 Depth=3
	s_branch .LBB160_77
.LBB160_82:                             ;   in Loop: Header=BB160_78 Depth=3
                                        ; implicit-def: $vgpr3
                                        ; implicit-def: $sgpr26
	s_cbranch_execz .LBB160_77
; %bb.83:                               ;   in Loop: Header=BB160_78 Depth=3
	scratch_load_b64 v[3:4], off, off
	s_mov_b32 s26, s10
	s_branch .LBB160_77
.LBB160_84:
	s_waitcnt vmcnt(0) lgkmcnt(0)
	s_waitcnt_vscnt null, 0x0
	; wave barrier
	s_waitcnt lgkmcnt(0)
	s_waitcnt_vscnt null, 0x0
	buffer_gl0_inv
	s_and_saveexec_b32 s4, s19
	s_cbranch_execz .LBB160_91
; %bb.85:
	s_cmp_lt_i32 s6, 8
	s_mov_b32 s4, 0
	s_cbranch_scc1 .LBB160_88
; %bb.86:
	v_mad_i64_i32 v[1:2], null, s16, v0, 0
	v_lshl_or_b32 v3, v0, 3, 0x1200
	s_lshl_b32 s4, s20, 3
	s_delay_alu instid0(SALU_CYCLE_1) | instskip(SKIP_1) | instid1(VALU_DEP_2)
	s_and_b32 s5, s4, 0xc0
	s_mov_b32 s4, 0
	v_lshlrev_b64 v[1:2], 3, v[1:2]
	s_delay_alu instid0(VALU_DEP_1) | instskip(NEXT) | instid1(VALU_DEP_2)
	v_add_co_u32 v1, vcc_lo, s7, v1
	v_add_co_ci_u32_e32 v2, vcc_lo, s18, v2, vcc_lo
	s_mov_b64 s[6:7], 0
	.p2align	6
.LBB160_87:                             ; =>This Inner Loop Header: Depth=1
	ds_load_2addr_b64 v[4:7], v3 offset1:24
	ds_load_2addr_b64 v[8:11], v3 offset0:48 offset1:72
	ds_load_2addr_b64 v[12:15], v3 offset0:96 offset1:120
	ds_load_2addr_b64 v[16:19], v3 offset0:144 offset1:168
	v_add_co_u32 v20, vcc_lo, v1, s6
	v_add_co_ci_u32_e32 v21, vcc_lo, s7, v2, vcc_lo
	s_add_i32 s4, s4, 8
	v_add_nc_u32_e32 v3, 0x600, v3
	s_add_u32 s6, s6, 64
	s_addc_u32 s7, s7, 0
	s_cmp_lg_u32 s5, s6
	s_waitcnt lgkmcnt(3)
	global_store_b128 v[20:21], v[4:7], off
	s_waitcnt lgkmcnt(2)
	global_store_b128 v[20:21], v[8:11], off offset:16
	s_waitcnt lgkmcnt(1)
	global_store_b128 v[20:21], v[12:15], off offset:32
	;; [unrolled: 2-line block ×3, first 2 shown]
	s_cbranch_scc1 .LBB160_87
.LBB160_88:
	s_and_b32 s6, s20, 7
	s_mov_b32 s5, 0
	s_cmp_eq_u32 s6, 0
	s_cbranch_scc1 .LBB160_91
; %bb.89:
	v_lshlrev_b32_e32 v2, 3, v0
	s_lshl_b64 s[8:9], s[8:9], 3
	s_lshl_b64 s[10:11], s[4:5], 3
	s_delay_alu instid0(SALU_CYCLE_1) | instskip(NEXT) | instid1(VALU_DEP_1)
	s_add_u32 s2, s2, s10
	v_add_co_u32 v3, s5, s8, v2
	s_delay_alu instid0(VALU_DEP_1) | instskip(SKIP_3) | instid1(VALU_DEP_1)
	v_add_co_ci_u32_e64 v4, null, s9, 0, s5
	s_addc_u32 s3, s3, s11
	s_add_u32 s0, s2, s0
	s_addc_u32 s1, s3, s1
	v_mul_lo_u32 v4, v4, s16
	v_mad_u64_u32 v[0:1], null, v3, s16, s[0:1]
	v_mul_lo_u32 v3, v3, s17
	s_mul_i32 s0, s4, 0xc0
	s_delay_alu instid0(SALU_CYCLE_1) | instskip(NEXT) | instid1(VALU_DEP_2)
	v_add3_u32 v2, s0, v2, 0x1200
	v_add3_u32 v1, v4, v1, v3
.LBB160_90:                             ; =>This Inner Loop Header: Depth=1
	ds_load_b64 v[3:4], v2
	v_add_nc_u32_e32 v2, 0xc0, v2
	s_add_i32 s6, s6, -1
	s_delay_alu instid0(SALU_CYCLE_1)
	s_cmp_lg_u32 s6, 0
	s_waitcnt lgkmcnt(0)
	global_store_b64 v[0:1], v[3:4], off
	v_add_co_u32 v0, vcc_lo, v0, 8
	v_add_co_ci_u32_e32 v1, vcc_lo, 0, v1, vcc_lo
	s_cbranch_scc1 .LBB160_90
.LBB160_91:
	s_nop 0
	s_sendmsg sendmsg(MSG_DEALLOC_VGPRS)
	s_endpgm
	.section	.rodata,"a",@progbits
	.p2align	6, 0x0
	.amdhsa_kernel _ZL38rocblas_trsm_small_left_device_sharedBILi24ELi24ELb1E19rocblas_complex_numIfES1_PKPKS1_PKPS1_Ev13rocblas_fill_18rocblas_operation_17rocblas_diagonal_iiT3_T4_lilT5_lili
		.amdhsa_group_segment_fixed_size 9216
		.amdhsa_private_segment_fixed_size 208
		.amdhsa_kernarg_size 360
		.amdhsa_user_sgpr_count 14
		.amdhsa_user_sgpr_dispatch_ptr 0
		.amdhsa_user_sgpr_queue_ptr 0
		.amdhsa_user_sgpr_kernarg_segment_ptr 1
		.amdhsa_user_sgpr_dispatch_id 0
		.amdhsa_user_sgpr_private_segment_size 0
		.amdhsa_wavefront_size32 1
		.amdhsa_uses_dynamic_stack 0
		.amdhsa_enable_private_segment 1
		.amdhsa_system_sgpr_workgroup_id_x 1
		.amdhsa_system_sgpr_workgroup_id_y 0
		.amdhsa_system_sgpr_workgroup_id_z 1
		.amdhsa_system_sgpr_workgroup_info 0
		.amdhsa_system_vgpr_workitem_id 0
		.amdhsa_next_free_vgpr 29
		.amdhsa_next_free_sgpr 35
		.amdhsa_reserve_vcc 1
		.amdhsa_float_round_mode_32 0
		.amdhsa_float_round_mode_16_64 0
		.amdhsa_float_denorm_mode_32 3
		.amdhsa_float_denorm_mode_16_64 3
		.amdhsa_dx10_clamp 1
		.amdhsa_ieee_mode 1
		.amdhsa_fp16_overflow 0
		.amdhsa_workgroup_processor_mode 1
		.amdhsa_memory_ordered 1
		.amdhsa_forward_progress 0
		.amdhsa_shared_vgpr_count 0
		.amdhsa_exception_fp_ieee_invalid_op 0
		.amdhsa_exception_fp_denorm_src 0
		.amdhsa_exception_fp_ieee_div_zero 0
		.amdhsa_exception_fp_ieee_overflow 0
		.amdhsa_exception_fp_ieee_underflow 0
		.amdhsa_exception_fp_ieee_inexact 0
		.amdhsa_exception_int_div_zero 0
	.end_amdhsa_kernel
	.section	.text._ZL38rocblas_trsm_small_left_device_sharedBILi24ELi24ELb1E19rocblas_complex_numIfES1_PKPKS1_PKPS1_Ev13rocblas_fill_18rocblas_operation_17rocblas_diagonal_iiT3_T4_lilT5_lili,"axG",@progbits,_ZL38rocblas_trsm_small_left_device_sharedBILi24ELi24ELb1E19rocblas_complex_numIfES1_PKPKS1_PKPS1_Ev13rocblas_fill_18rocblas_operation_17rocblas_diagonal_iiT3_T4_lilT5_lili,comdat
.Lfunc_end160:
	.size	_ZL38rocblas_trsm_small_left_device_sharedBILi24ELi24ELb1E19rocblas_complex_numIfES1_PKPKS1_PKPS1_Ev13rocblas_fill_18rocblas_operation_17rocblas_diagonal_iiT3_T4_lilT5_lili, .Lfunc_end160-_ZL38rocblas_trsm_small_left_device_sharedBILi24ELi24ELb1E19rocblas_complex_numIfES1_PKPKS1_PKPS1_Ev13rocblas_fill_18rocblas_operation_17rocblas_diagonal_iiT3_T4_lilT5_lili
                                        ; -- End function
	.section	.AMDGPU.csdata,"",@progbits
; Kernel info:
; codeLenInByte = 3956
; NumSgprs: 37
; NumVgprs: 29
; ScratchSize: 208
; MemoryBound: 0
; FloatMode: 240
; IeeeMode: 1
; LDSByteSize: 9216 bytes/workgroup (compile time only)
; SGPRBlocks: 4
; VGPRBlocks: 3
; NumSGPRsForWavesPerEU: 37
; NumVGPRsForWavesPerEU: 29
; Occupancy: 4
; WaveLimiterHint : 1
; COMPUTE_PGM_RSRC2:SCRATCH_EN: 1
; COMPUTE_PGM_RSRC2:USER_SGPR: 14
; COMPUTE_PGM_RSRC2:TRAP_HANDLER: 0
; COMPUTE_PGM_RSRC2:TGID_X_EN: 1
; COMPUTE_PGM_RSRC2:TGID_Y_EN: 0
; COMPUTE_PGM_RSRC2:TGID_Z_EN: 1
; COMPUTE_PGM_RSRC2:TIDIG_COMP_CNT: 0
	.section	.text._ZL30rocblas_trsm_small_left_deviceILi24ELi24ELb1E19rocblas_complex_numIfES1_PKPKS1_PKPS1_Ev13rocblas_fill_18rocblas_operation_17rocblas_diagonal_iiT3_T4_lilT5_lili,"axG",@progbits,_ZL30rocblas_trsm_small_left_deviceILi24ELi24ELb1E19rocblas_complex_numIfES1_PKPKS1_PKPS1_Ev13rocblas_fill_18rocblas_operation_17rocblas_diagonal_iiT3_T4_lilT5_lili,comdat
	.globl	_ZL30rocblas_trsm_small_left_deviceILi24ELi24ELb1E19rocblas_complex_numIfES1_PKPKS1_PKPS1_Ev13rocblas_fill_18rocblas_operation_17rocblas_diagonal_iiT3_T4_lilT5_lili ; -- Begin function _ZL30rocblas_trsm_small_left_deviceILi24ELi24ELb1E19rocblas_complex_numIfES1_PKPKS1_PKPS1_Ev13rocblas_fill_18rocblas_operation_17rocblas_diagonal_iiT3_T4_lilT5_lili
	.p2align	8
	.type	_ZL30rocblas_trsm_small_left_deviceILi24ELi24ELb1E19rocblas_complex_numIfES1_PKPKS1_PKPS1_Ev13rocblas_fill_18rocblas_operation_17rocblas_diagonal_iiT3_T4_lilT5_lili,@function
_ZL30rocblas_trsm_small_left_deviceILi24ELi24ELb1E19rocblas_complex_numIfES1_PKPKS1_PKPS1_Ev13rocblas_fill_18rocblas_operation_17rocblas_diagonal_iiT3_T4_lilT5_lili: ; @_ZL30rocblas_trsm_small_left_deviceILi24ELi24ELb1E19rocblas_complex_numIfES1_PKPKS1_PKPS1_Ev13rocblas_fill_18rocblas_operation_17rocblas_diagonal_iiT3_T4_lilT5_lili
; %bb.0:
	s_clause 0x1
	s_load_b128 s[8:11], s[0:1], 0x40
	s_load_b128 s[4:7], s[0:1], 0x4
	s_mov_b32 s12, s15
	s_mov_b32 s13, 0
	s_load_b32 s29, s[0:1], 0x68
	s_lshl_b64 s[22:23], s[12:13], 3
	s_waitcnt lgkmcnt(0)
	s_add_u32 s8, s8, s22
	s_addc_u32 s9, s9, s23
	s_load_b64 s[2:3], s[0:1], 0x14
	s_load_b64 s[8:9], s[8:9], 0x0
	s_min_i32 s15, s6, 24
	s_mov_b32 s6, exec_lo
	s_add_i32 s28, s15, -1
	v_cmpx_gt_i32_e64 s15, v0
	s_cbranch_execz .LBB161_35
; %bb.1:
	s_clause 0x1
	s_load_b32 s20, s[0:1], 0x30
	s_load_b128 s[16:19], s[0:1], 0x20
	v_lshlrev_b32_e32 v8, 3, v0
	s_waitcnt lgkmcnt(0)
	s_ashr_i32 s21, s20, 31
	s_cmpk_lg_i32 s4, 0x71
	s_cselect_b32 s12, -1, 0
	s_add_u32 s16, s16, s22
	s_addc_u32 s17, s17, s23
	v_cndmask_b32_e64 v7, 0, 1, s12
	s_load_b64 s[16:17], s[16:17], 0x0
	s_cmp_lt_u32 s28, 3
	s_cbranch_scc1 .LBB161_20
; %bb.2:
	s_lshl_b64 s[22:23], s[18:19], 3
	v_mov_b32_e32 v9, v8
	s_waitcnt lgkmcnt(0)
	s_add_u32 s13, s16, s22
	s_addc_u32 s22, s17, s23
	v_add_co_u32 v1, s13, s13, v8
	s_delay_alu instid0(VALU_DEP_1)
	v_add_co_ci_u32_e64 v2, null, s22, 0, s13
	s_and_b32 s13, s15, -4
	s_mul_hi_i32 s30, s20, 24
	s_mul_i32 s31, s20, 24
	s_lshl_b64 s[22:23], s[20:21], 5
	s_lshl_b64 s[24:25], s[20:21], 4
	;; [unrolled: 1-line block ×3, first 2 shown]
	s_mov_b32 s33, 0
	s_branch .LBB161_4
.LBB161_3:                              ;   in Loop: Header=BB161_4 Depth=1
	global_load_b32 v3, v[5:6], off
	v_add_co_u32 v1, vcc_lo, v1, s22
	v_add_co_ci_u32_e32 v2, vcc_lo, s23, v2, vcc_lo
	s_add_i32 s33, s33, 4
	s_delay_alu instid0(SALU_CYCLE_1)
	s_cmp_eq_u32 s13, s33
	s_waitcnt vmcnt(0)
	ds_store_b64 v9, v[3:4] offset:576
	v_add_nc_u32_e32 v9, 0x300, v9
	s_cbranch_scc1 .LBB161_20
.LBB161_4:                              ; =>This Inner Loop Header: Depth=1
	s_and_b32 vcc_lo, exec_lo, s12
	s_cbranch_vccz .LBB161_6
; %bb.5:                                ;   in Loop: Header=BB161_4 Depth=1
	global_load_b32 v4, v[1:2], off offset:4
	s_cbranch_execz .LBB161_7
	s_branch .LBB161_8
.LBB161_6:                              ;   in Loop: Header=BB161_4 Depth=1
                                        ; implicit-def: $vgpr4
.LBB161_7:                              ;   in Loop: Header=BB161_4 Depth=1
	global_load_b32 v3, v[1:2], off offset:4
	s_waitcnt vmcnt(0)
	v_xor_b32_e32 v4, 0x80000000, v3
.LBB161_8:                              ;   in Loop: Header=BB161_4 Depth=1
	global_load_b32 v3, v[1:2], off
	v_add_co_u32 v5, vcc_lo, v1, s26
	v_add_co_ci_u32_e32 v6, vcc_lo, s27, v2, vcc_lo
	s_and_not1_b32 vcc_lo, exec_lo, s12
	s_waitcnt vmcnt(0)
	ds_store_b64 v9, v[3:4]
	s_cbranch_vccnz .LBB161_10
; %bb.9:                                ;   in Loop: Header=BB161_4 Depth=1
	global_load_b32 v4, v[5:6], off offset:4
	s_cbranch_execz .LBB161_11
	s_branch .LBB161_12
.LBB161_10:                             ;   in Loop: Header=BB161_4 Depth=1
                                        ; implicit-def: $vgpr4
.LBB161_11:                             ;   in Loop: Header=BB161_4 Depth=1
	global_load_b32 v3, v[5:6], off offset:4
	s_waitcnt vmcnt(0)
	v_xor_b32_e32 v4, 0x80000000, v3
.LBB161_12:                             ;   in Loop: Header=BB161_4 Depth=1
	global_load_b32 v3, v[5:6], off
	v_add_co_u32 v5, vcc_lo, v1, s24
	v_add_co_ci_u32_e32 v6, vcc_lo, s25, v2, vcc_lo
	s_and_not1_b32 vcc_lo, exec_lo, s12
	s_waitcnt vmcnt(0)
	ds_store_b64 v9, v[3:4] offset:192
	s_cbranch_vccnz .LBB161_14
; %bb.13:                               ;   in Loop: Header=BB161_4 Depth=1
	global_load_b32 v4, v[5:6], off offset:4
	s_cbranch_execz .LBB161_15
	s_branch .LBB161_16
.LBB161_14:                             ;   in Loop: Header=BB161_4 Depth=1
                                        ; implicit-def: $vgpr4
.LBB161_15:                             ;   in Loop: Header=BB161_4 Depth=1
	global_load_b32 v3, v[5:6], off offset:4
	s_waitcnt vmcnt(0)
	v_xor_b32_e32 v4, 0x80000000, v3
.LBB161_16:                             ;   in Loop: Header=BB161_4 Depth=1
	global_load_b32 v3, v[5:6], off
	v_add_co_u32 v5, vcc_lo, v1, s31
	v_add_co_ci_u32_e32 v6, vcc_lo, s30, v2, vcc_lo
	s_and_not1_b32 vcc_lo, exec_lo, s12
	s_waitcnt vmcnt(0)
	ds_store_b64 v9, v[3:4] offset:384
	s_cbranch_vccnz .LBB161_18
; %bb.17:                               ;   in Loop: Header=BB161_4 Depth=1
	global_load_b32 v4, v[5:6], off offset:4
	s_cbranch_execnz .LBB161_3
	s_branch .LBB161_19
.LBB161_18:                             ;   in Loop: Header=BB161_4 Depth=1
                                        ; implicit-def: $vgpr4
.LBB161_19:                             ;   in Loop: Header=BB161_4 Depth=1
	global_load_b32 v3, v[5:6], off offset:4
	s_waitcnt vmcnt(0)
	v_xor_b32_e32 v4, 0x80000000, v3
	s_branch .LBB161_3
.LBB161_20:
	s_and_b32 s22, s15, 3
	s_delay_alu instid0(SALU_CYCLE_1)
	s_cmp_eq_u32 s22, 0
	s_cbranch_scc1 .LBB161_27
; %bb.21:
	s_mul_i32 s12, s21, s13
	s_mul_hi_u32 s23, s20, s13
	s_mul_i32 s24, s20, s13
	s_add_i32 s25, s23, s12
	s_lshl_b64 s[18:19], s[18:19], 3
	s_lshl_b64 s[24:25], s[24:25], 3
	s_mul_i32 s12, s13, 0xc0
	s_add_u32 s13, s24, s18
	s_addc_u32 s18, s25, s19
	s_waitcnt lgkmcnt(0)
	s_add_u32 s13, s16, s13
	s_addc_u32 s16, s17, s18
	v_add_co_u32 v1, s13, s13, v8
	s_delay_alu instid0(VALU_DEP_1) | instskip(SKIP_1) | instid1(VALU_DEP_3)
	v_add_co_ci_u32_e64 v2, null, s16, 0, s13
	v_lshl_add_u32 v5, v0, 3, s12
	v_add_co_u32 v1, vcc_lo, v1, 4
	s_delay_alu instid0(VALU_DEP_3)
	v_add_co_ci_u32_e32 v2, vcc_lo, 0, v2, vcc_lo
	s_lshl_b64 s[12:13], s[20:21], 3
	s_set_inst_prefetch_distance 0x1
	s_branch .LBB161_23
	.p2align	6
.LBB161_22:                             ;   in Loop: Header=BB161_23 Depth=1
	global_load_b32 v3, v[1:2], off offset:-4
	v_add_co_u32 v1, vcc_lo, v1, s12
	v_add_co_ci_u32_e32 v2, vcc_lo, s13, v2, vcc_lo
	s_add_i32 s22, s22, -1
	s_delay_alu instid0(SALU_CYCLE_1)
	s_cmp_lg_u32 s22, 0
	s_waitcnt vmcnt(0)
	ds_store_b64 v5, v[3:4]
	v_add_nc_u32_e32 v5, 0xc0, v5
	s_cbranch_scc0 .LBB161_27
.LBB161_23:                             ; =>This Inner Loop Header: Depth=1
	v_cmp_ne_u32_e32 vcc_lo, 1, v7
	s_mov_b32 s16, -1
                                        ; implicit-def: $vgpr4
	s_cbranch_vccnz .LBB161_25
; %bb.24:                               ;   in Loop: Header=BB161_23 Depth=1
	global_load_b32 v4, v[1:2], off
	s_mov_b32 s16, 0
.LBB161_25:                             ;   in Loop: Header=BB161_23 Depth=1
	s_delay_alu instid0(SALU_CYCLE_1)
	s_and_not1_b32 vcc_lo, exec_lo, s16
	s_cbranch_vccnz .LBB161_22
; %bb.26:                               ;   in Loop: Header=BB161_23 Depth=1
	global_load_b32 v3, v[1:2], off
	s_waitcnt vmcnt(0)
	v_xor_b32_e32 v4, 0x80000000, v3
	s_branch .LBB161_22
.LBB161_27:
	s_set_inst_prefetch_distance 0x2
	v_mul_u32_u24_e32 v1, 25, v0
	s_cmpk_lg_i32 s5, 0x84
	s_mov_b32 s5, -1
	s_delay_alu instid0(VALU_DEP_1)
	v_lshlrev_b32_e32 v5, 3, v1
	s_cbranch_scc0 .LBB161_33
; %bb.28:
	ds_load_b64 v[1:2], v5
	s_waitcnt lgkmcnt(0)
	v_cmp_gt_f32_e32 vcc_lo, 0, v1
	v_cndmask_b32_e64 v3, v1, -v1, vcc_lo
	v_cmp_gt_f32_e32 vcc_lo, 0, v2
	v_cndmask_b32_e64 v4, v2, -v2, vcc_lo
	s_delay_alu instid0(VALU_DEP_1) | instskip(SKIP_1) | instid1(SALU_CYCLE_1)
	v_cmp_ngt_f32_e32 vcc_lo, v3, v4
                                        ; implicit-def: $vgpr3
	s_and_saveexec_b32 s5, vcc_lo
	s_xor_b32 s5, exec_lo, s5
	s_cbranch_execz .LBB161_30
; %bb.29:
	v_div_scale_f32 v3, null, v2, v2, v1
	v_div_scale_f32 v7, vcc_lo, v1, v2, v1
	s_delay_alu instid0(VALU_DEP_2) | instskip(SKIP_2) | instid1(VALU_DEP_1)
	v_rcp_f32_e32 v4, v3
	s_waitcnt_depctr 0xfff
	v_fma_f32 v6, -v3, v4, 1.0
	v_fmac_f32_e32 v4, v6, v4
	s_delay_alu instid0(VALU_DEP_1) | instskip(NEXT) | instid1(VALU_DEP_1)
	v_mul_f32_e32 v6, v7, v4
	v_fma_f32 v8, -v3, v6, v7
	s_delay_alu instid0(VALU_DEP_1) | instskip(NEXT) | instid1(VALU_DEP_1)
	v_fmac_f32_e32 v6, v8, v4
	v_fma_f32 v3, -v3, v6, v7
	s_delay_alu instid0(VALU_DEP_1) | instskip(NEXT) | instid1(VALU_DEP_1)
	v_div_fmas_f32 v3, v3, v4, v6
	v_div_fixup_f32 v3, v3, v2, v1
	s_delay_alu instid0(VALU_DEP_1) | instskip(NEXT) | instid1(VALU_DEP_1)
	v_fmac_f32_e32 v2, v1, v3
	v_div_scale_f32 v1, null, v2, v2, 1.0
	v_div_scale_f32 v7, vcc_lo, 1.0, v2, 1.0
	s_delay_alu instid0(VALU_DEP_2) | instskip(SKIP_2) | instid1(VALU_DEP_1)
	v_rcp_f32_e32 v4, v1
	s_waitcnt_depctr 0xfff
	v_fma_f32 v6, -v1, v4, 1.0
	v_fmac_f32_e32 v4, v6, v4
	s_delay_alu instid0(VALU_DEP_1) | instskip(NEXT) | instid1(VALU_DEP_1)
	v_mul_f32_e32 v6, v7, v4
	v_fma_f32 v8, -v1, v6, v7
	s_delay_alu instid0(VALU_DEP_1) | instskip(NEXT) | instid1(VALU_DEP_1)
	v_fmac_f32_e32 v6, v8, v4
	v_fma_f32 v1, -v1, v6, v7
	s_delay_alu instid0(VALU_DEP_1) | instskip(SKIP_1) | instid1(VALU_DEP_2)
	v_div_fmas_f32 v1, v1, v4, v6
	v_add_f32_e32 v4, 0, v3
	v_div_fixup_f32 v1, v1, v2, 1.0
	v_fma_f32 v2, v3, 0, -1.0
	s_delay_alu instid0(VALU_DEP_2) | instskip(NEXT) | instid1(VALU_DEP_2)
	v_mul_f32_e32 v3, v4, v1
	v_mul_f32_e32 v4, v2, v1
                                        ; implicit-def: $vgpr1_vgpr2
.LBB161_30:
	s_and_not1_saveexec_b32 s5, s5
	s_cbranch_execz .LBB161_32
; %bb.31:
	v_div_scale_f32 v3, null, v1, v1, v2
	v_div_scale_f32 v7, vcc_lo, v2, v1, v2
	s_delay_alu instid0(VALU_DEP_2) | instskip(SKIP_2) | instid1(VALU_DEP_1)
	v_rcp_f32_e32 v4, v3
	s_waitcnt_depctr 0xfff
	v_fma_f32 v6, -v3, v4, 1.0
	v_fmac_f32_e32 v4, v6, v4
	s_delay_alu instid0(VALU_DEP_1) | instskip(NEXT) | instid1(VALU_DEP_1)
	v_mul_f32_e32 v6, v7, v4
	v_fma_f32 v8, -v3, v6, v7
	s_delay_alu instid0(VALU_DEP_1) | instskip(NEXT) | instid1(VALU_DEP_1)
	v_fmac_f32_e32 v6, v8, v4
	v_fma_f32 v3, -v3, v6, v7
	s_delay_alu instid0(VALU_DEP_1) | instskip(NEXT) | instid1(VALU_DEP_1)
	v_div_fmas_f32 v3, v3, v4, v6
	v_div_fixup_f32 v4, v3, v1, v2
	s_delay_alu instid0(VALU_DEP_1) | instskip(NEXT) | instid1(VALU_DEP_1)
	v_fmac_f32_e32 v1, v2, v4
	v_div_scale_f32 v2, null, v1, v1, 1.0
	v_div_scale_f32 v7, vcc_lo, 1.0, v1, 1.0
	s_delay_alu instid0(VALU_DEP_2) | instskip(SKIP_2) | instid1(VALU_DEP_1)
	v_rcp_f32_e32 v3, v2
	s_waitcnt_depctr 0xfff
	v_fma_f32 v6, -v2, v3, 1.0
	v_fmac_f32_e32 v3, v6, v3
	s_delay_alu instid0(VALU_DEP_1) | instskip(NEXT) | instid1(VALU_DEP_1)
	v_mul_f32_e32 v6, v7, v3
	v_fma_f32 v8, -v2, v6, v7
	s_delay_alu instid0(VALU_DEP_1) | instskip(NEXT) | instid1(VALU_DEP_1)
	v_fmac_f32_e32 v6, v8, v3
	v_fma_f32 v2, -v2, v6, v7
	s_delay_alu instid0(VALU_DEP_1) | instskip(SKIP_1) | instid1(VALU_DEP_2)
	v_div_fmas_f32 v2, v2, v3, v6
	v_fma_f32 v3, v4, 0, 1.0
	v_div_fixup_f32 v1, v2, v1, 1.0
	s_delay_alu instid0(VALU_DEP_1)
	v_mul_f32_e32 v3, v3, v1
	v_mul_f32_e64 v4, -v4, v1
.LBB161_32:
	s_or_b32 exec_lo, exec_lo, s5
	s_mov_b32 s5, 0
	ds_store_b64 v5, v[3:4]
.LBB161_33:
	s_and_b32 vcc_lo, exec_lo, s5
	s_cbranch_vccz .LBB161_35
; %bb.34:
	v_dual_mov_b32 v1, 1.0 :: v_dual_mov_b32 v2, 0
	ds_store_b64 v5, v[1:2]
.LBB161_35:
	s_or_b32 exec_lo, exec_lo, s6
	s_mul_i32 s5, s14, 0xffffffe8
	s_add_i32 s29, s29, -1
	s_add_i32 s5, s5, s7
	s_cmp_ge_u32 s14, s29
	s_waitcnt lgkmcnt(0)
	s_cselect_b32 s5, s5, 24
	; wave barrier
	buffer_gl0_inv
	v_cmp_gt_i32_e32 vcc_lo, s5, v0
	s_mov_b32 s5, -1
	s_and_saveexec_b32 s6, vcc_lo
	s_cbranch_execz .LBB161_78
; %bb.36:
	s_load_b32 s0, s[0:1], 0x50
	v_mad_u64_u32 v[1:2], null, s14, 24, v[0:1]
	v_or_b32_e64 v6, 0, 4
	s_waitcnt lgkmcnt(0)
	s_delay_alu instid0(VALU_DEP_2) | instskip(SKIP_1) | instid1(SALU_CYCLE_1)
	v_mad_i64_i32 v[2:3], null, s0, v1, 0
	s_lshl_b64 s[0:1], s[10:11], 3
	s_add_u32 s6, s8, s0
	s_addc_u32 s7, s9, s1
	s_cmpk_eq_i32 s4, 0x6f
	s_delay_alu instid0(VALU_DEP_1) | instskip(NEXT) | instid1(VALU_DEP_1)
	v_lshlrev_b64 v[0:1], 3, v[2:3]
	v_add_co_u32 v4, vcc_lo, s6, v0
	s_delay_alu instid0(VALU_DEP_2)
	v_add_co_ci_u32_e32 v5, vcc_lo, s7, v1, vcc_lo
	s_cbranch_scc1 .LBB161_57
; %bb.37:
	s_add_u32 s4, s8, s0
	s_addc_u32 s5, s9, s1
	v_add_co_u32 v2, vcc_lo, s4, v0
	v_add_co_ci_u32_e32 v3, vcc_lo, s5, v1, vcc_lo
	s_lshl_b32 s14, s15, 3
	s_delay_alu instid0(VALU_DEP_2) | instskip(NEXT) | instid1(VALU_DEP_2)
	v_add_co_u32 v7, vcc_lo, v2, 4
	v_add_co_ci_u32_e32 v8, vcc_lo, 0, v3, vcc_lo
	s_mov_b32 s5, 0
	s_add_i32 s14, s14, -8
	s_mov_b32 s4, s5
	s_mov_b32 s6, s28
	s_branch .LBB161_39
.LBB161_38:                             ;   in Loop: Header=BB161_39 Depth=1
	s_cmp_lt_i32 s6, 0
	s_cselect_b32 s7, -1, 0
	s_add_i32 s4, s4, 1
	s_delay_alu instid0(SALU_CYCLE_1) | instskip(SKIP_1) | instid1(SALU_CYCLE_1)
	s_cmp_eq_u32 s4, 3
	s_cselect_b32 s10, -1, 0
	s_or_b32 s7, s7, s10
	s_delay_alu instid0(SALU_CYCLE_1)
	s_and_not1_b32 vcc_lo, exec_lo, s7
	s_cbranch_vccz .LBB161_56
.LBB161_39:                             ; =>This Loop Header: Depth=1
                                        ;     Child Loop BB161_42 Depth 2
                                        ;       Child Loop BB161_43 Depth 3
                                        ;       Child Loop BB161_45 Depth 3
                                        ;         Child Loop BB161_46 Depth 4
                                        ;       Child Loop BB161_50 Depth 3
                                        ;         Child Loop BB161_52 Depth 4
	s_getpc_b64 s[10:11]
	s_add_u32 s10, s10, __const._ZL30rocblas_trsm_small_left_deviceILi24ELi24ELb1E19rocblas_complex_numIfES1_PKPKS1_PKPS1_Ev13rocblas_fill_18rocblas_operation_17rocblas_diagonal_iiT3_T4_lilT5_lili.step_sizes@rel32@lo+4
	s_addc_u32 s11, s11, __const._ZL30rocblas_trsm_small_left_deviceILi24ELi24ELb1E19rocblas_complex_numIfES1_PKPKS1_PKPS1_Ev13rocblas_fill_18rocblas_operation_17rocblas_diagonal_iiT3_T4_lilT5_lili.step_sizes@rel32@hi+12
	s_lshl_b64 s[12:13], s[4:5], 2
	s_delay_alu instid0(SALU_CYCLE_1) | instskip(SKIP_4) | instid1(SALU_CYCLE_1)
	s_add_u32 s10, s12, s10
	s_addc_u32 s11, s13, s11
	s_load_b32 s16, s[10:11], 0x0
	s_waitcnt lgkmcnt(0)
	s_add_i32 s17, s16, -1
	s_cmp_lt_i32 s6, s17
	s_cbranch_scc1 .LBB161_38
; %bb.40:                               ;   in Loop: Header=BB161_39 Depth=1
	s_mul_i32 s7, s6, 0xc0
	s_max_i32 s18, s16, 1
	s_add_i32 s19, s14, s7
	s_mul_i32 s20, s16, 0xffffff40
	s_mul_i32 s21, s6, 0xc8
	;; [unrolled: 1-line block ×3, first 2 shown]
	s_branch .LBB161_42
.LBB161_41:                             ;   in Loop: Header=BB161_42 Depth=2
	s_sub_i32 s6, s6, s16
	s_add_i32 s19, s19, s20
	s_add_i32 s21, s21, s22
	s_cmp_lt_i32 s6, s17
	s_cbranch_scc1 .LBB161_38
.LBB161_42:                             ;   Parent Loop BB161_39 Depth=1
                                        ; =>  This Loop Header: Depth=2
                                        ;       Child Loop BB161_43 Depth 3
                                        ;       Child Loop BB161_45 Depth 3
                                        ;         Child Loop BB161_46 Depth 4
                                        ;       Child Loop BB161_50 Depth 3
                                        ;         Child Loop BB161_52 Depth 4
	s_ashr_i32 s7, s6, 31
	s_delay_alu instid0(SALU_CYCLE_1) | instskip(NEXT) | instid1(SALU_CYCLE_1)
	s_lshl_b64 s[10:11], s[6:7], 3
	v_add_co_u32 v2, vcc_lo, v7, s10
	v_add_co_ci_u32_e32 v3, vcc_lo, s11, v8, vcc_lo
	s_mov_b32 s10, 4
	s_mov_b32 s11, s18
	.p2align	6
.LBB161_43:                             ;   Parent Loop BB161_39 Depth=1
                                        ;     Parent Loop BB161_42 Depth=2
                                        ; =>    This Inner Loop Header: Depth=3
	global_load_b64 v[9:10], v[2:3], off offset:-4
	v_add_co_u32 v2, vcc_lo, v2, -8
	v_add_co_ci_u32_e32 v3, vcc_lo, -1, v3, vcc_lo
	s_add_i32 s11, s11, -1
	s_add_i32 s12, s10, 0
	s_add_i32 s10, s10, 8
	s_cmp_eq_u32 s11, 0
	s_waitcnt vmcnt(0)
	v_mul_f32_e32 v11, s2, v10
	s_delay_alu instid0(VALU_DEP_1) | instskip(NEXT) | instid1(VALU_DEP_1)
	v_dual_mul_f32 v12, s3, v10 :: v_dual_fmac_f32 v11, s3, v9
	v_fma_f32 v10, v9, s2, -v12
	scratch_store_b64 off, v[10:11], s12 offset:-4
	s_cbranch_scc0 .LBB161_43
; %bb.44:                               ;   in Loop: Header=BB161_42 Depth=2
	s_cmp_le_i32 s28, s6
	s_mov_b32 s12, s19
	s_mov_b32 s10, s28
	s_cbranch_scc1 .LBB161_48
	.p2align	6
.LBB161_45:                             ;   Parent Loop BB161_39 Depth=1
                                        ;     Parent Loop BB161_42 Depth=2
                                        ; =>    This Loop Header: Depth=3
                                        ;         Child Loop BB161_46 Depth 4
	s_ashr_i32 s11, s10, 31
	v_mov_b32_e32 v9, v6
	s_lshl_b64 s[24:25], s[10:11], 3
	s_mov_b32 s11, s12
	v_add_co_u32 v2, vcc_lo, v4, s24
	v_add_co_ci_u32_e32 v3, vcc_lo, s25, v5, vcc_lo
	s_mov_b32 s13, s18
	global_load_b64 v[2:3], v[2:3], off
	.p2align	6
.LBB161_46:                             ;   Parent Loop BB161_39 Depth=1
                                        ;     Parent Loop BB161_42 Depth=2
                                        ;       Parent Loop BB161_45 Depth=3
                                        ; =>      This Inner Loop Header: Depth=4
	scratch_load_b64 v[10:11], v9, off offset:-4
	v_mov_b32_e32 v12, s11
	s_add_i32 s13, s13, -1
	s_addk_i32 s11, 0xff40
	s_cmp_eq_u32 s13, 0
	ds_load_b64 v[12:13], v12
	s_waitcnt vmcnt(1) lgkmcnt(0)
	v_mul_f32_e32 v14, v13, v3
	v_mul_f32_e32 v13, v13, v2
	s_delay_alu instid0(VALU_DEP_1) | instskip(SKIP_1) | instid1(VALU_DEP_1)
	v_fmac_f32_e32 v13, v12, v3
	s_waitcnt vmcnt(0)
	v_sub_f32_e32 v11, v11, v13
	v_fma_f32 v14, v12, v2, -v14
	s_delay_alu instid0(VALU_DEP_1)
	v_sub_f32_e32 v10, v10, v14
	scratch_store_b64 v9, v[10:11], off offset:-4
	v_add_nc_u32_e32 v9, 8, v9
	s_cbranch_scc0 .LBB161_46
; %bb.47:                               ;   in Loop: Header=BB161_45 Depth=3
	s_add_i32 s10, s10, -1
	s_add_i32 s12, s12, -8
	s_cmp_le_i32 s10, s6
	s_cbranch_scc0 .LBB161_45
.LBB161_48:                             ;   in Loop: Header=BB161_42 Depth=2
	s_mov_b32 s23, 0
	s_mov_b32 s24, s21
	s_branch .LBB161_50
.LBB161_49:                             ;   in Loop: Header=BB161_50 Depth=3
	s_mulk_i32 s12, 0xc8
	s_lshl_b64 s[10:11], s[10:11], 3
	v_mov_b32_e32 v9, s12
	s_lshl_b32 s12, s23, 3
	s_add_i32 s23, s23, 1
	s_addk_i32 s24, 0xff40
	ds_load_b64 v[9:10], v9
	s_waitcnt vmcnt(0) lgkmcnt(0)
	v_mul_f32_e32 v11, v10, v3
	v_mul_f32_e32 v12, v9, v3
	s_delay_alu instid0(VALU_DEP_2) | instskip(NEXT) | instid1(VALU_DEP_2)
	v_fma_f32 v11, v9, v2, -v11
	v_fmac_f32_e32 v12, v10, v2
	v_add_co_u32 v2, vcc_lo, v4, s10
	v_add_co_ci_u32_e32 v3, vcc_lo, s11, v5, vcc_lo
	s_add_i32 s10, s12, 0
	s_cmp_eq_u32 s23, s18
	scratch_store_b64 off, v[11:12], s10
	global_store_b64 v[2:3], v[11:12], off
	s_cbranch_scc1 .LBB161_41
.LBB161_50:                             ;   Parent Loop BB161_39 Depth=1
                                        ;     Parent Loop BB161_42 Depth=2
                                        ; =>    This Loop Header: Depth=3
                                        ;         Child Loop BB161_52 Depth 4
	s_cmp_lg_u32 s23, 0
	s_cbranch_scc0 .LBB161_54
; %bb.51:                               ;   in Loop: Header=BB161_50 Depth=3
	s_lshl_b32 s10, s23, 3
	v_mov_b32_e32 v10, 0
	s_add_i32 s11, s10, 0
	v_add_nc_u32_e64 v9, s10, 0
	scratch_load_b64 v[2:3], off, s11
	s_mov_b32 s10, 0
	s_mov_b32 s11, s24
	.p2align	6
.LBB161_52:                             ;   Parent Loop BB161_39 Depth=1
                                        ;     Parent Loop BB161_42 Depth=2
                                        ;       Parent Loop BB161_50 Depth=3
                                        ; =>      This Inner Loop Header: Depth=4
	scratch_load_b64 v[11:12], v10, off
	v_mov_b32_e32 v13, s11
	s_add_i32 s10, s10, 1
	s_add_i32 s11, s11, -8
	s_cmp_ge_u32 s10, s23
	v_add_nc_u32_e32 v10, 8, v10
	ds_load_b64 v[13:14], v13
	s_waitcnt vmcnt(0) lgkmcnt(0)
	v_mul_f32_e32 v15, v14, v12
	v_mul_f32_e32 v12, v13, v12
	s_delay_alu instid0(VALU_DEP_2) | instskip(NEXT) | instid1(VALU_DEP_2)
	v_fma_f32 v13, v13, v11, -v15
	v_fmac_f32_e32 v12, v14, v11
	s_delay_alu instid0(VALU_DEP_1)
	v_dual_sub_f32 v2, v2, v13 :: v_dual_sub_f32 v3, v3, v12
	scratch_store_b64 v9, v[2:3], off
	s_cbranch_scc0 .LBB161_52
; %bb.53:                               ;   in Loop: Header=BB161_50 Depth=3
	s_sub_i32 s12, s6, s23
	s_delay_alu instid0(SALU_CYCLE_1) | instskip(NEXT) | instid1(SALU_CYCLE_1)
	s_ashr_i32 s13, s12, 31
	s_mov_b64 s[10:11], s[12:13]
	s_branch .LBB161_49
.LBB161_54:                             ;   in Loop: Header=BB161_50 Depth=3
                                        ; implicit-def: $vgpr2
                                        ; implicit-def: $sgpr12
                                        ; implicit-def: $sgpr10_sgpr11
	s_cbranch_execz .LBB161_49
; %bb.55:                               ;   in Loop: Header=BB161_50 Depth=3
	scratch_load_b64 v[2:3], off, off
	s_mov_b64 s[10:11], s[6:7]
	s_mov_b32 s12, s6
	s_branch .LBB161_49
.LBB161_56:
	s_mov_b32 s5, 0
.LBB161_57:
	s_delay_alu instid0(SALU_CYCLE_1)
	s_and_b32 vcc_lo, exec_lo, s5
	s_cbranch_vccz .LBB161_78
; %bb.58:
	s_add_u32 s0, s8, s0
	s_addc_u32 s1, s9, s1
	v_add_co_u32 v0, vcc_lo, s0, v0
	v_add_co_ci_u32_e32 v1, vcc_lo, s1, v1, vcc_lo
	s_mov_b32 s1, 0
	s_delay_alu instid0(VALU_DEP_2) | instskip(NEXT) | instid1(VALU_DEP_2)
	v_add_co_u32 v7, vcc_lo, v0, 4
	v_add_co_ci_u32_e32 v8, vcc_lo, 0, v1, vcc_lo
	s_mov_b32 s4, s1
	s_mov_b32 s6, s1
	s_branch .LBB161_60
.LBB161_59:                             ;   in Loop: Header=BB161_60 Depth=1
	s_cmp_ge_i32 s4, s15
	s_cselect_b32 s0, -1, 0
	s_add_i32 s6, s6, 1
	s_delay_alu instid0(SALU_CYCLE_1) | instskip(SKIP_1) | instid1(SALU_CYCLE_1)
	s_cmp_eq_u32 s6, 3
	s_cselect_b32 s5, -1, 0
	s_or_b32 s0, s0, s5
	s_delay_alu instid0(SALU_CYCLE_1)
	s_and_b32 vcc_lo, exec_lo, s0
	s_cbranch_vccnz .LBB161_78
.LBB161_60:                             ; =>This Loop Header: Depth=1
                                        ;     Child Loop BB161_63 Depth 2
                                        ;       Child Loop BB161_64 Depth 3
                                        ;       Child Loop BB161_67 Depth 3
                                        ;         Child Loop BB161_68 Depth 4
                                        ;       Child Loop BB161_72 Depth 3
                                        ;         Child Loop BB161_74 Depth 4
	s_mov_b32 s7, s1
	s_getpc_b64 s[8:9]
	s_add_u32 s8, s8, __const._ZL30rocblas_trsm_small_left_deviceILi24ELi24ELb1E19rocblas_complex_numIfES1_PKPKS1_PKPS1_Ev13rocblas_fill_18rocblas_operation_17rocblas_diagonal_iiT3_T4_lilT5_lili.step_sizes@rel32@lo+4
	s_addc_u32 s9, s9, __const._ZL30rocblas_trsm_small_left_deviceILi24ELi24ELb1E19rocblas_complex_numIfES1_PKPKS1_PKPS1_Ev13rocblas_fill_18rocblas_operation_17rocblas_diagonal_iiT3_T4_lilT5_lili.step_sizes@rel32@hi+12
	s_lshl_b64 s[10:11], s[6:7], 2
	s_delay_alu instid0(SALU_CYCLE_1) | instskip(SKIP_4) | instid1(SALU_CYCLE_1)
	s_add_u32 s8, s10, s8
	s_addc_u32 s9, s11, s9
	s_load_b32 s8, s[8:9], 0x0
	s_waitcnt lgkmcnt(0)
	s_add_i32 s7, s8, -1
	s_add_i32 s0, s7, s4
	s_delay_alu instid0(SALU_CYCLE_1)
	s_cmp_ge_i32 s0, s15
	s_cbranch_scc1 .LBB161_59
; %bb.61:                               ;   in Loop: Header=BB161_60 Depth=1
	s_ashr_i32 s5, s4, 31
	s_ashr_i32 s9, s8, 31
	s_lshl_b64 s[10:11], s[4:5], 3
	s_max_i32 s14, s8, 1
	v_add_co_u32 v0, vcc_lo, v7, s10
	v_add_co_ci_u32_e32 v1, vcc_lo, s11, v8, vcc_lo
	s_lshl_b64 s[10:11], s[8:9], 3
	s_lshl_b32 s5, s4, 3
	s_lshl_b32 s9, s8, 3
	s_mul_i32 s16, s4, 0xc8
	s_mul_i32 s17, s8, 0xc8
	s_branch .LBB161_63
.LBB161_62:                             ;   in Loop: Header=BB161_63 Depth=2
	v_add_co_u32 v0, vcc_lo, v0, s10
	s_add_i32 s4, s4, s8
	v_add_co_ci_u32_e32 v1, vcc_lo, s11, v1, vcc_lo
	s_add_i32 s0, s7, s4
	s_add_i32 s5, s5, s9
	;; [unrolled: 1-line block ×3, first 2 shown]
	s_cmp_ge_i32 s0, s15
	s_cbranch_scc1 .LBB161_59
.LBB161_63:                             ;   Parent Loop BB161_60 Depth=1
                                        ; =>  This Loop Header: Depth=2
                                        ;       Child Loop BB161_64 Depth 3
                                        ;       Child Loop BB161_67 Depth 3
                                        ;         Child Loop BB161_68 Depth 4
                                        ;       Child Loop BB161_72 Depth 3
                                        ;         Child Loop BB161_74 Depth 4
	v_dual_mov_b32 v3, v1 :: v_dual_mov_b32 v2, v0
	s_mov_b32 s0, 4
	s_mov_b32 s12, s14
	.p2align	6
.LBB161_64:                             ;   Parent Loop BB161_60 Depth=1
                                        ;     Parent Loop BB161_63 Depth=2
                                        ; =>    This Inner Loop Header: Depth=3
	global_load_b64 v[9:10], v[2:3], off offset:-4
	v_add_co_u32 v2, vcc_lo, v2, 8
	v_add_co_ci_u32_e32 v3, vcc_lo, 0, v3, vcc_lo
	s_add_i32 s12, s12, -1
	s_add_i32 s13, s0, 0
	s_add_i32 s0, s0, 8
	s_cmp_eq_u32 s12, 0
	s_waitcnt vmcnt(0)
	v_mul_f32_e32 v11, s2, v10
	s_delay_alu instid0(VALU_DEP_1) | instskip(NEXT) | instid1(VALU_DEP_1)
	v_dual_mul_f32 v12, s3, v10 :: v_dual_fmac_f32 v11, s3, v9
	v_fma_f32 v10, v9, s2, -v12
	scratch_store_b64 off, v[10:11], s13 offset:-4
	s_cbranch_scc0 .LBB161_64
; %bb.65:                               ;   in Loop: Header=BB161_63 Depth=2
	s_cmp_lt_i32 s4, 1
	s_cbranch_scc1 .LBB161_70
; %bb.66:                               ;   in Loop: Header=BB161_63 Depth=2
	s_mov_b32 s0, 0
	s_mov_b32 s12, s5
	.p2align	6
.LBB161_67:                             ;   Parent Loop BB161_60 Depth=1
                                        ;     Parent Loop BB161_63 Depth=2
                                        ; =>    This Loop Header: Depth=3
                                        ;         Child Loop BB161_68 Depth 4
	s_lshl_b64 s[18:19], s[0:1], 3
	v_mov_b32_e32 v9, v6
	v_add_co_u32 v2, vcc_lo, v4, s18
	v_add_co_ci_u32_e32 v3, vcc_lo, s19, v5, vcc_lo
	s_mov_b32 s13, s12
	s_mov_b32 s18, s14
	global_load_b64 v[2:3], v[2:3], off
	.p2align	6
.LBB161_68:                             ;   Parent Loop BB161_60 Depth=1
                                        ;     Parent Loop BB161_63 Depth=2
                                        ;       Parent Loop BB161_67 Depth=3
                                        ; =>      This Inner Loop Header: Depth=4
	scratch_load_b64 v[10:11], v9, off offset:-4
	v_mov_b32_e32 v12, s13
	s_add_i32 s18, s18, -1
	s_add_i32 s13, s13, 8
	s_cmp_eq_u32 s18, 0
	ds_load_b64 v[12:13], v12
	s_waitcnt vmcnt(1) lgkmcnt(0)
	v_mul_f32_e32 v14, v13, v3
	v_mul_f32_e32 v13, v13, v2
	s_delay_alu instid0(VALU_DEP_1) | instskip(SKIP_1) | instid1(VALU_DEP_1)
	v_fmac_f32_e32 v13, v12, v3
	s_waitcnt vmcnt(0)
	v_sub_f32_e32 v11, v11, v13
	v_fma_f32 v14, v12, v2, -v14
	s_delay_alu instid0(VALU_DEP_1)
	v_sub_f32_e32 v10, v10, v14
	scratch_store_b64 v9, v[10:11], off offset:-4
	v_add_nc_u32_e32 v9, 8, v9
	s_cbranch_scc0 .LBB161_68
; %bb.69:                               ;   in Loop: Header=BB161_67 Depth=3
	s_add_i32 s0, s0, 1
	s_addk_i32 s12, 0xc0
	s_cmp_ge_i32 s0, s4
	s_cbranch_scc0 .LBB161_67
.LBB161_70:                             ;   in Loop: Header=BB161_63 Depth=2
	s_mov_b32 s0, 0
	s_mov_b32 s18, s16
	s_branch .LBB161_72
.LBB161_71:                             ;   in Loop: Header=BB161_72 Depth=3
	s_mul_i32 s13, s12, 0xc8
	s_lshl_b32 s19, s0, 3
	v_mov_b32_e32 v9, s13
	s_ashr_i32 s13, s12, 31
	s_add_i32 s0, s0, 1
	s_lshl_b64 s[12:13], s[12:13], 3
	s_add_i32 s18, s18, 8
	ds_load_b64 v[9:10], v9
	s_waitcnt vmcnt(0) lgkmcnt(0)
	v_mul_f32_e32 v11, v10, v3
	v_mul_f32_e32 v12, v9, v3
	s_delay_alu instid0(VALU_DEP_2) | instskip(NEXT) | instid1(VALU_DEP_2)
	v_fma_f32 v11, v9, v2, -v11
	v_fmac_f32_e32 v12, v10, v2
	v_add_co_u32 v2, vcc_lo, v4, s12
	v_add_co_ci_u32_e32 v3, vcc_lo, s13, v5, vcc_lo
	s_add_i32 s12, s19, 0
	s_cmp_eq_u32 s0, s14
	scratch_store_b64 off, v[11:12], s12
	global_store_b64 v[2:3], v[11:12], off
	s_cbranch_scc1 .LBB161_62
.LBB161_72:                             ;   Parent Loop BB161_60 Depth=1
                                        ;     Parent Loop BB161_63 Depth=2
                                        ; =>    This Loop Header: Depth=3
                                        ;         Child Loop BB161_74 Depth 4
	s_cmp_lg_u32 s0, 0
	s_cbranch_scc0 .LBB161_76
; %bb.73:                               ;   in Loop: Header=BB161_72 Depth=3
	s_lshl_b32 s12, s0, 3
	v_mov_b32_e32 v10, 0
	s_add_i32 s13, s12, 0
	v_add_nc_u32_e64 v9, s12, 0
	scratch_load_b64 v[2:3], off, s13
	s_add_i32 s12, s0, s4
	s_mov_b32 s13, 0
	s_mov_b32 s19, s18
	.p2align	6
.LBB161_74:                             ;   Parent Loop BB161_60 Depth=1
                                        ;     Parent Loop BB161_63 Depth=2
                                        ;       Parent Loop BB161_72 Depth=3
                                        ; =>      This Inner Loop Header: Depth=4
	scratch_load_b64 v[11:12], v10, off
	v_mov_b32_e32 v13, s19
	s_add_i32 s13, s13, 1
	s_addk_i32 s19, 0xc0
	s_cmp_ge_u32 s13, s0
	v_add_nc_u32_e32 v10, 8, v10
	ds_load_b64 v[13:14], v13
	s_waitcnt vmcnt(0) lgkmcnt(0)
	v_mul_f32_e32 v15, v14, v12
	v_mul_f32_e32 v12, v13, v12
	s_delay_alu instid0(VALU_DEP_2) | instskip(NEXT) | instid1(VALU_DEP_2)
	v_fma_f32 v13, v13, v11, -v15
	v_fmac_f32_e32 v12, v14, v11
	s_delay_alu instid0(VALU_DEP_1)
	v_dual_sub_f32 v2, v2, v13 :: v_dual_sub_f32 v3, v3, v12
	scratch_store_b64 v9, v[2:3], off
	s_cbranch_scc0 .LBB161_74
; %bb.75:                               ;   in Loop: Header=BB161_72 Depth=3
	s_branch .LBB161_71
.LBB161_76:                             ;   in Loop: Header=BB161_72 Depth=3
                                        ; implicit-def: $vgpr2
                                        ; implicit-def: $sgpr12
	s_cbranch_execz .LBB161_71
; %bb.77:                               ;   in Loop: Header=BB161_72 Depth=3
	scratch_load_b64 v[2:3], off, off
	s_mov_b32 s12, s4
	s_branch .LBB161_71
.LBB161_78:
	s_endpgm
	.section	.rodata,"a",@progbits
	.p2align	6, 0x0
	.amdhsa_kernel _ZL30rocblas_trsm_small_left_deviceILi24ELi24ELb1E19rocblas_complex_numIfES1_PKPKS1_PKPS1_Ev13rocblas_fill_18rocblas_operation_17rocblas_diagonal_iiT3_T4_lilT5_lili
		.amdhsa_group_segment_fixed_size 4608
		.amdhsa_private_segment_fixed_size 208
		.amdhsa_kernarg_size 360
		.amdhsa_user_sgpr_count 14
		.amdhsa_user_sgpr_dispatch_ptr 0
		.amdhsa_user_sgpr_queue_ptr 0
		.amdhsa_user_sgpr_kernarg_segment_ptr 1
		.amdhsa_user_sgpr_dispatch_id 0
		.amdhsa_user_sgpr_private_segment_size 0
		.amdhsa_wavefront_size32 1
		.amdhsa_uses_dynamic_stack 0
		.amdhsa_enable_private_segment 1
		.amdhsa_system_sgpr_workgroup_id_x 1
		.amdhsa_system_sgpr_workgroup_id_y 0
		.amdhsa_system_sgpr_workgroup_id_z 1
		.amdhsa_system_sgpr_workgroup_info 0
		.amdhsa_system_vgpr_workitem_id 0
		.amdhsa_next_free_vgpr 16
		.amdhsa_next_free_sgpr 34
		.amdhsa_reserve_vcc 1
		.amdhsa_float_round_mode_32 0
		.amdhsa_float_round_mode_16_64 0
		.amdhsa_float_denorm_mode_32 3
		.amdhsa_float_denorm_mode_16_64 3
		.amdhsa_dx10_clamp 1
		.amdhsa_ieee_mode 1
		.amdhsa_fp16_overflow 0
		.amdhsa_workgroup_processor_mode 1
		.amdhsa_memory_ordered 1
		.amdhsa_forward_progress 0
		.amdhsa_shared_vgpr_count 0
		.amdhsa_exception_fp_ieee_invalid_op 0
		.amdhsa_exception_fp_denorm_src 0
		.amdhsa_exception_fp_ieee_div_zero 0
		.amdhsa_exception_fp_ieee_overflow 0
		.amdhsa_exception_fp_ieee_underflow 0
		.amdhsa_exception_fp_ieee_inexact 0
		.amdhsa_exception_int_div_zero 0
	.end_amdhsa_kernel
	.section	.text._ZL30rocblas_trsm_small_left_deviceILi24ELi24ELb1E19rocblas_complex_numIfES1_PKPKS1_PKPS1_Ev13rocblas_fill_18rocblas_operation_17rocblas_diagonal_iiT3_T4_lilT5_lili,"axG",@progbits,_ZL30rocblas_trsm_small_left_deviceILi24ELi24ELb1E19rocblas_complex_numIfES1_PKPKS1_PKPS1_Ev13rocblas_fill_18rocblas_operation_17rocblas_diagonal_iiT3_T4_lilT5_lili,comdat
.Lfunc_end161:
	.size	_ZL30rocblas_trsm_small_left_deviceILi24ELi24ELb1E19rocblas_complex_numIfES1_PKPKS1_PKPS1_Ev13rocblas_fill_18rocblas_operation_17rocblas_diagonal_iiT3_T4_lilT5_lili, .Lfunc_end161-_ZL30rocblas_trsm_small_left_deviceILi24ELi24ELb1E19rocblas_complex_numIfES1_PKPKS1_PKPS1_Ev13rocblas_fill_18rocblas_operation_17rocblas_diagonal_iiT3_T4_lilT5_lili
                                        ; -- End function
	.section	.AMDGPU.csdata,"",@progbits
; Kernel info:
; codeLenInByte = 3112
; NumSgprs: 36
; NumVgprs: 16
; ScratchSize: 208
; MemoryBound: 0
; FloatMode: 240
; IeeeMode: 1
; LDSByteSize: 4608 bytes/workgroup (compile time only)
; SGPRBlocks: 4
; VGPRBlocks: 1
; NumSGPRsForWavesPerEU: 36
; NumVGPRsForWavesPerEU: 16
; Occupancy: 7
; WaveLimiterHint : 1
; COMPUTE_PGM_RSRC2:SCRATCH_EN: 1
; COMPUTE_PGM_RSRC2:USER_SGPR: 14
; COMPUTE_PGM_RSRC2:TRAP_HANDLER: 0
; COMPUTE_PGM_RSRC2:TGID_X_EN: 1
; COMPUTE_PGM_RSRC2:TGID_Y_EN: 0
; COMPUTE_PGM_RSRC2:TGID_Z_EN: 1
; COMPUTE_PGM_RSRC2:TIDIG_COMP_CNT: 0
	.section	.text._ZL31rocblas_trsm_small_right_deviceI19rocblas_complex_numIfES1_PKPKS1_PKPS1_Li24EEv13rocblas_fill_18rocblas_operation_17rocblas_diagonal_iiT0_T1_lilT2_lili,"axG",@progbits,_ZL31rocblas_trsm_small_right_deviceI19rocblas_complex_numIfES1_PKPKS1_PKPS1_Li24EEv13rocblas_fill_18rocblas_operation_17rocblas_diagonal_iiT0_T1_lilT2_lili,comdat
	.globl	_ZL31rocblas_trsm_small_right_deviceI19rocblas_complex_numIfES1_PKPKS1_PKPS1_Li24EEv13rocblas_fill_18rocblas_operation_17rocblas_diagonal_iiT0_T1_lilT2_lili ; -- Begin function _ZL31rocblas_trsm_small_right_deviceI19rocblas_complex_numIfES1_PKPKS1_PKPS1_Li24EEv13rocblas_fill_18rocblas_operation_17rocblas_diagonal_iiT0_T1_lilT2_lili
	.p2align	8
	.type	_ZL31rocblas_trsm_small_right_deviceI19rocblas_complex_numIfES1_PKPKS1_PKPS1_Li24EEv13rocblas_fill_18rocblas_operation_17rocblas_diagonal_iiT0_T1_lilT2_lili,@function
_ZL31rocblas_trsm_small_right_deviceI19rocblas_complex_numIfES1_PKPKS1_PKPS1_Li24EEv13rocblas_fill_18rocblas_operation_17rocblas_diagonal_iiT0_T1_lilT2_lili: ; @_ZL31rocblas_trsm_small_right_deviceI19rocblas_complex_numIfES1_PKPKS1_PKPS1_Li24EEv13rocblas_fill_18rocblas_operation_17rocblas_diagonal_iiT0_T1_lilT2_lili
; %bb.0:
	s_clause 0x1
	s_load_b128 s[16:19], s[0:1], 0x40
	s_load_b256 s[4:11], s[0:1], 0x0
	s_mov_b32 s12, s15
	s_mov_b32 s13, 0
	s_load_b32 s15, s[0:1], 0x68
	s_lshl_b64 s[24:25], s[12:13], 3
	s_mov_b32 s31, exec_lo
	s_waitcnt lgkmcnt(0)
	s_add_u32 s2, s16, s24
	s_addc_u32 s3, s17, s25
	s_min_i32 s11, s8, 24
	s_load_b64 s[2:3], s[2:3], 0x0
	s_add_i32 s30, s11, -1
	v_cmpx_gt_i32_e64 s11, v0
	s_cbranch_execz .LBB162_29
; %bb.1:
	s_clause 0x1
	s_load_b32 s16, s[0:1], 0x30
	s_load_b128 s[20:23], s[0:1], 0x20
	s_waitcnt lgkmcnt(0)
	s_ashr_i32 s17, s16, 31
	s_cmpk_lg_i32 s5, 0x71
	s_cselect_b32 s12, -1, 0
	s_add_u32 s20, s20, s24
	s_addc_u32 s21, s21, s25
	v_cndmask_b32_e64 v7, 0, 1, s12
	s_load_b64 s[20:21], s[20:21], 0x0
	s_cmp_lt_u32 s30, 3
	s_cbranch_scc1 .LBB162_20
; %bb.2:
	v_lshlrev_b32_e32 v8, 3, v0
	s_lshl_b64 s[24:25], s[22:23], 3
	s_mul_hi_i32 s33, s16, 24
	s_waitcnt lgkmcnt(0)
	s_add_u32 s13, s20, s24
	s_addc_u32 s24, s21, s25
	v_add_co_u32 v1, s13, s13, v8
	s_delay_alu instid0(VALU_DEP_1)
	v_add_co_ci_u32_e64 v2, null, s24, 0, s13
	s_and_b32 s13, s11, -4
	s_mul_i32 s34, s16, 24
	s_lshl_b64 s[24:25], s[16:17], 5
	s_lshl_b64 s[26:27], s[16:17], 4
	;; [unrolled: 1-line block ×3, first 2 shown]
	s_mov_b32 s35, 0
	s_branch .LBB162_4
.LBB162_3:                              ;   in Loop: Header=BB162_4 Depth=1
	global_load_b32 v3, v[5:6], off
	v_add_co_u32 v1, vcc_lo, v1, s24
	v_add_co_ci_u32_e32 v2, vcc_lo, s25, v2, vcc_lo
	s_add_i32 s35, s35, 4
	s_delay_alu instid0(SALU_CYCLE_1)
	s_cmp_eq_u32 s13, s35
	s_waitcnt vmcnt(0)
	ds_store_b64 v8, v[3:4] offset:576
	v_add_nc_u32_e32 v8, 0x300, v8
	s_cbranch_scc1 .LBB162_20
.LBB162_4:                              ; =>This Inner Loop Header: Depth=1
	s_and_b32 vcc_lo, exec_lo, s12
	s_cbranch_vccz .LBB162_6
; %bb.5:                                ;   in Loop: Header=BB162_4 Depth=1
	global_load_b32 v4, v[1:2], off offset:4
	s_cbranch_execz .LBB162_7
	s_branch .LBB162_8
.LBB162_6:                              ;   in Loop: Header=BB162_4 Depth=1
                                        ; implicit-def: $vgpr4
.LBB162_7:                              ;   in Loop: Header=BB162_4 Depth=1
	global_load_b32 v3, v[1:2], off offset:4
	s_waitcnt vmcnt(0)
	v_xor_b32_e32 v4, 0x80000000, v3
.LBB162_8:                              ;   in Loop: Header=BB162_4 Depth=1
	global_load_b32 v3, v[1:2], off
	v_add_co_u32 v5, vcc_lo, v1, s28
	v_add_co_ci_u32_e32 v6, vcc_lo, s29, v2, vcc_lo
	s_and_not1_b32 vcc_lo, exec_lo, s12
	s_waitcnt vmcnt(0)
	ds_store_b64 v8, v[3:4]
	s_cbranch_vccnz .LBB162_10
; %bb.9:                                ;   in Loop: Header=BB162_4 Depth=1
	global_load_b32 v4, v[5:6], off offset:4
	s_cbranch_execz .LBB162_11
	s_branch .LBB162_12
.LBB162_10:                             ;   in Loop: Header=BB162_4 Depth=1
                                        ; implicit-def: $vgpr4
.LBB162_11:                             ;   in Loop: Header=BB162_4 Depth=1
	global_load_b32 v3, v[5:6], off offset:4
	s_waitcnt vmcnt(0)
	v_xor_b32_e32 v4, 0x80000000, v3
.LBB162_12:                             ;   in Loop: Header=BB162_4 Depth=1
	global_load_b32 v3, v[5:6], off
	v_add_co_u32 v5, vcc_lo, v1, s26
	v_add_co_ci_u32_e32 v6, vcc_lo, s27, v2, vcc_lo
	s_and_not1_b32 vcc_lo, exec_lo, s12
	s_waitcnt vmcnt(0)
	ds_store_b64 v8, v[3:4] offset:192
	s_cbranch_vccnz .LBB162_14
; %bb.13:                               ;   in Loop: Header=BB162_4 Depth=1
	global_load_b32 v4, v[5:6], off offset:4
	s_cbranch_execz .LBB162_15
	s_branch .LBB162_16
.LBB162_14:                             ;   in Loop: Header=BB162_4 Depth=1
                                        ; implicit-def: $vgpr4
.LBB162_15:                             ;   in Loop: Header=BB162_4 Depth=1
	global_load_b32 v3, v[5:6], off offset:4
	s_waitcnt vmcnt(0)
	v_xor_b32_e32 v4, 0x80000000, v3
.LBB162_16:                             ;   in Loop: Header=BB162_4 Depth=1
	global_load_b32 v3, v[5:6], off
	v_add_co_u32 v5, vcc_lo, v1, s34
	v_add_co_ci_u32_e32 v6, vcc_lo, s33, v2, vcc_lo
	s_and_not1_b32 vcc_lo, exec_lo, s12
	s_waitcnt vmcnt(0)
	ds_store_b64 v8, v[3:4] offset:384
	s_cbranch_vccnz .LBB162_18
; %bb.17:                               ;   in Loop: Header=BB162_4 Depth=1
	global_load_b32 v4, v[5:6], off offset:4
	s_cbranch_execnz .LBB162_3
	s_branch .LBB162_19
.LBB162_18:                             ;   in Loop: Header=BB162_4 Depth=1
                                        ; implicit-def: $vgpr4
.LBB162_19:                             ;   in Loop: Header=BB162_4 Depth=1
	global_load_b32 v3, v[5:6], off offset:4
	s_waitcnt vmcnt(0)
	v_xor_b32_e32 v4, 0x80000000, v3
	s_branch .LBB162_3
.LBB162_20:
	s_and_b32 s24, s11, 3
	s_delay_alu instid0(SALU_CYCLE_1)
	s_cmp_eq_u32 s24, 0
	s_cbranch_scc1 .LBB162_27
; %bb.21:
	s_mul_i32 s12, s17, s13
	s_mul_hi_u32 s25, s16, s13
	s_mul_i32 s26, s16, s13
	s_add_i32 s27, s25, s12
	s_lshl_b64 s[22:23], s[22:23], 3
	s_lshl_b64 s[26:27], s[26:27], 3
	v_lshlrev_b32_e32 v1, 3, v0
	s_mul_i32 s12, s13, 0xc0
	s_add_u32 s13, s26, s22
	s_addc_u32 s22, s27, s23
	s_waitcnt lgkmcnt(0)
	s_add_u32 s13, s20, s13
	s_addc_u32 s20, s21, s22
	v_add_co_u32 v1, s13, s13, v1
	s_delay_alu instid0(VALU_DEP_1) | instskip(SKIP_1) | instid1(VALU_DEP_3)
	v_add_co_ci_u32_e64 v2, null, s20, 0, s13
	v_lshl_add_u32 v5, v0, 3, s12
	v_add_co_u32 v1, vcc_lo, v1, 4
	s_delay_alu instid0(VALU_DEP_3)
	v_add_co_ci_u32_e32 v2, vcc_lo, 0, v2, vcc_lo
	s_lshl_b64 s[12:13], s[16:17], 3
	s_set_inst_prefetch_distance 0x1
	s_branch .LBB162_23
	.p2align	6
.LBB162_22:                             ;   in Loop: Header=BB162_23 Depth=1
	global_load_b32 v3, v[1:2], off offset:-4
	v_add_co_u32 v1, vcc_lo, v1, s12
	v_add_co_ci_u32_e32 v2, vcc_lo, s13, v2, vcc_lo
	s_add_i32 s24, s24, -1
	s_delay_alu instid0(SALU_CYCLE_1)
	s_cmp_lg_u32 s24, 0
	s_waitcnt vmcnt(0)
	ds_store_b64 v5, v[3:4]
	v_add_nc_u32_e32 v5, 0xc0, v5
	s_cbranch_scc0 .LBB162_27
.LBB162_23:                             ; =>This Inner Loop Header: Depth=1
	v_cmp_ne_u32_e32 vcc_lo, 1, v7
	s_mov_b32 s16, -1
                                        ; implicit-def: $vgpr4
	s_cbranch_vccnz .LBB162_25
; %bb.24:                               ;   in Loop: Header=BB162_23 Depth=1
	global_load_b32 v4, v[1:2], off
	s_mov_b32 s16, 0
.LBB162_25:                             ;   in Loop: Header=BB162_23 Depth=1
	s_delay_alu instid0(SALU_CYCLE_1)
	s_and_not1_b32 vcc_lo, exec_lo, s16
	s_cbranch_vccnz .LBB162_22
; %bb.26:                               ;   in Loop: Header=BB162_23 Depth=1
	global_load_b32 v3, v[1:2], off
	s_waitcnt vmcnt(0)
	v_xor_b32_e32 v4, 0x80000000, v3
	s_branch .LBB162_22
.LBB162_27:
	s_set_inst_prefetch_distance 0x2
	s_cmpk_eq_i32 s6, 0x84
	s_cbranch_scc0 .LBB162_29
; %bb.28:
	v_mul_u32_u24_e32 v2, 25, v0
	v_mov_b32_e32 v1, 1.0
	s_delay_alu instid0(VALU_DEP_2)
	v_dual_mov_b32 v2, 0 :: v_dual_lshlrev_b32 v3, 3, v2
	ds_store_b64 v3, v[1:2]
.LBB162_29:
	s_or_b32 exec_lo, exec_lo, s31
	s_load_b32 s0, s[0:1], 0x50
	s_lshl_b64 s[12:13], s[18:19], 3
	s_mul_i32 s16, s14, 0xffffffe8
	s_waitcnt lgkmcnt(0)
	s_add_u32 s1, s2, s12
	s_addc_u32 s6, s3, s13
	s_add_i32 s15, s15, -1
	s_add_i32 s16, s16, s7
	s_cmp_ge_u32 s14, s15
	s_mul_hi_i32 s17, s14, 0xc0
	s_cselect_b32 s7, s16, 24
	s_mul_i32 s16, s14, 0xc0
	v_cmp_gt_i32_e32 vcc_lo, s7, v0
	s_add_u32 s18, s1, s16
	s_addc_u32 s19, s6, s17
	s_cmp_gt_i32 s8, 0
	s_mov_b32 s22, 0
	s_cselect_b32 s1, -1, 0
	s_delay_alu instid0(SALU_CYCLE_1) | instskip(NEXT) | instid1(SALU_CYCLE_1)
	s_and_b32 s20, vcc_lo, s1
	s_and_saveexec_b32 s21, s20
	s_cbranch_execz .LBB162_36
; %bb.30:
	s_ashr_i32 s1, s0, 31
	s_cmp_lt_u32 s8, 4
	s_cbranch_scc1 .LBB162_33
; %bb.31:
	v_lshlrev_b32_e32 v1, 3, v0
	v_lshl_or_b32 v3, v0, 3, 0x1200
	s_and_b32 s22, s8, 0x7ffffffc
	s_lshl_b64 s[14:15], s[0:1], 3
	s_mov_b32 s23, 0
	v_add_co_u32 v1, s6, s18, v1
	s_delay_alu instid0(VALU_DEP_1)
	v_add_co_ci_u32_e64 v2, null, s19, 0, s6
	s_lshl_b64 s[6:7], s[0:1], 5
.LBB162_32:                             ; =>This Inner Loop Header: Depth=1
	s_delay_alu instid0(VALU_DEP_2) | instskip(NEXT) | instid1(VALU_DEP_2)
	v_add_co_u32 v4, vcc_lo, v1, s14
	v_add_co_ci_u32_e32 v5, vcc_lo, s15, v2, vcc_lo
	global_load_b64 v[6:7], v[1:2], off
	v_add_co_u32 v8, vcc_lo, v4, s14
	v_add_co_ci_u32_e32 v9, vcc_lo, s15, v5, vcc_lo
	global_load_b64 v[4:5], v[4:5], off
	v_add_co_u32 v10, vcc_lo, v8, s14
	v_add_co_ci_u32_e32 v11, vcc_lo, s15, v9, vcc_lo
	v_add_co_u32 v1, vcc_lo, v1, s6
	s_clause 0x1
	global_load_b64 v[8:9], v[8:9], off
	global_load_b64 v[10:11], v[10:11], off
	v_add_co_ci_u32_e32 v2, vcc_lo, s7, v2, vcc_lo
	s_add_i32 s23, s23, 4
	s_delay_alu instid0(SALU_CYCLE_1)
	s_cmp_lg_u32 s22, s23
	s_waitcnt vmcnt(3)
	v_mul_f32_e32 v12, s10, v7
	s_waitcnt vmcnt(2)
	v_dual_mul_f32 v13, s9, v7 :: v_dual_mul_f32 v14, s10, v5
	v_mul_f32_e32 v7, s9, v5
	s_delay_alu instid0(VALU_DEP_3) | instskip(NEXT) | instid1(VALU_DEP_3)
	v_fma_f32 v12, s9, v6, -v12
	v_fmac_f32_e32 v13, s10, v6
	s_delay_alu instid0(VALU_DEP_4)
	v_fma_f32 v6, s9, v4, -v14
	s_waitcnt vmcnt(0)
	v_dual_fmac_f32 v7, s10, v4 :: v_dual_mul_f32 v14, s10, v11
	v_mul_f32_e32 v4, s10, v9
	v_mul_f32_e32 v5, s9, v9
	;; [unrolled: 1-line block ×3, first 2 shown]
	s_delay_alu instid0(VALU_DEP_3) | instskip(NEXT) | instid1(VALU_DEP_3)
	v_fma_f32 v4, s9, v8, -v4
	v_fmac_f32_e32 v5, s10, v8
	v_fma_f32 v8, s9, v10, -v14
	s_delay_alu instid0(VALU_DEP_4)
	v_fmac_f32_e32 v9, s10, v10
	ds_store_2addr_b64 v3, v[12:13], v[6:7] offset1:24
	ds_store_2addr_b64 v3, v[4:5], v[8:9] offset0:48 offset1:72
	v_add_nc_u32_e32 v3, 0x300, v3
	s_cbranch_scc1 .LBB162_32
.LBB162_33:
	s_and_b32 s14, s8, 3
	s_delay_alu instid0(SALU_CYCLE_1)
	s_cmp_eq_u32 s14, 0
	s_cbranch_scc1 .LBB162_36
; %bb.34:
	s_mul_hi_i32 s7, s0, s22
	s_mul_i32 s6, s0, s22
	v_lshlrev_b32_e32 v1, 3, v0
	s_lshl_b64 s[6:7], s[6:7], 3
	s_mul_i32 s15, s22, 0xc0
	s_add_u32 s6, s6, s16
	s_addc_u32 s7, s7, s17
	s_add_u32 s6, s6, s12
	s_addc_u32 s7, s7, s13
	s_add_u32 s6, s2, s6
	s_addc_u32 s7, s3, s7
	v_add_co_u32 v2, s6, s6, v1
	s_delay_alu instid0(VALU_DEP_1) | instskip(SKIP_1) | instid1(VALU_DEP_3)
	v_add_co_ci_u32_e64 v4, null, s7, 0, s6
	v_add3_u32 v3, s15, v1, 0x1200
	v_add_co_u32 v1, vcc_lo, v2, 4
	s_delay_alu instid0(VALU_DEP_3)
	v_add_co_ci_u32_e32 v2, vcc_lo, 0, v4, vcc_lo
	s_lshl_b64 s[6:7], s[0:1], 3
	.p2align	6
.LBB162_35:                             ; =>This Inner Loop Header: Depth=1
	global_load_b64 v[4:5], v[1:2], off offset:-4
	v_add_co_u32 v1, vcc_lo, v1, s6
	v_add_co_ci_u32_e32 v2, vcc_lo, s7, v2, vcc_lo
	s_add_i32 s14, s14, -1
	s_delay_alu instid0(SALU_CYCLE_1) | instskip(SKIP_2) | instid1(VALU_DEP_1)
	s_cmp_lg_u32 s14, 0
	s_waitcnt vmcnt(0)
	v_mul_f32_e32 v6, s9, v5
	v_dual_mul_f32 v7, s10, v5 :: v_dual_fmac_f32 v6, s10, v4
	s_delay_alu instid0(VALU_DEP_1)
	v_fma_f32 v5, s9, v4, -v7
	ds_store_b64 v3, v[5:6]
	v_add_nc_u32_e32 v3, 0xc0, v3
	s_cbranch_scc1 .LBB162_35
.LBB162_36:
	s_or_b32 exec_lo, exec_lo, s21
	s_cmpk_eq_i32 s5, 0x6f
	s_waitcnt lgkmcnt(0)
	s_cselect_b32 s1, -1, 0
	s_cmpk_eq_i32 s4, 0x79
	; wave barrier
	buffer_gl0_inv
	s_cselect_b32 s6, -1, 0
	s_cmpk_lg_i32 s4, 0x79
	s_cselect_b32 s5, -1, 0
	s_and_b32 s6, s6, s1
	s_delay_alu instid0(SALU_CYCLE_1)
	s_and_not1_b32 vcc_lo, exec_lo, s6
	s_mov_b32 s6, -1
	s_cbranch_vccz .LBB162_144
; %bb.37:
	s_cmpk_lg_i32 s4, 0x7a
	s_cselect_b32 s4, -1, 0
	s_xor_b32 s1, s1, -1
	s_delay_alu instid0(SALU_CYCLE_1)
	s_or_b32 s4, s4, s1
	s_cmp_gt_i32 s8, 3
	s_cselect_b32 s1, -1, 0
	s_and_b32 vcc_lo, exec_lo, s4
	s_mov_b32 s4, -1
	s_cbranch_vccz .LBB162_111
; %bb.38:
	s_and_not1_b32 vcc_lo, exec_lo, s5
	s_cbranch_vccnz .LBB162_78
; %bb.39:
	s_and_not1_b32 vcc_lo, exec_lo, s1
	s_mov_b32 s6, 0
	s_cbranch_vccnz .LBB162_62
; %bb.40:
	v_lshl_or_b32 v13, v0, 3, 0x1200
	s_mov_b32 s4, 0
	s_mov_b32 s5, 0
.LBB162_41:                             ; =>This Loop Header: Depth=1
                                        ;     Child Loop BB162_43 Depth 2
	s_delay_alu instid0(SALU_CYCLE_1) | instskip(NEXT) | instid1(SALU_CYCLE_1)
	s_mul_i32 s9, s5, 24
	s_add_i32 s6, s9, 48
	s_add_i32 s7, s9, 24
	v_add_lshl_u32 v7, s6, v0, 3
	v_add_lshl_u32 v8, s9, v0, 3
	;; [unrolled: 1-line block ×3, first 2 shown]
	s_cmp_eq_u32 s5, 0
	s_delay_alu instid0(VALU_DEP_3)
	v_add_nc_u32_e32 v1, 0x1000, v7
	ds_load_b64 v[5:6], v8 offset:4608
	ds_load_b64 v[11:12], v9 offset:4608
	ds_load_2addr_b64 v[1:4], v1 offset0:64 offset1:88
	s_cbranch_scc1 .LBB162_44
; %bb.42:                               ;   in Loop: Header=BB162_41 Depth=1
	v_mov_b32_e32 v10, v13
	s_mov_b32 s9, 0
	s_mov_b32 s10, s4
.LBB162_43:                             ;   Parent Loop BB162_41 Depth=1
                                        ; =>  This Inner Loop Header: Depth=2
	ds_load_2addr_b64 v[14:17], v10 offset1:24
	v_mov_b32_e32 v30, s10
	s_add_i32 s9, s9, 2
	s_addk_i32 s10, 0x180
	s_cmp_ge_u32 s9, s5
	ds_load_b128 v[18:21], v30
	ds_load_b128 v[22:25], v30 offset:16
	ds_load_b128 v[26:29], v30 offset:192
	;; [unrolled: 1-line block ×3, first 2 shown]
	s_waitcnt lgkmcnt(3)
	v_dual_mul_f32 v35, v18, v15 :: v_dual_add_nc_u32 v10, 0x180, v10
	s_waitcnt lgkmcnt(2)
	v_mul_f32_e32 v37, v23, v15
	s_waitcnt lgkmcnt(1)
	v_dual_mul_f32 v38, v25, v15 :: v_dual_mul_f32 v39, v27, v17
	v_dual_mul_f32 v25, v25, v14 :: v_dual_mul_f32 v40, v26, v17
	v_mul_f32_e32 v34, v19, v15
	v_dual_mul_f32 v36, v21, v15 :: v_dual_mul_f32 v23, v23, v14
	v_mul_f32_e32 v21, v21, v14
	s_delay_alu instid0(VALU_DEP_4)
	v_fmac_f32_e32 v25, v24, v15
	v_fmac_f32_e32 v35, v19, v14
	v_dual_mul_f32 v41, v29, v17 :: v_dual_fmac_f32 v40, v27, v16
	s_waitcnt lgkmcnt(0)
	v_dual_mul_f32 v29, v29, v16 :: v_dual_mul_f32 v42, v31, v17
	v_dual_sub_f32 v4, v4, v25 :: v_dual_mul_f32 v31, v31, v16
	v_sub_f32_e32 v6, v6, v35
	v_fmac_f32_e32 v21, v20, v15
	v_fma_f32 v18, v18, v14, -v34
	v_fma_f32 v19, v20, v14, -v36
	;; [unrolled: 1-line block ×3, first 2 shown]
	v_sub_f32_e32 v6, v6, v40
	v_fma_f32 v14, v24, v14, -v38
	v_fmac_f32_e32 v31, v30, v17
	v_fmac_f32_e32 v29, v28, v17
	;; [unrolled: 1-line block ×3, first 2 shown]
	v_mul_f32_e32 v43, v33, v17
	v_dual_mul_f32 v33, v33, v16 :: v_dual_sub_f32 v12, v12, v21
	v_fma_f32 v15, v26, v16, -v39
	v_fma_f32 v22, v28, v16, -v41
	;; [unrolled: 1-line block ×3, first 2 shown]
	s_delay_alu instid0(VALU_DEP_4) | instskip(SKIP_3) | instid1(VALU_DEP_4)
	v_fmac_f32_e32 v33, v32, v17
	v_sub_f32_e32 v5, v5, v18
	v_sub_f32_e32 v11, v11, v19
	v_sub_f32_e32 v1, v1, v20
	v_dual_sub_f32 v3, v3, v14 :: v_dual_sub_f32 v4, v4, v33
	v_sub_f32_e32 v12, v12, v29
	v_sub_f32_e32 v2, v2, v23
	v_fma_f32 v16, v32, v16, -v43
	v_sub_f32_e32 v5, v5, v15
	v_sub_f32_e32 v11, v11, v22
	s_delay_alu instid0(VALU_DEP_4) | instskip(NEXT) | instid1(VALU_DEP_4)
	v_dual_sub_f32 v1, v1, v24 :: v_dual_sub_f32 v2, v2, v31
	v_sub_f32_e32 v3, v3, v16
	s_cbranch_scc0 .LBB162_43
.LBB162_44:                             ;   in Loop: Header=BB162_41 Depth=1
	s_mul_i32 s9, s5, 0xc8
	v_add_nc_u32_e32 v16, 0x1200, v8
	v_dual_mov_b32 v7, s9 :: v_dual_add_nc_u32 v14, 0x1200, v7
	v_add_nc_u32_e32 v15, 0x1200, v9
	ds_load_b64 v[7:8], v7
	s_waitcnt lgkmcnt(0)
	v_cmp_gt_f32_e32 vcc_lo, 0, v7
	v_cndmask_b32_e64 v9, v7, -v7, vcc_lo
	v_cmp_gt_f32_e32 vcc_lo, 0, v8
	v_cndmask_b32_e64 v10, v8, -v8, vcc_lo
	s_delay_alu instid0(VALU_DEP_1)
	v_cmp_ngt_f32_e32 vcc_lo, v9, v10
	s_cbranch_vccz .LBB162_46
; %bb.45:                               ;   in Loop: Header=BB162_41 Depth=1
	v_div_scale_f32 v9, null, v8, v8, v7
	v_div_scale_f32 v18, vcc_lo, v7, v8, v7
	s_delay_alu instid0(VALU_DEP_2) | instskip(SKIP_2) | instid1(VALU_DEP_1)
	v_rcp_f32_e32 v10, v9
	s_waitcnt_depctr 0xfff
	v_fma_f32 v17, -v9, v10, 1.0
	v_fmac_f32_e32 v10, v17, v10
	s_delay_alu instid0(VALU_DEP_1) | instskip(NEXT) | instid1(VALU_DEP_1)
	v_mul_f32_e32 v17, v18, v10
	v_fma_f32 v19, -v9, v17, v18
	s_delay_alu instid0(VALU_DEP_1) | instskip(NEXT) | instid1(VALU_DEP_1)
	v_fmac_f32_e32 v17, v19, v10
	v_fma_f32 v9, -v9, v17, v18
	s_delay_alu instid0(VALU_DEP_1) | instskip(NEXT) | instid1(VALU_DEP_1)
	v_div_fmas_f32 v9, v9, v10, v17
	v_div_fixup_f32 v9, v9, v8, v7
	s_delay_alu instid0(VALU_DEP_1) | instskip(NEXT) | instid1(VALU_DEP_1)
	v_fma_f32 v10, v7, v9, v8
	v_div_scale_f32 v17, null, v10, v10, 1.0
	v_div_scale_f32 v20, vcc_lo, 1.0, v10, 1.0
	s_delay_alu instid0(VALU_DEP_2) | instskip(SKIP_2) | instid1(VALU_DEP_1)
	v_rcp_f32_e32 v18, v17
	s_waitcnt_depctr 0xfff
	v_fma_f32 v19, -v17, v18, 1.0
	v_fmac_f32_e32 v18, v19, v18
	s_delay_alu instid0(VALU_DEP_1) | instskip(NEXT) | instid1(VALU_DEP_1)
	v_mul_f32_e32 v19, v20, v18
	v_fma_f32 v21, -v17, v19, v20
	s_delay_alu instid0(VALU_DEP_1) | instskip(NEXT) | instid1(VALU_DEP_1)
	v_fmac_f32_e32 v19, v21, v18
	v_fma_f32 v17, -v17, v19, v20
	s_delay_alu instid0(VALU_DEP_1) | instskip(SKIP_1) | instid1(VALU_DEP_2)
	v_div_fmas_f32 v17, v17, v18, v19
	v_fma_f32 v18, v5, v9, v6
	v_div_fixup_f32 v10, v17, v10, 1.0
	v_fma_f32 v17, v6, v9, -v5
	s_delay_alu instid0(VALU_DEP_2) | instskip(NEXT) | instid1(VALU_DEP_2)
	v_mul_f32_e32 v9, v18, v10
	v_mul_f32_e32 v10, v17, v10
	s_cbranch_execz .LBB162_47
	s_branch .LBB162_48
.LBB162_46:                             ;   in Loop: Header=BB162_41 Depth=1
                                        ; implicit-def: $vgpr10
.LBB162_47:                             ;   in Loop: Header=BB162_41 Depth=1
	v_div_scale_f32 v9, null, v7, v7, v8
	v_div_scale_f32 v18, vcc_lo, v8, v7, v8
	s_delay_alu instid0(VALU_DEP_2) | instskip(SKIP_2) | instid1(VALU_DEP_1)
	v_rcp_f32_e32 v10, v9
	s_waitcnt_depctr 0xfff
	v_fma_f32 v17, -v9, v10, 1.0
	v_fmac_f32_e32 v10, v17, v10
	s_delay_alu instid0(VALU_DEP_1) | instskip(NEXT) | instid1(VALU_DEP_1)
	v_mul_f32_e32 v17, v18, v10
	v_fma_f32 v19, -v9, v17, v18
	s_delay_alu instid0(VALU_DEP_1) | instskip(NEXT) | instid1(VALU_DEP_1)
	v_fmac_f32_e32 v17, v19, v10
	v_fma_f32 v9, -v9, v17, v18
	s_delay_alu instid0(VALU_DEP_1) | instskip(NEXT) | instid1(VALU_DEP_1)
	v_div_fmas_f32 v9, v9, v10, v17
	v_div_fixup_f32 v9, v9, v7, v8
	s_delay_alu instid0(VALU_DEP_1) | instskip(NEXT) | instid1(VALU_DEP_1)
	v_fmac_f32_e32 v7, v8, v9
	v_div_scale_f32 v8, null, v7, v7, 1.0
	v_div_scale_f32 v18, vcc_lo, 1.0, v7, 1.0
	s_delay_alu instid0(VALU_DEP_2) | instskip(SKIP_2) | instid1(VALU_DEP_1)
	v_rcp_f32_e32 v10, v8
	s_waitcnt_depctr 0xfff
	v_fma_f32 v17, -v8, v10, 1.0
	v_fmac_f32_e32 v10, v17, v10
	s_delay_alu instid0(VALU_DEP_1) | instskip(NEXT) | instid1(VALU_DEP_1)
	v_mul_f32_e32 v17, v18, v10
	v_fma_f32 v19, -v8, v17, v18
	s_delay_alu instid0(VALU_DEP_1) | instskip(NEXT) | instid1(VALU_DEP_1)
	v_fmac_f32_e32 v17, v19, v10
	v_fma_f32 v8, -v8, v17, v18
	s_delay_alu instid0(VALU_DEP_1) | instskip(SKIP_2) | instid1(VALU_DEP_3)
	v_div_fmas_f32 v8, v8, v10, v17
	v_fma_f32 v10, v6, v9, v5
	v_fma_f32 v5, -v5, v9, v6
	v_div_fixup_f32 v7, v8, v7, 1.0
	s_delay_alu instid0(VALU_DEP_1) | instskip(NEXT) | instid1(VALU_DEP_3)
	v_mul_f32_e32 v9, v10, v7
	v_mul_f32_e32 v10, v5, v7
.LBB162_48:                             ;   in Loop: Header=BB162_41 Depth=1
	v_mov_b32_e32 v5, s9
	ds_store_b64 v16, v[9:10]
	ds_load_2addr_b64 v[5:8], v5 offset0:1 offset1:25
	s_waitcnt lgkmcnt(0)
	v_cmp_gt_f32_e32 vcc_lo, 0, v7
	v_mul_f32_e32 v17, v10, v6
	v_mul_f32_e32 v6, v9, v6
	v_cndmask_b32_e64 v18, v7, -v7, vcc_lo
	v_cmp_gt_f32_e32 vcc_lo, 0, v8
	s_delay_alu instid0(VALU_DEP_4) | instskip(NEXT) | instid1(VALU_DEP_4)
	v_fma_f32 v17, v9, v5, -v17
	v_fmac_f32_e32 v6, v10, v5
	v_cndmask_b32_e64 v19, v8, -v8, vcc_lo
	s_delay_alu instid0(VALU_DEP_2) | instskip(NEXT) | instid1(VALU_DEP_2)
	v_dual_sub_f32 v5, v11, v17 :: v_dual_sub_f32 v6, v12, v6
	v_cmp_ngt_f32_e32 vcc_lo, v18, v19
	s_cbranch_vccz .LBB162_50
; %bb.49:                               ;   in Loop: Header=BB162_41 Depth=1
	v_div_scale_f32 v11, null, v8, v8, v7
	v_div_scale_f32 v17, vcc_lo, v7, v8, v7
	s_delay_alu instid0(VALU_DEP_2) | instskip(SKIP_2) | instid1(VALU_DEP_1)
	v_rcp_f32_e32 v12, v11
	s_waitcnt_depctr 0xfff
	v_fma_f32 v16, -v11, v12, 1.0
	v_fmac_f32_e32 v12, v16, v12
	s_delay_alu instid0(VALU_DEP_1) | instskip(NEXT) | instid1(VALU_DEP_1)
	v_mul_f32_e32 v16, v17, v12
	v_fma_f32 v18, -v11, v16, v17
	s_delay_alu instid0(VALU_DEP_1) | instskip(NEXT) | instid1(VALU_DEP_1)
	v_fmac_f32_e32 v16, v18, v12
	v_fma_f32 v11, -v11, v16, v17
	s_delay_alu instid0(VALU_DEP_1) | instskip(NEXT) | instid1(VALU_DEP_1)
	v_div_fmas_f32 v11, v11, v12, v16
	v_div_fixup_f32 v11, v11, v8, v7
	s_delay_alu instid0(VALU_DEP_1) | instskip(NEXT) | instid1(VALU_DEP_1)
	v_fma_f32 v12, v7, v11, v8
	v_div_scale_f32 v16, null, v12, v12, 1.0
	v_div_scale_f32 v19, vcc_lo, 1.0, v12, 1.0
	s_delay_alu instid0(VALU_DEP_2) | instskip(SKIP_2) | instid1(VALU_DEP_1)
	v_rcp_f32_e32 v17, v16
	s_waitcnt_depctr 0xfff
	v_fma_f32 v18, -v16, v17, 1.0
	v_fmac_f32_e32 v17, v18, v17
	s_delay_alu instid0(VALU_DEP_1) | instskip(NEXT) | instid1(VALU_DEP_1)
	v_mul_f32_e32 v18, v19, v17
	v_fma_f32 v20, -v16, v18, v19
	s_delay_alu instid0(VALU_DEP_1) | instskip(NEXT) | instid1(VALU_DEP_1)
	v_fmac_f32_e32 v18, v20, v17
	v_fma_f32 v16, -v16, v18, v19
	s_delay_alu instid0(VALU_DEP_1) | instskip(SKIP_1) | instid1(VALU_DEP_2)
	v_div_fmas_f32 v16, v16, v17, v18
	v_fma_f32 v17, v11, v5, v6
	v_div_fixup_f32 v12, v16, v12, 1.0
	v_fma_f32 v16, v11, v6, -v5
	s_delay_alu instid0(VALU_DEP_2) | instskip(NEXT) | instid1(VALU_DEP_2)
	v_mul_f32_e32 v11, v17, v12
	v_mul_f32_e32 v12, v16, v12
	s_cbranch_execz .LBB162_51
	s_branch .LBB162_52
.LBB162_50:                             ;   in Loop: Header=BB162_41 Depth=1
                                        ; implicit-def: $vgpr12
.LBB162_51:                             ;   in Loop: Header=BB162_41 Depth=1
	v_div_scale_f32 v11, null, v7, v7, v8
	v_div_scale_f32 v17, vcc_lo, v8, v7, v8
	s_delay_alu instid0(VALU_DEP_2) | instskip(SKIP_2) | instid1(VALU_DEP_1)
	v_rcp_f32_e32 v12, v11
	s_waitcnt_depctr 0xfff
	v_fma_f32 v16, -v11, v12, 1.0
	v_fmac_f32_e32 v12, v16, v12
	s_delay_alu instid0(VALU_DEP_1) | instskip(NEXT) | instid1(VALU_DEP_1)
	v_mul_f32_e32 v16, v17, v12
	v_fma_f32 v18, -v11, v16, v17
	s_delay_alu instid0(VALU_DEP_1) | instskip(NEXT) | instid1(VALU_DEP_1)
	v_fmac_f32_e32 v16, v18, v12
	v_fma_f32 v11, -v11, v16, v17
	s_delay_alu instid0(VALU_DEP_1) | instskip(NEXT) | instid1(VALU_DEP_1)
	v_div_fmas_f32 v11, v11, v12, v16
	v_div_fixup_f32 v11, v11, v7, v8
	s_delay_alu instid0(VALU_DEP_1) | instskip(NEXT) | instid1(VALU_DEP_1)
	v_fmac_f32_e32 v7, v8, v11
	v_div_scale_f32 v8, null, v7, v7, 1.0
	v_div_scale_f32 v17, vcc_lo, 1.0, v7, 1.0
	s_delay_alu instid0(VALU_DEP_2) | instskip(SKIP_2) | instid1(VALU_DEP_1)
	v_rcp_f32_e32 v12, v8
	s_waitcnt_depctr 0xfff
	v_fma_f32 v16, -v8, v12, 1.0
	v_fmac_f32_e32 v12, v16, v12
	s_delay_alu instid0(VALU_DEP_1) | instskip(NEXT) | instid1(VALU_DEP_1)
	v_mul_f32_e32 v16, v17, v12
	v_fma_f32 v18, -v8, v16, v17
	s_delay_alu instid0(VALU_DEP_1) | instskip(NEXT) | instid1(VALU_DEP_1)
	v_fmac_f32_e32 v16, v18, v12
	v_fma_f32 v8, -v8, v16, v17
	s_delay_alu instid0(VALU_DEP_1) | instskip(SKIP_2) | instid1(VALU_DEP_3)
	v_div_fmas_f32 v8, v8, v12, v16
	v_fma_f32 v12, v11, v6, v5
	v_fma_f32 v5, -v11, v5, v6
	v_div_fixup_f32 v7, v8, v7, 1.0
	s_delay_alu instid0(VALU_DEP_1) | instskip(NEXT) | instid1(VALU_DEP_3)
	v_mul_f32_e32 v11, v12, v7
	v_mul_f32_e32 v12, v5, v7
.LBB162_52:                             ;   in Loop: Header=BB162_41 Depth=1
	s_add_i32 s7, s7, s5
	s_delay_alu instid0(SALU_CYCLE_1) | instskip(NEXT) | instid1(SALU_CYCLE_1)
	s_lshl_b32 s7, s7, 3
	v_dual_mov_b32 v5, s9 :: v_dual_mov_b32 v16, s7
	ds_load_2addr_b64 v[5:8], v5 offset0:2 offset1:50
	ds_load_b64 v[16:17], v16 offset:16
	ds_store_b64 v15, v[11:12]
	s_waitcnt lgkmcnt(2)
	v_mul_f32_e32 v18, v10, v6
	v_cmp_gt_f32_e32 vcc_lo, 0, v7
	s_waitcnt lgkmcnt(1)
	v_mul_f32_e32 v20, v12, v17
	v_dual_mul_f32 v17, v11, v17 :: v_dual_mul_f32 v6, v9, v6
	v_fma_f32 v18, v9, v5, -v18
	v_cndmask_b32_e64 v19, v7, -v7, vcc_lo
	v_cmp_gt_f32_e32 vcc_lo, 0, v8
	s_delay_alu instid0(VALU_DEP_4) | instskip(NEXT) | instid1(VALU_DEP_4)
	v_fmac_f32_e32 v17, v12, v16
	v_sub_f32_e32 v1, v1, v18
	v_fma_f32 v20, v11, v16, -v20
	v_fmac_f32_e32 v6, v10, v5
	v_cndmask_b32_e64 v5, v8, -v8, vcc_lo
	s_delay_alu instid0(VALU_DEP_1) | instskip(NEXT) | instid1(VALU_DEP_3)
	v_cmp_ngt_f32_e32 vcc_lo, v19, v5
	v_dual_sub_f32 v5, v1, v20 :: v_dual_sub_f32 v2, v2, v6
	s_delay_alu instid0(VALU_DEP_1)
	v_sub_f32_e32 v6, v2, v17
	s_cbranch_vccz .LBB162_54
; %bb.53:                               ;   in Loop: Header=BB162_41 Depth=1
	v_div_scale_f32 v1, null, v8, v8, v7
	v_div_scale_f32 v16, vcc_lo, v7, v8, v7
	s_delay_alu instid0(VALU_DEP_2) | instskip(SKIP_2) | instid1(VALU_DEP_1)
	v_rcp_f32_e32 v2, v1
	s_waitcnt_depctr 0xfff
	v_fma_f32 v15, -v1, v2, 1.0
	v_fmac_f32_e32 v2, v15, v2
	s_delay_alu instid0(VALU_DEP_1) | instskip(NEXT) | instid1(VALU_DEP_1)
	v_mul_f32_e32 v15, v16, v2
	v_fma_f32 v17, -v1, v15, v16
	s_delay_alu instid0(VALU_DEP_1) | instskip(NEXT) | instid1(VALU_DEP_1)
	v_fmac_f32_e32 v15, v17, v2
	v_fma_f32 v1, -v1, v15, v16
	s_delay_alu instid0(VALU_DEP_1) | instskip(NEXT) | instid1(VALU_DEP_1)
	v_div_fmas_f32 v1, v1, v2, v15
	v_div_fixup_f32 v1, v1, v8, v7
	s_delay_alu instid0(VALU_DEP_1) | instskip(NEXT) | instid1(VALU_DEP_1)
	v_fma_f32 v2, v7, v1, v8
	v_div_scale_f32 v15, null, v2, v2, 1.0
	v_div_scale_f32 v18, vcc_lo, 1.0, v2, 1.0
	s_delay_alu instid0(VALU_DEP_2) | instskip(SKIP_2) | instid1(VALU_DEP_1)
	v_rcp_f32_e32 v16, v15
	s_waitcnt_depctr 0xfff
	v_fma_f32 v17, -v15, v16, 1.0
	v_fmac_f32_e32 v16, v17, v16
	s_delay_alu instid0(VALU_DEP_1) | instskip(NEXT) | instid1(VALU_DEP_1)
	v_mul_f32_e32 v17, v18, v16
	v_fma_f32 v19, -v15, v17, v18
	s_delay_alu instid0(VALU_DEP_1) | instskip(NEXT) | instid1(VALU_DEP_1)
	v_fmac_f32_e32 v17, v19, v16
	v_fma_f32 v15, -v15, v17, v18
	s_delay_alu instid0(VALU_DEP_1) | instskip(SKIP_1) | instid1(VALU_DEP_2)
	v_div_fmas_f32 v15, v15, v16, v17
	v_fma_f32 v16, v1, v5, v6
	v_div_fixup_f32 v2, v15, v2, 1.0
	v_fma_f32 v15, v1, v6, -v5
	s_delay_alu instid0(VALU_DEP_2) | instskip(NEXT) | instid1(VALU_DEP_2)
	v_mul_f32_e32 v1, v16, v2
	v_mul_f32_e32 v2, v15, v2
	s_cbranch_execz .LBB162_55
	s_branch .LBB162_56
.LBB162_54:                             ;   in Loop: Header=BB162_41 Depth=1
                                        ; implicit-def: $vgpr2
.LBB162_55:                             ;   in Loop: Header=BB162_41 Depth=1
	v_div_scale_f32 v1, null, v7, v7, v8
	v_div_scale_f32 v16, vcc_lo, v8, v7, v8
	s_delay_alu instid0(VALU_DEP_2) | instskip(SKIP_2) | instid1(VALU_DEP_1)
	v_rcp_f32_e32 v2, v1
	s_waitcnt_depctr 0xfff
	v_fma_f32 v15, -v1, v2, 1.0
	v_fmac_f32_e32 v2, v15, v2
	s_delay_alu instid0(VALU_DEP_1) | instskip(NEXT) | instid1(VALU_DEP_1)
	v_mul_f32_e32 v15, v16, v2
	v_fma_f32 v17, -v1, v15, v16
	s_delay_alu instid0(VALU_DEP_1) | instskip(NEXT) | instid1(VALU_DEP_1)
	v_fmac_f32_e32 v15, v17, v2
	v_fma_f32 v1, -v1, v15, v16
	s_delay_alu instid0(VALU_DEP_1) | instskip(NEXT) | instid1(VALU_DEP_1)
	v_div_fmas_f32 v1, v1, v2, v15
	v_div_fixup_f32 v1, v1, v7, v8
	s_delay_alu instid0(VALU_DEP_1) | instskip(NEXT) | instid1(VALU_DEP_1)
	v_fmac_f32_e32 v7, v8, v1
	v_div_scale_f32 v2, null, v7, v7, 1.0
	v_div_scale_f32 v16, vcc_lo, 1.0, v7, 1.0
	s_delay_alu instid0(VALU_DEP_2) | instskip(SKIP_2) | instid1(VALU_DEP_1)
	v_rcp_f32_e32 v8, v2
	s_waitcnt_depctr 0xfff
	v_fma_f32 v15, -v2, v8, 1.0
	v_fmac_f32_e32 v8, v15, v8
	s_delay_alu instid0(VALU_DEP_1) | instskip(NEXT) | instid1(VALU_DEP_1)
	v_mul_f32_e32 v15, v16, v8
	v_fma_f32 v17, -v2, v15, v16
	s_delay_alu instid0(VALU_DEP_1) | instskip(NEXT) | instid1(VALU_DEP_1)
	v_fmac_f32_e32 v15, v17, v8
	v_fma_f32 v2, -v2, v15, v16
	s_delay_alu instid0(VALU_DEP_1) | instskip(SKIP_2) | instid1(VALU_DEP_3)
	v_div_fmas_f32 v2, v2, v8, v15
	v_fma_f32 v8, v1, v6, v5
	v_fma_f32 v5, -v1, v5, v6
	v_div_fixup_f32 v2, v2, v7, 1.0
	s_delay_alu instid0(VALU_DEP_1) | instskip(NEXT) | instid1(VALU_DEP_3)
	v_mul_f32_e32 v1, v8, v2
	v_mul_f32_e32 v2, v5, v2
.LBB162_56:                             ;   in Loop: Header=BB162_41 Depth=1
	s_add_i32 s6, s6, s5
	v_mov_b32_e32 v5, s9
	s_lshl_b32 s6, s6, 3
	v_mov_b32_e32 v15, s7
	v_mov_b32_e32 v17, s6
	ds_load_2addr_b64 v[5:8], v5 offset0:3 offset1:75
	ds_load_b64 v[15:16], v15 offset:24
	ds_load_b64 v[17:18], v17 offset:24
	ds_store_b64 v14, v[1:2]
	s_waitcnt lgkmcnt(3)
	v_cmp_gt_f32_e32 vcc_lo, 0, v7
	s_waitcnt lgkmcnt(2)
	v_mul_f32_e32 v20, v12, v16
	v_dual_mul_f32 v16, v11, v16 :: v_dual_mul_f32 v19, v10, v6
	v_mul_f32_e32 v6, v9, v6
	v_cndmask_b32_e64 v21, v7, -v7, vcc_lo
	v_cmp_gt_f32_e32 vcc_lo, 0, v8
	s_delay_alu instid0(VALU_DEP_4)
	v_fmac_f32_e32 v16, v12, v15
	v_fma_f32 v9, v9, v5, -v19
	s_waitcnt lgkmcnt(1)
	v_dual_fmac_f32 v6, v10, v5 :: v_dual_mul_f32 v5, v1, v18
	v_mul_f32_e32 v22, v2, v18
	v_fma_f32 v10, v11, v15, -v20
	s_delay_alu instid0(VALU_DEP_3) | instskip(NEXT) | instid1(VALU_DEP_4)
	v_dual_sub_f32 v3, v3, v9 :: v_dual_sub_f32 v4, v4, v6
	v_fmac_f32_e32 v5, v2, v17
	v_cndmask_b32_e64 v6, v8, -v8, vcc_lo
	v_fma_f32 v9, v1, v17, -v22
	s_delay_alu instid0(VALU_DEP_4) | instskip(NEXT) | instid1(VALU_DEP_3)
	v_dual_sub_f32 v3, v3, v10 :: v_dual_sub_f32 v4, v4, v16
	v_cmp_ngt_f32_e32 vcc_lo, v21, v6
	s_delay_alu instid0(VALU_DEP_2) | instskip(NEXT) | instid1(VALU_DEP_3)
	v_sub_f32_e32 v3, v3, v9
	v_sub_f32_e32 v4, v4, v5
	s_cbranch_vccz .LBB162_58
; %bb.57:                               ;   in Loop: Header=BB162_41 Depth=1
	v_div_scale_f32 v1, null, v8, v8, v7
	v_div_scale_f32 v6, vcc_lo, v7, v8, v7
	s_delay_alu instid0(VALU_DEP_2) | instskip(SKIP_2) | instid1(VALU_DEP_1)
	v_rcp_f32_e32 v2, v1
	s_waitcnt_depctr 0xfff
	v_fma_f32 v5, -v1, v2, 1.0
	v_fmac_f32_e32 v2, v5, v2
	s_delay_alu instid0(VALU_DEP_1) | instskip(NEXT) | instid1(VALU_DEP_1)
	v_mul_f32_e32 v5, v6, v2
	v_fma_f32 v9, -v1, v5, v6
	s_delay_alu instid0(VALU_DEP_1) | instskip(NEXT) | instid1(VALU_DEP_1)
	v_fmac_f32_e32 v5, v9, v2
	v_fma_f32 v1, -v1, v5, v6
	s_delay_alu instid0(VALU_DEP_1) | instskip(NEXT) | instid1(VALU_DEP_1)
	v_div_fmas_f32 v1, v1, v2, v5
	v_div_fixup_f32 v1, v1, v8, v7
	s_delay_alu instid0(VALU_DEP_1) | instskip(NEXT) | instid1(VALU_DEP_1)
	v_fma_f32 v2, v7, v1, v8
	v_div_scale_f32 v5, null, v2, v2, 1.0
	v_div_scale_f32 v10, vcc_lo, 1.0, v2, 1.0
	s_delay_alu instid0(VALU_DEP_2) | instskip(SKIP_2) | instid1(VALU_DEP_1)
	v_rcp_f32_e32 v6, v5
	s_waitcnt_depctr 0xfff
	v_fma_f32 v9, -v5, v6, 1.0
	v_fmac_f32_e32 v6, v9, v6
	s_delay_alu instid0(VALU_DEP_1) | instskip(NEXT) | instid1(VALU_DEP_1)
	v_mul_f32_e32 v9, v10, v6
	v_fma_f32 v11, -v5, v9, v10
	s_delay_alu instid0(VALU_DEP_1) | instskip(NEXT) | instid1(VALU_DEP_1)
	v_fmac_f32_e32 v9, v11, v6
	v_fma_f32 v5, -v5, v9, v10
	s_delay_alu instid0(VALU_DEP_1) | instskip(SKIP_1) | instid1(VALU_DEP_2)
	v_div_fmas_f32 v5, v5, v6, v9
	v_fma_f32 v6, v1, v3, v4
	v_div_fixup_f32 v2, v5, v2, 1.0
	v_fma_f32 v5, v1, v4, -v3
	s_delay_alu instid0(VALU_DEP_2) | instskip(NEXT) | instid1(VALU_DEP_2)
	v_mul_f32_e32 v1, v6, v2
	v_mul_f32_e32 v2, v5, v2
	s_cbranch_execz .LBB162_59
	s_branch .LBB162_60
.LBB162_58:                             ;   in Loop: Header=BB162_41 Depth=1
                                        ; implicit-def: $vgpr2
.LBB162_59:                             ;   in Loop: Header=BB162_41 Depth=1
	v_div_scale_f32 v1, null, v7, v7, v8
	v_div_scale_f32 v6, vcc_lo, v8, v7, v8
	s_delay_alu instid0(VALU_DEP_2) | instskip(SKIP_2) | instid1(VALU_DEP_1)
	v_rcp_f32_e32 v2, v1
	s_waitcnt_depctr 0xfff
	v_fma_f32 v5, -v1, v2, 1.0
	v_fmac_f32_e32 v2, v5, v2
	s_delay_alu instid0(VALU_DEP_1) | instskip(NEXT) | instid1(VALU_DEP_1)
	v_mul_f32_e32 v5, v6, v2
	v_fma_f32 v9, -v1, v5, v6
	s_delay_alu instid0(VALU_DEP_1) | instskip(NEXT) | instid1(VALU_DEP_1)
	v_fmac_f32_e32 v5, v9, v2
	v_fma_f32 v1, -v1, v5, v6
	s_delay_alu instid0(VALU_DEP_1) | instskip(NEXT) | instid1(VALU_DEP_1)
	v_div_fmas_f32 v1, v1, v2, v5
	v_div_fixup_f32 v1, v1, v7, v8
	s_delay_alu instid0(VALU_DEP_1) | instskip(NEXT) | instid1(VALU_DEP_1)
	v_fmac_f32_e32 v7, v8, v1
	v_div_scale_f32 v2, null, v7, v7, 1.0
	v_div_scale_f32 v8, vcc_lo, 1.0, v7, 1.0
	s_delay_alu instid0(VALU_DEP_2) | instskip(SKIP_2) | instid1(VALU_DEP_1)
	v_rcp_f32_e32 v5, v2
	s_waitcnt_depctr 0xfff
	v_fma_f32 v6, -v2, v5, 1.0
	v_fmac_f32_e32 v5, v6, v5
	s_delay_alu instid0(VALU_DEP_1) | instskip(NEXT) | instid1(VALU_DEP_1)
	v_mul_f32_e32 v6, v8, v5
	v_fma_f32 v9, -v2, v6, v8
	s_delay_alu instid0(VALU_DEP_1) | instskip(NEXT) | instid1(VALU_DEP_1)
	v_fmac_f32_e32 v6, v9, v5
	v_fma_f32 v2, -v2, v6, v8
	s_delay_alu instid0(VALU_DEP_1) | instskip(SKIP_2) | instid1(VALU_DEP_3)
	v_div_fmas_f32 v2, v2, v5, v6
	v_fma_f32 v5, v1, v4, v3
	v_fma_f32 v3, -v1, v3, v4
	v_div_fixup_f32 v2, v2, v7, 1.0
	s_delay_alu instid0(VALU_DEP_1) | instskip(NEXT) | instid1(VALU_DEP_3)
	v_mul_f32_e32 v1, v5, v2
	v_mul_f32_e32 v2, v3, v2
.LBB162_60:                             ;   in Loop: Header=BB162_41 Depth=1
	s_add_i32 s6, s5, 4
	s_add_i32 s5, s5, 7
	;; [unrolled: 1-line block ×3, first 2 shown]
	s_cmp_ge_i32 s5, s11
	ds_store_b64 v14, v[1:2] offset:192
	s_cbranch_scc1 .LBB162_62
; %bb.61:                               ;   in Loop: Header=BB162_41 Depth=1
	s_mov_b32 s5, s6
	s_branch .LBB162_41
.LBB162_62:
	s_cmp_ge_i32 s6, s11
	s_cbranch_scc1 .LBB162_77
; %bb.63:
	v_lshl_or_b32 v7, v0, 3, 0x1200
	s_add_i32 s4, s6, -1
	s_lshl_b32 s5, s6, 3
	s_mov_b32 s7, 0
	s_mov_b32 s9, s6
	s_branch .LBB162_65
.LBB162_64:                             ;   in Loop: Header=BB162_65 Depth=1
	v_add_nc_u16 v1, s9, 1
	s_add_i32 s6, s6, 1
	s_add_i32 s7, s7, 1
	;; [unrolled: 1-line block ×3, first 2 shown]
	s_cmp_ge_i32 s6, s11
	v_readfirstlane_b32 s9, v1
	ds_store_b64 v8, v[5:6]
	s_cbranch_scc1 .LBB162_77
.LBB162_65:                             ; =>This Loop Header: Depth=1
                                        ;     Child Loop BB162_68 Depth 2
                                        ;     Child Loop BB162_72 Depth 2
	s_mul_i32 s10, s6, 24
	s_cmp_eq_u32 s6, 0
	v_add_lshl_u32 v3, s10, v0, 3
	ds_load_b64 v[1:2], v3 offset:4608
	s_cbranch_scc1 .LBB162_73
; %bb.66:                               ;   in Loop: Header=BB162_65 Depth=1
	s_add_i32 s10, s4, s7
	s_delay_alu instid0(SALU_CYCLE_1)
	s_cmp_lt_u32 s10, 3
	s_cbranch_scc1 .LBB162_70
; %bb.67:                               ;   in Loop: Header=BB162_65 Depth=1
	v_mov_b32_e32 v4, v7
	s_and_b32 s10, s6, -4
	s_mov_b32 s14, 0
	s_mov_b32 s15, s5
	s_set_inst_prefetch_distance 0x1
	.p2align	6
.LBB162_68:                             ;   Parent Loop BB162_65 Depth=1
                                        ; =>  This Inner Loop Header: Depth=2
	v_mov_b32_e32 v5, s15
	s_add_i32 s14, s14, 4
	s_addk_i32 s15, 0x300
	s_cmp_eq_u32 s10, s14
	ds_load_2addr_b64 v[8:11], v4 offset1:24
	ds_load_2addr_b64 v[12:15], v5 offset1:24
	ds_load_2addr_b64 v[16:19], v4 offset0:48 offset1:72
	ds_load_2addr_b64 v[20:23], v5 offset0:48 offset1:72
	v_add_nc_u32_e32 v4, 0x300, v4
	s_waitcnt lgkmcnt(2)
	v_mul_f32_e32 v6, v12, v9
	v_mul_f32_e32 v5, v13, v9
	s_waitcnt lgkmcnt(0)
	v_dual_mul_f32 v9, v15, v11 :: v_dual_mul_f32 v24, v21, v17
	s_delay_alu instid0(VALU_DEP_3) | instskip(SKIP_2) | instid1(VALU_DEP_4)
	v_dual_mul_f32 v11, v14, v11 :: v_dual_fmac_f32 v6, v13, v8
	v_mul_f32_e32 v17, v20, v17
	v_fma_f32 v5, v12, v8, -v5
	v_fma_f32 v9, v14, v10, -v9
	v_mul_f32_e32 v8, v23, v19
	s_delay_alu instid0(VALU_DEP_4)
	v_dual_sub_f32 v2, v2, v6 :: v_dual_fmac_f32 v17, v21, v16
	v_fmac_f32_e32 v11, v15, v10
	v_sub_f32_e32 v1, v1, v5
	v_mul_f32_e32 v5, v22, v19
	v_fma_f32 v6, v20, v16, -v24
	v_fma_f32 v8, v22, v18, -v8
	s_delay_alu instid0(VALU_DEP_4) | instskip(NEXT) | instid1(VALU_DEP_1)
	v_dual_sub_f32 v2, v2, v11 :: v_dual_sub_f32 v1, v1, v9
	v_dual_fmac_f32 v5, v23, v18 :: v_dual_sub_f32 v2, v2, v17
	s_delay_alu instid0(VALU_DEP_1) | instskip(NEXT) | instid1(VALU_DEP_1)
	v_dual_sub_f32 v1, v1, v6 :: v_dual_sub_f32 v2, v2, v5
	v_sub_f32_e32 v1, v1, v8
	s_cbranch_scc0 .LBB162_68
; %bb.69:                               ;   in Loop: Header=BB162_65 Depth=1
	s_set_inst_prefetch_distance 0x2
	s_and_b32 s14, s6, 3
	s_delay_alu instid0(SALU_CYCLE_1)
	s_cmp_eq_u32 s14, 0
	s_cbranch_scc0 .LBB162_71
	s_branch .LBB162_73
.LBB162_70:                             ;   in Loop: Header=BB162_65 Depth=1
	s_mov_b32 s10, 0
	s_and_b32 s14, s6, 3
	s_delay_alu instid0(SALU_CYCLE_1)
	s_cmp_eq_u32 s14, 0
	s_cbranch_scc1 .LBB162_73
.LBB162_71:                             ;   in Loop: Header=BB162_65 Depth=1
	s_and_b32 s14, s9, 3
	s_mulk_i32 s10, 0xc0
	.p2align	6
.LBB162_72:                             ;   Parent Loop BB162_65 Depth=1
                                        ; =>  This Inner Loop Header: Depth=2
	s_delay_alu instid0(SALU_CYCLE_1)
	s_add_i32 s15, s5, s10
	v_add_nc_u32_e32 v4, s10, v7
	v_mov_b32_e32 v6, s15
	s_add_i32 s14, s14, -1
	s_addk_i32 s10, 0xc0
	s_cmp_lg_u32 s14, 0
	ds_load_b64 v[4:5], v4
	ds_load_b64 v[8:9], v6
	s_waitcnt lgkmcnt(0)
	v_mul_f32_e32 v6, v9, v5
	v_mul_f32_e32 v5, v8, v5
	s_delay_alu instid0(VALU_DEP_2) | instskip(NEXT) | instid1(VALU_DEP_2)
	v_fma_f32 v6, v8, v4, -v6
	v_fmac_f32_e32 v5, v9, v4
	s_delay_alu instid0(VALU_DEP_1)
	v_dual_sub_f32 v1, v1, v6 :: v_dual_sub_f32 v2, v2, v5
	s_cbranch_scc1 .LBB162_72
.LBB162_73:                             ;   in Loop: Header=BB162_65 Depth=1
	s_mul_i32 s10, s6, 0xc8
	s_delay_alu instid0(SALU_CYCLE_1)
	v_dual_mov_b32 v3, s10 :: v_dual_add_nc_u32 v8, 0x1200, v3
	ds_load_b64 v[3:4], v3
	s_waitcnt lgkmcnt(0)
	v_cmp_gt_f32_e32 vcc_lo, 0, v3
	v_cndmask_b32_e64 v5, v3, -v3, vcc_lo
	v_cmp_gt_f32_e32 vcc_lo, 0, v4
	v_cndmask_b32_e64 v6, v4, -v4, vcc_lo
	s_delay_alu instid0(VALU_DEP_1)
	v_cmp_ngt_f32_e32 vcc_lo, v5, v6
	s_cbranch_vccz .LBB162_75
; %bb.74:                               ;   in Loop: Header=BB162_65 Depth=1
	v_div_scale_f32 v5, null, v4, v4, v3
	v_div_scale_f32 v10, vcc_lo, v3, v4, v3
	s_delay_alu instid0(VALU_DEP_2) | instskip(SKIP_2) | instid1(VALU_DEP_1)
	v_rcp_f32_e32 v6, v5
	s_waitcnt_depctr 0xfff
	v_fma_f32 v9, -v5, v6, 1.0
	v_fmac_f32_e32 v6, v9, v6
	s_delay_alu instid0(VALU_DEP_1) | instskip(NEXT) | instid1(VALU_DEP_1)
	v_mul_f32_e32 v9, v10, v6
	v_fma_f32 v11, -v5, v9, v10
	s_delay_alu instid0(VALU_DEP_1) | instskip(NEXT) | instid1(VALU_DEP_1)
	v_fmac_f32_e32 v9, v11, v6
	v_fma_f32 v5, -v5, v9, v10
	s_delay_alu instid0(VALU_DEP_1) | instskip(NEXT) | instid1(VALU_DEP_1)
	v_div_fmas_f32 v5, v5, v6, v9
	v_div_fixup_f32 v5, v5, v4, v3
	s_delay_alu instid0(VALU_DEP_1) | instskip(NEXT) | instid1(VALU_DEP_1)
	v_fma_f32 v6, v3, v5, v4
	v_div_scale_f32 v9, null, v6, v6, 1.0
	v_div_scale_f32 v12, vcc_lo, 1.0, v6, 1.0
	s_delay_alu instid0(VALU_DEP_2) | instskip(SKIP_2) | instid1(VALU_DEP_1)
	v_rcp_f32_e32 v10, v9
	s_waitcnt_depctr 0xfff
	v_fma_f32 v11, -v9, v10, 1.0
	v_fmac_f32_e32 v10, v11, v10
	s_delay_alu instid0(VALU_DEP_1) | instskip(NEXT) | instid1(VALU_DEP_1)
	v_mul_f32_e32 v11, v12, v10
	v_fma_f32 v13, -v9, v11, v12
	s_delay_alu instid0(VALU_DEP_1) | instskip(NEXT) | instid1(VALU_DEP_1)
	v_fmac_f32_e32 v11, v13, v10
	v_fma_f32 v9, -v9, v11, v12
	s_delay_alu instid0(VALU_DEP_1) | instskip(SKIP_1) | instid1(VALU_DEP_2)
	v_div_fmas_f32 v9, v9, v10, v11
	v_fma_f32 v10, v1, v5, v2
	v_div_fixup_f32 v6, v9, v6, 1.0
	v_fma_f32 v9, v2, v5, -v1
	s_delay_alu instid0(VALU_DEP_2) | instskip(NEXT) | instid1(VALU_DEP_2)
	v_mul_f32_e32 v5, v10, v6
	v_mul_f32_e32 v6, v9, v6
	s_cbranch_execnz .LBB162_64
	s_branch .LBB162_76
.LBB162_75:                             ;   in Loop: Header=BB162_65 Depth=1
                                        ; implicit-def: $vgpr5
.LBB162_76:                             ;   in Loop: Header=BB162_65 Depth=1
	v_div_scale_f32 v5, null, v3, v3, v4
	v_div_scale_f32 v10, vcc_lo, v4, v3, v4
	s_delay_alu instid0(VALU_DEP_2) | instskip(SKIP_2) | instid1(VALU_DEP_1)
	v_rcp_f32_e32 v6, v5
	s_waitcnt_depctr 0xfff
	v_fma_f32 v9, -v5, v6, 1.0
	v_fmac_f32_e32 v6, v9, v6
	s_delay_alu instid0(VALU_DEP_1) | instskip(NEXT) | instid1(VALU_DEP_1)
	v_mul_f32_e32 v9, v10, v6
	v_fma_f32 v11, -v5, v9, v10
	s_delay_alu instid0(VALU_DEP_1) | instskip(NEXT) | instid1(VALU_DEP_1)
	v_fmac_f32_e32 v9, v11, v6
	v_fma_f32 v5, -v5, v9, v10
	s_delay_alu instid0(VALU_DEP_1) | instskip(NEXT) | instid1(VALU_DEP_1)
	v_div_fmas_f32 v5, v5, v6, v9
	v_div_fixup_f32 v5, v5, v3, v4
	s_delay_alu instid0(VALU_DEP_1) | instskip(NEXT) | instid1(VALU_DEP_1)
	v_fmac_f32_e32 v3, v4, v5
	v_div_scale_f32 v4, null, v3, v3, 1.0
	v_div_scale_f32 v10, vcc_lo, 1.0, v3, 1.0
	s_delay_alu instid0(VALU_DEP_2) | instskip(SKIP_2) | instid1(VALU_DEP_1)
	v_rcp_f32_e32 v6, v4
	s_waitcnt_depctr 0xfff
	v_fma_f32 v9, -v4, v6, 1.0
	v_fmac_f32_e32 v6, v9, v6
	s_delay_alu instid0(VALU_DEP_1) | instskip(NEXT) | instid1(VALU_DEP_1)
	v_mul_f32_e32 v9, v10, v6
	v_fma_f32 v11, -v4, v9, v10
	s_delay_alu instid0(VALU_DEP_1) | instskip(NEXT) | instid1(VALU_DEP_1)
	v_fmac_f32_e32 v9, v11, v6
	v_fma_f32 v4, -v4, v9, v10
	s_delay_alu instid0(VALU_DEP_1) | instskip(SKIP_2) | instid1(VALU_DEP_3)
	v_div_fmas_f32 v4, v4, v6, v9
	v_fma_f32 v6, v2, v5, v1
	v_fma_f32 v1, -v1, v5, v2
	v_div_fixup_f32 v3, v4, v3, 1.0
	s_delay_alu instid0(VALU_DEP_1) | instskip(NEXT) | instid1(VALU_DEP_3)
	v_mul_f32_e32 v5, v6, v3
	v_mul_f32_e32 v6, v1, v3
	s_branch .LBB162_64
.LBB162_77:
	s_mov_b32 s4, 0
.LBB162_78:
	s_delay_alu instid0(SALU_CYCLE_1)
	s_and_b32 vcc_lo, exec_lo, s4
	s_cbranch_vccz .LBB162_110
; %bb.79:
	s_and_not1_b32 vcc_lo, exec_lo, s1
	s_mov_b32 s6, s30
	s_cbranch_vccnz .LBB162_101
; %bb.80:
	v_lshlrev_b32_e32 v1, 3, v0
	s_mul_i32 s4, s11, 0xc0
	s_mov_b32 s5, s30
	s_delay_alu instid0(VALU_DEP_1) | instskip(SKIP_1) | instid1(SALU_CYCLE_1)
	v_add3_u32 v13, s4, v1, 0x1080
	s_mul_i32 s4, s11, 0xc8
	s_addk_i32 s4, 0xfe60
.LBB162_81:                             ; =>This Loop Header: Depth=1
                                        ;     Child Loop BB162_82 Depth 2
	s_mul_i32 s7, s5, 24
	s_mov_b32 s10, s4
	s_sub_i32 s6, s7, 48
	s_sub_i32 s9, s7, 24
	v_add_lshl_u32 v5, s6, v0, 3
	v_add_lshl_u32 v6, s7, v0, 3
	v_add_lshl_u32 v11, s9, v0, 3
	s_cmp_le_i32 s30, s5
	s_mov_b32 s14, s30
	v_dual_mov_b32 v12, v13 :: v_dual_add_nc_u32 v1, 0x1000, v5
	ds_load_b64 v[9:10], v6 offset:4608
	ds_load_b64 v[7:8], v11 offset:4608
	ds_load_2addr_b64 v[1:4], v1 offset0:40 offset1:64
	s_cbranch_scc1 .LBB162_83
.LBB162_82:                             ;   Parent Loop BB162_81 Depth=1
                                        ; =>  This Inner Loop Header: Depth=2
	ds_load_2addr_b64 v[14:17], v12 offset1:24
	v_mov_b32_e32 v30, s10
	s_add_i32 s14, s14, -2
	s_addk_i32 s10, 0xfe80
	s_cmp_le_i32 s14, s5
	ds_load_2addr_b64 v[18:21], v30 offset0:26 offset1:27
	ds_load_2addr_b64 v[22:25], v30 offset0:24 offset1:25
	ds_load_2addr_b64 v[26:29], v30 offset0:2 offset1:3
	ds_load_2addr_b64 v[30:33], v30 offset1:1
	s_waitcnt lgkmcnt(3)
	v_dual_mul_f32 v35, v20, v17 :: v_dual_add_nc_u32 v12, 0xfffffe80, v12
	s_waitcnt lgkmcnt(2)
	v_mul_f32_e32 v37, v25, v17
	s_waitcnt lgkmcnt(1)
	v_dual_mul_f32 v38, v23, v17 :: v_dual_mul_f32 v39, v29, v15
	v_dual_mul_f32 v23, v23, v16 :: v_dual_mul_f32 v40, v28, v15
	;; [unrolled: 1-line block ×3, first 2 shown]
	v_mul_f32_e32 v41, v27, v15
	s_delay_alu instid0(VALU_DEP_3) | instskip(SKIP_3) | instid1(VALU_DEP_3)
	v_dual_fmac_f32 v23, v22, v17 :: v_dual_fmac_f32 v40, v29, v14
	v_fmac_f32_e32 v35, v21, v16
	s_waitcnt lgkmcnt(0)
	v_dual_mul_f32 v27, v27, v14 :: v_dual_mul_f32 v42, v33, v15
	v_dual_sub_f32 v2, v2, v23 :: v_dual_mul_f32 v33, v33, v14
	s_delay_alu instid0(VALU_DEP_3) | instskip(SKIP_1) | instid1(VALU_DEP_2)
	v_dual_sub_f32 v10, v10, v35 :: v_dual_fmac_f32 v25, v24, v17
	v_dual_mul_f32 v34, v21, v17 :: v_dual_mul_f32 v19, v19, v16
	v_dual_fmac_f32 v33, v32, v15 :: v_dual_sub_f32 v10, v10, v40
	s_delay_alu instid0(VALU_DEP_3) | instskip(NEXT) | instid1(VALU_DEP_3)
	v_dual_mul_f32 v43, v31, v15 :: v_dual_sub_f32 v4, v4, v25
	v_fma_f32 v20, v20, v16, -v34
	v_fma_f32 v21, v18, v16, -v36
	s_delay_alu instid0(VALU_DEP_3)
	v_dual_fmac_f32 v27, v26, v15 :: v_dual_sub_f32 v4, v4, v33
	v_fmac_f32_e32 v19, v18, v17
	v_mul_f32_e32 v31, v31, v14
	v_fma_f32 v18, v24, v16, -v37
	v_fma_f32 v16, v22, v16, -v38
	;; [unrolled: 1-line block ×3, first 2 shown]
	v_sub_f32_e32 v8, v8, v19
	v_fma_f32 v22, v26, v14, -v41
	v_fma_f32 v24, v32, v14, -v42
	;; [unrolled: 1-line block ×3, first 2 shown]
	v_fmac_f32_e32 v31, v30, v15
	v_sub_f32_e32 v9, v9, v20
	v_sub_f32_e32 v7, v7, v21
	;; [unrolled: 1-line block ×3, first 2 shown]
	s_delay_alu instid0(VALU_DEP_4) | instskip(NEXT) | instid1(VALU_DEP_4)
	v_dual_sub_f32 v1, v1, v16 :: v_dual_sub_f32 v2, v2, v31
	v_sub_f32_e32 v9, v9, v17
	s_delay_alu instid0(VALU_DEP_4) | instskip(NEXT) | instid1(VALU_DEP_4)
	v_dual_sub_f32 v7, v7, v22 :: v_dual_sub_f32 v8, v8, v27
	v_sub_f32_e32 v3, v3, v24
	s_delay_alu instid0(VALU_DEP_4)
	v_sub_f32_e32 v1, v1, v14
	s_cbranch_scc0 .LBB162_82
.LBB162_83:                             ;   in Loop: Header=BB162_81 Depth=1
	s_mul_i32 s10, s5, 0xc8
	v_add_nc_u32_e32 v16, 0x1200, v11
	v_add_nc_u32_e32 v15, 0x1200, v5
	v_dual_mov_b32 v5, s10 :: v_dual_add_nc_u32 v14, 0x1140, v5
	v_add_nc_u32_e32 v17, 0x1200, v6
	ds_load_b64 v[11:12], v5
	s_waitcnt lgkmcnt(0)
	v_cmp_gt_f32_e32 vcc_lo, 0, v11
	v_cndmask_b32_e64 v5, v11, -v11, vcc_lo
	v_cmp_gt_f32_e32 vcc_lo, 0, v12
	v_cndmask_b32_e64 v6, v12, -v12, vcc_lo
	s_delay_alu instid0(VALU_DEP_1)
	v_cmp_ngt_f32_e32 vcc_lo, v5, v6
	s_cbranch_vccz .LBB162_85
; %bb.84:                               ;   in Loop: Header=BB162_81 Depth=1
	v_div_scale_f32 v5, null, v12, v12, v11
	v_div_scale_f32 v19, vcc_lo, v11, v12, v11
	s_delay_alu instid0(VALU_DEP_2) | instskip(SKIP_2) | instid1(VALU_DEP_1)
	v_rcp_f32_e32 v6, v5
	s_waitcnt_depctr 0xfff
	v_fma_f32 v18, -v5, v6, 1.0
	v_fmac_f32_e32 v6, v18, v6
	s_delay_alu instid0(VALU_DEP_1) | instskip(NEXT) | instid1(VALU_DEP_1)
	v_mul_f32_e32 v18, v19, v6
	v_fma_f32 v20, -v5, v18, v19
	s_delay_alu instid0(VALU_DEP_1) | instskip(NEXT) | instid1(VALU_DEP_1)
	v_fmac_f32_e32 v18, v20, v6
	v_fma_f32 v5, -v5, v18, v19
	s_delay_alu instid0(VALU_DEP_1) | instskip(NEXT) | instid1(VALU_DEP_1)
	v_div_fmas_f32 v5, v5, v6, v18
	v_div_fixup_f32 v5, v5, v12, v11
	s_delay_alu instid0(VALU_DEP_1) | instskip(NEXT) | instid1(VALU_DEP_1)
	v_fma_f32 v6, v11, v5, v12
	v_div_scale_f32 v18, null, v6, v6, 1.0
	v_div_scale_f32 v21, vcc_lo, 1.0, v6, 1.0
	s_delay_alu instid0(VALU_DEP_2) | instskip(SKIP_2) | instid1(VALU_DEP_1)
	v_rcp_f32_e32 v19, v18
	s_waitcnt_depctr 0xfff
	v_fma_f32 v20, -v18, v19, 1.0
	v_fmac_f32_e32 v19, v20, v19
	s_delay_alu instid0(VALU_DEP_1) | instskip(NEXT) | instid1(VALU_DEP_1)
	v_mul_f32_e32 v20, v21, v19
	v_fma_f32 v22, -v18, v20, v21
	s_delay_alu instid0(VALU_DEP_1) | instskip(NEXT) | instid1(VALU_DEP_1)
	v_fmac_f32_e32 v20, v22, v19
	v_fma_f32 v18, -v18, v20, v21
	s_delay_alu instid0(VALU_DEP_1) | instskip(SKIP_1) | instid1(VALU_DEP_2)
	v_div_fmas_f32 v18, v18, v19, v20
	v_fma_f32 v19, v9, v5, v10
	v_div_fixup_f32 v6, v18, v6, 1.0
	v_fma_f32 v18, v10, v5, -v9
	s_delay_alu instid0(VALU_DEP_2) | instskip(NEXT) | instid1(VALU_DEP_2)
	v_mul_f32_e32 v5, v19, v6
	v_mul_f32_e32 v6, v18, v6
	s_cbranch_execz .LBB162_86
	s_branch .LBB162_87
.LBB162_85:                             ;   in Loop: Header=BB162_81 Depth=1
                                        ; implicit-def: $vgpr6
.LBB162_86:                             ;   in Loop: Header=BB162_81 Depth=1
	v_div_scale_f32 v5, null, v11, v11, v12
	v_div_scale_f32 v19, vcc_lo, v12, v11, v12
	s_delay_alu instid0(VALU_DEP_2) | instskip(SKIP_2) | instid1(VALU_DEP_1)
	v_rcp_f32_e32 v6, v5
	s_waitcnt_depctr 0xfff
	v_fma_f32 v18, -v5, v6, 1.0
	v_fmac_f32_e32 v6, v18, v6
	s_delay_alu instid0(VALU_DEP_1) | instskip(NEXT) | instid1(VALU_DEP_1)
	v_mul_f32_e32 v18, v19, v6
	v_fma_f32 v20, -v5, v18, v19
	s_delay_alu instid0(VALU_DEP_1) | instskip(NEXT) | instid1(VALU_DEP_1)
	v_fmac_f32_e32 v18, v20, v6
	v_fma_f32 v5, -v5, v18, v19
	s_delay_alu instid0(VALU_DEP_1) | instskip(NEXT) | instid1(VALU_DEP_1)
	v_div_fmas_f32 v5, v5, v6, v18
	v_div_fixup_f32 v5, v5, v11, v12
	s_delay_alu instid0(VALU_DEP_1) | instskip(NEXT) | instid1(VALU_DEP_1)
	v_fmac_f32_e32 v11, v12, v5
	v_div_scale_f32 v6, null, v11, v11, 1.0
	v_div_scale_f32 v19, vcc_lo, 1.0, v11, 1.0
	s_delay_alu instid0(VALU_DEP_2) | instskip(SKIP_2) | instid1(VALU_DEP_1)
	v_rcp_f32_e32 v12, v6
	s_waitcnt_depctr 0xfff
	v_fma_f32 v18, -v6, v12, 1.0
	v_fmac_f32_e32 v12, v18, v12
	s_delay_alu instid0(VALU_DEP_1) | instskip(NEXT) | instid1(VALU_DEP_1)
	v_mul_f32_e32 v18, v19, v12
	v_fma_f32 v20, -v6, v18, v19
	s_delay_alu instid0(VALU_DEP_1) | instskip(NEXT) | instid1(VALU_DEP_1)
	v_fmac_f32_e32 v18, v20, v12
	v_fma_f32 v6, -v6, v18, v19
	s_delay_alu instid0(VALU_DEP_1) | instskip(SKIP_2) | instid1(VALU_DEP_3)
	v_div_fmas_f32 v6, v6, v12, v18
	v_fma_f32 v12, v10, v5, v9
	v_fma_f32 v9, -v9, v5, v10
	v_div_fixup_f32 v6, v6, v11, 1.0
	s_delay_alu instid0(VALU_DEP_1) | instskip(NEXT) | instid1(VALU_DEP_3)
	v_mul_f32_e32 v5, v12, v6
	v_mul_f32_e32 v6, v9, v6
.LBB162_87:                             ;   in Loop: Header=BB162_81 Depth=1
	s_add_i32 s14, s5, s7
	s_addk_i32 s10, 0xff38
	s_lshl_b32 s14, s14, 3
	v_mov_b32_e32 v10, s10
	s_add_i32 s14, s14, -8
	s_delay_alu instid0(SALU_CYCLE_1)
	v_mov_b32_e32 v9, s14
	ds_load_b64 v[11:12], v9
	ds_load_b64 v[9:10], v10
	ds_store_b64 v17, v[5:6]
	s_waitcnt lgkmcnt(2)
	v_mul_f32_e32 v18, v6, v12
	s_waitcnt lgkmcnt(1)
	v_cmp_gt_f32_e32 vcc_lo, 0, v9
	s_delay_alu instid0(VALU_DEP_2) | instskip(SKIP_4) | instid1(VALU_DEP_2)
	v_fma_f32 v18, v5, v11, -v18
	v_cndmask_b32_e64 v19, v9, -v9, vcc_lo
	v_cmp_gt_f32_e32 vcc_lo, 0, v10
	v_mul_f32_e32 v12, v5, v12
	v_cndmask_b32_e64 v20, v10, -v10, vcc_lo
	v_dual_fmac_f32 v12, v6, v11 :: v_dual_sub_f32 v11, v7, v18
	s_delay_alu instid0(VALU_DEP_2) | instskip(NEXT) | instid1(VALU_DEP_2)
	v_cmp_ngt_f32_e32 vcc_lo, v19, v20
	v_sub_f32_e32 v12, v8, v12
	s_cbranch_vccz .LBB162_89
; %bb.88:                               ;   in Loop: Header=BB162_81 Depth=1
	v_div_scale_f32 v7, null, v10, v10, v9
	v_div_scale_f32 v18, vcc_lo, v9, v10, v9
	s_delay_alu instid0(VALU_DEP_2) | instskip(SKIP_2) | instid1(VALU_DEP_1)
	v_rcp_f32_e32 v8, v7
	s_waitcnt_depctr 0xfff
	v_fma_f32 v17, -v7, v8, 1.0
	v_fmac_f32_e32 v8, v17, v8
	s_delay_alu instid0(VALU_DEP_1) | instskip(NEXT) | instid1(VALU_DEP_1)
	v_mul_f32_e32 v17, v18, v8
	v_fma_f32 v19, -v7, v17, v18
	s_delay_alu instid0(VALU_DEP_1) | instskip(NEXT) | instid1(VALU_DEP_1)
	v_fmac_f32_e32 v17, v19, v8
	v_fma_f32 v7, -v7, v17, v18
	s_delay_alu instid0(VALU_DEP_1) | instskip(NEXT) | instid1(VALU_DEP_1)
	v_div_fmas_f32 v7, v7, v8, v17
	v_div_fixup_f32 v7, v7, v10, v9
	s_delay_alu instid0(VALU_DEP_1) | instskip(NEXT) | instid1(VALU_DEP_1)
	v_fma_f32 v8, v9, v7, v10
	v_div_scale_f32 v17, null, v8, v8, 1.0
	v_div_scale_f32 v20, vcc_lo, 1.0, v8, 1.0
	s_delay_alu instid0(VALU_DEP_2) | instskip(SKIP_2) | instid1(VALU_DEP_1)
	v_rcp_f32_e32 v18, v17
	s_waitcnt_depctr 0xfff
	v_fma_f32 v19, -v17, v18, 1.0
	v_fmac_f32_e32 v18, v19, v18
	s_delay_alu instid0(VALU_DEP_1) | instskip(NEXT) | instid1(VALU_DEP_1)
	v_mul_f32_e32 v19, v20, v18
	v_fma_f32 v21, -v17, v19, v20
	s_delay_alu instid0(VALU_DEP_1) | instskip(NEXT) | instid1(VALU_DEP_1)
	v_fmac_f32_e32 v19, v21, v18
	v_fma_f32 v17, -v17, v19, v20
	s_delay_alu instid0(VALU_DEP_1) | instskip(SKIP_1) | instid1(VALU_DEP_2)
	v_div_fmas_f32 v17, v17, v18, v19
	v_fma_f32 v18, v7, v11, v12
	v_div_fixup_f32 v8, v17, v8, 1.0
	v_fma_f32 v17, v7, v12, -v11
	s_delay_alu instid0(VALU_DEP_2) | instskip(NEXT) | instid1(VALU_DEP_2)
	v_mul_f32_e32 v7, v18, v8
	v_mul_f32_e32 v8, v17, v8
	s_cbranch_execz .LBB162_90
	s_branch .LBB162_91
.LBB162_89:                             ;   in Loop: Header=BB162_81 Depth=1
                                        ; implicit-def: $vgpr8
.LBB162_90:                             ;   in Loop: Header=BB162_81 Depth=1
	v_div_scale_f32 v7, null, v9, v9, v10
	v_div_scale_f32 v18, vcc_lo, v10, v9, v10
	s_delay_alu instid0(VALU_DEP_2) | instskip(SKIP_2) | instid1(VALU_DEP_1)
	v_rcp_f32_e32 v8, v7
	s_waitcnt_depctr 0xfff
	v_fma_f32 v17, -v7, v8, 1.0
	v_fmac_f32_e32 v8, v17, v8
	s_delay_alu instid0(VALU_DEP_1) | instskip(NEXT) | instid1(VALU_DEP_1)
	v_mul_f32_e32 v17, v18, v8
	v_fma_f32 v19, -v7, v17, v18
	s_delay_alu instid0(VALU_DEP_1) | instskip(NEXT) | instid1(VALU_DEP_1)
	v_fmac_f32_e32 v17, v19, v8
	v_fma_f32 v7, -v7, v17, v18
	s_delay_alu instid0(VALU_DEP_1) | instskip(NEXT) | instid1(VALU_DEP_1)
	v_div_fmas_f32 v7, v7, v8, v17
	v_div_fixup_f32 v7, v7, v9, v10
	s_delay_alu instid0(VALU_DEP_1) | instskip(NEXT) | instid1(VALU_DEP_1)
	v_fmac_f32_e32 v9, v10, v7
	v_div_scale_f32 v8, null, v9, v9, 1.0
	v_div_scale_f32 v18, vcc_lo, 1.0, v9, 1.0
	s_delay_alu instid0(VALU_DEP_2) | instskip(SKIP_2) | instid1(VALU_DEP_1)
	v_rcp_f32_e32 v10, v8
	s_waitcnt_depctr 0xfff
	v_fma_f32 v17, -v8, v10, 1.0
	v_fmac_f32_e32 v10, v17, v10
	s_delay_alu instid0(VALU_DEP_1) | instskip(NEXT) | instid1(VALU_DEP_1)
	v_mul_f32_e32 v17, v18, v10
	v_fma_f32 v19, -v8, v17, v18
	s_delay_alu instid0(VALU_DEP_1) | instskip(NEXT) | instid1(VALU_DEP_1)
	v_fmac_f32_e32 v17, v19, v10
	v_fma_f32 v8, -v8, v17, v18
	s_delay_alu instid0(VALU_DEP_1) | instskip(SKIP_1) | instid1(VALU_DEP_2)
	v_div_fmas_f32 v8, v8, v10, v17
	v_fma_f32 v10, v7, v12, v11
	v_div_fixup_f32 v8, v8, v9, 1.0
	v_fma_f32 v9, -v7, v11, v12
	s_delay_alu instid0(VALU_DEP_2) | instskip(NEXT) | instid1(VALU_DEP_2)
	v_mul_f32_e32 v7, v10, v8
	v_mul_f32_e32 v8, v9, v8
.LBB162_91:                             ;   in Loop: Header=BB162_81 Depth=1
	s_add_i32 s14, s5, -2
	s_addk_i32 s10, 0xff38
	s_add_i32 s15, s7, s14
	s_add_i32 s14, s9, s14
	s_lshl_b32 s15, s15, 3
	s_lshl_b32 s14, s14, 3
	s_delay_alu instid0(SALU_CYCLE_1)
	v_dual_mov_b32 v9, s15 :: v_dual_mov_b32 v10, s14
	v_mov_b32_e32 v19, s10
	ds_load_b64 v[11:12], v9
	ds_load_b64 v[17:18], v10
	;; [unrolled: 1-line block ×3, first 2 shown]
	ds_store_b64 v16, v[7:8]
	s_waitcnt lgkmcnt(2)
	v_dual_mul_f32 v19, v6, v12 :: v_dual_mul_f32 v20, v8, v18
	s_waitcnt lgkmcnt(1)
	v_cmp_gt_f32_e32 vcc_lo, 0, v9
	v_mul_f32_e32 v12, v5, v12
	v_mul_f32_e32 v18, v7, v18
	v_fma_f32 v19, v5, v11, -v19
	v_fma_f32 v20, v7, v17, -v20
	v_cndmask_b32_e64 v21, v9, -v9, vcc_lo
	v_cmp_gt_f32_e32 vcc_lo, 0, v10
	s_delay_alu instid0(VALU_DEP_4) | instskip(SKIP_2) | instid1(VALU_DEP_3)
	v_dual_fmac_f32 v18, v8, v17 :: v_dual_sub_f32 v3, v3, v19
	v_fmac_f32_e32 v12, v6, v11
	v_cndmask_b32_e64 v11, v10, -v10, vcc_lo
	v_sub_f32_e32 v3, v3, v20
	s_delay_alu instid0(VALU_DEP_3) | instskip(NEXT) | instid1(VALU_DEP_3)
	v_sub_f32_e32 v4, v4, v12
	v_cmp_ngt_f32_e32 vcc_lo, v21, v11
	s_delay_alu instid0(VALU_DEP_2)
	v_sub_f32_e32 v4, v4, v18
	s_cbranch_vccz .LBB162_93
; %bb.92:                               ;   in Loop: Header=BB162_81 Depth=1
	v_div_scale_f32 v11, null, v10, v10, v9
	v_div_scale_f32 v17, vcc_lo, v9, v10, v9
	s_delay_alu instid0(VALU_DEP_2) | instskip(SKIP_2) | instid1(VALU_DEP_1)
	v_rcp_f32_e32 v12, v11
	s_waitcnt_depctr 0xfff
	v_fma_f32 v16, -v11, v12, 1.0
	v_fmac_f32_e32 v12, v16, v12
	s_delay_alu instid0(VALU_DEP_1) | instskip(NEXT) | instid1(VALU_DEP_1)
	v_mul_f32_e32 v16, v17, v12
	v_fma_f32 v18, -v11, v16, v17
	s_delay_alu instid0(VALU_DEP_1) | instskip(NEXT) | instid1(VALU_DEP_1)
	v_fmac_f32_e32 v16, v18, v12
	v_fma_f32 v11, -v11, v16, v17
	s_delay_alu instid0(VALU_DEP_1) | instskip(NEXT) | instid1(VALU_DEP_1)
	v_div_fmas_f32 v11, v11, v12, v16
	v_div_fixup_f32 v11, v11, v10, v9
	s_delay_alu instid0(VALU_DEP_1) | instskip(NEXT) | instid1(VALU_DEP_1)
	v_fma_f32 v12, v9, v11, v10
	v_div_scale_f32 v16, null, v12, v12, 1.0
	v_div_scale_f32 v19, vcc_lo, 1.0, v12, 1.0
	s_delay_alu instid0(VALU_DEP_2) | instskip(SKIP_2) | instid1(VALU_DEP_1)
	v_rcp_f32_e32 v17, v16
	s_waitcnt_depctr 0xfff
	v_fma_f32 v18, -v16, v17, 1.0
	v_fmac_f32_e32 v17, v18, v17
	s_delay_alu instid0(VALU_DEP_1) | instskip(NEXT) | instid1(VALU_DEP_1)
	v_mul_f32_e32 v18, v19, v17
	v_fma_f32 v20, -v16, v18, v19
	s_delay_alu instid0(VALU_DEP_1) | instskip(NEXT) | instid1(VALU_DEP_1)
	v_fmac_f32_e32 v18, v20, v17
	v_fma_f32 v16, -v16, v18, v19
	s_delay_alu instid0(VALU_DEP_1) | instskip(SKIP_1) | instid1(VALU_DEP_2)
	v_div_fmas_f32 v16, v16, v17, v18
	v_fma_f32 v17, v11, v3, v4
	v_div_fixup_f32 v12, v16, v12, 1.0
	v_fma_f32 v16, v11, v4, -v3
	s_delay_alu instid0(VALU_DEP_2) | instskip(NEXT) | instid1(VALU_DEP_2)
	v_mul_f32_e32 v11, v17, v12
	v_mul_f32_e32 v12, v16, v12
	s_cbranch_execz .LBB162_94
	s_branch .LBB162_95
.LBB162_93:                             ;   in Loop: Header=BB162_81 Depth=1
                                        ; implicit-def: $vgpr12
.LBB162_94:                             ;   in Loop: Header=BB162_81 Depth=1
	v_div_scale_f32 v11, null, v9, v9, v10
	v_div_scale_f32 v17, vcc_lo, v10, v9, v10
	s_delay_alu instid0(VALU_DEP_2) | instskip(SKIP_2) | instid1(VALU_DEP_1)
	v_rcp_f32_e32 v12, v11
	s_waitcnt_depctr 0xfff
	v_fma_f32 v16, -v11, v12, 1.0
	v_fmac_f32_e32 v12, v16, v12
	s_delay_alu instid0(VALU_DEP_1) | instskip(NEXT) | instid1(VALU_DEP_1)
	v_mul_f32_e32 v16, v17, v12
	v_fma_f32 v18, -v11, v16, v17
	s_delay_alu instid0(VALU_DEP_1) | instskip(NEXT) | instid1(VALU_DEP_1)
	v_fmac_f32_e32 v16, v18, v12
	v_fma_f32 v11, -v11, v16, v17
	s_delay_alu instid0(VALU_DEP_1) | instskip(NEXT) | instid1(VALU_DEP_1)
	v_div_fmas_f32 v11, v11, v12, v16
	v_div_fixup_f32 v11, v11, v9, v10
	s_delay_alu instid0(VALU_DEP_1) | instskip(NEXT) | instid1(VALU_DEP_1)
	v_fmac_f32_e32 v9, v10, v11
	v_div_scale_f32 v10, null, v9, v9, 1.0
	v_div_scale_f32 v17, vcc_lo, 1.0, v9, 1.0
	s_delay_alu instid0(VALU_DEP_2) | instskip(SKIP_2) | instid1(VALU_DEP_1)
	v_rcp_f32_e32 v12, v10
	s_waitcnt_depctr 0xfff
	v_fma_f32 v16, -v10, v12, 1.0
	v_fmac_f32_e32 v12, v16, v12
	s_delay_alu instid0(VALU_DEP_1) | instskip(NEXT) | instid1(VALU_DEP_1)
	v_mul_f32_e32 v16, v17, v12
	v_fma_f32 v18, -v10, v16, v17
	s_delay_alu instid0(VALU_DEP_1) | instskip(NEXT) | instid1(VALU_DEP_1)
	v_fmac_f32_e32 v16, v18, v12
	v_fma_f32 v10, -v10, v16, v17
	s_delay_alu instid0(VALU_DEP_1) | instskip(SKIP_2) | instid1(VALU_DEP_3)
	v_div_fmas_f32 v10, v10, v12, v16
	v_fma_f32 v12, v11, v4, v3
	v_fma_f32 v3, -v11, v3, v4
	v_div_fixup_f32 v9, v10, v9, 1.0
	s_delay_alu instid0(VALU_DEP_1) | instskip(NEXT) | instid1(VALU_DEP_3)
	v_mul_f32_e32 v11, v12, v9
	v_mul_f32_e32 v12, v3, v9
.LBB162_95:                             ;   in Loop: Header=BB162_81 Depth=1
	s_add_i32 s14, s5, -3
	s_delay_alu instid0(SALU_CYCLE_1) | instskip(SKIP_3) | instid1(SALU_CYCLE_1)
	s_add_i32 s7, s7, s14
	s_add_i32 s9, s9, s14
	s_lshl_b32 s7, s7, 3
	s_lshl_b32 s9, s9, 3
	v_dual_mov_b32 v3, s7 :: v_dual_mov_b32 v4, s9
	s_add_i32 s6, s6, s14
	s_delay_alu instid0(SALU_CYCLE_1) | instskip(SKIP_4) | instid1(SALU_CYCLE_1)
	s_lshl_b32 s6, s6, 3
	ds_load_b64 v[9:10], v3
	ds_load_b64 v[16:17], v4
	v_mov_b32_e32 v18, s6
	s_add_i32 s6, s10, 0xffffff38
	v_mov_b32_e32 v3, s6
	ds_load_b64 v[18:19], v18
	ds_load_b64 v[3:4], v3
	ds_store_b64 v15, v[11:12]
	s_waitcnt lgkmcnt(3)
	v_dual_mul_f32 v20, v6, v10 :: v_dual_mul_f32 v21, v8, v17
	v_dual_mul_f32 v10, v5, v10 :: v_dual_mul_f32 v17, v7, v17
	s_delay_alu instid0(VALU_DEP_2) | instskip(NEXT) | instid1(VALU_DEP_3)
	v_fma_f32 v5, v5, v9, -v20
	v_fma_f32 v7, v7, v16, -v21
	s_delay_alu instid0(VALU_DEP_3)
	v_fmac_f32_e32 v10, v6, v9
	s_waitcnt lgkmcnt(2)
	v_mul_f32_e32 v22, v12, v19
	s_waitcnt lgkmcnt(1)
	v_cmp_gt_f32_e32 vcc_lo, 0, v3
	v_sub_f32_e32 v1, v1, v5
	v_mul_f32_e32 v19, v11, v19
	v_dual_fmac_f32 v17, v8, v16 :: v_dual_sub_f32 v2, v2, v10
	v_cndmask_b32_e64 v6, v3, -v3, vcc_lo
	v_cmp_gt_f32_e32 vcc_lo, 0, v4
	v_fma_f32 v8, v11, v18, -v22
	s_delay_alu instid0(VALU_DEP_4) | instskip(SKIP_2) | instid1(VALU_DEP_1)
	v_dual_fmac_f32 v19, v12, v18 :: v_dual_sub_f32 v2, v2, v17
	v_sub_f32_e32 v1, v1, v7
	v_cndmask_b32_e64 v5, v4, -v4, vcc_lo
	v_cmp_ngt_f32_e32 vcc_lo, v6, v5
	s_delay_alu instid0(VALU_DEP_3)
	v_dual_sub_f32 v5, v1, v8 :: v_dual_sub_f32 v6, v2, v19
	s_cbranch_vccz .LBB162_97
; %bb.96:                               ;   in Loop: Header=BB162_81 Depth=1
	v_div_scale_f32 v1, null, v4, v4, v3
	v_div_scale_f32 v8, vcc_lo, v3, v4, v3
	s_delay_alu instid0(VALU_DEP_2) | instskip(SKIP_2) | instid1(VALU_DEP_1)
	v_rcp_f32_e32 v2, v1
	s_waitcnt_depctr 0xfff
	v_fma_f32 v7, -v1, v2, 1.0
	v_fmac_f32_e32 v2, v7, v2
	s_delay_alu instid0(VALU_DEP_1) | instskip(NEXT) | instid1(VALU_DEP_1)
	v_mul_f32_e32 v7, v8, v2
	v_fma_f32 v9, -v1, v7, v8
	s_delay_alu instid0(VALU_DEP_1) | instskip(NEXT) | instid1(VALU_DEP_1)
	v_fmac_f32_e32 v7, v9, v2
	v_fma_f32 v1, -v1, v7, v8
	s_delay_alu instid0(VALU_DEP_1) | instskip(NEXT) | instid1(VALU_DEP_1)
	v_div_fmas_f32 v1, v1, v2, v7
	v_div_fixup_f32 v1, v1, v4, v3
	s_delay_alu instid0(VALU_DEP_1) | instskip(NEXT) | instid1(VALU_DEP_1)
	v_fma_f32 v2, v3, v1, v4
	v_div_scale_f32 v7, null, v2, v2, 1.0
	v_div_scale_f32 v10, vcc_lo, 1.0, v2, 1.0
	s_delay_alu instid0(VALU_DEP_2) | instskip(SKIP_2) | instid1(VALU_DEP_1)
	v_rcp_f32_e32 v8, v7
	s_waitcnt_depctr 0xfff
	v_fma_f32 v9, -v7, v8, 1.0
	v_fmac_f32_e32 v8, v9, v8
	s_delay_alu instid0(VALU_DEP_1) | instskip(NEXT) | instid1(VALU_DEP_1)
	v_mul_f32_e32 v9, v10, v8
	v_fma_f32 v11, -v7, v9, v10
	s_delay_alu instid0(VALU_DEP_1) | instskip(NEXT) | instid1(VALU_DEP_1)
	v_fmac_f32_e32 v9, v11, v8
	v_fma_f32 v7, -v7, v9, v10
	s_delay_alu instid0(VALU_DEP_1) | instskip(SKIP_1) | instid1(VALU_DEP_2)
	v_div_fmas_f32 v7, v7, v8, v9
	v_fma_f32 v8, v1, v5, v6
	v_div_fixup_f32 v2, v7, v2, 1.0
	v_fma_f32 v7, v1, v6, -v5
	s_delay_alu instid0(VALU_DEP_2) | instskip(NEXT) | instid1(VALU_DEP_2)
	v_mul_f32_e32 v1, v8, v2
	v_mul_f32_e32 v2, v7, v2
	s_cbranch_execz .LBB162_98
	s_branch .LBB162_99
.LBB162_97:                             ;   in Loop: Header=BB162_81 Depth=1
                                        ; implicit-def: $vgpr2
.LBB162_98:                             ;   in Loop: Header=BB162_81 Depth=1
	v_div_scale_f32 v1, null, v3, v3, v4
	v_div_scale_f32 v8, vcc_lo, v4, v3, v4
	s_delay_alu instid0(VALU_DEP_2) | instskip(SKIP_2) | instid1(VALU_DEP_1)
	v_rcp_f32_e32 v2, v1
	s_waitcnt_depctr 0xfff
	v_fma_f32 v7, -v1, v2, 1.0
	v_fmac_f32_e32 v2, v7, v2
	s_delay_alu instid0(VALU_DEP_1) | instskip(NEXT) | instid1(VALU_DEP_1)
	v_mul_f32_e32 v7, v8, v2
	v_fma_f32 v9, -v1, v7, v8
	s_delay_alu instid0(VALU_DEP_1) | instskip(NEXT) | instid1(VALU_DEP_1)
	v_fmac_f32_e32 v7, v9, v2
	v_fma_f32 v1, -v1, v7, v8
	s_delay_alu instid0(VALU_DEP_1) | instskip(NEXT) | instid1(VALU_DEP_1)
	v_div_fmas_f32 v1, v1, v2, v7
	v_div_fixup_f32 v1, v1, v3, v4
	s_delay_alu instid0(VALU_DEP_1) | instskip(NEXT) | instid1(VALU_DEP_1)
	v_fmac_f32_e32 v3, v4, v1
	v_div_scale_f32 v2, null, v3, v3, 1.0
	v_div_scale_f32 v8, vcc_lo, 1.0, v3, 1.0
	s_delay_alu instid0(VALU_DEP_2) | instskip(SKIP_2) | instid1(VALU_DEP_1)
	v_rcp_f32_e32 v4, v2
	s_waitcnt_depctr 0xfff
	v_fma_f32 v7, -v2, v4, 1.0
	v_fmac_f32_e32 v4, v7, v4
	s_delay_alu instid0(VALU_DEP_1) | instskip(NEXT) | instid1(VALU_DEP_1)
	v_mul_f32_e32 v7, v8, v4
	v_fma_f32 v9, -v2, v7, v8
	s_delay_alu instid0(VALU_DEP_1) | instskip(NEXT) | instid1(VALU_DEP_1)
	v_fmac_f32_e32 v7, v9, v4
	v_fma_f32 v2, -v2, v7, v8
	s_delay_alu instid0(VALU_DEP_1) | instskip(SKIP_1) | instid1(VALU_DEP_2)
	v_div_fmas_f32 v2, v2, v4, v7
	v_fma_f32 v4, v1, v6, v5
	v_div_fixup_f32 v2, v2, v3, 1.0
	v_fma_f32 v3, -v1, v5, v6
	s_delay_alu instid0(VALU_DEP_2) | instskip(NEXT) | instid1(VALU_DEP_2)
	v_mul_f32_e32 v1, v4, v2
	v_mul_f32_e32 v2, v3, v2
.LBB162_99:                             ;   in Loop: Header=BB162_81 Depth=1
	s_add_i32 s6, s5, -4
	s_sub_i32 s4, s4, 32
	s_cmp_lt_i32 s5, 7
	ds_store_b64 v14, v[1:2]
	s_cbranch_scc1 .LBB162_101
; %bb.100:                              ;   in Loop: Header=BB162_81 Depth=1
	s_mov_b32 s5, s6
	s_branch .LBB162_81
.LBB162_101:
	s_cmp_lt_i32 s6, 0
	s_cbranch_scc1 .LBB162_110
; %bb.102:
	v_lshlrev_b32_e32 v1, 3, v0
	s_mul_i32 s4, s11, 0xc0
	s_lshl_b32 s5, s6, 3
	s_delay_alu instid0(VALU_DEP_1) | instskip(SKIP_1) | instid1(SALU_CYCLE_1)
	v_add3_u32 v7, s4, v1, 0x1140
	s_add_i32 s4, s4, s5
	s_addk_i32 s4, 0xff40
	s_branch .LBB162_104
.LBB162_103:                            ;   in Loop: Header=BB162_104 Depth=1
	s_add_i32 s5, s6, -1
	s_add_i32 s4, s4, -8
	s_cmp_lt_i32 s6, 1
	s_mov_b32 s6, s5
	ds_store_b64 v8, v[5:6]
	s_cbranch_scc1 .LBB162_110
.LBB162_104:                            ; =>This Loop Header: Depth=1
                                        ;     Child Loop BB162_105 Depth 2
	s_mul_i32 s5, s6, 24
	v_mov_b32_e32 v4, v7
	v_add_lshl_u32 v3, s5, v0, 3
	s_cmp_le_i32 s30, s6
	s_mov_b32 s5, s4
	s_mov_b32 s7, s30
	ds_load_b64 v[1:2], v3 offset:4608
	s_cbranch_scc1 .LBB162_106
	.p2align	6
.LBB162_105:                            ;   Parent Loop BB162_104 Depth=1
                                        ; =>  This Inner Loop Header: Depth=2
	v_mov_b32_e32 v8, s5
	s_add_i32 s7, s7, -1
	s_addk_i32 s5, 0xff40
	s_cmp_le_i32 s7, s6
	ds_load_b64 v[5:6], v4
	ds_load_b64 v[8:9], v8
	v_add_nc_u32_e32 v4, 0xffffff40, v4
	s_waitcnt lgkmcnt(0)
	v_mul_f32_e32 v10, v9, v6
	v_mul_f32_e32 v6, v8, v6
	s_delay_alu instid0(VALU_DEP_2) | instskip(NEXT) | instid1(VALU_DEP_1)
	v_fma_f32 v8, v8, v5, -v10
	v_sub_f32_e32 v1, v1, v8
	s_delay_alu instid0(VALU_DEP_3) | instskip(NEXT) | instid1(VALU_DEP_1)
	v_fmac_f32_e32 v6, v9, v5
	v_sub_f32_e32 v2, v2, v6
	s_cbranch_scc0 .LBB162_105
.LBB162_106:                            ;   in Loop: Header=BB162_104 Depth=1
	s_mul_i32 s5, s6, 0xc8
	s_delay_alu instid0(SALU_CYCLE_1)
	v_dual_mov_b32 v3, s5 :: v_dual_add_nc_u32 v8, 0x1200, v3
	ds_load_b64 v[3:4], v3
	s_waitcnt lgkmcnt(0)
	v_cmp_gt_f32_e32 vcc_lo, 0, v3
	v_cndmask_b32_e64 v5, v3, -v3, vcc_lo
	v_cmp_gt_f32_e32 vcc_lo, 0, v4
	v_cndmask_b32_e64 v6, v4, -v4, vcc_lo
	s_delay_alu instid0(VALU_DEP_1)
	v_cmp_ngt_f32_e32 vcc_lo, v5, v6
	s_cbranch_vccz .LBB162_108
; %bb.107:                              ;   in Loop: Header=BB162_104 Depth=1
	v_div_scale_f32 v5, null, v4, v4, v3
	v_div_scale_f32 v10, vcc_lo, v3, v4, v3
	s_delay_alu instid0(VALU_DEP_2) | instskip(SKIP_2) | instid1(VALU_DEP_1)
	v_rcp_f32_e32 v6, v5
	s_waitcnt_depctr 0xfff
	v_fma_f32 v9, -v5, v6, 1.0
	v_fmac_f32_e32 v6, v9, v6
	s_delay_alu instid0(VALU_DEP_1) | instskip(NEXT) | instid1(VALU_DEP_1)
	v_mul_f32_e32 v9, v10, v6
	v_fma_f32 v11, -v5, v9, v10
	s_delay_alu instid0(VALU_DEP_1) | instskip(NEXT) | instid1(VALU_DEP_1)
	v_fmac_f32_e32 v9, v11, v6
	v_fma_f32 v5, -v5, v9, v10
	s_delay_alu instid0(VALU_DEP_1) | instskip(NEXT) | instid1(VALU_DEP_1)
	v_div_fmas_f32 v5, v5, v6, v9
	v_div_fixup_f32 v5, v5, v4, v3
	s_delay_alu instid0(VALU_DEP_1) | instskip(NEXT) | instid1(VALU_DEP_1)
	v_fma_f32 v6, v3, v5, v4
	v_div_scale_f32 v9, null, v6, v6, 1.0
	v_div_scale_f32 v12, vcc_lo, 1.0, v6, 1.0
	s_delay_alu instid0(VALU_DEP_2) | instskip(SKIP_2) | instid1(VALU_DEP_1)
	v_rcp_f32_e32 v10, v9
	s_waitcnt_depctr 0xfff
	v_fma_f32 v11, -v9, v10, 1.0
	v_fmac_f32_e32 v10, v11, v10
	s_delay_alu instid0(VALU_DEP_1) | instskip(NEXT) | instid1(VALU_DEP_1)
	v_mul_f32_e32 v11, v12, v10
	v_fma_f32 v13, -v9, v11, v12
	s_delay_alu instid0(VALU_DEP_1) | instskip(NEXT) | instid1(VALU_DEP_1)
	v_fmac_f32_e32 v11, v13, v10
	v_fma_f32 v9, -v9, v11, v12
	s_delay_alu instid0(VALU_DEP_1) | instskip(SKIP_1) | instid1(VALU_DEP_2)
	v_div_fmas_f32 v9, v9, v10, v11
	v_fma_f32 v10, v1, v5, v2
	v_div_fixup_f32 v6, v9, v6, 1.0
	v_fma_f32 v9, v2, v5, -v1
	s_delay_alu instid0(VALU_DEP_2) | instskip(NEXT) | instid1(VALU_DEP_2)
	v_mul_f32_e32 v5, v10, v6
	v_mul_f32_e32 v6, v9, v6
	s_cbranch_execnz .LBB162_103
	s_branch .LBB162_109
.LBB162_108:                            ;   in Loop: Header=BB162_104 Depth=1
                                        ; implicit-def: $vgpr5
.LBB162_109:                            ;   in Loop: Header=BB162_104 Depth=1
	v_div_scale_f32 v5, null, v3, v3, v4
	v_div_scale_f32 v10, vcc_lo, v4, v3, v4
	s_delay_alu instid0(VALU_DEP_2) | instskip(SKIP_2) | instid1(VALU_DEP_1)
	v_rcp_f32_e32 v6, v5
	s_waitcnt_depctr 0xfff
	v_fma_f32 v9, -v5, v6, 1.0
	v_fmac_f32_e32 v6, v9, v6
	s_delay_alu instid0(VALU_DEP_1) | instskip(NEXT) | instid1(VALU_DEP_1)
	v_mul_f32_e32 v9, v10, v6
	v_fma_f32 v11, -v5, v9, v10
	s_delay_alu instid0(VALU_DEP_1) | instskip(NEXT) | instid1(VALU_DEP_1)
	v_fmac_f32_e32 v9, v11, v6
	v_fma_f32 v5, -v5, v9, v10
	s_delay_alu instid0(VALU_DEP_1) | instskip(NEXT) | instid1(VALU_DEP_1)
	v_div_fmas_f32 v5, v5, v6, v9
	v_div_fixup_f32 v5, v5, v3, v4
	s_delay_alu instid0(VALU_DEP_1) | instskip(NEXT) | instid1(VALU_DEP_1)
	v_fmac_f32_e32 v3, v4, v5
	v_div_scale_f32 v4, null, v3, v3, 1.0
	v_div_scale_f32 v10, vcc_lo, 1.0, v3, 1.0
	s_delay_alu instid0(VALU_DEP_2) | instskip(SKIP_2) | instid1(VALU_DEP_1)
	v_rcp_f32_e32 v6, v4
	s_waitcnt_depctr 0xfff
	v_fma_f32 v9, -v4, v6, 1.0
	v_fmac_f32_e32 v6, v9, v6
	s_delay_alu instid0(VALU_DEP_1) | instskip(NEXT) | instid1(VALU_DEP_1)
	v_mul_f32_e32 v9, v10, v6
	v_fma_f32 v11, -v4, v9, v10
	s_delay_alu instid0(VALU_DEP_1) | instskip(NEXT) | instid1(VALU_DEP_1)
	v_fmac_f32_e32 v9, v11, v6
	v_fma_f32 v4, -v4, v9, v10
	s_delay_alu instid0(VALU_DEP_1) | instskip(SKIP_2) | instid1(VALU_DEP_3)
	v_div_fmas_f32 v4, v4, v6, v9
	v_fma_f32 v6, v2, v5, v1
	v_fma_f32 v1, -v1, v5, v2
	v_div_fixup_f32 v3, v4, v3, 1.0
	s_delay_alu instid0(VALU_DEP_1) | instskip(NEXT) | instid1(VALU_DEP_3)
	v_mul_f32_e32 v5, v6, v3
	v_mul_f32_e32 v6, v1, v3
	s_branch .LBB162_103
.LBB162_110:
	s_mov_b32 s4, 0
.LBB162_111:
	s_delay_alu instid0(SALU_CYCLE_1)
	s_and_not1_b32 vcc_lo, exec_lo, s4
	s_cbranch_vccnz .LBB162_143
; %bb.112:
	s_and_not1_b32 vcc_lo, exec_lo, s1
	s_mul_i32 s1, s11, 0xc0
	s_mov_b32 s6, s30
	s_cbranch_vccnz .LBB162_134
; %bb.113:
	v_lshlrev_b32_e32 v1, 3, v0
	s_mul_i32 s4, s11, 0xc8
	s_mov_b32 s5, s30
	s_addk_i32 s4, 0xfcf0
	s_delay_alu instid0(VALU_DEP_1)
	v_add3_u32 v13, s1, v1, 0x1080
.LBB162_114:                            ; =>This Loop Header: Depth=1
                                        ;     Child Loop BB162_115 Depth 2
	s_mul_i32 s6, s5, 24
	s_delay_alu instid0(VALU_DEP_1)
	v_mov_b32_e32 v14, v13
	s_sub_i32 s9, s6, 24
	v_add_lshl_u32 v3, s6, v0, 3
	s_sub_i32 s7, s6, 48
	v_add_lshl_u32 v4, s9, v0, 3
	s_addk_i32 s6, 0xffb8
	v_add_lshl_u32 v9, s7, v0, 3
	v_add_lshl_u32 v10, s6, v0, 3
	ds_load_b64 v[1:2], v3 offset:4608
	ds_load_b64 v[11:12], v4 offset:4608
	ds_load_b64 v[7:8], v9 offset:4608
	ds_load_b64 v[5:6], v10 offset:4608
	s_cmp_le_i32 s30, s5
	s_mov_b32 s9, s4
	s_mov_b32 s10, s30
	s_cbranch_scc1 .LBB162_116
.LBB162_115:                            ;   Parent Loop BB162_114 Depth=1
                                        ; =>  This Inner Loop Header: Depth=2
	v_mov_b32_e32 v31, s9
	ds_load_2addr_b64 v[15:18], v14 offset1:24
	v_add_nc_u32_e32 v14, 0xfffffe80, v14
	s_add_i32 s10, s10, -2
	s_add_i32 s9, s9, -16
	ds_load_2addr_b64 v[19:22], v31 offset0:72 offset1:73
	ds_load_2addr_b64 v[23:26], v31 offset0:48 offset1:49
	;; [unrolled: 1-line block ×3, first 2 shown]
	ds_load_2addr_b64 v[31:34], v31 offset1:1
	s_cmp_le_i32 s10, s5
	s_waitcnt lgkmcnt(3)
	v_dual_mul_f32 v35, v22, v18 :: v_dual_mul_f32 v40, v20, v16
	v_dual_mul_f32 v36, v21, v18 :: v_dual_mul_f32 v41, v19, v16
	s_waitcnt lgkmcnt(2)
	v_dual_mul_f32 v37, v26, v18 :: v_dual_mul_f32 v42, v24, v16
	s_waitcnt lgkmcnt(1)
	v_dual_mul_f32 v26, v26, v17 :: v_dual_mul_f32 v43, v28, v16
	v_dual_mul_f32 v38, v30, v18 :: v_dual_fmac_f32 v41, v20, v15
	v_fma_f32 v21, v21, v17, -v35
	s_waitcnt lgkmcnt(0)
	v_dual_mul_f32 v39, v34, v18 :: v_dual_mul_f32 v24, v24, v15
	v_mul_f32_e32 v28, v28, v15
	v_fmac_f32_e32 v36, v22, v17
	v_fma_f32 v22, v25, v17, -v37
	v_mul_f32_e32 v30, v30, v17
	v_fma_f32 v20, v27, v15, -v43
	v_fmac_f32_e32 v26, v25, v18
	v_fma_f32 v25, v29, v17, -v38
	v_sub_f32_e32 v1, v1, v21
	v_mul_f32_e32 v34, v34, v17
	v_mul_f32_e32 v44, v32, v16
	v_fma_f32 v17, v33, v17, -v39
	v_dual_sub_f32 v7, v7, v25 :: v_dual_mul_f32 v32, v32, v15
	s_delay_alu instid0(VALU_DEP_4) | instskip(SKIP_1) | instid1(VALU_DEP_4)
	v_fmac_f32_e32 v34, v33, v18
	v_sub_f32_e32 v11, v11, v22
	v_sub_f32_e32 v5, v5, v17
	v_fmac_f32_e32 v30, v29, v18
	v_fma_f32 v18, v19, v15, -v40
	v_fma_f32 v19, v23, v15, -v42
	v_fmac_f32_e32 v28, v27, v16
	v_fma_f32 v15, v31, v15, -v44
	v_fmac_f32_e32 v24, v23, v16
	v_fmac_f32_e32 v32, v31, v16
	v_sub_f32_e32 v8, v8, v30
	s_delay_alu instid0(VALU_DEP_4) | instskip(SKIP_2) | instid1(VALU_DEP_4)
	v_dual_sub_f32 v6, v6, v34 :: v_dual_sub_f32 v5, v5, v15
	v_dual_sub_f32 v11, v11, v19 :: v_dual_sub_f32 v2, v2, v36
	v_dual_sub_f32 v7, v7, v20 :: v_dual_sub_f32 v12, v12, v26
	v_dual_sub_f32 v1, v1, v18 :: v_dual_sub_f32 v8, v8, v28
	s_delay_alu instid0(VALU_DEP_3) | instskip(SKIP_1) | instid1(VALU_DEP_4)
	v_sub_f32_e32 v2, v2, v41
	v_sub_f32_e32 v6, v6, v32
	;; [unrolled: 1-line block ×3, first 2 shown]
	s_cbranch_scc0 .LBB162_115
.LBB162_116:                            ;   in Loop: Header=BB162_114 Depth=1
	s_mul_i32 s9, s5, 0xc8
	v_add_nc_u32_e32 v17, 0x1200, v3
	v_dual_mov_b32 v3, s9 :: v_dual_add_nc_u32 v16, 0x1200, v4
	v_add_nc_u32_e32 v15, 0x1200, v9
	v_add_nc_u32_e32 v14, 0x1200, v10
	ds_load_b64 v[3:4], v3
	s_waitcnt lgkmcnt(0)
	v_cmp_gt_f32_e32 vcc_lo, 0, v3
	v_cndmask_b32_e64 v9, v3, -v3, vcc_lo
	v_cmp_gt_f32_e32 vcc_lo, 0, v4
	v_cndmask_b32_e64 v10, v4, -v4, vcc_lo
	s_delay_alu instid0(VALU_DEP_1)
	v_cmp_ngt_f32_e32 vcc_lo, v9, v10
	s_cbranch_vccz .LBB162_118
; %bb.117:                              ;   in Loop: Header=BB162_114 Depth=1
	v_div_scale_f32 v9, null, v4, v4, v3
	v_div_scale_f32 v19, vcc_lo, v3, v4, v3
	s_delay_alu instid0(VALU_DEP_2) | instskip(SKIP_2) | instid1(VALU_DEP_1)
	v_rcp_f32_e32 v10, v9
	s_waitcnt_depctr 0xfff
	v_fma_f32 v18, -v9, v10, 1.0
	v_fmac_f32_e32 v10, v18, v10
	s_delay_alu instid0(VALU_DEP_1) | instskip(NEXT) | instid1(VALU_DEP_1)
	v_mul_f32_e32 v18, v19, v10
	v_fma_f32 v20, -v9, v18, v19
	s_delay_alu instid0(VALU_DEP_1) | instskip(NEXT) | instid1(VALU_DEP_1)
	v_fmac_f32_e32 v18, v20, v10
	v_fma_f32 v9, -v9, v18, v19
	s_delay_alu instid0(VALU_DEP_1) | instskip(NEXT) | instid1(VALU_DEP_1)
	v_div_fmas_f32 v9, v9, v10, v18
	v_div_fixup_f32 v9, v9, v4, v3
	s_delay_alu instid0(VALU_DEP_1) | instskip(NEXT) | instid1(VALU_DEP_1)
	v_fma_f32 v10, v3, v9, v4
	v_div_scale_f32 v18, null, v10, v10, 1.0
	v_div_scale_f32 v21, vcc_lo, 1.0, v10, 1.0
	s_delay_alu instid0(VALU_DEP_2) | instskip(SKIP_2) | instid1(VALU_DEP_1)
	v_rcp_f32_e32 v19, v18
	s_waitcnt_depctr 0xfff
	v_fma_f32 v20, -v18, v19, 1.0
	v_fmac_f32_e32 v19, v20, v19
	s_delay_alu instid0(VALU_DEP_1) | instskip(NEXT) | instid1(VALU_DEP_1)
	v_mul_f32_e32 v20, v21, v19
	v_fma_f32 v22, -v18, v20, v21
	s_delay_alu instid0(VALU_DEP_1) | instskip(NEXT) | instid1(VALU_DEP_1)
	v_fmac_f32_e32 v20, v22, v19
	v_fma_f32 v18, -v18, v20, v21
	s_delay_alu instid0(VALU_DEP_1) | instskip(SKIP_1) | instid1(VALU_DEP_2)
	v_div_fmas_f32 v18, v18, v19, v20
	v_fma_f32 v19, v1, v9, v2
	v_div_fixup_f32 v10, v18, v10, 1.0
	v_fma_f32 v18, v2, v9, -v1
	s_delay_alu instid0(VALU_DEP_2) | instskip(NEXT) | instid1(VALU_DEP_2)
	v_mul_f32_e32 v9, v19, v10
	v_mul_f32_e32 v10, v18, v10
	s_cbranch_execz .LBB162_119
	s_branch .LBB162_120
.LBB162_118:                            ;   in Loop: Header=BB162_114 Depth=1
                                        ; implicit-def: $vgpr10
.LBB162_119:                            ;   in Loop: Header=BB162_114 Depth=1
	v_div_scale_f32 v9, null, v3, v3, v4
	v_div_scale_f32 v19, vcc_lo, v4, v3, v4
	s_delay_alu instid0(VALU_DEP_2) | instskip(SKIP_2) | instid1(VALU_DEP_1)
	v_rcp_f32_e32 v10, v9
	s_waitcnt_depctr 0xfff
	v_fma_f32 v18, -v9, v10, 1.0
	v_fmac_f32_e32 v10, v18, v10
	s_delay_alu instid0(VALU_DEP_1) | instskip(NEXT) | instid1(VALU_DEP_1)
	v_mul_f32_e32 v18, v19, v10
	v_fma_f32 v20, -v9, v18, v19
	s_delay_alu instid0(VALU_DEP_1) | instskip(NEXT) | instid1(VALU_DEP_1)
	v_fmac_f32_e32 v18, v20, v10
	v_fma_f32 v9, -v9, v18, v19
	s_delay_alu instid0(VALU_DEP_1) | instskip(NEXT) | instid1(VALU_DEP_1)
	v_div_fmas_f32 v9, v9, v10, v18
	v_div_fixup_f32 v9, v9, v3, v4
	s_delay_alu instid0(VALU_DEP_1) | instskip(NEXT) | instid1(VALU_DEP_1)
	v_fmac_f32_e32 v3, v4, v9
	v_div_scale_f32 v4, null, v3, v3, 1.0
	v_div_scale_f32 v19, vcc_lo, 1.0, v3, 1.0
	s_delay_alu instid0(VALU_DEP_2) | instskip(SKIP_2) | instid1(VALU_DEP_1)
	v_rcp_f32_e32 v10, v4
	s_waitcnt_depctr 0xfff
	v_fma_f32 v18, -v4, v10, 1.0
	v_fmac_f32_e32 v10, v18, v10
	s_delay_alu instid0(VALU_DEP_1) | instskip(NEXT) | instid1(VALU_DEP_1)
	v_mul_f32_e32 v18, v19, v10
	v_fma_f32 v20, -v4, v18, v19
	s_delay_alu instid0(VALU_DEP_1) | instskip(NEXT) | instid1(VALU_DEP_1)
	v_fmac_f32_e32 v18, v20, v10
	v_fma_f32 v4, -v4, v18, v19
	s_delay_alu instid0(VALU_DEP_1) | instskip(SKIP_2) | instid1(VALU_DEP_3)
	v_div_fmas_f32 v4, v4, v10, v18
	v_fma_f32 v10, v2, v9, v1
	v_fma_f32 v1, -v1, v9, v2
	v_div_fixup_f32 v3, v4, v3, 1.0
	s_delay_alu instid0(VALU_DEP_1) | instskip(NEXT) | instid1(VALU_DEP_3)
	v_mul_f32_e32 v9, v10, v3
	v_mul_f32_e32 v10, v1, v3
.LBB162_120:                            ;   in Loop: Header=BB162_114 Depth=1
	s_addk_i32 s9, 0xff38
	ds_store_b64 v17, v[9:10]
	v_mov_b32_e32 v1, s9
	ds_load_2addr_b64 v[1:4], v1 offset1:1
	s_waitcnt lgkmcnt(0)
	v_mul_f32_e32 v18, v10, v4
	v_cmp_gt_f32_e32 vcc_lo, 0, v1
	s_delay_alu instid0(VALU_DEP_2) | instskip(SKIP_4) | instid1(VALU_DEP_2)
	v_fma_f32 v18, v9, v3, -v18
	v_cndmask_b32_e64 v19, v1, -v1, vcc_lo
	v_cmp_gt_f32_e32 vcc_lo, 0, v2
	v_mul_f32_e32 v4, v9, v4
	v_cndmask_b32_e64 v20, v2, -v2, vcc_lo
	v_dual_fmac_f32 v4, v10, v3 :: v_dual_sub_f32 v3, v11, v18
	s_delay_alu instid0(VALU_DEP_2) | instskip(NEXT) | instid1(VALU_DEP_2)
	v_cmp_ngt_f32_e32 vcc_lo, v19, v20
	v_sub_f32_e32 v4, v12, v4
	s_cbranch_vccz .LBB162_122
; %bb.121:                              ;   in Loop: Header=BB162_114 Depth=1
	v_div_scale_f32 v11, null, v2, v2, v1
	v_div_scale_f32 v18, vcc_lo, v1, v2, v1
	s_delay_alu instid0(VALU_DEP_2) | instskip(SKIP_2) | instid1(VALU_DEP_1)
	v_rcp_f32_e32 v12, v11
	s_waitcnt_depctr 0xfff
	v_fma_f32 v17, -v11, v12, 1.0
	v_fmac_f32_e32 v12, v17, v12
	s_delay_alu instid0(VALU_DEP_1) | instskip(NEXT) | instid1(VALU_DEP_1)
	v_mul_f32_e32 v17, v18, v12
	v_fma_f32 v19, -v11, v17, v18
	s_delay_alu instid0(VALU_DEP_1) | instskip(NEXT) | instid1(VALU_DEP_1)
	v_fmac_f32_e32 v17, v19, v12
	v_fma_f32 v11, -v11, v17, v18
	s_delay_alu instid0(VALU_DEP_1) | instskip(NEXT) | instid1(VALU_DEP_1)
	v_div_fmas_f32 v11, v11, v12, v17
	v_div_fixup_f32 v11, v11, v2, v1
	s_delay_alu instid0(VALU_DEP_1) | instskip(NEXT) | instid1(VALU_DEP_1)
	v_fma_f32 v12, v1, v11, v2
	v_div_scale_f32 v17, null, v12, v12, 1.0
	v_div_scale_f32 v20, vcc_lo, 1.0, v12, 1.0
	s_delay_alu instid0(VALU_DEP_2) | instskip(SKIP_2) | instid1(VALU_DEP_1)
	v_rcp_f32_e32 v18, v17
	s_waitcnt_depctr 0xfff
	v_fma_f32 v19, -v17, v18, 1.0
	v_fmac_f32_e32 v18, v19, v18
	s_delay_alu instid0(VALU_DEP_1) | instskip(NEXT) | instid1(VALU_DEP_1)
	v_mul_f32_e32 v19, v20, v18
	v_fma_f32 v21, -v17, v19, v20
	s_delay_alu instid0(VALU_DEP_1) | instskip(NEXT) | instid1(VALU_DEP_1)
	v_fmac_f32_e32 v19, v21, v18
	v_fma_f32 v17, -v17, v19, v20
	s_delay_alu instid0(VALU_DEP_1) | instskip(SKIP_1) | instid1(VALU_DEP_2)
	v_div_fmas_f32 v17, v17, v18, v19
	v_fma_f32 v18, v11, v3, v4
	v_div_fixup_f32 v12, v17, v12, 1.0
	v_fma_f32 v17, v11, v4, -v3
	s_delay_alu instid0(VALU_DEP_2) | instskip(NEXT) | instid1(VALU_DEP_2)
	v_mul_f32_e32 v11, v18, v12
	v_mul_f32_e32 v12, v17, v12
	s_cbranch_execz .LBB162_123
	s_branch .LBB162_124
.LBB162_122:                            ;   in Loop: Header=BB162_114 Depth=1
                                        ; implicit-def: $vgpr12
.LBB162_123:                            ;   in Loop: Header=BB162_114 Depth=1
	v_div_scale_f32 v11, null, v1, v1, v2
	v_div_scale_f32 v18, vcc_lo, v2, v1, v2
	s_delay_alu instid0(VALU_DEP_2) | instskip(SKIP_2) | instid1(VALU_DEP_1)
	v_rcp_f32_e32 v12, v11
	s_waitcnt_depctr 0xfff
	v_fma_f32 v17, -v11, v12, 1.0
	v_fmac_f32_e32 v12, v17, v12
	s_delay_alu instid0(VALU_DEP_1) | instskip(NEXT) | instid1(VALU_DEP_1)
	v_mul_f32_e32 v17, v18, v12
	v_fma_f32 v19, -v11, v17, v18
	s_delay_alu instid0(VALU_DEP_1) | instskip(NEXT) | instid1(VALU_DEP_1)
	v_fmac_f32_e32 v17, v19, v12
	v_fma_f32 v11, -v11, v17, v18
	s_delay_alu instid0(VALU_DEP_1) | instskip(NEXT) | instid1(VALU_DEP_1)
	v_div_fmas_f32 v11, v11, v12, v17
	v_div_fixup_f32 v11, v11, v1, v2
	s_delay_alu instid0(VALU_DEP_1) | instskip(NEXT) | instid1(VALU_DEP_1)
	v_fmac_f32_e32 v1, v2, v11
	v_div_scale_f32 v2, null, v1, v1, 1.0
	v_div_scale_f32 v18, vcc_lo, 1.0, v1, 1.0
	s_delay_alu instid0(VALU_DEP_2) | instskip(SKIP_2) | instid1(VALU_DEP_1)
	v_rcp_f32_e32 v12, v2
	s_waitcnt_depctr 0xfff
	v_fma_f32 v17, -v2, v12, 1.0
	v_fmac_f32_e32 v12, v17, v12
	s_delay_alu instid0(VALU_DEP_1) | instskip(NEXT) | instid1(VALU_DEP_1)
	v_mul_f32_e32 v17, v18, v12
	v_fma_f32 v19, -v2, v17, v18
	s_delay_alu instid0(VALU_DEP_1) | instskip(NEXT) | instid1(VALU_DEP_1)
	v_fmac_f32_e32 v17, v19, v12
	v_fma_f32 v2, -v2, v17, v18
	s_delay_alu instid0(VALU_DEP_1) | instskip(SKIP_1) | instid1(VALU_DEP_2)
	v_div_fmas_f32 v2, v2, v12, v17
	v_fma_f32 v12, v11, v4, v3
	v_div_fixup_f32 v1, v2, v1, 1.0
	v_fma_f32 v2, -v11, v3, v4
	s_delay_alu instid0(VALU_DEP_2) | instskip(NEXT) | instid1(VALU_DEP_2)
	v_mul_f32_e32 v11, v12, v1
	v_mul_f32_e32 v12, v2, v1
.LBB162_124:                            ;   in Loop: Header=BB162_114 Depth=1
	s_add_i32 s7, s7, s5
	s_delay_alu instid0(SALU_CYCLE_1) | instskip(SKIP_1) | instid1(SALU_CYCLE_1)
	s_lshl_b32 s10, s7, 3
	s_add_i32 s7, s9, 0xffffff38
	v_dual_mov_b32 v1, s10 :: v_dual_mov_b32 v2, s7
	ds_load_b64 v[17:18], v1
	ds_load_2addr_b64 v[1:4], v2 offset1:1
	ds_store_b64 v16, v[11:12]
	s_waitcnt lgkmcnt(1)
	v_dual_mul_f32 v19, v10, v18 :: v_dual_mul_f32 v20, v12, v4
	v_cmp_gt_f32_e32 vcc_lo, 0, v1
	v_mul_f32_e32 v4, v11, v4
	s_delay_alu instid0(VALU_DEP_3)
	v_fma_f32 v19, v9, v17, -v19
	v_mul_f32_e32 v18, v9, v18
	v_cndmask_b32_e64 v21, v1, -v1, vcc_lo
	v_cmp_gt_f32_e32 vcc_lo, 0, v2
	v_fma_f32 v20, v11, v3, -v20
	v_fmac_f32_e32 v4, v12, v3
	v_dual_sub_f32 v3, v7, v19 :: v_dual_fmac_f32 v18, v10, v17
	v_cndmask_b32_e64 v17, v2, -v2, vcc_lo
	s_delay_alu instid0(VALU_DEP_2) | instskip(NEXT) | instid1(VALU_DEP_3)
	v_sub_f32_e32 v3, v3, v20
	v_sub_f32_e32 v7, v8, v18
	s_delay_alu instid0(VALU_DEP_3) | instskip(NEXT) | instid1(VALU_DEP_2)
	v_cmp_ngt_f32_e32 vcc_lo, v21, v17
	v_sub_f32_e32 v4, v7, v4
	s_cbranch_vccz .LBB162_126
; %bb.125:                              ;   in Loop: Header=BB162_114 Depth=1
	v_div_scale_f32 v7, null, v2, v2, v1
	v_div_scale_f32 v17, vcc_lo, v1, v2, v1
	s_delay_alu instid0(VALU_DEP_2) | instskip(SKIP_2) | instid1(VALU_DEP_1)
	v_rcp_f32_e32 v8, v7
	s_waitcnt_depctr 0xfff
	v_fma_f32 v16, -v7, v8, 1.0
	v_fmac_f32_e32 v8, v16, v8
	s_delay_alu instid0(VALU_DEP_1) | instskip(NEXT) | instid1(VALU_DEP_1)
	v_mul_f32_e32 v16, v17, v8
	v_fma_f32 v18, -v7, v16, v17
	s_delay_alu instid0(VALU_DEP_1) | instskip(NEXT) | instid1(VALU_DEP_1)
	v_fmac_f32_e32 v16, v18, v8
	v_fma_f32 v7, -v7, v16, v17
	s_delay_alu instid0(VALU_DEP_1) | instskip(NEXT) | instid1(VALU_DEP_1)
	v_div_fmas_f32 v7, v7, v8, v16
	v_div_fixup_f32 v7, v7, v2, v1
	s_delay_alu instid0(VALU_DEP_1) | instskip(NEXT) | instid1(VALU_DEP_1)
	v_fma_f32 v8, v1, v7, v2
	v_div_scale_f32 v16, null, v8, v8, 1.0
	v_div_scale_f32 v19, vcc_lo, 1.0, v8, 1.0
	s_delay_alu instid0(VALU_DEP_2) | instskip(SKIP_2) | instid1(VALU_DEP_1)
	v_rcp_f32_e32 v17, v16
	s_waitcnt_depctr 0xfff
	v_fma_f32 v18, -v16, v17, 1.0
	v_fmac_f32_e32 v17, v18, v17
	s_delay_alu instid0(VALU_DEP_1) | instskip(NEXT) | instid1(VALU_DEP_1)
	v_mul_f32_e32 v18, v19, v17
	v_fma_f32 v20, -v16, v18, v19
	s_delay_alu instid0(VALU_DEP_1) | instskip(NEXT) | instid1(VALU_DEP_1)
	v_fmac_f32_e32 v18, v20, v17
	v_fma_f32 v16, -v16, v18, v19
	s_delay_alu instid0(VALU_DEP_1) | instskip(SKIP_1) | instid1(VALU_DEP_2)
	v_div_fmas_f32 v16, v16, v17, v18
	v_fma_f32 v17, v7, v3, v4
	v_div_fixup_f32 v8, v16, v8, 1.0
	v_fma_f32 v16, v7, v4, -v3
	s_delay_alu instid0(VALU_DEP_2) | instskip(NEXT) | instid1(VALU_DEP_2)
	v_mul_f32_e32 v7, v17, v8
	v_mul_f32_e32 v8, v16, v8
	s_cbranch_execz .LBB162_127
	s_branch .LBB162_128
.LBB162_126:                            ;   in Loop: Header=BB162_114 Depth=1
                                        ; implicit-def: $vgpr8
.LBB162_127:                            ;   in Loop: Header=BB162_114 Depth=1
	v_div_scale_f32 v7, null, v1, v1, v2
	v_div_scale_f32 v17, vcc_lo, v2, v1, v2
	s_delay_alu instid0(VALU_DEP_2) | instskip(SKIP_2) | instid1(VALU_DEP_1)
	v_rcp_f32_e32 v8, v7
	s_waitcnt_depctr 0xfff
	v_fma_f32 v16, -v7, v8, 1.0
	v_fmac_f32_e32 v8, v16, v8
	s_delay_alu instid0(VALU_DEP_1) | instskip(NEXT) | instid1(VALU_DEP_1)
	v_mul_f32_e32 v16, v17, v8
	v_fma_f32 v18, -v7, v16, v17
	s_delay_alu instid0(VALU_DEP_1) | instskip(NEXT) | instid1(VALU_DEP_1)
	v_fmac_f32_e32 v16, v18, v8
	v_fma_f32 v7, -v7, v16, v17
	s_delay_alu instid0(VALU_DEP_1) | instskip(NEXT) | instid1(VALU_DEP_1)
	v_div_fmas_f32 v7, v7, v8, v16
	v_div_fixup_f32 v7, v7, v1, v2
	s_delay_alu instid0(VALU_DEP_1) | instskip(NEXT) | instid1(VALU_DEP_1)
	v_fmac_f32_e32 v1, v2, v7
	v_div_scale_f32 v2, null, v1, v1, 1.0
	v_div_scale_f32 v17, vcc_lo, 1.0, v1, 1.0
	s_delay_alu instid0(VALU_DEP_2) | instskip(SKIP_2) | instid1(VALU_DEP_1)
	v_rcp_f32_e32 v8, v2
	s_waitcnt_depctr 0xfff
	v_fma_f32 v16, -v2, v8, 1.0
	v_fmac_f32_e32 v8, v16, v8
	s_delay_alu instid0(VALU_DEP_1) | instskip(NEXT) | instid1(VALU_DEP_1)
	v_mul_f32_e32 v16, v17, v8
	v_fma_f32 v18, -v2, v16, v17
	s_delay_alu instid0(VALU_DEP_1) | instskip(NEXT) | instid1(VALU_DEP_1)
	v_fmac_f32_e32 v16, v18, v8
	v_fma_f32 v2, -v2, v16, v17
	s_delay_alu instid0(VALU_DEP_1) | instskip(SKIP_1) | instid1(VALU_DEP_2)
	v_div_fmas_f32 v2, v2, v8, v16
	v_fma_f32 v8, v7, v4, v3
	v_div_fixup_f32 v1, v2, v1, 1.0
	v_fma_f32 v2, -v7, v3, v4
	s_delay_alu instid0(VALU_DEP_2) | instskip(NEXT) | instid1(VALU_DEP_2)
	v_mul_f32_e32 v7, v8, v1
	v_mul_f32_e32 v8, v2, v1
.LBB162_128:                            ;   in Loop: Header=BB162_114 Depth=1
	s_add_i32 s6, s5, s6
	s_delay_alu instid0(SALU_CYCLE_1) | instskip(NEXT) | instid1(SALU_CYCLE_1)
	s_lshl_b32 s6, s6, 3
	s_add_i32 s6, s6, -8
	s_delay_alu instid0(SALU_CYCLE_1) | instskip(SKIP_1) | instid1(SALU_CYCLE_1)
	v_mov_b32_e32 v1, s6
	s_add_i32 s6, s7, 0xffffff38
	v_mov_b32_e32 v2, s6
	ds_load_2addr_b64 v[16:19], v1 offset1:1
	ds_load_2addr_b64 v[1:4], v2 offset1:1
	ds_store_b64 v15, v[7:8]
	s_waitcnt lgkmcnt(2)
	v_dual_mul_f32 v20, v10, v19 :: v_dual_mul_f32 v21, v12, v17
	s_waitcnt lgkmcnt(1)
	v_dual_mul_f32 v19, v9, v19 :: v_dual_mul_f32 v22, v8, v4
	v_cmp_gt_f32_e32 vcc_lo, 0, v1
	v_mul_f32_e32 v4, v7, v4
	v_fma_f32 v9, v9, v18, -v20
	s_delay_alu instid0(VALU_DEP_4) | instskip(SKIP_4) | instid1(VALU_DEP_4)
	v_fmac_f32_e32 v19, v10, v18
	v_mul_f32_e32 v17, v11, v17
	v_cndmask_b32_e64 v10, v1, -v1, vcc_lo
	v_cmp_gt_f32_e32 vcc_lo, 0, v2
	v_fma_f32 v11, v11, v16, -v21
	v_dual_sub_f32 v6, v6, v19 :: v_dual_fmac_f32 v17, v12, v16
	v_dual_sub_f32 v5, v5, v9 :: v_dual_fmac_f32 v4, v8, v3
	v_cndmask_b32_e64 v9, v2, -v2, vcc_lo
	v_fma_f32 v12, v7, v3, -v22
	s_delay_alu instid0(VALU_DEP_3) | instskip(NEXT) | instid1(VALU_DEP_3)
	v_dual_sub_f32 v6, v6, v17 :: v_dual_sub_f32 v3, v5, v11
	v_cmp_ngt_f32_e32 vcc_lo, v10, v9
	s_delay_alu instid0(VALU_DEP_2) | instskip(NEXT) | instid1(VALU_DEP_3)
	v_sub_f32_e32 v6, v6, v4
	v_sub_f32_e32 v5, v3, v12
	s_cbranch_vccz .LBB162_130
; %bb.129:                              ;   in Loop: Header=BB162_114 Depth=1
	v_div_scale_f32 v3, null, v2, v2, v1
	v_div_scale_f32 v8, vcc_lo, v1, v2, v1
	s_delay_alu instid0(VALU_DEP_2) | instskip(SKIP_2) | instid1(VALU_DEP_1)
	v_rcp_f32_e32 v4, v3
	s_waitcnt_depctr 0xfff
	v_fma_f32 v7, -v3, v4, 1.0
	v_fmac_f32_e32 v4, v7, v4
	s_delay_alu instid0(VALU_DEP_1) | instskip(NEXT) | instid1(VALU_DEP_1)
	v_mul_f32_e32 v7, v8, v4
	v_fma_f32 v9, -v3, v7, v8
	s_delay_alu instid0(VALU_DEP_1) | instskip(NEXT) | instid1(VALU_DEP_1)
	v_fmac_f32_e32 v7, v9, v4
	v_fma_f32 v3, -v3, v7, v8
	s_delay_alu instid0(VALU_DEP_1) | instskip(NEXT) | instid1(VALU_DEP_1)
	v_div_fmas_f32 v3, v3, v4, v7
	v_div_fixup_f32 v3, v3, v2, v1
	s_delay_alu instid0(VALU_DEP_1) | instskip(NEXT) | instid1(VALU_DEP_1)
	v_fma_f32 v4, v1, v3, v2
	v_div_scale_f32 v7, null, v4, v4, 1.0
	v_div_scale_f32 v10, vcc_lo, 1.0, v4, 1.0
	s_delay_alu instid0(VALU_DEP_2) | instskip(SKIP_2) | instid1(VALU_DEP_1)
	v_rcp_f32_e32 v8, v7
	s_waitcnt_depctr 0xfff
	v_fma_f32 v9, -v7, v8, 1.0
	v_fmac_f32_e32 v8, v9, v8
	s_delay_alu instid0(VALU_DEP_1) | instskip(NEXT) | instid1(VALU_DEP_1)
	v_mul_f32_e32 v9, v10, v8
	v_fma_f32 v11, -v7, v9, v10
	s_delay_alu instid0(VALU_DEP_1) | instskip(NEXT) | instid1(VALU_DEP_1)
	v_fmac_f32_e32 v9, v11, v8
	v_fma_f32 v7, -v7, v9, v10
	s_delay_alu instid0(VALU_DEP_1) | instskip(SKIP_1) | instid1(VALU_DEP_2)
	v_div_fmas_f32 v7, v7, v8, v9
	v_fma_f32 v8, v3, v5, v6
	v_div_fixup_f32 v4, v7, v4, 1.0
	v_fma_f32 v7, v3, v6, -v5
	s_delay_alu instid0(VALU_DEP_2) | instskip(NEXT) | instid1(VALU_DEP_2)
	v_mul_f32_e32 v3, v8, v4
	v_mul_f32_e32 v4, v7, v4
	s_cbranch_execz .LBB162_131
	s_branch .LBB162_132
.LBB162_130:                            ;   in Loop: Header=BB162_114 Depth=1
                                        ; implicit-def: $vgpr4
.LBB162_131:                            ;   in Loop: Header=BB162_114 Depth=1
	v_div_scale_f32 v3, null, v1, v1, v2
	v_div_scale_f32 v8, vcc_lo, v2, v1, v2
	s_delay_alu instid0(VALU_DEP_2) | instskip(SKIP_2) | instid1(VALU_DEP_1)
	v_rcp_f32_e32 v4, v3
	s_waitcnt_depctr 0xfff
	v_fma_f32 v7, -v3, v4, 1.0
	v_fmac_f32_e32 v4, v7, v4
	s_delay_alu instid0(VALU_DEP_1) | instskip(NEXT) | instid1(VALU_DEP_1)
	v_mul_f32_e32 v7, v8, v4
	v_fma_f32 v9, -v3, v7, v8
	s_delay_alu instid0(VALU_DEP_1) | instskip(NEXT) | instid1(VALU_DEP_1)
	v_fmac_f32_e32 v7, v9, v4
	v_fma_f32 v3, -v3, v7, v8
	s_delay_alu instid0(VALU_DEP_1) | instskip(NEXT) | instid1(VALU_DEP_1)
	v_div_fmas_f32 v3, v3, v4, v7
	v_div_fixup_f32 v3, v3, v1, v2
	s_delay_alu instid0(VALU_DEP_1) | instskip(NEXT) | instid1(VALU_DEP_1)
	v_fmac_f32_e32 v1, v2, v3
	v_div_scale_f32 v2, null, v1, v1, 1.0
	v_div_scale_f32 v8, vcc_lo, 1.0, v1, 1.0
	s_delay_alu instid0(VALU_DEP_2) | instskip(SKIP_2) | instid1(VALU_DEP_1)
	v_rcp_f32_e32 v4, v2
	s_waitcnt_depctr 0xfff
	v_fma_f32 v7, -v2, v4, 1.0
	v_fmac_f32_e32 v4, v7, v4
	s_delay_alu instid0(VALU_DEP_1) | instskip(NEXT) | instid1(VALU_DEP_1)
	v_mul_f32_e32 v7, v8, v4
	v_fma_f32 v9, -v2, v7, v8
	s_delay_alu instid0(VALU_DEP_1) | instskip(NEXT) | instid1(VALU_DEP_1)
	v_fmac_f32_e32 v7, v9, v4
	v_fma_f32 v2, -v2, v7, v8
	s_delay_alu instid0(VALU_DEP_1) | instskip(SKIP_1) | instid1(VALU_DEP_2)
	v_div_fmas_f32 v2, v2, v4, v7
	v_fma_f32 v4, v3, v6, v5
	v_div_fixup_f32 v1, v2, v1, 1.0
	v_fma_f32 v2, -v3, v5, v6
	s_delay_alu instid0(VALU_DEP_2) | instskip(NEXT) | instid1(VALU_DEP_2)
	v_mul_f32_e32 v3, v4, v1
	v_mul_f32_e32 v4, v2, v1
.LBB162_132:                            ;   in Loop: Header=BB162_114 Depth=1
	s_add_i32 s6, s5, -4
	s_addk_i32 s4, 0xfd00
	s_cmp_lt_i32 s5, 7
	ds_store_b64 v14, v[3:4]
	s_cbranch_scc1 .LBB162_134
; %bb.133:                              ;   in Loop: Header=BB162_114 Depth=1
	s_mov_b32 s5, s6
	s_branch .LBB162_114
.LBB162_134:
	s_cmp_lt_i32 s6, 0
	s_cbranch_scc1 .LBB162_143
; %bb.135:
	v_lshlrev_b32_e32 v1, 3, v0
	s_mul_i32 s4, s6, 0xc0
	s_lshl_b32 s5, s11, 3
	s_delay_alu instid0(VALU_DEP_1) | instskip(SKIP_1) | instid1(SALU_CYCLE_1)
	v_add3_u32 v7, s1, v1, 0x1140
	s_add_i32 s1, s4, s5
	s_add_i32 s1, s1, -8
	s_branch .LBB162_137
.LBB162_136:                            ;   in Loop: Header=BB162_137 Depth=1
	s_add_i32 s4, s6, -1
	s_addk_i32 s1, 0xff40
	s_cmp_lt_i32 s6, 1
	s_mov_b32 s6, s4
	ds_store_b64 v8, v[5:6]
	s_cbranch_scc1 .LBB162_143
.LBB162_137:                            ; =>This Loop Header: Depth=1
                                        ;     Child Loop BB162_138 Depth 2
	s_mul_i32 s4, s6, 24
	v_mov_b32_e32 v4, v7
	v_add_lshl_u32 v3, s4, v0, 3
	s_cmp_le_i32 s30, s6
	s_mov_b32 s4, s1
	s_mov_b32 s5, s30
	ds_load_b64 v[1:2], v3 offset:4608
	s_cbranch_scc1 .LBB162_139
	.p2align	6
.LBB162_138:                            ;   Parent Loop BB162_137 Depth=1
                                        ; =>  This Inner Loop Header: Depth=2
	v_mov_b32_e32 v8, s4
	s_add_i32 s5, s5, -1
	s_add_i32 s4, s4, -8
	s_cmp_le_i32 s5, s6
	ds_load_b64 v[5:6], v4
	ds_load_b64 v[8:9], v8
	v_add_nc_u32_e32 v4, 0xffffff40, v4
	s_waitcnt lgkmcnt(0)
	v_mul_f32_e32 v10, v9, v6
	v_mul_f32_e32 v6, v8, v6
	s_delay_alu instid0(VALU_DEP_2) | instskip(NEXT) | instid1(VALU_DEP_1)
	v_fma_f32 v8, v8, v5, -v10
	v_sub_f32_e32 v1, v1, v8
	s_delay_alu instid0(VALU_DEP_3) | instskip(NEXT) | instid1(VALU_DEP_1)
	v_fmac_f32_e32 v6, v9, v5
	v_sub_f32_e32 v2, v2, v6
	s_cbranch_scc0 .LBB162_138
.LBB162_139:                            ;   in Loop: Header=BB162_137 Depth=1
	s_mul_i32 s4, s6, 0xc8
	s_delay_alu instid0(SALU_CYCLE_1)
	v_dual_mov_b32 v3, s4 :: v_dual_add_nc_u32 v8, 0x1200, v3
	ds_load_b64 v[3:4], v3
	s_waitcnt lgkmcnt(0)
	v_cmp_gt_f32_e32 vcc_lo, 0, v3
	v_cndmask_b32_e64 v5, v3, -v3, vcc_lo
	v_cmp_gt_f32_e32 vcc_lo, 0, v4
	v_cndmask_b32_e64 v6, v4, -v4, vcc_lo
	s_delay_alu instid0(VALU_DEP_1)
	v_cmp_ngt_f32_e32 vcc_lo, v5, v6
	s_cbranch_vccz .LBB162_141
; %bb.140:                              ;   in Loop: Header=BB162_137 Depth=1
	v_div_scale_f32 v5, null, v4, v4, v3
	v_div_scale_f32 v10, vcc_lo, v3, v4, v3
	s_delay_alu instid0(VALU_DEP_2) | instskip(SKIP_2) | instid1(VALU_DEP_1)
	v_rcp_f32_e32 v6, v5
	s_waitcnt_depctr 0xfff
	v_fma_f32 v9, -v5, v6, 1.0
	v_fmac_f32_e32 v6, v9, v6
	s_delay_alu instid0(VALU_DEP_1) | instskip(NEXT) | instid1(VALU_DEP_1)
	v_mul_f32_e32 v9, v10, v6
	v_fma_f32 v11, -v5, v9, v10
	s_delay_alu instid0(VALU_DEP_1) | instskip(NEXT) | instid1(VALU_DEP_1)
	v_fmac_f32_e32 v9, v11, v6
	v_fma_f32 v5, -v5, v9, v10
	s_delay_alu instid0(VALU_DEP_1) | instskip(NEXT) | instid1(VALU_DEP_1)
	v_div_fmas_f32 v5, v5, v6, v9
	v_div_fixup_f32 v5, v5, v4, v3
	s_delay_alu instid0(VALU_DEP_1) | instskip(NEXT) | instid1(VALU_DEP_1)
	v_fma_f32 v6, v3, v5, v4
	v_div_scale_f32 v9, null, v6, v6, 1.0
	v_div_scale_f32 v12, vcc_lo, 1.0, v6, 1.0
	s_delay_alu instid0(VALU_DEP_2) | instskip(SKIP_2) | instid1(VALU_DEP_1)
	v_rcp_f32_e32 v10, v9
	s_waitcnt_depctr 0xfff
	v_fma_f32 v11, -v9, v10, 1.0
	v_fmac_f32_e32 v10, v11, v10
	s_delay_alu instid0(VALU_DEP_1) | instskip(NEXT) | instid1(VALU_DEP_1)
	v_mul_f32_e32 v11, v12, v10
	v_fma_f32 v13, -v9, v11, v12
	s_delay_alu instid0(VALU_DEP_1) | instskip(NEXT) | instid1(VALU_DEP_1)
	v_fmac_f32_e32 v11, v13, v10
	v_fma_f32 v9, -v9, v11, v12
	s_delay_alu instid0(VALU_DEP_1) | instskip(SKIP_1) | instid1(VALU_DEP_2)
	v_div_fmas_f32 v9, v9, v10, v11
	v_fma_f32 v10, v1, v5, v2
	v_div_fixup_f32 v6, v9, v6, 1.0
	v_fma_f32 v9, v2, v5, -v1
	s_delay_alu instid0(VALU_DEP_2) | instskip(NEXT) | instid1(VALU_DEP_2)
	v_mul_f32_e32 v5, v10, v6
	v_mul_f32_e32 v6, v9, v6
	s_cbranch_execnz .LBB162_136
	s_branch .LBB162_142
.LBB162_141:                            ;   in Loop: Header=BB162_137 Depth=1
                                        ; implicit-def: $vgpr5
.LBB162_142:                            ;   in Loop: Header=BB162_137 Depth=1
	v_div_scale_f32 v5, null, v3, v3, v4
	v_div_scale_f32 v10, vcc_lo, v4, v3, v4
	s_delay_alu instid0(VALU_DEP_2) | instskip(SKIP_2) | instid1(VALU_DEP_1)
	v_rcp_f32_e32 v6, v5
	s_waitcnt_depctr 0xfff
	v_fma_f32 v9, -v5, v6, 1.0
	v_fmac_f32_e32 v6, v9, v6
	s_delay_alu instid0(VALU_DEP_1) | instskip(NEXT) | instid1(VALU_DEP_1)
	v_mul_f32_e32 v9, v10, v6
	v_fma_f32 v11, -v5, v9, v10
	s_delay_alu instid0(VALU_DEP_1) | instskip(NEXT) | instid1(VALU_DEP_1)
	v_fmac_f32_e32 v9, v11, v6
	v_fma_f32 v5, -v5, v9, v10
	s_delay_alu instid0(VALU_DEP_1) | instskip(NEXT) | instid1(VALU_DEP_1)
	v_div_fmas_f32 v5, v5, v6, v9
	v_div_fixup_f32 v5, v5, v3, v4
	s_delay_alu instid0(VALU_DEP_1) | instskip(NEXT) | instid1(VALU_DEP_1)
	v_fmac_f32_e32 v3, v4, v5
	v_div_scale_f32 v4, null, v3, v3, 1.0
	v_div_scale_f32 v10, vcc_lo, 1.0, v3, 1.0
	s_delay_alu instid0(VALU_DEP_2) | instskip(SKIP_2) | instid1(VALU_DEP_1)
	v_rcp_f32_e32 v6, v4
	s_waitcnt_depctr 0xfff
	v_fma_f32 v9, -v4, v6, 1.0
	v_fmac_f32_e32 v6, v9, v6
	s_delay_alu instid0(VALU_DEP_1) | instskip(NEXT) | instid1(VALU_DEP_1)
	v_mul_f32_e32 v9, v10, v6
	v_fma_f32 v11, -v4, v9, v10
	s_delay_alu instid0(VALU_DEP_1) | instskip(NEXT) | instid1(VALU_DEP_1)
	v_fmac_f32_e32 v9, v11, v6
	v_fma_f32 v4, -v4, v9, v10
	s_delay_alu instid0(VALU_DEP_1) | instskip(SKIP_2) | instid1(VALU_DEP_3)
	v_div_fmas_f32 v4, v4, v6, v9
	v_fma_f32 v6, v2, v5, v1
	v_fma_f32 v1, -v1, v5, v2
	v_div_fixup_f32 v3, v4, v3, 1.0
	s_delay_alu instid0(VALU_DEP_1) | instskip(NEXT) | instid1(VALU_DEP_3)
	v_mul_f32_e32 v5, v6, v3
	v_mul_f32_e32 v6, v1, v3
	s_branch .LBB162_136
.LBB162_143:
	s_mov_b32 s6, 0
.LBB162_144:
	s_delay_alu instid0(SALU_CYCLE_1)
	s_and_not1_b32 vcc_lo, exec_lo, s6
	s_cbranch_vccnz .LBB162_183
; %bb.145:
	s_cmp_lt_i32 s8, 4
	s_mov_b32 s5, 0
	s_cbranch_scc1 .LBB162_168
; %bb.146:
	v_lshl_or_b32 v13, v0, 3, 0x1200
	s_mov_b32 s1, 0
	s_mov_b32 s4, 0
.LBB162_147:                            ; =>This Loop Header: Depth=1
                                        ;     Child Loop BB162_149 Depth 2
	s_delay_alu instid0(SALU_CYCLE_1) | instskip(NEXT) | instid1(SALU_CYCLE_1)
	s_mul_i32 s5, s4, 24
	s_add_i32 s7, s5, 24
	v_add_lshl_u32 v3, s5, v0, 3
	s_add_i32 s6, s5, 48
	v_add_lshl_u32 v4, s7, v0, 3
	s_addk_i32 s5, 0x48
	v_add_lshl_u32 v9, s6, v0, 3
	v_add_lshl_u32 v10, s5, v0, 3
	ds_load_b64 v[1:2], v3 offset:4608
	ds_load_b64 v[11:12], v4 offset:4608
	ds_load_b64 v[7:8], v9 offset:4608
	ds_load_b64 v[5:6], v10 offset:4608
	s_cmp_eq_u32 s4, 0
	s_cbranch_scc1 .LBB162_150
; %bb.148:                              ;   in Loop: Header=BB162_147 Depth=1
	v_mov_b32_e32 v14, v13
	s_mov_b32 s9, 0
	s_mov_b32 s10, s1
.LBB162_149:                            ;   Parent Loop BB162_147 Depth=1
                                        ; =>  This Inner Loop Header: Depth=2
	s_delay_alu instid0(SALU_CYCLE_1)
	v_mov_b32_e32 v31, s10
	ds_load_2addr_b64 v[15:18], v14 offset1:24
	v_add_nc_u32_e32 v14, 0x180, v14
	s_add_i32 s9, s9, 2
	s_add_i32 s10, s10, 16
	ds_load_b128 v[19:22], v31
	ds_load_b128 v[23:26], v31 offset:192
	ds_load_b128 v[27:30], v31 offset:384
	;; [unrolled: 1-line block ×3, first 2 shown]
	s_cmp_ge_u32 s9, s4
	s_waitcnt lgkmcnt(3)
	v_dual_mul_f32 v35, v20, v16 :: v_dual_mul_f32 v40, v22, v18
	v_dual_mul_f32 v36, v19, v16 :: v_dual_mul_f32 v41, v21, v18
	s_waitcnt lgkmcnt(2)
	v_dual_mul_f32 v37, v24, v16 :: v_dual_mul_f32 v42, v26, v18
	s_waitcnt lgkmcnt(1)
	v_dual_mul_f32 v24, v24, v15 :: v_dual_mul_f32 v43, v30, v18
	v_dual_mul_f32 v38, v28, v16 :: v_dual_fmac_f32 v41, v22, v17
	s_waitcnt lgkmcnt(0)
	v_dual_mul_f32 v39, v32, v16 :: v_dual_mul_f32 v26, v26, v17
	v_fma_f32 v19, v19, v15, -v35
	v_mul_f32_e32 v30, v30, v17
	v_fmac_f32_e32 v36, v20, v15
	v_fma_f32 v20, v23, v15, -v37
	v_mul_f32_e32 v28, v28, v15
	v_fmac_f32_e32 v24, v23, v16
	v_fma_f32 v23, v27, v15, -v38
	v_dual_mul_f32 v44, v34, v18 :: v_dual_sub_f32 v1, v1, v19
	v_mul_f32_e32 v32, v32, v15
	v_fma_f32 v15, v31, v15, -v39
	v_mul_f32_e32 v34, v34, v17
	v_fma_f32 v22, v29, v17, -v43
	v_sub_f32_e32 v11, v11, v20
	s_delay_alu instid0(VALU_DEP_4)
	v_dual_fmac_f32 v28, v27, v16 :: v_dual_sub_f32 v5, v5, v15
	v_fmac_f32_e32 v32, v31, v16
	v_fma_f32 v16, v21, v17, -v40
	v_fma_f32 v21, v25, v17, -v42
	v_sub_f32_e32 v7, v7, v23
	v_fma_f32 v17, v33, v17, -v44
	v_fmac_f32_e32 v26, v25, v18
	v_fmac_f32_e32 v30, v29, v18
	;; [unrolled: 1-line block ×3, first 2 shown]
	v_sub_f32_e32 v8, v8, v28
	v_dual_sub_f32 v6, v6, v32 :: v_dual_sub_f32 v11, v11, v21
	v_dual_sub_f32 v2, v2, v36 :: v_dual_sub_f32 v7, v7, v22
	;; [unrolled: 1-line block ×3, first 2 shown]
	s_delay_alu instid0(VALU_DEP_2) | instskip(SKIP_2) | instid1(VALU_DEP_4)
	v_dual_sub_f32 v1, v1, v16 :: v_dual_sub_f32 v2, v2, v41
	v_sub_f32_e32 v8, v8, v30
	v_sub_f32_e32 v6, v6, v34
	;; [unrolled: 1-line block ×3, first 2 shown]
	s_cbranch_scc0 .LBB162_149
.LBB162_150:                            ;   in Loop: Header=BB162_147 Depth=1
	s_mul_i32 s9, s4, 0xc8
	v_add_nc_u32_e32 v17, 0x1200, v3
	v_dual_mov_b32 v3, s9 :: v_dual_add_nc_u32 v16, 0x1200, v4
	v_add_nc_u32_e32 v15, 0x1200, v9
	v_add_nc_u32_e32 v14, 0x1200, v10
	ds_load_b64 v[3:4], v3
	s_waitcnt lgkmcnt(0)
	v_cmp_gt_f32_e32 vcc_lo, 0, v3
	v_cndmask_b32_e64 v9, v3, -v3, vcc_lo
	v_cmp_gt_f32_e32 vcc_lo, 0, v4
	v_cndmask_b32_e64 v10, v4, -v4, vcc_lo
	s_delay_alu instid0(VALU_DEP_1)
	v_cmp_ngt_f32_e32 vcc_lo, v9, v10
	s_cbranch_vccz .LBB162_152
; %bb.151:                              ;   in Loop: Header=BB162_147 Depth=1
	v_div_scale_f32 v9, null, v4, v4, v3
	v_div_scale_f32 v19, vcc_lo, v3, v4, v3
	s_delay_alu instid0(VALU_DEP_2) | instskip(SKIP_2) | instid1(VALU_DEP_1)
	v_rcp_f32_e32 v10, v9
	s_waitcnt_depctr 0xfff
	v_fma_f32 v18, -v9, v10, 1.0
	v_fmac_f32_e32 v10, v18, v10
	s_delay_alu instid0(VALU_DEP_1) | instskip(NEXT) | instid1(VALU_DEP_1)
	v_mul_f32_e32 v18, v19, v10
	v_fma_f32 v20, -v9, v18, v19
	s_delay_alu instid0(VALU_DEP_1) | instskip(NEXT) | instid1(VALU_DEP_1)
	v_fmac_f32_e32 v18, v20, v10
	v_fma_f32 v9, -v9, v18, v19
	s_delay_alu instid0(VALU_DEP_1) | instskip(NEXT) | instid1(VALU_DEP_1)
	v_div_fmas_f32 v9, v9, v10, v18
	v_div_fixup_f32 v9, v9, v4, v3
	s_delay_alu instid0(VALU_DEP_1) | instskip(NEXT) | instid1(VALU_DEP_1)
	v_fma_f32 v10, v3, v9, v4
	v_div_scale_f32 v18, null, v10, v10, 1.0
	v_div_scale_f32 v21, vcc_lo, 1.0, v10, 1.0
	s_delay_alu instid0(VALU_DEP_2) | instskip(SKIP_2) | instid1(VALU_DEP_1)
	v_rcp_f32_e32 v19, v18
	s_waitcnt_depctr 0xfff
	v_fma_f32 v20, -v18, v19, 1.0
	v_fmac_f32_e32 v19, v20, v19
	s_delay_alu instid0(VALU_DEP_1) | instskip(NEXT) | instid1(VALU_DEP_1)
	v_mul_f32_e32 v20, v21, v19
	v_fma_f32 v22, -v18, v20, v21
	s_delay_alu instid0(VALU_DEP_1) | instskip(NEXT) | instid1(VALU_DEP_1)
	v_fmac_f32_e32 v20, v22, v19
	v_fma_f32 v18, -v18, v20, v21
	s_delay_alu instid0(VALU_DEP_1) | instskip(SKIP_1) | instid1(VALU_DEP_2)
	v_div_fmas_f32 v18, v18, v19, v20
	v_fma_f32 v19, v1, v9, v2
	v_div_fixup_f32 v10, v18, v10, 1.0
	v_fma_f32 v18, v2, v9, -v1
	s_delay_alu instid0(VALU_DEP_2) | instskip(NEXT) | instid1(VALU_DEP_2)
	v_mul_f32_e32 v9, v19, v10
	v_mul_f32_e32 v10, v18, v10
	s_cbranch_execz .LBB162_153
	s_branch .LBB162_154
.LBB162_152:                            ;   in Loop: Header=BB162_147 Depth=1
                                        ; implicit-def: $vgpr10
.LBB162_153:                            ;   in Loop: Header=BB162_147 Depth=1
	v_div_scale_f32 v9, null, v3, v3, v4
	v_div_scale_f32 v19, vcc_lo, v4, v3, v4
	s_delay_alu instid0(VALU_DEP_2) | instskip(SKIP_2) | instid1(VALU_DEP_1)
	v_rcp_f32_e32 v10, v9
	s_waitcnt_depctr 0xfff
	v_fma_f32 v18, -v9, v10, 1.0
	v_fmac_f32_e32 v10, v18, v10
	s_delay_alu instid0(VALU_DEP_1) | instskip(NEXT) | instid1(VALU_DEP_1)
	v_mul_f32_e32 v18, v19, v10
	v_fma_f32 v20, -v9, v18, v19
	s_delay_alu instid0(VALU_DEP_1) | instskip(NEXT) | instid1(VALU_DEP_1)
	v_fmac_f32_e32 v18, v20, v10
	v_fma_f32 v9, -v9, v18, v19
	s_delay_alu instid0(VALU_DEP_1) | instskip(NEXT) | instid1(VALU_DEP_1)
	v_div_fmas_f32 v9, v9, v10, v18
	v_div_fixup_f32 v9, v9, v3, v4
	s_delay_alu instid0(VALU_DEP_1) | instskip(NEXT) | instid1(VALU_DEP_1)
	v_fmac_f32_e32 v3, v4, v9
	v_div_scale_f32 v4, null, v3, v3, 1.0
	v_div_scale_f32 v19, vcc_lo, 1.0, v3, 1.0
	s_delay_alu instid0(VALU_DEP_2) | instskip(SKIP_2) | instid1(VALU_DEP_1)
	v_rcp_f32_e32 v10, v4
	s_waitcnt_depctr 0xfff
	v_fma_f32 v18, -v4, v10, 1.0
	v_fmac_f32_e32 v10, v18, v10
	s_delay_alu instid0(VALU_DEP_1) | instskip(NEXT) | instid1(VALU_DEP_1)
	v_mul_f32_e32 v18, v19, v10
	v_fma_f32 v20, -v4, v18, v19
	s_delay_alu instid0(VALU_DEP_1) | instskip(NEXT) | instid1(VALU_DEP_1)
	v_fmac_f32_e32 v18, v20, v10
	v_fma_f32 v4, -v4, v18, v19
	s_delay_alu instid0(VALU_DEP_1) | instskip(SKIP_2) | instid1(VALU_DEP_3)
	v_div_fmas_f32 v4, v4, v10, v18
	v_fma_f32 v10, v2, v9, v1
	v_fma_f32 v1, -v1, v9, v2
	v_div_fixup_f32 v3, v4, v3, 1.0
	s_delay_alu instid0(VALU_DEP_1) | instskip(NEXT) | instid1(VALU_DEP_3)
	v_mul_f32_e32 v9, v10, v3
	v_mul_f32_e32 v10, v1, v3
.LBB162_154:                            ;   in Loop: Header=BB162_147 Depth=1
	s_add_i32 s7, s7, s4
	ds_store_b64 v17, v[9:10]
	s_lshl_b32 s7, s7, 3
	s_delay_alu instid0(SALU_CYCLE_1)
	v_mov_b32_e32 v1, s7
	ds_load_b128 v[1:4], v1
	s_waitcnt lgkmcnt(0)
	v_mul_f32_e32 v18, v10, v2
	v_cmp_gt_f32_e32 vcc_lo, 0, v3
	v_mul_f32_e32 v2, v9, v2
	s_delay_alu instid0(VALU_DEP_3) | instskip(SKIP_2) | instid1(VALU_DEP_3)
	v_fma_f32 v18, v9, v1, -v18
	v_cndmask_b32_e64 v19, v3, -v3, vcc_lo
	v_cmp_gt_f32_e32 vcc_lo, 0, v4
	v_dual_fmac_f32 v2, v10, v1 :: v_dual_sub_f32 v1, v11, v18
	v_cndmask_b32_e64 v20, v4, -v4, vcc_lo
	s_delay_alu instid0(VALU_DEP_2) | instskip(NEXT) | instid1(VALU_DEP_2)
	v_sub_f32_e32 v2, v12, v2
	v_cmp_ngt_f32_e32 vcc_lo, v19, v20
	s_cbranch_vccz .LBB162_156
; %bb.155:                              ;   in Loop: Header=BB162_147 Depth=1
	v_div_scale_f32 v11, null, v4, v4, v3
	v_div_scale_f32 v18, vcc_lo, v3, v4, v3
	s_delay_alu instid0(VALU_DEP_2) | instskip(SKIP_2) | instid1(VALU_DEP_1)
	v_rcp_f32_e32 v12, v11
	s_waitcnt_depctr 0xfff
	v_fma_f32 v17, -v11, v12, 1.0
	v_fmac_f32_e32 v12, v17, v12
	s_delay_alu instid0(VALU_DEP_1) | instskip(NEXT) | instid1(VALU_DEP_1)
	v_mul_f32_e32 v17, v18, v12
	v_fma_f32 v19, -v11, v17, v18
	s_delay_alu instid0(VALU_DEP_1) | instskip(NEXT) | instid1(VALU_DEP_1)
	v_fmac_f32_e32 v17, v19, v12
	v_fma_f32 v11, -v11, v17, v18
	s_delay_alu instid0(VALU_DEP_1) | instskip(NEXT) | instid1(VALU_DEP_1)
	v_div_fmas_f32 v11, v11, v12, v17
	v_div_fixup_f32 v11, v11, v4, v3
	s_delay_alu instid0(VALU_DEP_1) | instskip(NEXT) | instid1(VALU_DEP_1)
	v_fma_f32 v12, v3, v11, v4
	v_div_scale_f32 v17, null, v12, v12, 1.0
	v_div_scale_f32 v20, vcc_lo, 1.0, v12, 1.0
	s_delay_alu instid0(VALU_DEP_2) | instskip(SKIP_2) | instid1(VALU_DEP_1)
	v_rcp_f32_e32 v18, v17
	s_waitcnt_depctr 0xfff
	v_fma_f32 v19, -v17, v18, 1.0
	v_fmac_f32_e32 v18, v19, v18
	s_delay_alu instid0(VALU_DEP_1) | instskip(NEXT) | instid1(VALU_DEP_1)
	v_mul_f32_e32 v19, v20, v18
	v_fma_f32 v21, -v17, v19, v20
	s_delay_alu instid0(VALU_DEP_1) | instskip(NEXT) | instid1(VALU_DEP_1)
	v_fmac_f32_e32 v19, v21, v18
	v_fma_f32 v17, -v17, v19, v20
	s_delay_alu instid0(VALU_DEP_1) | instskip(SKIP_1) | instid1(VALU_DEP_2)
	v_div_fmas_f32 v17, v17, v18, v19
	v_fma_f32 v18, v11, v1, v2
	v_div_fixup_f32 v12, v17, v12, 1.0
	v_fma_f32 v17, v11, v2, -v1
	s_delay_alu instid0(VALU_DEP_2) | instskip(NEXT) | instid1(VALU_DEP_2)
	v_mul_f32_e32 v11, v18, v12
	v_mul_f32_e32 v12, v17, v12
	s_cbranch_execz .LBB162_157
	s_branch .LBB162_158
.LBB162_156:                            ;   in Loop: Header=BB162_147 Depth=1
                                        ; implicit-def: $vgpr12
.LBB162_157:                            ;   in Loop: Header=BB162_147 Depth=1
	v_div_scale_f32 v11, null, v3, v3, v4
	v_div_scale_f32 v18, vcc_lo, v4, v3, v4
	s_delay_alu instid0(VALU_DEP_2) | instskip(SKIP_2) | instid1(VALU_DEP_1)
	v_rcp_f32_e32 v12, v11
	s_waitcnt_depctr 0xfff
	v_fma_f32 v17, -v11, v12, 1.0
	v_fmac_f32_e32 v12, v17, v12
	s_delay_alu instid0(VALU_DEP_1) | instskip(NEXT) | instid1(VALU_DEP_1)
	v_mul_f32_e32 v17, v18, v12
	v_fma_f32 v19, -v11, v17, v18
	s_delay_alu instid0(VALU_DEP_1) | instskip(NEXT) | instid1(VALU_DEP_1)
	v_fmac_f32_e32 v17, v19, v12
	v_fma_f32 v11, -v11, v17, v18
	s_delay_alu instid0(VALU_DEP_1) | instskip(NEXT) | instid1(VALU_DEP_1)
	v_div_fmas_f32 v11, v11, v12, v17
	v_div_fixup_f32 v11, v11, v3, v4
	s_delay_alu instid0(VALU_DEP_1) | instskip(NEXT) | instid1(VALU_DEP_1)
	v_fmac_f32_e32 v3, v4, v11
	v_div_scale_f32 v4, null, v3, v3, 1.0
	v_div_scale_f32 v18, vcc_lo, 1.0, v3, 1.0
	s_delay_alu instid0(VALU_DEP_2) | instskip(SKIP_2) | instid1(VALU_DEP_1)
	v_rcp_f32_e32 v12, v4
	s_waitcnt_depctr 0xfff
	v_fma_f32 v17, -v4, v12, 1.0
	v_fmac_f32_e32 v12, v17, v12
	s_delay_alu instid0(VALU_DEP_1) | instskip(NEXT) | instid1(VALU_DEP_1)
	v_mul_f32_e32 v17, v18, v12
	v_fma_f32 v19, -v4, v17, v18
	s_delay_alu instid0(VALU_DEP_1) | instskip(NEXT) | instid1(VALU_DEP_1)
	v_fmac_f32_e32 v17, v19, v12
	v_fma_f32 v4, -v4, v17, v18
	s_delay_alu instid0(VALU_DEP_1) | instskip(SKIP_2) | instid1(VALU_DEP_3)
	v_div_fmas_f32 v4, v4, v12, v17
	v_fma_f32 v12, v11, v2, v1
	v_fma_f32 v1, -v11, v1, v2
	v_div_fixup_f32 v3, v4, v3, 1.0
	s_delay_alu instid0(VALU_DEP_1) | instskip(NEXT) | instid1(VALU_DEP_3)
	v_mul_f32_e32 v11, v12, v3
	v_mul_f32_e32 v12, v1, v3
.LBB162_158:                            ;   in Loop: Header=BB162_147 Depth=1
	s_add_i32 s6, s6, s4
	v_mov_b32_e32 v2, s9
	s_lshl_b32 s6, s6, 3
	s_delay_alu instid0(SALU_CYCLE_1)
	v_mov_b32_e32 v1, s6
	ds_load_b128 v[17:20], v1
	ds_load_b64 v[1:2], v2 offset:400
	ds_store_b64 v16, v[11:12]
	s_waitcnt lgkmcnt(2)
	v_mul_f32_e32 v3, v10, v18
	s_waitcnt lgkmcnt(1)
	v_cmp_gt_f32_e32 vcc_lo, 0, v1
	v_mul_f32_e32 v4, v9, v18
	v_mul_f32_e32 v18, v12, v20
	;; [unrolled: 1-line block ×3, first 2 shown]
	v_fma_f32 v3, v9, v17, -v3
	v_cndmask_b32_e64 v21, v1, -v1, vcc_lo
	v_cmp_gt_f32_e32 vcc_lo, 0, v2
	v_fma_f32 v18, v11, v19, -v18
	v_fmac_f32_e32 v20, v12, v19
	v_dual_sub_f32 v3, v7, v3 :: v_dual_fmac_f32 v4, v10, v17
	v_cndmask_b32_e64 v17, v2, -v2, vcc_lo
	s_delay_alu instid0(VALU_DEP_2) | instskip(NEXT) | instid1(VALU_DEP_2)
	v_dual_sub_f32 v3, v3, v18 :: v_dual_sub_f32 v4, v8, v4
	v_cmp_ngt_f32_e32 vcc_lo, v21, v17
	s_delay_alu instid0(VALU_DEP_2)
	v_sub_f32_e32 v4, v4, v20
	s_cbranch_vccz .LBB162_160
; %bb.159:                              ;   in Loop: Header=BB162_147 Depth=1
	v_div_scale_f32 v7, null, v2, v2, v1
	v_div_scale_f32 v17, vcc_lo, v1, v2, v1
	s_delay_alu instid0(VALU_DEP_2) | instskip(SKIP_2) | instid1(VALU_DEP_1)
	v_rcp_f32_e32 v8, v7
	s_waitcnt_depctr 0xfff
	v_fma_f32 v16, -v7, v8, 1.0
	v_fmac_f32_e32 v8, v16, v8
	s_delay_alu instid0(VALU_DEP_1) | instskip(NEXT) | instid1(VALU_DEP_1)
	v_mul_f32_e32 v16, v17, v8
	v_fma_f32 v18, -v7, v16, v17
	s_delay_alu instid0(VALU_DEP_1) | instskip(NEXT) | instid1(VALU_DEP_1)
	v_fmac_f32_e32 v16, v18, v8
	v_fma_f32 v7, -v7, v16, v17
	s_delay_alu instid0(VALU_DEP_1) | instskip(NEXT) | instid1(VALU_DEP_1)
	v_div_fmas_f32 v7, v7, v8, v16
	v_div_fixup_f32 v7, v7, v2, v1
	s_delay_alu instid0(VALU_DEP_1) | instskip(NEXT) | instid1(VALU_DEP_1)
	v_fma_f32 v8, v1, v7, v2
	v_div_scale_f32 v16, null, v8, v8, 1.0
	v_div_scale_f32 v19, vcc_lo, 1.0, v8, 1.0
	s_delay_alu instid0(VALU_DEP_2) | instskip(SKIP_2) | instid1(VALU_DEP_1)
	v_rcp_f32_e32 v17, v16
	s_waitcnt_depctr 0xfff
	v_fma_f32 v18, -v16, v17, 1.0
	v_fmac_f32_e32 v17, v18, v17
	s_delay_alu instid0(VALU_DEP_1) | instskip(NEXT) | instid1(VALU_DEP_1)
	v_mul_f32_e32 v18, v19, v17
	v_fma_f32 v20, -v16, v18, v19
	s_delay_alu instid0(VALU_DEP_1) | instskip(NEXT) | instid1(VALU_DEP_1)
	v_fmac_f32_e32 v18, v20, v17
	v_fma_f32 v16, -v16, v18, v19
	s_delay_alu instid0(VALU_DEP_1) | instskip(SKIP_1) | instid1(VALU_DEP_2)
	v_div_fmas_f32 v16, v16, v17, v18
	v_fma_f32 v17, v7, v3, v4
	v_div_fixup_f32 v8, v16, v8, 1.0
	v_fma_f32 v16, v7, v4, -v3
	s_delay_alu instid0(VALU_DEP_2) | instskip(NEXT) | instid1(VALU_DEP_2)
	v_mul_f32_e32 v7, v17, v8
	v_mul_f32_e32 v8, v16, v8
	s_cbranch_execz .LBB162_161
	s_branch .LBB162_162
.LBB162_160:                            ;   in Loop: Header=BB162_147 Depth=1
                                        ; implicit-def: $vgpr8
.LBB162_161:                            ;   in Loop: Header=BB162_147 Depth=1
	v_div_scale_f32 v7, null, v1, v1, v2
	v_div_scale_f32 v17, vcc_lo, v2, v1, v2
	s_delay_alu instid0(VALU_DEP_2) | instskip(SKIP_2) | instid1(VALU_DEP_1)
	v_rcp_f32_e32 v8, v7
	s_waitcnt_depctr 0xfff
	v_fma_f32 v16, -v7, v8, 1.0
	v_fmac_f32_e32 v8, v16, v8
	s_delay_alu instid0(VALU_DEP_1) | instskip(NEXT) | instid1(VALU_DEP_1)
	v_mul_f32_e32 v16, v17, v8
	v_fma_f32 v18, -v7, v16, v17
	s_delay_alu instid0(VALU_DEP_1) | instskip(NEXT) | instid1(VALU_DEP_1)
	v_fmac_f32_e32 v16, v18, v8
	v_fma_f32 v7, -v7, v16, v17
	s_delay_alu instid0(VALU_DEP_1) | instskip(NEXT) | instid1(VALU_DEP_1)
	v_div_fmas_f32 v7, v7, v8, v16
	v_div_fixup_f32 v7, v7, v1, v2
	s_delay_alu instid0(VALU_DEP_1) | instskip(NEXT) | instid1(VALU_DEP_1)
	v_fmac_f32_e32 v1, v2, v7
	v_div_scale_f32 v2, null, v1, v1, 1.0
	v_div_scale_f32 v17, vcc_lo, 1.0, v1, 1.0
	s_delay_alu instid0(VALU_DEP_2) | instskip(SKIP_2) | instid1(VALU_DEP_1)
	v_rcp_f32_e32 v8, v2
	s_waitcnt_depctr 0xfff
	v_fma_f32 v16, -v2, v8, 1.0
	v_fmac_f32_e32 v8, v16, v8
	s_delay_alu instid0(VALU_DEP_1) | instskip(NEXT) | instid1(VALU_DEP_1)
	v_mul_f32_e32 v16, v17, v8
	v_fma_f32 v18, -v2, v16, v17
	s_delay_alu instid0(VALU_DEP_1) | instskip(NEXT) | instid1(VALU_DEP_1)
	v_fmac_f32_e32 v16, v18, v8
	v_fma_f32 v2, -v2, v16, v17
	s_delay_alu instid0(VALU_DEP_1) | instskip(SKIP_1) | instid1(VALU_DEP_2)
	v_div_fmas_f32 v2, v2, v8, v16
	v_fma_f32 v8, v7, v4, v3
	v_div_fixup_f32 v1, v2, v1, 1.0
	v_fma_f32 v2, -v7, v3, v4
	s_delay_alu instid0(VALU_DEP_2) | instskip(NEXT) | instid1(VALU_DEP_2)
	v_mul_f32_e32 v7, v8, v1
	v_mul_f32_e32 v8, v2, v1
.LBB162_162:                            ;   in Loop: Header=BB162_147 Depth=1
	s_add_i32 s5, s5, s4
	s_delay_alu instid0(SALU_CYCLE_1) | instskip(NEXT) | instid1(SALU_CYCLE_1)
	s_lshl_b32 s5, s5, 3
	v_mov_b32_e32 v1, s5
	ds_load_b128 v[16:19], v1
	ds_load_b128 v[1:4], v1 offset:16
	ds_store_b64 v15, v[7:8]
	s_waitcnt lgkmcnt(2)
	v_mul_f32_e32 v20, v10, v17
	s_waitcnt lgkmcnt(1)
	v_dual_mul_f32 v17, v9, v17 :: v_dual_mul_f32 v22, v8, v2
	v_dual_mul_f32 v21, v12, v19 :: v_dual_mul_f32 v2, v7, v2
	v_cmp_gt_f32_e32 vcc_lo, 0, v3
	v_fma_f32 v9, v9, v16, -v20
	s_delay_alu instid0(VALU_DEP_3) | instskip(SKIP_2) | instid1(VALU_DEP_3)
	v_dual_fmac_f32 v17, v10, v16 :: v_dual_fmac_f32 v2, v8, v1
	v_mul_f32_e32 v19, v11, v19
	v_cndmask_b32_e64 v10, v3, -v3, vcc_lo
	v_sub_f32_e32 v6, v6, v17
	v_cmp_gt_f32_e32 vcc_lo, 0, v4
	v_fma_f32 v11, v11, v18, -v21
	v_fmac_f32_e32 v19, v12, v18
	v_sub_f32_e32 v5, v5, v9
	v_fma_f32 v12, v7, v1, -v22
	v_cndmask_b32_e64 v9, v4, -v4, vcc_lo
	s_delay_alu instid0(VALU_DEP_4) | instskip(NEXT) | instid1(VALU_DEP_4)
	v_sub_f32_e32 v6, v6, v19
	v_sub_f32_e32 v1, v5, v11
	s_delay_alu instid0(VALU_DEP_3) | instskip(NEXT) | instid1(VALU_DEP_2)
	v_cmp_ngt_f32_e32 vcc_lo, v10, v9
	v_dual_sub_f32 v6, v6, v2 :: v_dual_sub_f32 v5, v1, v12
	s_cbranch_vccz .LBB162_164
; %bb.163:                              ;   in Loop: Header=BB162_147 Depth=1
	v_div_scale_f32 v1, null, v4, v4, v3
	v_div_scale_f32 v8, vcc_lo, v3, v4, v3
	s_delay_alu instid0(VALU_DEP_2) | instskip(SKIP_2) | instid1(VALU_DEP_1)
	v_rcp_f32_e32 v2, v1
	s_waitcnt_depctr 0xfff
	v_fma_f32 v7, -v1, v2, 1.0
	v_fmac_f32_e32 v2, v7, v2
	s_delay_alu instid0(VALU_DEP_1) | instskip(NEXT) | instid1(VALU_DEP_1)
	v_mul_f32_e32 v7, v8, v2
	v_fma_f32 v9, -v1, v7, v8
	s_delay_alu instid0(VALU_DEP_1) | instskip(NEXT) | instid1(VALU_DEP_1)
	v_fmac_f32_e32 v7, v9, v2
	v_fma_f32 v1, -v1, v7, v8
	s_delay_alu instid0(VALU_DEP_1) | instskip(NEXT) | instid1(VALU_DEP_1)
	v_div_fmas_f32 v1, v1, v2, v7
	v_div_fixup_f32 v1, v1, v4, v3
	s_delay_alu instid0(VALU_DEP_1) | instskip(NEXT) | instid1(VALU_DEP_1)
	v_fma_f32 v2, v3, v1, v4
	v_div_scale_f32 v7, null, v2, v2, 1.0
	v_div_scale_f32 v10, vcc_lo, 1.0, v2, 1.0
	s_delay_alu instid0(VALU_DEP_2) | instskip(SKIP_2) | instid1(VALU_DEP_1)
	v_rcp_f32_e32 v8, v7
	s_waitcnt_depctr 0xfff
	v_fma_f32 v9, -v7, v8, 1.0
	v_fmac_f32_e32 v8, v9, v8
	s_delay_alu instid0(VALU_DEP_1) | instskip(NEXT) | instid1(VALU_DEP_1)
	v_mul_f32_e32 v9, v10, v8
	v_fma_f32 v11, -v7, v9, v10
	s_delay_alu instid0(VALU_DEP_1) | instskip(NEXT) | instid1(VALU_DEP_1)
	v_fmac_f32_e32 v9, v11, v8
	v_fma_f32 v7, -v7, v9, v10
	s_delay_alu instid0(VALU_DEP_1) | instskip(SKIP_1) | instid1(VALU_DEP_2)
	v_div_fmas_f32 v7, v7, v8, v9
	v_fma_f32 v8, v1, v5, v6
	v_div_fixup_f32 v2, v7, v2, 1.0
	v_fma_f32 v7, v1, v6, -v5
	s_delay_alu instid0(VALU_DEP_2) | instskip(NEXT) | instid1(VALU_DEP_2)
	v_mul_f32_e32 v1, v8, v2
	v_mul_f32_e32 v2, v7, v2
	s_cbranch_execz .LBB162_165
	s_branch .LBB162_166
.LBB162_164:                            ;   in Loop: Header=BB162_147 Depth=1
                                        ; implicit-def: $vgpr2
.LBB162_165:                            ;   in Loop: Header=BB162_147 Depth=1
	v_div_scale_f32 v1, null, v3, v3, v4
	v_div_scale_f32 v8, vcc_lo, v4, v3, v4
	s_delay_alu instid0(VALU_DEP_2) | instskip(SKIP_2) | instid1(VALU_DEP_1)
	v_rcp_f32_e32 v2, v1
	s_waitcnt_depctr 0xfff
	v_fma_f32 v7, -v1, v2, 1.0
	v_fmac_f32_e32 v2, v7, v2
	s_delay_alu instid0(VALU_DEP_1) | instskip(NEXT) | instid1(VALU_DEP_1)
	v_mul_f32_e32 v7, v8, v2
	v_fma_f32 v9, -v1, v7, v8
	s_delay_alu instid0(VALU_DEP_1) | instskip(NEXT) | instid1(VALU_DEP_1)
	v_fmac_f32_e32 v7, v9, v2
	v_fma_f32 v1, -v1, v7, v8
	s_delay_alu instid0(VALU_DEP_1) | instskip(NEXT) | instid1(VALU_DEP_1)
	v_div_fmas_f32 v1, v1, v2, v7
	v_div_fixup_f32 v1, v1, v3, v4
	s_delay_alu instid0(VALU_DEP_1) | instskip(NEXT) | instid1(VALU_DEP_1)
	v_fmac_f32_e32 v3, v4, v1
	v_div_scale_f32 v2, null, v3, v3, 1.0
	v_div_scale_f32 v8, vcc_lo, 1.0, v3, 1.0
	s_delay_alu instid0(VALU_DEP_2) | instskip(SKIP_2) | instid1(VALU_DEP_1)
	v_rcp_f32_e32 v4, v2
	s_waitcnt_depctr 0xfff
	v_fma_f32 v7, -v2, v4, 1.0
	v_fmac_f32_e32 v4, v7, v4
	s_delay_alu instid0(VALU_DEP_1) | instskip(NEXT) | instid1(VALU_DEP_1)
	v_mul_f32_e32 v7, v8, v4
	v_fma_f32 v9, -v2, v7, v8
	s_delay_alu instid0(VALU_DEP_1) | instskip(NEXT) | instid1(VALU_DEP_1)
	v_fmac_f32_e32 v7, v9, v4
	v_fma_f32 v2, -v2, v7, v8
	s_delay_alu instid0(VALU_DEP_1) | instskip(SKIP_1) | instid1(VALU_DEP_2)
	v_div_fmas_f32 v2, v2, v4, v7
	v_fma_f32 v4, v1, v6, v5
	v_div_fixup_f32 v2, v2, v3, 1.0
	v_fma_f32 v3, -v1, v5, v6
	s_delay_alu instid0(VALU_DEP_2) | instskip(NEXT) | instid1(VALU_DEP_2)
	v_mul_f32_e32 v1, v4, v2
	v_mul_f32_e32 v2, v3, v2
.LBB162_166:                            ;   in Loop: Header=BB162_147 Depth=1
	s_add_i32 s5, s4, 4
	s_add_i32 s4, s4, 7
	s_addk_i32 s1, 0x300
	s_cmp_ge_i32 s4, s11
	ds_store_b64 v14, v[1:2]
	s_cbranch_scc1 .LBB162_168
; %bb.167:                              ;   in Loop: Header=BB162_147 Depth=1
	s_mov_b32 s4, s5
	s_branch .LBB162_147
.LBB162_168:
	s_cmp_ge_i32 s5, s11
	s_cbranch_scc1 .LBB162_183
; %bb.169:
	v_lshl_or_b32 v1, v0, 3, 0x1200
	s_add_i32 s1, s5, -1
	s_mul_i32 s4, s5, 0xc0
	s_mov_b32 s6, 0
	s_mov_b32 s7, s5
	s_branch .LBB162_171
.LBB162_170:                            ;   in Loop: Header=BB162_171 Depth=1
	v_add_nc_u16 v2, s7, 1
	s_add_i32 s5, s5, 1
	s_add_i32 s6, s6, 1
	s_addk_i32 s4, 0xc0
	s_cmp_ge_i32 s5, s11
	v_readfirstlane_b32 s7, v2
	ds_store_b64 v8, v[6:7]
	s_cbranch_scc1 .LBB162_183
.LBB162_171:                            ; =>This Loop Header: Depth=1
                                        ;     Child Loop BB162_174 Depth 2
                                        ;     Child Loop BB162_178 Depth 2
	s_mul_i32 s9, s5, 24
	s_cmp_eq_u32 s5, 0
	v_add_lshl_u32 v6, s9, v0, 3
	ds_load_b64 v[2:3], v6 offset:4608
	s_cbranch_scc1 .LBB162_179
; %bb.172:                              ;   in Loop: Header=BB162_171 Depth=1
	s_add_i32 s9, s1, s6
	s_delay_alu instid0(SALU_CYCLE_1)
	s_cmp_lt_u32 s9, 3
	s_cbranch_scc1 .LBB162_176
; %bb.173:                              ;   in Loop: Header=BB162_171 Depth=1
	v_mov_b32_e32 v4, v1
	s_and_b32 s9, s5, -4
	s_mov_b32 s10, 0
	s_mov_b32 s14, s4
	s_set_inst_prefetch_distance 0x1
	.p2align	6
.LBB162_174:                            ;   Parent Loop BB162_171 Depth=1
                                        ; =>  This Inner Loop Header: Depth=2
	v_mov_b32_e32 v5, s14
	s_add_i32 s10, s10, 4
	s_add_i32 s14, s14, 32
	s_cmp_eq_u32 s9, s10
	ds_load_2addr_b64 v[7:10], v4 offset1:24
	ds_load_b128 v[11:14], v5
	ds_load_2addr_b64 v[15:18], v4 offset0:48 offset1:72
	ds_load_b128 v[19:22], v5 offset:16
	v_add_nc_u32_e32 v4, 0x300, v4
	s_waitcnt lgkmcnt(2)
	v_mul_f32_e32 v5, v12, v8
	v_dual_mul_f32 v8, v11, v8 :: v_dual_mul_f32 v23, v14, v10
	s_waitcnt lgkmcnt(0)
	v_mul_f32_e32 v24, v20, v16
	v_mul_f32_e32 v10, v13, v10
	v_fma_f32 v5, v11, v7, -v5
	v_fmac_f32_e32 v8, v12, v7
	v_dual_mul_f32 v16, v19, v16 :: v_dual_mul_f32 v7, v22, v18
	v_fma_f32 v11, v13, v9, -v23
	s_delay_alu instid0(VALU_DEP_4) | instskip(NEXT) | instid1(VALU_DEP_4)
	v_dual_sub_f32 v2, v2, v5 :: v_dual_mul_f32 v5, v21, v18
	v_dual_fmac_f32 v10, v14, v9 :: v_dual_sub_f32 v3, v3, v8
	v_fma_f32 v8, v19, v15, -v24
	s_delay_alu instid0(VALU_DEP_3) | instskip(SKIP_1) | instid1(VALU_DEP_4)
	v_dual_fmac_f32 v16, v20, v15 :: v_dual_fmac_f32 v5, v22, v17
	v_fma_f32 v7, v21, v17, -v7
	v_dual_sub_f32 v3, v3, v10 :: v_dual_sub_f32 v2, v2, v11
	s_delay_alu instid0(VALU_DEP_1) | instskip(NEXT) | instid1(VALU_DEP_1)
	v_sub_f32_e32 v3, v3, v16
	v_dual_sub_f32 v2, v2, v8 :: v_dual_sub_f32 v3, v3, v5
	s_delay_alu instid0(VALU_DEP_1)
	v_sub_f32_e32 v2, v2, v7
	s_cbranch_scc0 .LBB162_174
; %bb.175:                              ;   in Loop: Header=BB162_171 Depth=1
	s_set_inst_prefetch_distance 0x2
	s_and_b32 s10, s5, 3
	s_delay_alu instid0(SALU_CYCLE_1)
	s_cmp_eq_u32 s10, 0
	s_cbranch_scc0 .LBB162_177
	s_branch .LBB162_179
.LBB162_176:                            ;   in Loop: Header=BB162_171 Depth=1
	s_mov_b32 s9, 0
	s_and_b32 s10, s5, 3
	s_delay_alu instid0(SALU_CYCLE_1)
	s_cmp_eq_u32 s10, 0
	s_cbranch_scc1 .LBB162_179
.LBB162_177:                            ;   in Loop: Header=BB162_171 Depth=1
	s_waitcnt lgkmcnt(0)
	v_mad_u64_u32 v[4:5], null, 0xc0, s9, v[1:2]
	s_and_b32 s10, s7, 3
	s_lshl_b32 s9, s9, 3
	.p2align	6
.LBB162_178:                            ;   Parent Loop BB162_171 Depth=1
                                        ; =>  This Inner Loop Header: Depth=2
	s_delay_alu instid0(SALU_CYCLE_1)
	s_add_i32 s14, s4, s9
	s_add_i32 s10, s10, -1
	v_mov_b32_e32 v5, s14
	s_add_i32 s9, s9, 8
	s_cmp_lg_u32 s10, 0
	ds_load_b64 v[7:8], v4
	ds_load_b64 v[9:10], v5
	v_add_nc_u32_e32 v4, 0xc0, v4
	s_waitcnt lgkmcnt(0)
	v_mul_f32_e32 v5, v10, v8
	v_mul_f32_e32 v8, v9, v8
	s_delay_alu instid0(VALU_DEP_2) | instskip(NEXT) | instid1(VALU_DEP_2)
	v_fma_f32 v5, v9, v7, -v5
	v_fmac_f32_e32 v8, v10, v7
	s_delay_alu instid0(VALU_DEP_1)
	v_dual_sub_f32 v2, v2, v5 :: v_dual_sub_f32 v3, v3, v8
	s_cbranch_scc1 .LBB162_178
.LBB162_179:                            ;   in Loop: Header=BB162_171 Depth=1
	s_mul_i32 s9, s5, 0xc8
	v_add_nc_u32_e32 v8, 0x1200, v6
	v_mov_b32_e32 v4, s9
	ds_load_b64 v[4:5], v4
	s_waitcnt lgkmcnt(0)
	v_cmp_gt_f32_e32 vcc_lo, 0, v4
	v_cndmask_b32_e64 v6, v4, -v4, vcc_lo
	v_cmp_gt_f32_e32 vcc_lo, 0, v5
	v_cndmask_b32_e64 v7, v5, -v5, vcc_lo
	s_delay_alu instid0(VALU_DEP_1)
	v_cmp_ngt_f32_e32 vcc_lo, v6, v7
	s_cbranch_vccz .LBB162_181
; %bb.180:                              ;   in Loop: Header=BB162_171 Depth=1
	v_div_scale_f32 v6, null, v5, v5, v4
	v_div_scale_f32 v10, vcc_lo, v4, v5, v4
	s_delay_alu instid0(VALU_DEP_2) | instskip(SKIP_2) | instid1(VALU_DEP_1)
	v_rcp_f32_e32 v7, v6
	s_waitcnt_depctr 0xfff
	v_fma_f32 v9, -v6, v7, 1.0
	v_fmac_f32_e32 v7, v9, v7
	s_delay_alu instid0(VALU_DEP_1) | instskip(NEXT) | instid1(VALU_DEP_1)
	v_mul_f32_e32 v9, v10, v7
	v_fma_f32 v11, -v6, v9, v10
	s_delay_alu instid0(VALU_DEP_1) | instskip(NEXT) | instid1(VALU_DEP_1)
	v_fmac_f32_e32 v9, v11, v7
	v_fma_f32 v6, -v6, v9, v10
	s_delay_alu instid0(VALU_DEP_1) | instskip(NEXT) | instid1(VALU_DEP_1)
	v_div_fmas_f32 v6, v6, v7, v9
	v_div_fixup_f32 v6, v6, v5, v4
	s_delay_alu instid0(VALU_DEP_1) | instskip(NEXT) | instid1(VALU_DEP_1)
	v_fma_f32 v7, v4, v6, v5
	v_div_scale_f32 v9, null, v7, v7, 1.0
	v_div_scale_f32 v12, vcc_lo, 1.0, v7, 1.0
	s_delay_alu instid0(VALU_DEP_2) | instskip(SKIP_2) | instid1(VALU_DEP_1)
	v_rcp_f32_e32 v10, v9
	s_waitcnt_depctr 0xfff
	v_fma_f32 v11, -v9, v10, 1.0
	v_fmac_f32_e32 v10, v11, v10
	s_delay_alu instid0(VALU_DEP_1) | instskip(NEXT) | instid1(VALU_DEP_1)
	v_mul_f32_e32 v11, v12, v10
	v_fma_f32 v13, -v9, v11, v12
	s_delay_alu instid0(VALU_DEP_1) | instskip(NEXT) | instid1(VALU_DEP_1)
	v_fmac_f32_e32 v11, v13, v10
	v_fma_f32 v9, -v9, v11, v12
	s_delay_alu instid0(VALU_DEP_1) | instskip(SKIP_1) | instid1(VALU_DEP_2)
	v_div_fmas_f32 v9, v9, v10, v11
	v_fma_f32 v10, v2, v6, v3
	v_div_fixup_f32 v7, v9, v7, 1.0
	v_fma_f32 v9, v3, v6, -v2
	s_delay_alu instid0(VALU_DEP_2) | instskip(NEXT) | instid1(VALU_DEP_2)
	v_mul_f32_e32 v6, v10, v7
	v_mul_f32_e32 v7, v9, v7
	s_cbranch_execnz .LBB162_170
	s_branch .LBB162_182
.LBB162_181:                            ;   in Loop: Header=BB162_171 Depth=1
                                        ; implicit-def: $vgpr6
.LBB162_182:                            ;   in Loop: Header=BB162_171 Depth=1
	v_div_scale_f32 v6, null, v4, v4, v5
	v_div_scale_f32 v10, vcc_lo, v5, v4, v5
	s_delay_alu instid0(VALU_DEP_2) | instskip(SKIP_2) | instid1(VALU_DEP_1)
	v_rcp_f32_e32 v7, v6
	s_waitcnt_depctr 0xfff
	v_fma_f32 v9, -v6, v7, 1.0
	v_fmac_f32_e32 v7, v9, v7
	s_delay_alu instid0(VALU_DEP_1) | instskip(NEXT) | instid1(VALU_DEP_1)
	v_mul_f32_e32 v9, v10, v7
	v_fma_f32 v11, -v6, v9, v10
	s_delay_alu instid0(VALU_DEP_1) | instskip(NEXT) | instid1(VALU_DEP_1)
	v_fmac_f32_e32 v9, v11, v7
	v_fma_f32 v6, -v6, v9, v10
	s_delay_alu instid0(VALU_DEP_1) | instskip(NEXT) | instid1(VALU_DEP_1)
	v_div_fmas_f32 v6, v6, v7, v9
	v_div_fixup_f32 v6, v6, v4, v5
	s_delay_alu instid0(VALU_DEP_1) | instskip(NEXT) | instid1(VALU_DEP_1)
	v_fmac_f32_e32 v4, v5, v6
	v_div_scale_f32 v5, null, v4, v4, 1.0
	v_div_scale_f32 v10, vcc_lo, 1.0, v4, 1.0
	s_delay_alu instid0(VALU_DEP_2) | instskip(SKIP_2) | instid1(VALU_DEP_1)
	v_rcp_f32_e32 v7, v5
	s_waitcnt_depctr 0xfff
	v_fma_f32 v9, -v5, v7, 1.0
	v_fmac_f32_e32 v7, v9, v7
	s_delay_alu instid0(VALU_DEP_1) | instskip(NEXT) | instid1(VALU_DEP_1)
	v_mul_f32_e32 v9, v10, v7
	v_fma_f32 v11, -v5, v9, v10
	s_delay_alu instid0(VALU_DEP_1) | instskip(NEXT) | instid1(VALU_DEP_1)
	v_fmac_f32_e32 v9, v11, v7
	v_fma_f32 v5, -v5, v9, v10
	s_delay_alu instid0(VALU_DEP_1) | instskip(SKIP_2) | instid1(VALU_DEP_3)
	v_div_fmas_f32 v5, v5, v7, v9
	v_fma_f32 v7, v3, v6, v2
	v_fma_f32 v2, -v2, v6, v3
	v_div_fixup_f32 v4, v5, v4, 1.0
	s_delay_alu instid0(VALU_DEP_1) | instskip(NEXT) | instid1(VALU_DEP_3)
	v_mul_f32_e32 v6, v7, v4
	v_mul_f32_e32 v7, v2, v4
	s_branch .LBB162_170
.LBB162_183:
	s_and_saveexec_b32 s1, s20
	s_cbranch_execz .LBB162_190
; %bb.184:
	v_lshlrev_b32_e32 v3, 3, v0
	s_ashr_i32 s1, s0, 31
	s_cmp_lt_u32 s8, 4
	s_mov_b32 s9, 0
	s_cbranch_scc1 .LBB162_187
; %bb.185:
	v_add_co_u32 v1, s4, s18, v3
	s_delay_alu instid0(VALU_DEP_1)
	v_add_co_ci_u32_e64 v2, null, s19, 0, s4
	v_lshl_or_b32 v0, v0, 3, 0x1200
	s_and_b32 s9, s8, 0x7ffffffc
	s_mul_hi_i32 s14, s0, 24
	s_mul_i32 s15, s0, 24
	s_lshl_b64 s[4:5], s[0:1], 5
	s_lshl_b64 s[6:7], s[0:1], 4
	;; [unrolled: 1-line block ×3, first 2 shown]
	s_mov_b32 s18, 0
	.p2align	6
.LBB162_186:                            ; =>This Inner Loop Header: Depth=1
	ds_load_2addr_b64 v[4:7], v0 offset1:24
	ds_load_2addr_b64 v[8:11], v0 offset0:48 offset1:72
	v_add_co_u32 v12, vcc_lo, v1, s10
	v_add_co_ci_u32_e32 v13, vcc_lo, s11, v2, vcc_lo
	v_add_co_u32 v14, vcc_lo, v1, s6
	v_add_co_ci_u32_e32 v15, vcc_lo, s7, v2, vcc_lo
	;; [unrolled: 2-line block ×3, first 2 shown]
	v_add_nc_u32_e32 v0, 0x300, v0
	s_add_i32 s18, s18, 4
	s_delay_alu instid0(SALU_CYCLE_1)
	s_cmp_lg_u32 s9, s18
	s_waitcnt lgkmcnt(1)
	global_store_b64 v[1:2], v[4:5], off
	v_add_co_u32 v1, vcc_lo, v1, s4
	v_add_co_ci_u32_e32 v2, vcc_lo, s5, v2, vcc_lo
	global_store_b64 v[12:13], v[6:7], off
	s_waitcnt lgkmcnt(0)
	s_clause 0x1
	global_store_b64 v[14:15], v[8:9], off
	global_store_b64 v[16:17], v[10:11], off
	s_cbranch_scc1 .LBB162_186
.LBB162_187:
	s_and_b32 s4, s8, 3
	s_delay_alu instid0(SALU_CYCLE_1)
	s_cmp_eq_u32 s4, 0
	s_cbranch_scc1 .LBB162_190
; %bb.188:
	s_mul_hi_i32 s7, s0, s9
	s_mul_i32 s6, s0, s9
	s_mul_i32 s5, s9, 0xc0
	s_lshl_b64 s[6:7], s[6:7], 3
	v_add3_u32 v2, s5, v3, 0x1200
	s_add_u32 s6, s6, s16
	s_addc_u32 s7, s7, s17
	s_add_u32 s6, s6, s12
	s_addc_u32 s7, s7, s13
	;; [unrolled: 2-line block ×3, first 2 shown]
	v_add_co_u32 v0, s2, s2, v3
	s_delay_alu instid0(VALU_DEP_1)
	v_add_co_ci_u32_e64 v1, null, s3, 0, s2
	s_lshl_b64 s[0:1], s[0:1], 3
.LBB162_189:                            ; =>This Inner Loop Header: Depth=1
	ds_load_b64 v[3:4], v2
	v_add_nc_u32_e32 v2, 0xc0, v2
	s_add_i32 s4, s4, -1
	s_delay_alu instid0(SALU_CYCLE_1)
	s_cmp_lg_u32 s4, 0
	s_waitcnt lgkmcnt(0)
	global_store_b64 v[0:1], v[3:4], off
	v_add_co_u32 v0, vcc_lo, v0, s0
	v_add_co_ci_u32_e32 v1, vcc_lo, s1, v1, vcc_lo
	s_cbranch_scc1 .LBB162_189
.LBB162_190:
	s_nop 0
	s_sendmsg sendmsg(MSG_DEALLOC_VGPRS)
	s_endpgm
	.section	.rodata,"a",@progbits
	.p2align	6, 0x0
	.amdhsa_kernel _ZL31rocblas_trsm_small_right_deviceI19rocblas_complex_numIfES1_PKPKS1_PKPS1_Li24EEv13rocblas_fill_18rocblas_operation_17rocblas_diagonal_iiT0_T1_lilT2_lili
		.amdhsa_group_segment_fixed_size 9216
		.amdhsa_private_segment_fixed_size 0
		.amdhsa_kernarg_size 360
		.amdhsa_user_sgpr_count 14
		.amdhsa_user_sgpr_dispatch_ptr 0
		.amdhsa_user_sgpr_queue_ptr 0
		.amdhsa_user_sgpr_kernarg_segment_ptr 1
		.amdhsa_user_sgpr_dispatch_id 0
		.amdhsa_user_sgpr_private_segment_size 0
		.amdhsa_wavefront_size32 1
		.amdhsa_uses_dynamic_stack 0
		.amdhsa_enable_private_segment 0
		.amdhsa_system_sgpr_workgroup_id_x 1
		.amdhsa_system_sgpr_workgroup_id_y 0
		.amdhsa_system_sgpr_workgroup_id_z 1
		.amdhsa_system_sgpr_workgroup_info 0
		.amdhsa_system_vgpr_workitem_id 0
		.amdhsa_next_free_vgpr 45
		.amdhsa_next_free_sgpr 36
		.amdhsa_reserve_vcc 1
		.amdhsa_float_round_mode_32 0
		.amdhsa_float_round_mode_16_64 0
		.amdhsa_float_denorm_mode_32 3
		.amdhsa_float_denorm_mode_16_64 3
		.amdhsa_dx10_clamp 1
		.amdhsa_ieee_mode 1
		.amdhsa_fp16_overflow 0
		.amdhsa_workgroup_processor_mode 1
		.amdhsa_memory_ordered 1
		.amdhsa_forward_progress 0
		.amdhsa_shared_vgpr_count 0
		.amdhsa_exception_fp_ieee_invalid_op 0
		.amdhsa_exception_fp_denorm_src 0
		.amdhsa_exception_fp_ieee_div_zero 0
		.amdhsa_exception_fp_ieee_overflow 0
		.amdhsa_exception_fp_ieee_underflow 0
		.amdhsa_exception_fp_ieee_inexact 0
		.amdhsa_exception_int_div_zero 0
	.end_amdhsa_kernel
	.section	.text._ZL31rocblas_trsm_small_right_deviceI19rocblas_complex_numIfES1_PKPKS1_PKPS1_Li24EEv13rocblas_fill_18rocblas_operation_17rocblas_diagonal_iiT0_T1_lilT2_lili,"axG",@progbits,_ZL31rocblas_trsm_small_right_deviceI19rocblas_complex_numIfES1_PKPKS1_PKPS1_Li24EEv13rocblas_fill_18rocblas_operation_17rocblas_diagonal_iiT0_T1_lilT2_lili,comdat
.Lfunc_end162:
	.size	_ZL31rocblas_trsm_small_right_deviceI19rocblas_complex_numIfES1_PKPKS1_PKPS1_Li24EEv13rocblas_fill_18rocblas_operation_17rocblas_diagonal_iiT0_T1_lilT2_lili, .Lfunc_end162-_ZL31rocblas_trsm_small_right_deviceI19rocblas_complex_numIfES1_PKPKS1_PKPS1_Li24EEv13rocblas_fill_18rocblas_operation_17rocblas_diagonal_iiT0_T1_lilT2_lili
                                        ; -- End function
	.section	.AMDGPU.csdata,"",@progbits
; Kernel info:
; codeLenInByte = 16952
; NumSgprs: 38
; NumVgprs: 45
; ScratchSize: 0
; MemoryBound: 0
; FloatMode: 240
; IeeeMode: 1
; LDSByteSize: 9216 bytes/workgroup (compile time only)
; SGPRBlocks: 4
; VGPRBlocks: 5
; NumSGPRsForWavesPerEU: 38
; NumVGPRsForWavesPerEU: 45
; Occupancy: 4
; WaveLimiterHint : 0
; COMPUTE_PGM_RSRC2:SCRATCH_EN: 0
; COMPUTE_PGM_RSRC2:USER_SGPR: 14
; COMPUTE_PGM_RSRC2:TRAP_HANDLER: 0
; COMPUTE_PGM_RSRC2:TGID_X_EN: 1
; COMPUTE_PGM_RSRC2:TGID_Y_EN: 0
; COMPUTE_PGM_RSRC2:TGID_Z_EN: 1
; COMPUTE_PGM_RSRC2:TIDIG_COMP_CNT: 0
	.section	.text._ZL38rocblas_trsm_small_left_device_sharedBILi28ELi28ELb0E19rocblas_complex_numIfES1_PKPKS1_PKPS1_Ev13rocblas_fill_18rocblas_operation_17rocblas_diagonal_iiT3_T4_lilT5_lili,"axG",@progbits,_ZL38rocblas_trsm_small_left_device_sharedBILi28ELi28ELb0E19rocblas_complex_numIfES1_PKPKS1_PKPS1_Ev13rocblas_fill_18rocblas_operation_17rocblas_diagonal_iiT3_T4_lilT5_lili,comdat
	.globl	_ZL38rocblas_trsm_small_left_device_sharedBILi28ELi28ELb0E19rocblas_complex_numIfES1_PKPKS1_PKPS1_Ev13rocblas_fill_18rocblas_operation_17rocblas_diagonal_iiT3_T4_lilT5_lili ; -- Begin function _ZL38rocblas_trsm_small_left_device_sharedBILi28ELi28ELb0E19rocblas_complex_numIfES1_PKPKS1_PKPS1_Ev13rocblas_fill_18rocblas_operation_17rocblas_diagonal_iiT3_T4_lilT5_lili
	.p2align	8
	.type	_ZL38rocblas_trsm_small_left_device_sharedBILi28ELi28ELb0E19rocblas_complex_numIfES1_PKPKS1_PKPS1_Ev13rocblas_fill_18rocblas_operation_17rocblas_diagonal_iiT3_T4_lilT5_lili,@function
_ZL38rocblas_trsm_small_left_device_sharedBILi28ELi28ELb0E19rocblas_complex_numIfES1_PKPKS1_PKPS1_Ev13rocblas_fill_18rocblas_operation_17rocblas_diagonal_iiT3_T4_lilT5_lili: ; @_ZL38rocblas_trsm_small_left_device_sharedBILi28ELi28ELb0E19rocblas_complex_numIfES1_PKPKS1_PKPS1_Ev13rocblas_fill_18rocblas_operation_17rocblas_diagonal_iiT3_T4_lilT5_lili
; %bb.0:
	s_clause 0x1
	s_load_b128 s[8:11], s[0:1], 0x40
	s_load_b128 s[4:7], s[0:1], 0x4
	s_mov_b32 s20, s15
	s_mov_b32 s21, 0
	s_load_b32 s15, s[0:1], 0x68
	s_lshl_b64 s[22:23], s[20:21], 3
	s_mov_b32 s29, exec_lo
	s_waitcnt lgkmcnt(0)
	s_add_u32 s2, s8, s22
	s_addc_u32 s3, s9, s23
	s_load_b64 s[12:13], s[0:1], 0x14
	s_load_b64 s[2:3], s[2:3], 0x0
	s_min_i32 s20, s6, 28
	s_delay_alu instid0(SALU_CYCLE_1)
	s_add_i32 s28, s20, -1
	v_cmpx_gt_i32_e64 s20, v0
	s_cbranch_execz .LBB163_35
; %bb.1:
	s_clause 0x1
	s_load_b32 s8, s[0:1], 0x30
	s_load_b128 s[16:19], s[0:1], 0x20
	s_waitcnt lgkmcnt(0)
	s_ashr_i32 s9, s8, 31
	s_cmpk_lg_i32 s4, 0x71
	s_cselect_b32 s30, -1, 0
	s_add_u32 s16, s16, s22
	s_addc_u32 s17, s17, s23
	v_cndmask_b32_e64 v7, 0, 1, s30
	s_load_b64 s[16:17], s[16:17], 0x0
	s_cmp_lt_u32 s28, 3
	s_cbranch_scc1 .LBB163_20
; %bb.2:
	v_lshlrev_b32_e32 v8, 3, v0
	s_lshl_b64 s[22:23], s[18:19], 3
	s_mul_hi_i32 s31, s8, 24
	s_waitcnt lgkmcnt(0)
	s_add_u32 s21, s16, s22
	s_addc_u32 s22, s17, s23
	v_add_co_u32 v1, s21, s21, v8
	s_delay_alu instid0(VALU_DEP_1)
	v_add_co_ci_u32_e64 v2, null, s22, 0, s21
	s_and_b32 s21, s20, -4
	s_mul_i32 s33, s8, 24
	s_lshl_b64 s[22:23], s[8:9], 5
	s_lshl_b64 s[24:25], s[8:9], 4
	;; [unrolled: 1-line block ×3, first 2 shown]
	s_mov_b32 s34, 0
	s_branch .LBB163_4
.LBB163_3:                              ;   in Loop: Header=BB163_4 Depth=1
	global_load_b32 v3, v[5:6], off
	v_add_co_u32 v1, vcc_lo, v1, s22
	v_add_co_ci_u32_e32 v2, vcc_lo, s23, v2, vcc_lo
	s_add_i32 s34, s34, 4
	s_delay_alu instid0(SALU_CYCLE_1)
	s_cmp_eq_u32 s21, s34
	s_waitcnt vmcnt(0)
	ds_store_b64 v8, v[3:4] offset:672
	v_add_nc_u32_e32 v8, 0x380, v8
	s_cbranch_scc1 .LBB163_20
.LBB163_4:                              ; =>This Inner Loop Header: Depth=1
	s_and_b32 vcc_lo, exec_lo, s30
	s_cbranch_vccz .LBB163_6
; %bb.5:                                ;   in Loop: Header=BB163_4 Depth=1
	global_load_b32 v4, v[1:2], off offset:4
	s_cbranch_execz .LBB163_7
	s_branch .LBB163_8
.LBB163_6:                              ;   in Loop: Header=BB163_4 Depth=1
                                        ; implicit-def: $vgpr4
.LBB163_7:                              ;   in Loop: Header=BB163_4 Depth=1
	global_load_b32 v3, v[1:2], off offset:4
	s_waitcnt vmcnt(0)
	v_xor_b32_e32 v4, 0x80000000, v3
.LBB163_8:                              ;   in Loop: Header=BB163_4 Depth=1
	global_load_b32 v3, v[1:2], off
	v_add_co_u32 v5, vcc_lo, v1, s26
	v_add_co_ci_u32_e32 v6, vcc_lo, s27, v2, vcc_lo
	s_and_not1_b32 vcc_lo, exec_lo, s30
	s_waitcnt vmcnt(0)
	ds_store_b64 v8, v[3:4]
	s_cbranch_vccnz .LBB163_10
; %bb.9:                                ;   in Loop: Header=BB163_4 Depth=1
	global_load_b32 v4, v[5:6], off offset:4
	s_cbranch_execz .LBB163_11
	s_branch .LBB163_12
.LBB163_10:                             ;   in Loop: Header=BB163_4 Depth=1
                                        ; implicit-def: $vgpr4
.LBB163_11:                             ;   in Loop: Header=BB163_4 Depth=1
	global_load_b32 v3, v[5:6], off offset:4
	s_waitcnt vmcnt(0)
	v_xor_b32_e32 v4, 0x80000000, v3
.LBB163_12:                             ;   in Loop: Header=BB163_4 Depth=1
	global_load_b32 v3, v[5:6], off
	v_add_co_u32 v5, vcc_lo, v1, s24
	v_add_co_ci_u32_e32 v6, vcc_lo, s25, v2, vcc_lo
	s_and_not1_b32 vcc_lo, exec_lo, s30
	s_waitcnt vmcnt(0)
	ds_store_b64 v8, v[3:4] offset:224
	s_cbranch_vccnz .LBB163_14
; %bb.13:                               ;   in Loop: Header=BB163_4 Depth=1
	global_load_b32 v4, v[5:6], off offset:4
	s_cbranch_execz .LBB163_15
	s_branch .LBB163_16
.LBB163_14:                             ;   in Loop: Header=BB163_4 Depth=1
                                        ; implicit-def: $vgpr4
.LBB163_15:                             ;   in Loop: Header=BB163_4 Depth=1
	global_load_b32 v3, v[5:6], off offset:4
	s_waitcnt vmcnt(0)
	v_xor_b32_e32 v4, 0x80000000, v3
.LBB163_16:                             ;   in Loop: Header=BB163_4 Depth=1
	global_load_b32 v3, v[5:6], off
	v_add_co_u32 v5, vcc_lo, v1, s33
	v_add_co_ci_u32_e32 v6, vcc_lo, s31, v2, vcc_lo
	s_and_not1_b32 vcc_lo, exec_lo, s30
	s_waitcnt vmcnt(0)
	ds_store_b64 v8, v[3:4] offset:448
	s_cbranch_vccnz .LBB163_18
; %bb.17:                               ;   in Loop: Header=BB163_4 Depth=1
	global_load_b32 v4, v[5:6], off offset:4
	s_cbranch_execnz .LBB163_3
	s_branch .LBB163_19
.LBB163_18:                             ;   in Loop: Header=BB163_4 Depth=1
                                        ; implicit-def: $vgpr4
.LBB163_19:                             ;   in Loop: Header=BB163_4 Depth=1
	global_load_b32 v3, v[5:6], off offset:4
	s_waitcnt vmcnt(0)
	v_xor_b32_e32 v4, 0x80000000, v3
	s_branch .LBB163_3
.LBB163_20:
	s_and_b32 s22, s20, 3
	s_delay_alu instid0(SALU_CYCLE_1)
	s_cmp_eq_u32 s22, 0
	s_cbranch_scc1 .LBB163_27
; %bb.21:
	s_mul_i32 s23, s9, s21
	s_mul_hi_u32 s25, s8, s21
	s_mul_i32 s24, s8, s21
	s_add_i32 s25, s25, s23
	s_lshl_b64 s[18:19], s[18:19], 3
	s_lshl_b64 s[24:25], s[24:25], 3
	v_lshlrev_b32_e32 v1, 3, v0
	s_add_u32 s18, s24, s18
	s_addc_u32 s19, s25, s19
	s_waitcnt lgkmcnt(0)
	s_add_u32 s16, s16, s18
	s_addc_u32 s17, s17, s19
	v_add_co_u32 v1, s16, s16, v1
	s_delay_alu instid0(VALU_DEP_1) | instskip(SKIP_1) | instid1(VALU_DEP_2)
	v_add_co_ci_u32_e64 v2, null, s17, 0, s16
	s_mulk_i32 s21, 0xe0
	v_add_co_u32 v1, vcc_lo, v1, 4
	v_lshl_add_u32 v5, v0, 3, s21
	s_delay_alu instid0(VALU_DEP_3)
	v_add_co_ci_u32_e32 v2, vcc_lo, 0, v2, vcc_lo
	s_lshl_b64 s[8:9], s[8:9], 3
	s_set_inst_prefetch_distance 0x1
	s_branch .LBB163_23
	.p2align	6
.LBB163_22:                             ;   in Loop: Header=BB163_23 Depth=1
	global_load_b32 v3, v[1:2], off offset:-4
	v_add_co_u32 v1, vcc_lo, v1, s8
	v_add_co_ci_u32_e32 v2, vcc_lo, s9, v2, vcc_lo
	s_add_i32 s22, s22, -1
	s_delay_alu instid0(SALU_CYCLE_1)
	s_cmp_lg_u32 s22, 0
	s_waitcnt vmcnt(0)
	ds_store_b64 v5, v[3:4]
	v_add_nc_u32_e32 v5, 0xe0, v5
	s_cbranch_scc0 .LBB163_27
.LBB163_23:                             ; =>This Inner Loop Header: Depth=1
	v_cmp_ne_u32_e32 vcc_lo, 1, v7
	s_mov_b32 s16, -1
                                        ; implicit-def: $vgpr4
	s_cbranch_vccnz .LBB163_25
; %bb.24:                               ;   in Loop: Header=BB163_23 Depth=1
	global_load_b32 v4, v[1:2], off
	s_mov_b32 s16, 0
.LBB163_25:                             ;   in Loop: Header=BB163_23 Depth=1
	s_delay_alu instid0(SALU_CYCLE_1)
	s_and_not1_b32 vcc_lo, exec_lo, s16
	s_cbranch_vccnz .LBB163_22
; %bb.26:                               ;   in Loop: Header=BB163_23 Depth=1
	global_load_b32 v3, v[1:2], off
	s_waitcnt vmcnt(0)
	v_xor_b32_e32 v4, 0x80000000, v3
	s_branch .LBB163_22
.LBB163_27:
	s_set_inst_prefetch_distance 0x2
	v_mul_u32_u24_e32 v1, 29, v0
	s_cmpk_lg_i32 s5, 0x84
	s_mov_b32 s5, -1
	s_delay_alu instid0(VALU_DEP_1)
	v_lshlrev_b32_e32 v5, 3, v1
	s_cbranch_scc0 .LBB163_33
; %bb.28:
	ds_load_b64 v[1:2], v5
	s_waitcnt lgkmcnt(0)
	v_cmp_gt_f32_e32 vcc_lo, 0, v1
	v_cndmask_b32_e64 v3, v1, -v1, vcc_lo
	v_cmp_gt_f32_e32 vcc_lo, 0, v2
	v_cndmask_b32_e64 v4, v2, -v2, vcc_lo
	s_delay_alu instid0(VALU_DEP_1) | instskip(SKIP_1) | instid1(SALU_CYCLE_1)
	v_cmp_ngt_f32_e32 vcc_lo, v3, v4
                                        ; implicit-def: $vgpr3
	s_and_saveexec_b32 s5, vcc_lo
	s_xor_b32 s5, exec_lo, s5
	s_cbranch_execz .LBB163_30
; %bb.29:
	v_div_scale_f32 v3, null, v2, v2, v1
	v_div_scale_f32 v7, vcc_lo, v1, v2, v1
	s_delay_alu instid0(VALU_DEP_2) | instskip(SKIP_2) | instid1(VALU_DEP_1)
	v_rcp_f32_e32 v4, v3
	s_waitcnt_depctr 0xfff
	v_fma_f32 v6, -v3, v4, 1.0
	v_fmac_f32_e32 v4, v6, v4
	s_delay_alu instid0(VALU_DEP_1) | instskip(NEXT) | instid1(VALU_DEP_1)
	v_mul_f32_e32 v6, v7, v4
	v_fma_f32 v8, -v3, v6, v7
	s_delay_alu instid0(VALU_DEP_1) | instskip(NEXT) | instid1(VALU_DEP_1)
	v_fmac_f32_e32 v6, v8, v4
	v_fma_f32 v3, -v3, v6, v7
	s_delay_alu instid0(VALU_DEP_1) | instskip(NEXT) | instid1(VALU_DEP_1)
	v_div_fmas_f32 v3, v3, v4, v6
	v_div_fixup_f32 v3, v3, v2, v1
	s_delay_alu instid0(VALU_DEP_1) | instskip(NEXT) | instid1(VALU_DEP_1)
	v_fmac_f32_e32 v2, v1, v3
	v_div_scale_f32 v1, null, v2, v2, 1.0
	v_div_scale_f32 v7, vcc_lo, 1.0, v2, 1.0
	s_delay_alu instid0(VALU_DEP_2) | instskip(SKIP_2) | instid1(VALU_DEP_1)
	v_rcp_f32_e32 v4, v1
	s_waitcnt_depctr 0xfff
	v_fma_f32 v6, -v1, v4, 1.0
	v_fmac_f32_e32 v4, v6, v4
	s_delay_alu instid0(VALU_DEP_1) | instskip(NEXT) | instid1(VALU_DEP_1)
	v_mul_f32_e32 v6, v7, v4
	v_fma_f32 v8, -v1, v6, v7
	s_delay_alu instid0(VALU_DEP_1) | instskip(NEXT) | instid1(VALU_DEP_1)
	v_fmac_f32_e32 v6, v8, v4
	v_fma_f32 v1, -v1, v6, v7
	s_delay_alu instid0(VALU_DEP_1) | instskip(SKIP_1) | instid1(VALU_DEP_2)
	v_div_fmas_f32 v1, v1, v4, v6
	v_add_f32_e32 v4, 0, v3
	v_div_fixup_f32 v1, v1, v2, 1.0
	v_fma_f32 v2, v3, 0, -1.0
	s_delay_alu instid0(VALU_DEP_2) | instskip(NEXT) | instid1(VALU_DEP_2)
	v_mul_f32_e32 v3, v4, v1
	v_mul_f32_e32 v4, v2, v1
                                        ; implicit-def: $vgpr1_vgpr2
.LBB163_30:
	s_and_not1_saveexec_b32 s5, s5
	s_cbranch_execz .LBB163_32
; %bb.31:
	v_div_scale_f32 v3, null, v1, v1, v2
	v_div_scale_f32 v7, vcc_lo, v2, v1, v2
	s_delay_alu instid0(VALU_DEP_2) | instskip(SKIP_2) | instid1(VALU_DEP_1)
	v_rcp_f32_e32 v4, v3
	s_waitcnt_depctr 0xfff
	v_fma_f32 v6, -v3, v4, 1.0
	v_fmac_f32_e32 v4, v6, v4
	s_delay_alu instid0(VALU_DEP_1) | instskip(NEXT) | instid1(VALU_DEP_1)
	v_mul_f32_e32 v6, v7, v4
	v_fma_f32 v8, -v3, v6, v7
	s_delay_alu instid0(VALU_DEP_1) | instskip(NEXT) | instid1(VALU_DEP_1)
	v_fmac_f32_e32 v6, v8, v4
	v_fma_f32 v3, -v3, v6, v7
	s_delay_alu instid0(VALU_DEP_1) | instskip(NEXT) | instid1(VALU_DEP_1)
	v_div_fmas_f32 v3, v3, v4, v6
	v_div_fixup_f32 v4, v3, v1, v2
	s_delay_alu instid0(VALU_DEP_1) | instskip(NEXT) | instid1(VALU_DEP_1)
	v_fmac_f32_e32 v1, v2, v4
	v_div_scale_f32 v2, null, v1, v1, 1.0
	v_div_scale_f32 v7, vcc_lo, 1.0, v1, 1.0
	s_delay_alu instid0(VALU_DEP_2) | instskip(SKIP_2) | instid1(VALU_DEP_1)
	v_rcp_f32_e32 v3, v2
	s_waitcnt_depctr 0xfff
	v_fma_f32 v6, -v2, v3, 1.0
	v_fmac_f32_e32 v3, v6, v3
	s_delay_alu instid0(VALU_DEP_1) | instskip(NEXT) | instid1(VALU_DEP_1)
	v_mul_f32_e32 v6, v7, v3
	v_fma_f32 v8, -v2, v6, v7
	s_delay_alu instid0(VALU_DEP_1) | instskip(NEXT) | instid1(VALU_DEP_1)
	v_fmac_f32_e32 v6, v8, v3
	v_fma_f32 v2, -v2, v6, v7
	s_delay_alu instid0(VALU_DEP_1) | instskip(SKIP_1) | instid1(VALU_DEP_2)
	v_div_fmas_f32 v2, v2, v3, v6
	v_fma_f32 v3, v4, 0, 1.0
	v_div_fixup_f32 v1, v2, v1, 1.0
	s_delay_alu instid0(VALU_DEP_1)
	v_mul_f32_e32 v3, v3, v1
	v_mul_f32_e64 v4, -v4, v1
.LBB163_32:
	s_or_b32 exec_lo, exec_lo, s5
	s_mov_b32 s5, 0
	ds_store_b64 v5, v[3:4]
.LBB163_33:
	s_and_b32 vcc_lo, exec_lo, s5
	s_cbranch_vccz .LBB163_35
; %bb.34:
	v_dual_mov_b32 v1, 1.0 :: v_dual_mov_b32 v2, 0
	ds_store_b64 v5, v[1:2]
.LBB163_35:
	s_or_b32 exec_lo, exec_lo, s29
	s_waitcnt lgkmcnt(0)
	s_load_b32 s16, s[0:1], 0x50
	s_lshl_b64 s[0:1], s[10:11], 3
	s_mul_i32 s5, s14, 0xffffffe4
	s_mul_i32 s8, s14, 28
	s_waitcnt lgkmcnt(0)
	s_ashr_i32 s17, s16, 31
	s_add_u32 s18, s2, s0
	s_addc_u32 s19, s3, s1
	s_add_i32 s15, s15, -1
	s_add_i32 s5, s5, s7
	s_mul_hi_i32 s11, s16, s8
	s_cmp_ge_u32 s14, s15
	s_mul_i32 s10, s16, s8
	s_cselect_b32 s5, s5, 28
	s_lshl_b64 s[10:11], s[10:11], 3
	s_ashr_i32 s9, s8, 31
	s_add_u32 s7, s18, s10
	s_addc_u32 s18, s19, s11
	v_cmp_gt_i32_e32 vcc_lo, s5, v0
	s_cmp_gt_i32 s6, 0
	s_mov_b32 s10, 0
	s_cselect_b32 s5, -1, 0
	s_delay_alu instid0(SALU_CYCLE_1) | instskip(NEXT) | instid1(SALU_CYCLE_1)
	s_and_b32 s19, vcc_lo, s5
	s_and_saveexec_b32 s5, s19
	s_cbranch_execz .LBB163_42
; %bb.36:
	s_cmp_lt_i32 s6, 8
	s_cbranch_scc1 .LBB163_39
; %bb.37:
	v_mad_i64_i32 v[1:2], null, s16, v0, 0
	v_lshl_add_u32 v3, v0, 3, 0x1880
	s_lshl_b32 s10, s20, 3
	s_mov_b64 s[14:15], 0
	s_and_b32 s11, s10, 0xc0
	s_mov_b32 s10, 0
	s_delay_alu instid0(VALU_DEP_2) | instskip(NEXT) | instid1(VALU_DEP_1)
	v_lshlrev_b64 v[1:2], 3, v[1:2]
	v_add_co_u32 v1, vcc_lo, s7, v1
	s_delay_alu instid0(VALU_DEP_2)
	v_add_co_ci_u32_e32 v2, vcc_lo, s18, v2, vcc_lo
.LBB163_38:                             ; =>This Inner Loop Header: Depth=1
	s_delay_alu instid0(VALU_DEP_2) | instskip(NEXT) | instid1(VALU_DEP_2)
	v_add_co_u32 v16, vcc_lo, v1, s14
	v_add_co_ci_u32_e32 v17, vcc_lo, s15, v2, vcc_lo
	s_add_i32 s10, s10, 8
	s_add_u32 s14, s14, 64
	s_addc_u32 s15, s15, 0
	s_clause 0x3
	global_load_b128 v[4:7], v[16:17], off
	global_load_b128 v[8:11], v[16:17], off offset:16
	global_load_b128 v[12:15], v[16:17], off offset:32
	;; [unrolled: 1-line block ×3, first 2 shown]
	s_cmp_lg_u32 s11, s14
	s_waitcnt vmcnt(3)
	v_dual_mul_f32 v21, s13, v5 :: v_dual_mul_f32 v22, s13, v7
	v_dual_mul_f32 v20, s12, v5 :: v_dual_mul_f32 v5, s12, v7
	s_waitcnt vmcnt(2)
	v_dual_mul_f32 v23, s13, v9 :: v_dual_mul_f32 v24, s13, v11
	s_waitcnt vmcnt(1)
	v_dual_mul_f32 v7, s12, v9 :: v_dual_mul_f32 v26, s13, v15
	v_dual_mul_f32 v9, s12, v11 :: v_dual_fmac_f32 v20, s13, v4
	s_waitcnt vmcnt(0)
	v_dual_mul_f32 v25, s13, v13 :: v_dual_mul_f32 v28, s13, v19
	v_mul_f32_e32 v11, s12, v13
	v_mul_f32_e32 v13, s12, v15
	;; [unrolled: 1-line block ×5, first 2 shown]
	v_fma_f32 v19, s12, v4, -v21
	v_fma_f32 v4, s12, v6, -v22
	v_fmac_f32_e32 v5, s13, v6
	v_fma_f32 v6, s12, v8, -v23
	v_fmac_f32_e32 v7, s13, v8
	;; [unrolled: 2-line block ×7, first 2 shown]
	ds_store_2addr_b64 v3, v[19:20], v[4:5] offset1:28
	ds_store_2addr_b64 v3, v[6:7], v[8:9] offset0:56 offset1:84
	ds_store_2addr_b64 v3, v[10:11], v[12:13] offset0:112 offset1:140
	;; [unrolled: 1-line block ×3, first 2 shown]
	v_add_nc_u32_e32 v3, 0x700, v3
	s_cbranch_scc1 .LBB163_38
.LBB163_39:
	s_and_b32 s14, s20, 7
	s_mov_b32 s11, 0
	s_cmp_eq_u32 s14, 0
	s_cbranch_scc1 .LBB163_42
; %bb.40:
	v_lshlrev_b32_e32 v3, 3, v0
	s_lshl_b64 s[22:23], s[8:9], 3
	s_lshl_b64 s[24:25], s[10:11], 3
	s_mulk_i32 s10, 0xe0
	s_delay_alu instid0(VALU_DEP_1) | instskip(NEXT) | instid1(VALU_DEP_1)
	v_add_co_u32 v4, s11, s22, v3
	v_add_co_ci_u32_e64 v5, null, s23, 0, s11
	s_add_u32 s11, s2, s24
	s_addc_u32 s15, s3, s25
	s_add_u32 s22, s11, s0
	s_addc_u32 s23, s15, s1
	v_mul_lo_u32 v5, v5, s16
	v_mad_u64_u32 v[1:2], null, v4, s16, s[22:23]
	v_mul_lo_u32 v4, v4, s17
	v_add3_u32 v3, s10, v3, 0x1880
	s_delay_alu instid0(VALU_DEP_3) | instskip(NEXT) | instid1(VALU_DEP_3)
	v_add_co_u32 v1, vcc_lo, v1, 4
	v_add3_u32 v2, v5, v2, v4
	s_delay_alu instid0(VALU_DEP_1)
	v_add_co_ci_u32_e32 v2, vcc_lo, 0, v2, vcc_lo
	.p2align	6
.LBB163_41:                             ; =>This Inner Loop Header: Depth=1
	global_load_b64 v[4:5], v[1:2], off offset:-4
	v_add_co_u32 v1, vcc_lo, v1, 8
	v_add_co_ci_u32_e32 v2, vcc_lo, 0, v2, vcc_lo
	s_add_i32 s14, s14, -1
	s_delay_alu instid0(SALU_CYCLE_1) | instskip(SKIP_2) | instid1(VALU_DEP_1)
	s_cmp_lg_u32 s14, 0
	s_waitcnt vmcnt(0)
	v_mul_f32_e32 v6, s12, v5
	v_dual_mul_f32 v7, s13, v5 :: v_dual_fmac_f32 v6, s13, v4
	s_delay_alu instid0(VALU_DEP_1)
	v_fma_f32 v5, s12, v4, -v7
	ds_store_b64 v3, v[5:6]
	v_add_nc_u32_e32 v3, 0xe0, v3
	s_cbranch_scc1 .LBB163_41
.LBB163_42:
	s_or_b32 exec_lo, exec_lo, s5
	v_or_b32_e64 v5, 0, 4
	s_cmpk_eq_i32 s4, 0x6f
	s_mov_b32 s4, -1
	s_waitcnt vmcnt(0) lgkmcnt(0)
	s_waitcnt_vscnt null, 0x0
	; wave barrier
	s_waitcnt lgkmcnt(0)
	buffer_gl0_inv
	s_cbranch_scc1 .LBB163_64
; %bb.43:
	v_lshl_add_u32 v3, v0, 3, 0x1880
	s_mov_b32 s5, 0
	s_delay_alu instid0(SALU_CYCLE_1)
	s_mov_b32 s4, s5
	s_mov_b32 s10, s5
	s_branch .LBB163_45
.LBB163_44:                             ;   in Loop: Header=BB163_45 Depth=1
	s_cmp_ge_i32 s10, s20
	s_cselect_b32 s11, -1, 0
	s_add_i32 s4, s4, 1
	s_delay_alu instid0(SALU_CYCLE_1) | instskip(SKIP_1) | instid1(SALU_CYCLE_1)
	s_cmp_eq_u32 s4, 3
	s_cselect_b32 s12, -1, 0
	s_or_b32 s11, s11, s12
	s_delay_alu instid0(SALU_CYCLE_1)
	s_and_not1_b32 vcc_lo, exec_lo, s11
	s_cbranch_vccz .LBB163_63
.LBB163_45:                             ; =>This Loop Header: Depth=1
                                        ;     Child Loop BB163_48 Depth 2
                                        ;       Child Loop BB163_49 Depth 3
                                        ;       Child Loop BB163_52 Depth 3
                                        ;         Child Loop BB163_53 Depth 4
                                        ;       Child Loop BB163_57 Depth 3
                                        ;         Child Loop BB163_59 Depth 4
	s_getpc_b64 s[12:13]
	s_add_u32 s12, s12, __const._ZL38rocblas_trsm_small_left_device_sharedBILi28ELi28ELb0E19rocblas_complex_numIfES1_PKPKS1_PKPS1_Ev13rocblas_fill_18rocblas_operation_17rocblas_diagonal_iiT3_T4_lilT5_lili.step_sizes@rel32@lo+4
	s_addc_u32 s13, s13, __const._ZL38rocblas_trsm_small_left_device_sharedBILi28ELi28ELb0E19rocblas_complex_numIfES1_PKPKS1_PKPS1_Ev13rocblas_fill_18rocblas_operation_17rocblas_diagonal_iiT3_T4_lilT5_lili.step_sizes@rel32@hi+12
	s_lshl_b64 s[14:15], s[4:5], 2
	s_delay_alu instid0(SALU_CYCLE_1) | instskip(SKIP_4) | instid1(SALU_CYCLE_1)
	s_add_u32 s12, s14, s12
	s_addc_u32 s13, s15, s13
	s_load_b32 s11, s[12:13], 0x0
	s_waitcnt lgkmcnt(0)
	s_add_i32 s12, s11, -1
	s_add_i32 s13, s12, s10
	s_delay_alu instid0(SALU_CYCLE_1)
	s_cmp_ge_i32 s13, s20
	s_cbranch_scc1 .LBB163_44
; %bb.46:                               ;   in Loop: Header=BB163_45 Depth=1
	s_mul_i32 s13, s10, 0xe0
	s_max_i32 s14, s11, 1
	v_add_nc_u32_e32 v4, s13, v3
	s_mul_i32 s15, s11, 0xe0
	s_mul_i32 s21, s10, 0xe8
	;; [unrolled: 1-line block ×3, first 2 shown]
	s_branch .LBB163_48
.LBB163_47:                             ;   in Loop: Header=BB163_48 Depth=2
	s_add_i32 s10, s10, s11
	v_add_nc_u32_e32 v4, s15, v4
	s_add_i32 s23, s12, s10
	s_add_i32 s13, s13, s15
	;; [unrolled: 1-line block ×3, first 2 shown]
	s_cmp_ge_i32 s23, s20
	s_cbranch_scc1 .LBB163_44
.LBB163_48:                             ;   Parent Loop BB163_45 Depth=1
                                        ; =>  This Loop Header: Depth=2
                                        ;       Child Loop BB163_49 Depth 3
                                        ;       Child Loop BB163_52 Depth 3
                                        ;         Child Loop BB163_53 Depth 4
                                        ;       Child Loop BB163_57 Depth 3
                                        ;         Child Loop BB163_59 Depth 4
	v_dual_mov_b32 v1, 0 :: v_dual_mov_b32 v2, v4
	s_mov_b32 s23, s14
.LBB163_49:                             ;   Parent Loop BB163_45 Depth=1
                                        ;     Parent Loop BB163_48 Depth=2
                                        ; =>    This Inner Loop Header: Depth=3
	ds_load_b64 v[6:7], v2
	v_add_nc_u32_e32 v2, 0xe0, v2
	s_add_i32 s23, s23, -1
	s_delay_alu instid0(SALU_CYCLE_1)
	s_cmp_eq_u32 s23, 0
	s_waitcnt lgkmcnt(0)
	scratch_store_b64 v1, v[6:7], off
	v_add_nc_u32_e32 v1, 8, v1
	s_cbranch_scc0 .LBB163_49
; %bb.50:                               ;   in Loop: Header=BB163_48 Depth=2
	s_cmp_lt_i32 s10, 1
	s_cbranch_scc1 .LBB163_55
; %bb.51:                               ;   in Loop: Header=BB163_48 Depth=2
	s_mov_b32 s23, 0
	s_mov_b32 s24, s13
	.p2align	6
.LBB163_52:                             ;   Parent Loop BB163_45 Depth=1
                                        ;     Parent Loop BB163_48 Depth=2
                                        ; =>    This Loop Header: Depth=3
                                        ;         Child Loop BB163_53 Depth 4
	s_mul_i32 s25, s23, 28
	v_mov_b32_e32 v6, v5
	v_add_lshl_u32 v1, s25, v0, 3
	s_mov_b32 s25, s24
	s_mov_b32 s26, s14
	ds_load_b64 v[1:2], v1 offset:6272
	.p2align	6
.LBB163_53:                             ;   Parent Loop BB163_45 Depth=1
                                        ;     Parent Loop BB163_48 Depth=2
                                        ;       Parent Loop BB163_52 Depth=3
                                        ; =>      This Inner Loop Header: Depth=4
	scratch_load_b64 v[7:8], v6, off offset:-4
	v_mov_b32_e32 v9, s25
	s_add_i32 s26, s26, -1
	s_addk_i32 s25, 0xe0
	s_cmp_eq_u32 s26, 0
	ds_load_b64 v[9:10], v9
	s_waitcnt lgkmcnt(0)
	v_mul_f32_e32 v11, v10, v2
	v_mul_f32_e32 v10, v10, v1
	s_delay_alu instid0(VALU_DEP_2) | instskip(SKIP_1) | instid1(VALU_DEP_1)
	v_fma_f32 v11, v9, v1, -v11
	s_waitcnt vmcnt(0)
	v_dual_fmac_f32 v10, v9, v2 :: v_dual_sub_f32 v7, v7, v11
	s_delay_alu instid0(VALU_DEP_1)
	v_sub_f32_e32 v8, v8, v10
	scratch_store_b64 v6, v[7:8], off offset:-4
	v_add_nc_u32_e32 v6, 8, v6
	s_cbranch_scc0 .LBB163_53
; %bb.54:                               ;   in Loop: Header=BB163_52 Depth=3
	s_add_i32 s23, s23, 1
	s_add_i32 s24, s24, 8
	s_cmp_ge_i32 s23, s10
	s_cbranch_scc0 .LBB163_52
.LBB163_55:                             ;   in Loop: Header=BB163_48 Depth=2
	s_mul_i32 s23, s10, 28
	s_mov_b32 s24, 0
	s_mov_b32 s25, s21
	s_branch .LBB163_57
.LBB163_56:                             ;   in Loop: Header=BB163_57 Depth=3
	s_mulk_i32 s27, 0xe8
	s_addk_i32 s25, 0xe0
	v_mov_b32_e32 v6, s27
	s_lshl_b32 s27, s24, 3
	s_add_i32 s24, s24, 1
	ds_load_b64 v[6:7], v6
	s_waitcnt vmcnt(0) lgkmcnt(0)
	v_mul_f32_e32 v8, v7, v2
	v_mul_f32_e32 v9, v6, v2
	v_add_lshl_u32 v2, s26, v0, 3
	s_add_i32 s26, s27, 0
	s_cmp_eq_u32 s24, s14
	v_fma_f32 v8, v6, v1, -v8
	v_fmac_f32_e32 v9, v7, v1
	scratch_store_b64 off, v[8:9], s26
	ds_store_b64 v2, v[8:9] offset:6272
	s_cbranch_scc1 .LBB163_47
.LBB163_57:                             ;   Parent Loop BB163_45 Depth=1
                                        ;     Parent Loop BB163_48 Depth=2
                                        ; =>    This Loop Header: Depth=3
                                        ;         Child Loop BB163_59 Depth 4
	s_cmp_lg_u32 s24, 0
	s_cbranch_scc0 .LBB163_61
; %bb.58:                               ;   in Loop: Header=BB163_57 Depth=3
	s_lshl_b32 s26, s24, 3
	v_mov_b32_e32 v7, 0
	s_add_i32 s27, s26, 0
	v_add_nc_u32_e64 v6, s26, 0
	scratch_load_b64 v[1:2], off, s27
	s_add_i32 s27, s24, s10
	s_mov_b32 s29, 0
	s_mul_i32 s26, s27, 28
	s_mov_b32 s30, s25
	.p2align	6
.LBB163_59:                             ;   Parent Loop BB163_45 Depth=1
                                        ;     Parent Loop BB163_48 Depth=2
                                        ;       Parent Loop BB163_57 Depth=3
                                        ; =>      This Inner Loop Header: Depth=4
	scratch_load_b64 v[8:9], v7, off
	v_mov_b32_e32 v10, s30
	s_add_i32 s29, s29, 1
	s_add_i32 s30, s30, 8
	s_cmp_ge_u32 s29, s24
	v_add_nc_u32_e32 v7, 8, v7
	ds_load_b64 v[10:11], v10
	s_waitcnt vmcnt(0) lgkmcnt(0)
	v_mul_f32_e32 v12, v11, v9
	v_mul_f32_e32 v9, v10, v9
	s_delay_alu instid0(VALU_DEP_2) | instskip(NEXT) | instid1(VALU_DEP_2)
	v_fma_f32 v10, v10, v8, -v12
	v_fmac_f32_e32 v9, v11, v8
	s_delay_alu instid0(VALU_DEP_1)
	v_dual_sub_f32 v1, v1, v10 :: v_dual_sub_f32 v2, v2, v9
	scratch_store_b64 v6, v[1:2], off
	s_cbranch_scc0 .LBB163_59
; %bb.60:                               ;   in Loop: Header=BB163_57 Depth=3
	s_branch .LBB163_56
.LBB163_61:                             ;   in Loop: Header=BB163_57 Depth=3
                                        ; implicit-def: $vgpr1
                                        ; implicit-def: $sgpr27
                                        ; implicit-def: $sgpr26
	s_cbranch_execz .LBB163_56
; %bb.62:                               ;   in Loop: Header=BB163_57 Depth=3
	scratch_load_b64 v[1:2], off, off
	s_mov_b32 s26, s23
	s_mov_b32 s27, s10
	s_branch .LBB163_56
.LBB163_63:
	s_mov_b32 s4, 0
.LBB163_64:
	s_delay_alu instid0(SALU_CYCLE_1)
	s_and_b32 vcc_lo, exec_lo, s4
	s_cbranch_vccz .LBB163_84
; %bb.65:
	v_lshl_add_u32 v1, v0, 3, 0x1880
	s_mul_i32 s10, s20, 0xe0
	s_mov_b32 s5, 0
	s_addk_i32 s10, 0xff20
	s_mov_b32 s4, s5
	s_mov_b32 s11, s28
	s_branch .LBB163_67
.LBB163_66:                             ;   in Loop: Header=BB163_67 Depth=1
	s_cmp_lt_i32 s11, 0
	s_cselect_b32 s12, -1, 0
	s_add_i32 s4, s4, 1
	s_delay_alu instid0(SALU_CYCLE_1) | instskip(SKIP_1) | instid1(SALU_CYCLE_1)
	s_cmp_eq_u32 s4, 3
	s_cselect_b32 s13, -1, 0
	s_or_b32 s12, s12, s13
	s_delay_alu instid0(SALU_CYCLE_1)
	s_and_b32 vcc_lo, exec_lo, s12
	s_cbranch_vccnz .LBB163_84
.LBB163_67:                             ; =>This Loop Header: Depth=1
                                        ;     Child Loop BB163_70 Depth 2
                                        ;       Child Loop BB163_71 Depth 3
                                        ;       Child Loop BB163_73 Depth 3
                                        ;         Child Loop BB163_74 Depth 4
                                        ;       Child Loop BB163_78 Depth 3
                                        ;         Child Loop BB163_80 Depth 4
	s_getpc_b64 s[12:13]
	s_add_u32 s12, s12, __const._ZL38rocblas_trsm_small_left_device_sharedBILi28ELi28ELb0E19rocblas_complex_numIfES1_PKPKS1_PKPS1_Ev13rocblas_fill_18rocblas_operation_17rocblas_diagonal_iiT3_T4_lilT5_lili.step_sizes@rel32@lo+4
	s_addc_u32 s13, s13, __const._ZL38rocblas_trsm_small_left_device_sharedBILi28ELi28ELb0E19rocblas_complex_numIfES1_PKPKS1_PKPS1_Ev13rocblas_fill_18rocblas_operation_17rocblas_diagonal_iiT3_T4_lilT5_lili.step_sizes@rel32@hi+12
	s_lshl_b64 s[14:15], s[4:5], 2
	s_delay_alu instid0(SALU_CYCLE_1) | instskip(SKIP_4) | instid1(SALU_CYCLE_1)
	s_add_u32 s12, s14, s12
	s_addc_u32 s13, s15, s13
	s_load_b32 s12, s[12:13], 0x0
	s_waitcnt lgkmcnt(0)
	s_add_i32 s13, s12, -1
	s_cmp_lt_i32 s11, s13
	s_cbranch_scc1 .LBB163_66
; %bb.68:                               ;   in Loop: Header=BB163_67 Depth=1
	v_mad_u64_u32 v[2:3], null, 0xe0, s11, v[1:2]
	s_lshl_b32 s21, s11, 3
	s_lshl_b32 s22, s12, 3
	s_max_i32 s14, s12, 1
	s_mul_i32 s15, s12, 0xffffff20
	s_add_i32 s21, s10, s21
	s_sub_i32 s22, 0, s22
	s_mul_i32 s23, s11, 0xe8
	s_mul_i32 s24, s12, 0xffffff18
	s_branch .LBB163_70
.LBB163_69:                             ;   in Loop: Header=BB163_70 Depth=2
	v_add_nc_u32_e32 v2, s15, v2
	s_sub_i32 s11, s11, s12
	s_add_i32 s21, s21, s22
	s_add_i32 s23, s23, s24
	s_cmp_lt_i32 s11, s13
	s_cbranch_scc1 .LBB163_66
.LBB163_70:                             ;   Parent Loop BB163_67 Depth=1
                                        ; =>  This Loop Header: Depth=2
                                        ;       Child Loop BB163_71 Depth 3
                                        ;       Child Loop BB163_73 Depth 3
                                        ;         Child Loop BB163_74 Depth 4
                                        ;       Child Loop BB163_78 Depth 3
                                        ;         Child Loop BB163_80 Depth 4
	v_dual_mov_b32 v3, 0 :: v_dual_mov_b32 v4, v2
	s_mov_b32 s25, s14
.LBB163_71:                             ;   Parent Loop BB163_67 Depth=1
                                        ;     Parent Loop BB163_70 Depth=2
                                        ; =>    This Inner Loop Header: Depth=3
	ds_load_b64 v[6:7], v4
	v_add_nc_u32_e32 v4, 0xffffff20, v4
	s_add_i32 s25, s25, -1
	s_delay_alu instid0(SALU_CYCLE_1)
	s_cmp_eq_u32 s25, 0
	s_waitcnt lgkmcnt(0)
	scratch_store_b64 v3, v[6:7], off
	v_add_nc_u32_e32 v3, 8, v3
	s_cbranch_scc0 .LBB163_71
; %bb.72:                               ;   in Loop: Header=BB163_70 Depth=2
	s_cmp_le_i32 s28, s11
	s_mov_b32 s25, s21
	s_mov_b32 s26, s28
	s_cbranch_scc1 .LBB163_76
	.p2align	6
.LBB163_73:                             ;   Parent Loop BB163_67 Depth=1
                                        ;     Parent Loop BB163_70 Depth=2
                                        ; =>    This Loop Header: Depth=3
                                        ;         Child Loop BB163_74 Depth 4
	s_mul_i32 s27, s26, 28
	v_mov_b32_e32 v6, v5
	v_add_lshl_u32 v3, s27, v0, 3
	s_mov_b32 s27, s14
	s_mov_b32 s29, s25
	ds_load_b64 v[3:4], v3 offset:6272
	.p2align	6
.LBB163_74:                             ;   Parent Loop BB163_67 Depth=1
                                        ;     Parent Loop BB163_70 Depth=2
                                        ;       Parent Loop BB163_73 Depth=3
                                        ; =>      This Inner Loop Header: Depth=4
	scratch_load_b64 v[7:8], v6, off offset:-4
	v_mov_b32_e32 v9, s29
	s_add_i32 s27, s27, -1
	s_add_i32 s29, s29, -8
	s_cmp_eq_u32 s27, 0
	ds_load_b64 v[9:10], v9
	s_waitcnt lgkmcnt(0)
	v_mul_f32_e32 v11, v10, v4
	v_mul_f32_e32 v10, v10, v3
	s_delay_alu instid0(VALU_DEP_1) | instskip(SKIP_1) | instid1(VALU_DEP_1)
	v_fmac_f32_e32 v10, v9, v4
	s_waitcnt vmcnt(0)
	v_sub_f32_e32 v8, v8, v10
	v_fma_f32 v11, v9, v3, -v11
	s_delay_alu instid0(VALU_DEP_1)
	v_sub_f32_e32 v7, v7, v11
	scratch_store_b64 v6, v[7:8], off offset:-4
	v_add_nc_u32_e32 v6, 8, v6
	s_cbranch_scc0 .LBB163_74
; %bb.75:                               ;   in Loop: Header=BB163_73 Depth=3
	s_add_i32 s26, s26, -1
	s_addk_i32 s25, 0xff20
	s_cmp_le_i32 s26, s11
	s_cbranch_scc0 .LBB163_73
.LBB163_76:                             ;   in Loop: Header=BB163_70 Depth=2
	s_mov_b32 s25, 0
	s_mov_b32 s26, s23
	s_branch .LBB163_78
.LBB163_77:                             ;   in Loop: Header=BB163_78 Depth=3
	s_mul_i32 s29, s27, 0xe8
	s_mul_i32 s27, s27, 28
	v_mov_b32_e32 v6, s29
	s_lshl_b32 s29, s25, 3
	s_add_i32 s25, s25, 1
	s_add_i32 s26, s26, -8
	ds_load_b64 v[6:7], v6
	s_waitcnt vmcnt(0) lgkmcnt(0)
	v_mul_f32_e32 v8, v7, v4
	v_mul_f32_e32 v9, v6, v4
	s_delay_alu instid0(VALU_DEP_2) | instskip(NEXT) | instid1(VALU_DEP_2)
	v_fma_f32 v8, v6, v3, -v8
	v_fmac_f32_e32 v9, v7, v3
	v_add_lshl_u32 v3, s27, v0, 3
	s_add_i32 s27, s29, 0
	s_cmp_eq_u32 s25, s14
	scratch_store_b64 off, v[8:9], s27
	ds_store_b64 v3, v[8:9] offset:6272
	s_cbranch_scc1 .LBB163_69
.LBB163_78:                             ;   Parent Loop BB163_67 Depth=1
                                        ;     Parent Loop BB163_70 Depth=2
                                        ; =>    This Loop Header: Depth=3
                                        ;         Child Loop BB163_80 Depth 4
	s_cmp_lg_u32 s25, 0
	s_cbranch_scc0 .LBB163_82
; %bb.79:                               ;   in Loop: Header=BB163_78 Depth=3
	s_lshl_b32 s27, s25, 3
	v_mov_b32_e32 v7, 0
	s_add_i32 s29, s27, 0
	v_add_nc_u32_e64 v6, s27, 0
	scratch_load_b64 v[3:4], off, s29
	s_sub_i32 s27, s11, s25
	s_mov_b32 s29, 0
	s_mov_b32 s30, s26
	.p2align	6
.LBB163_80:                             ;   Parent Loop BB163_67 Depth=1
                                        ;     Parent Loop BB163_70 Depth=2
                                        ;       Parent Loop BB163_78 Depth=3
                                        ; =>      This Inner Loop Header: Depth=4
	scratch_load_b64 v[8:9], v7, off
	v_mov_b32_e32 v10, s30
	s_add_i32 s29, s29, 1
	s_addk_i32 s30, 0xff20
	s_cmp_ge_u32 s29, s25
	v_add_nc_u32_e32 v7, 8, v7
	ds_load_b64 v[10:11], v10
	s_waitcnt vmcnt(0) lgkmcnt(0)
	v_mul_f32_e32 v12, v11, v9
	v_mul_f32_e32 v9, v10, v9
	s_delay_alu instid0(VALU_DEP_2) | instskip(NEXT) | instid1(VALU_DEP_2)
	v_fma_f32 v10, v10, v8, -v12
	v_fmac_f32_e32 v9, v11, v8
	s_delay_alu instid0(VALU_DEP_1)
	v_dual_sub_f32 v3, v3, v10 :: v_dual_sub_f32 v4, v4, v9
	scratch_store_b64 v6, v[3:4], off
	s_cbranch_scc0 .LBB163_80
; %bb.81:                               ;   in Loop: Header=BB163_78 Depth=3
	s_branch .LBB163_77
.LBB163_82:                             ;   in Loop: Header=BB163_78 Depth=3
                                        ; implicit-def: $vgpr3
                                        ; implicit-def: $sgpr27
	s_cbranch_execz .LBB163_77
; %bb.83:                               ;   in Loop: Header=BB163_78 Depth=3
	scratch_load_b64 v[3:4], off, off
	s_mov_b32 s27, s11
	s_branch .LBB163_77
.LBB163_84:
	s_waitcnt vmcnt(0) lgkmcnt(0)
	s_waitcnt_vscnt null, 0x0
	; wave barrier
	s_waitcnt lgkmcnt(0)
	s_waitcnt_vscnt null, 0x0
	buffer_gl0_inv
	s_and_saveexec_b32 s4, s19
	s_cbranch_execz .LBB163_91
; %bb.85:
	s_cmp_lt_i32 s6, 8
	s_mov_b32 s4, 0
	s_cbranch_scc1 .LBB163_88
; %bb.86:
	v_mad_i64_i32 v[1:2], null, s16, v0, 0
	v_lshl_add_u32 v3, v0, 3, 0x1880
	s_lshl_b32 s4, s20, 3
	s_delay_alu instid0(SALU_CYCLE_1) | instskip(SKIP_1) | instid1(VALU_DEP_2)
	s_and_b32 s5, s4, 0xc0
	s_mov_b32 s4, 0
	v_lshlrev_b64 v[1:2], 3, v[1:2]
	s_delay_alu instid0(VALU_DEP_1) | instskip(NEXT) | instid1(VALU_DEP_2)
	v_add_co_u32 v1, vcc_lo, s7, v1
	v_add_co_ci_u32_e32 v2, vcc_lo, s18, v2, vcc_lo
	s_mov_b64 s[6:7], 0
	.p2align	6
.LBB163_87:                             ; =>This Inner Loop Header: Depth=1
	ds_load_2addr_b64 v[4:7], v3 offset1:28
	ds_load_2addr_b64 v[8:11], v3 offset0:56 offset1:84
	ds_load_2addr_b64 v[12:15], v3 offset0:112 offset1:140
	;; [unrolled: 1-line block ×3, first 2 shown]
	v_add_co_u32 v20, vcc_lo, v1, s6
	v_add_co_ci_u32_e32 v21, vcc_lo, s7, v2, vcc_lo
	s_add_i32 s4, s4, 8
	v_add_nc_u32_e32 v3, 0x700, v3
	s_add_u32 s6, s6, 64
	s_addc_u32 s7, s7, 0
	s_cmp_lg_u32 s5, s6
	s_waitcnt lgkmcnt(3)
	global_store_b128 v[20:21], v[4:7], off
	s_waitcnt lgkmcnt(2)
	global_store_b128 v[20:21], v[8:11], off offset:16
	s_waitcnt lgkmcnt(1)
	global_store_b128 v[20:21], v[12:15], off offset:32
	;; [unrolled: 2-line block ×3, first 2 shown]
	s_cbranch_scc1 .LBB163_87
.LBB163_88:
	s_and_b32 s6, s20, 7
	s_mov_b32 s5, 0
	s_cmp_eq_u32 s6, 0
	s_cbranch_scc1 .LBB163_91
; %bb.89:
	v_lshlrev_b32_e32 v2, 3, v0
	s_lshl_b64 s[8:9], s[8:9], 3
	s_lshl_b64 s[10:11], s[4:5], 3
	s_delay_alu instid0(SALU_CYCLE_1) | instskip(NEXT) | instid1(VALU_DEP_1)
	s_add_u32 s2, s2, s10
	v_add_co_u32 v3, s5, s8, v2
	s_delay_alu instid0(VALU_DEP_1) | instskip(SKIP_3) | instid1(VALU_DEP_1)
	v_add_co_ci_u32_e64 v4, null, s9, 0, s5
	s_addc_u32 s3, s3, s11
	s_add_u32 s0, s2, s0
	s_addc_u32 s1, s3, s1
	v_mul_lo_u32 v4, v4, s16
	v_mad_u64_u32 v[0:1], null, v3, s16, s[0:1]
	v_mul_lo_u32 v3, v3, s17
	s_mul_i32 s0, s4, 0xe0
	s_delay_alu instid0(SALU_CYCLE_1) | instskip(NEXT) | instid1(VALU_DEP_2)
	v_add3_u32 v2, s0, v2, 0x1880
	v_add3_u32 v1, v4, v1, v3
.LBB163_90:                             ; =>This Inner Loop Header: Depth=1
	ds_load_b64 v[3:4], v2
	v_add_nc_u32_e32 v2, 0xe0, v2
	s_add_i32 s6, s6, -1
	s_delay_alu instid0(SALU_CYCLE_1)
	s_cmp_lg_u32 s6, 0
	s_waitcnt lgkmcnt(0)
	global_store_b64 v[0:1], v[3:4], off
	v_add_co_u32 v0, vcc_lo, v0, 8
	v_add_co_ci_u32_e32 v1, vcc_lo, 0, v1, vcc_lo
	s_cbranch_scc1 .LBB163_90
.LBB163_91:
	s_nop 0
	s_sendmsg sendmsg(MSG_DEALLOC_VGPRS)
	s_endpgm
	.section	.rodata,"a",@progbits
	.p2align	6, 0x0
	.amdhsa_kernel _ZL38rocblas_trsm_small_left_device_sharedBILi28ELi28ELb0E19rocblas_complex_numIfES1_PKPKS1_PKPS1_Ev13rocblas_fill_18rocblas_operation_17rocblas_diagonal_iiT3_T4_lilT5_lili
		.amdhsa_group_segment_fixed_size 12544
		.amdhsa_private_segment_fixed_size 240
		.amdhsa_kernarg_size 360
		.amdhsa_user_sgpr_count 14
		.amdhsa_user_sgpr_dispatch_ptr 0
		.amdhsa_user_sgpr_queue_ptr 0
		.amdhsa_user_sgpr_kernarg_segment_ptr 1
		.amdhsa_user_sgpr_dispatch_id 0
		.amdhsa_user_sgpr_private_segment_size 0
		.amdhsa_wavefront_size32 1
		.amdhsa_uses_dynamic_stack 0
		.amdhsa_enable_private_segment 1
		.amdhsa_system_sgpr_workgroup_id_x 1
		.amdhsa_system_sgpr_workgroup_id_y 0
		.amdhsa_system_sgpr_workgroup_id_z 1
		.amdhsa_system_sgpr_workgroup_info 0
		.amdhsa_system_vgpr_workitem_id 0
		.amdhsa_next_free_vgpr 29
		.amdhsa_next_free_sgpr 35
		.amdhsa_reserve_vcc 1
		.amdhsa_float_round_mode_32 0
		.amdhsa_float_round_mode_16_64 0
		.amdhsa_float_denorm_mode_32 3
		.amdhsa_float_denorm_mode_16_64 3
		.amdhsa_dx10_clamp 1
		.amdhsa_ieee_mode 1
		.amdhsa_fp16_overflow 0
		.amdhsa_workgroup_processor_mode 1
		.amdhsa_memory_ordered 1
		.amdhsa_forward_progress 0
		.amdhsa_shared_vgpr_count 0
		.amdhsa_exception_fp_ieee_invalid_op 0
		.amdhsa_exception_fp_denorm_src 0
		.amdhsa_exception_fp_ieee_div_zero 0
		.amdhsa_exception_fp_ieee_overflow 0
		.amdhsa_exception_fp_ieee_underflow 0
		.amdhsa_exception_fp_ieee_inexact 0
		.amdhsa_exception_int_div_zero 0
	.end_amdhsa_kernel
	.section	.text._ZL38rocblas_trsm_small_left_device_sharedBILi28ELi28ELb0E19rocblas_complex_numIfES1_PKPKS1_PKPS1_Ev13rocblas_fill_18rocblas_operation_17rocblas_diagonal_iiT3_T4_lilT5_lili,"axG",@progbits,_ZL38rocblas_trsm_small_left_device_sharedBILi28ELi28ELb0E19rocblas_complex_numIfES1_PKPKS1_PKPS1_Ev13rocblas_fill_18rocblas_operation_17rocblas_diagonal_iiT3_T4_lilT5_lili,comdat
.Lfunc_end163:
	.size	_ZL38rocblas_trsm_small_left_device_sharedBILi28ELi28ELb0E19rocblas_complex_numIfES1_PKPKS1_PKPS1_Ev13rocblas_fill_18rocblas_operation_17rocblas_diagonal_iiT3_T4_lilT5_lili, .Lfunc_end163-_ZL38rocblas_trsm_small_left_device_sharedBILi28ELi28ELb0E19rocblas_complex_numIfES1_PKPKS1_PKPS1_Ev13rocblas_fill_18rocblas_operation_17rocblas_diagonal_iiT3_T4_lilT5_lili
                                        ; -- End function
	.section	.AMDGPU.csdata,"",@progbits
; Kernel info:
; codeLenInByte = 3964
; NumSgprs: 37
; NumVgprs: 29
; ScratchSize: 240
; MemoryBound: 0
; FloatMode: 240
; IeeeMode: 1
; LDSByteSize: 12544 bytes/workgroup (compile time only)
; SGPRBlocks: 4
; VGPRBlocks: 3
; NumSGPRsForWavesPerEU: 37
; NumVGPRsForWavesPerEU: 29
; Occupancy: 3
; WaveLimiterHint : 1
; COMPUTE_PGM_RSRC2:SCRATCH_EN: 1
; COMPUTE_PGM_RSRC2:USER_SGPR: 14
; COMPUTE_PGM_RSRC2:TRAP_HANDLER: 0
; COMPUTE_PGM_RSRC2:TGID_X_EN: 1
; COMPUTE_PGM_RSRC2:TGID_Y_EN: 0
; COMPUTE_PGM_RSRC2:TGID_Z_EN: 1
; COMPUTE_PGM_RSRC2:TIDIG_COMP_CNT: 0
	.section	.text._ZL30rocblas_trsm_small_left_deviceILi28ELi28ELb0E19rocblas_complex_numIfES1_PKPKS1_PKPS1_Ev13rocblas_fill_18rocblas_operation_17rocblas_diagonal_iiT3_T4_lilT5_lili,"axG",@progbits,_ZL30rocblas_trsm_small_left_deviceILi28ELi28ELb0E19rocblas_complex_numIfES1_PKPKS1_PKPS1_Ev13rocblas_fill_18rocblas_operation_17rocblas_diagonal_iiT3_T4_lilT5_lili,comdat
	.globl	_ZL30rocblas_trsm_small_left_deviceILi28ELi28ELb0E19rocblas_complex_numIfES1_PKPKS1_PKPS1_Ev13rocblas_fill_18rocblas_operation_17rocblas_diagonal_iiT3_T4_lilT5_lili ; -- Begin function _ZL30rocblas_trsm_small_left_deviceILi28ELi28ELb0E19rocblas_complex_numIfES1_PKPKS1_PKPS1_Ev13rocblas_fill_18rocblas_operation_17rocblas_diagonal_iiT3_T4_lilT5_lili
	.p2align	8
	.type	_ZL30rocblas_trsm_small_left_deviceILi28ELi28ELb0E19rocblas_complex_numIfES1_PKPKS1_PKPS1_Ev13rocblas_fill_18rocblas_operation_17rocblas_diagonal_iiT3_T4_lilT5_lili,@function
_ZL30rocblas_trsm_small_left_deviceILi28ELi28ELb0E19rocblas_complex_numIfES1_PKPKS1_PKPS1_Ev13rocblas_fill_18rocblas_operation_17rocblas_diagonal_iiT3_T4_lilT5_lili: ; @_ZL30rocblas_trsm_small_left_deviceILi28ELi28ELb0E19rocblas_complex_numIfES1_PKPKS1_PKPS1_Ev13rocblas_fill_18rocblas_operation_17rocblas_diagonal_iiT3_T4_lilT5_lili
; %bb.0:
	s_clause 0x1
	s_load_b128 s[8:11], s[0:1], 0x40
	s_load_b128 s[4:7], s[0:1], 0x4
	s_mov_b32 s12, s15
	s_mov_b32 s13, 0
	s_load_b32 s15, s[0:1], 0x68
	s_lshl_b64 s[22:23], s[12:13], 3
	s_waitcnt lgkmcnt(0)
	s_add_u32 s8, s8, s22
	s_addc_u32 s9, s9, s23
	s_load_b64 s[2:3], s[0:1], 0x14
	s_load_b64 s[8:9], s[8:9], 0x0
	s_min_i32 s29, s6, 28
	s_mov_b32 s6, exec_lo
	s_add_i32 s28, s29, -1
	v_cmpx_gt_i32_e64 s29, v0
	s_cbranch_execz .LBB164_35
; %bb.1:
	s_clause 0x1
	s_load_b32 s20, s[0:1], 0x30
	s_load_b128 s[16:19], s[0:1], 0x20
	v_lshlrev_b32_e32 v8, 3, v0
	s_waitcnt lgkmcnt(0)
	s_ashr_i32 s21, s20, 31
	s_cmpk_lg_i32 s4, 0x71
	s_cselect_b32 s12, -1, 0
	s_add_u32 s16, s16, s22
	s_addc_u32 s17, s17, s23
	v_cndmask_b32_e64 v7, 0, 1, s12
	s_load_b64 s[16:17], s[16:17], 0x0
	s_cmp_lt_u32 s28, 3
	s_cbranch_scc1 .LBB164_20
; %bb.2:
	s_lshl_b64 s[22:23], s[18:19], 3
	v_mov_b32_e32 v9, v8
	s_waitcnt lgkmcnt(0)
	s_add_u32 s13, s16, s22
	s_addc_u32 s22, s17, s23
	v_add_co_u32 v1, s13, s13, v8
	s_delay_alu instid0(VALU_DEP_1)
	v_add_co_ci_u32_e64 v2, null, s22, 0, s13
	s_and_b32 s13, s29, -4
	s_mul_hi_i32 s30, s20, 24
	s_mul_i32 s31, s20, 24
	s_lshl_b64 s[22:23], s[20:21], 5
	s_lshl_b64 s[24:25], s[20:21], 4
	;; [unrolled: 1-line block ×3, first 2 shown]
	s_mov_b32 s33, 0
	s_branch .LBB164_4
.LBB164_3:                              ;   in Loop: Header=BB164_4 Depth=1
	global_load_b32 v3, v[5:6], off
	v_add_co_u32 v1, vcc_lo, v1, s22
	v_add_co_ci_u32_e32 v2, vcc_lo, s23, v2, vcc_lo
	s_add_i32 s33, s33, 4
	s_delay_alu instid0(SALU_CYCLE_1)
	s_cmp_eq_u32 s13, s33
	s_waitcnt vmcnt(0)
	ds_store_b64 v9, v[3:4] offset:672
	v_add_nc_u32_e32 v9, 0x380, v9
	s_cbranch_scc1 .LBB164_20
.LBB164_4:                              ; =>This Inner Loop Header: Depth=1
	s_and_b32 vcc_lo, exec_lo, s12
	s_cbranch_vccz .LBB164_6
; %bb.5:                                ;   in Loop: Header=BB164_4 Depth=1
	global_load_b32 v4, v[1:2], off offset:4
	s_cbranch_execz .LBB164_7
	s_branch .LBB164_8
.LBB164_6:                              ;   in Loop: Header=BB164_4 Depth=1
                                        ; implicit-def: $vgpr4
.LBB164_7:                              ;   in Loop: Header=BB164_4 Depth=1
	global_load_b32 v3, v[1:2], off offset:4
	s_waitcnt vmcnt(0)
	v_xor_b32_e32 v4, 0x80000000, v3
.LBB164_8:                              ;   in Loop: Header=BB164_4 Depth=1
	global_load_b32 v3, v[1:2], off
	v_add_co_u32 v5, vcc_lo, v1, s26
	v_add_co_ci_u32_e32 v6, vcc_lo, s27, v2, vcc_lo
	s_and_not1_b32 vcc_lo, exec_lo, s12
	s_waitcnt vmcnt(0)
	ds_store_b64 v9, v[3:4]
	s_cbranch_vccnz .LBB164_10
; %bb.9:                                ;   in Loop: Header=BB164_4 Depth=1
	global_load_b32 v4, v[5:6], off offset:4
	s_cbranch_execz .LBB164_11
	s_branch .LBB164_12
.LBB164_10:                             ;   in Loop: Header=BB164_4 Depth=1
                                        ; implicit-def: $vgpr4
.LBB164_11:                             ;   in Loop: Header=BB164_4 Depth=1
	global_load_b32 v3, v[5:6], off offset:4
	s_waitcnt vmcnt(0)
	v_xor_b32_e32 v4, 0x80000000, v3
.LBB164_12:                             ;   in Loop: Header=BB164_4 Depth=1
	global_load_b32 v3, v[5:6], off
	v_add_co_u32 v5, vcc_lo, v1, s24
	v_add_co_ci_u32_e32 v6, vcc_lo, s25, v2, vcc_lo
	s_and_not1_b32 vcc_lo, exec_lo, s12
	s_waitcnt vmcnt(0)
	ds_store_b64 v9, v[3:4] offset:224
	s_cbranch_vccnz .LBB164_14
; %bb.13:                               ;   in Loop: Header=BB164_4 Depth=1
	global_load_b32 v4, v[5:6], off offset:4
	s_cbranch_execz .LBB164_15
	s_branch .LBB164_16
.LBB164_14:                             ;   in Loop: Header=BB164_4 Depth=1
                                        ; implicit-def: $vgpr4
.LBB164_15:                             ;   in Loop: Header=BB164_4 Depth=1
	global_load_b32 v3, v[5:6], off offset:4
	s_waitcnt vmcnt(0)
	v_xor_b32_e32 v4, 0x80000000, v3
.LBB164_16:                             ;   in Loop: Header=BB164_4 Depth=1
	global_load_b32 v3, v[5:6], off
	v_add_co_u32 v5, vcc_lo, v1, s31
	v_add_co_ci_u32_e32 v6, vcc_lo, s30, v2, vcc_lo
	s_and_not1_b32 vcc_lo, exec_lo, s12
	s_waitcnt vmcnt(0)
	ds_store_b64 v9, v[3:4] offset:448
	s_cbranch_vccnz .LBB164_18
; %bb.17:                               ;   in Loop: Header=BB164_4 Depth=1
	global_load_b32 v4, v[5:6], off offset:4
	s_cbranch_execnz .LBB164_3
	s_branch .LBB164_19
.LBB164_18:                             ;   in Loop: Header=BB164_4 Depth=1
                                        ; implicit-def: $vgpr4
.LBB164_19:                             ;   in Loop: Header=BB164_4 Depth=1
	global_load_b32 v3, v[5:6], off offset:4
	s_waitcnt vmcnt(0)
	v_xor_b32_e32 v4, 0x80000000, v3
	s_branch .LBB164_3
.LBB164_20:
	s_and_b32 s22, s29, 3
	s_delay_alu instid0(SALU_CYCLE_1)
	s_cmp_eq_u32 s22, 0
	s_cbranch_scc1 .LBB164_27
; %bb.21:
	s_mul_i32 s12, s21, s13
	s_mul_hi_u32 s23, s20, s13
	s_mul_i32 s24, s20, s13
	s_add_i32 s25, s23, s12
	s_lshl_b64 s[18:19], s[18:19], 3
	s_lshl_b64 s[24:25], s[24:25], 3
	s_mul_i32 s12, s13, 0xe0
	s_add_u32 s13, s24, s18
	s_addc_u32 s18, s25, s19
	s_waitcnt lgkmcnt(0)
	s_add_u32 s13, s16, s13
	s_addc_u32 s16, s17, s18
	v_add_co_u32 v1, s13, s13, v8
	s_delay_alu instid0(VALU_DEP_1) | instskip(SKIP_1) | instid1(VALU_DEP_3)
	v_add_co_ci_u32_e64 v2, null, s16, 0, s13
	v_lshl_add_u32 v5, v0, 3, s12
	v_add_co_u32 v1, vcc_lo, v1, 4
	s_delay_alu instid0(VALU_DEP_3)
	v_add_co_ci_u32_e32 v2, vcc_lo, 0, v2, vcc_lo
	s_lshl_b64 s[12:13], s[20:21], 3
	s_set_inst_prefetch_distance 0x1
	s_branch .LBB164_23
	.p2align	6
.LBB164_22:                             ;   in Loop: Header=BB164_23 Depth=1
	global_load_b32 v3, v[1:2], off offset:-4
	v_add_co_u32 v1, vcc_lo, v1, s12
	v_add_co_ci_u32_e32 v2, vcc_lo, s13, v2, vcc_lo
	s_add_i32 s22, s22, -1
	s_delay_alu instid0(SALU_CYCLE_1)
	s_cmp_lg_u32 s22, 0
	s_waitcnt vmcnt(0)
	ds_store_b64 v5, v[3:4]
	v_add_nc_u32_e32 v5, 0xe0, v5
	s_cbranch_scc0 .LBB164_27
.LBB164_23:                             ; =>This Inner Loop Header: Depth=1
	v_cmp_ne_u32_e32 vcc_lo, 1, v7
	s_mov_b32 s16, -1
                                        ; implicit-def: $vgpr4
	s_cbranch_vccnz .LBB164_25
; %bb.24:                               ;   in Loop: Header=BB164_23 Depth=1
	global_load_b32 v4, v[1:2], off
	s_mov_b32 s16, 0
.LBB164_25:                             ;   in Loop: Header=BB164_23 Depth=1
	s_delay_alu instid0(SALU_CYCLE_1)
	s_and_not1_b32 vcc_lo, exec_lo, s16
	s_cbranch_vccnz .LBB164_22
; %bb.26:                               ;   in Loop: Header=BB164_23 Depth=1
	global_load_b32 v3, v[1:2], off
	s_waitcnt vmcnt(0)
	v_xor_b32_e32 v4, 0x80000000, v3
	s_branch .LBB164_22
.LBB164_27:
	s_set_inst_prefetch_distance 0x2
	v_mul_u32_u24_e32 v1, 29, v0
	s_cmpk_lg_i32 s5, 0x84
	s_mov_b32 s5, -1
	s_delay_alu instid0(VALU_DEP_1)
	v_lshlrev_b32_e32 v5, 3, v1
	s_cbranch_scc0 .LBB164_33
; %bb.28:
	ds_load_b64 v[1:2], v5
	s_waitcnt lgkmcnt(0)
	v_cmp_gt_f32_e32 vcc_lo, 0, v1
	v_cndmask_b32_e64 v3, v1, -v1, vcc_lo
	v_cmp_gt_f32_e32 vcc_lo, 0, v2
	v_cndmask_b32_e64 v4, v2, -v2, vcc_lo
	s_delay_alu instid0(VALU_DEP_1) | instskip(SKIP_1) | instid1(SALU_CYCLE_1)
	v_cmp_ngt_f32_e32 vcc_lo, v3, v4
                                        ; implicit-def: $vgpr3
	s_and_saveexec_b32 s5, vcc_lo
	s_xor_b32 s5, exec_lo, s5
	s_cbranch_execz .LBB164_30
; %bb.29:
	v_div_scale_f32 v3, null, v2, v2, v1
	v_div_scale_f32 v7, vcc_lo, v1, v2, v1
	s_delay_alu instid0(VALU_DEP_2) | instskip(SKIP_2) | instid1(VALU_DEP_1)
	v_rcp_f32_e32 v4, v3
	s_waitcnt_depctr 0xfff
	v_fma_f32 v6, -v3, v4, 1.0
	v_fmac_f32_e32 v4, v6, v4
	s_delay_alu instid0(VALU_DEP_1) | instskip(NEXT) | instid1(VALU_DEP_1)
	v_mul_f32_e32 v6, v7, v4
	v_fma_f32 v8, -v3, v6, v7
	s_delay_alu instid0(VALU_DEP_1) | instskip(NEXT) | instid1(VALU_DEP_1)
	v_fmac_f32_e32 v6, v8, v4
	v_fma_f32 v3, -v3, v6, v7
	s_delay_alu instid0(VALU_DEP_1) | instskip(NEXT) | instid1(VALU_DEP_1)
	v_div_fmas_f32 v3, v3, v4, v6
	v_div_fixup_f32 v3, v3, v2, v1
	s_delay_alu instid0(VALU_DEP_1) | instskip(NEXT) | instid1(VALU_DEP_1)
	v_fmac_f32_e32 v2, v1, v3
	v_div_scale_f32 v1, null, v2, v2, 1.0
	v_div_scale_f32 v7, vcc_lo, 1.0, v2, 1.0
	s_delay_alu instid0(VALU_DEP_2) | instskip(SKIP_2) | instid1(VALU_DEP_1)
	v_rcp_f32_e32 v4, v1
	s_waitcnt_depctr 0xfff
	v_fma_f32 v6, -v1, v4, 1.0
	v_fmac_f32_e32 v4, v6, v4
	s_delay_alu instid0(VALU_DEP_1) | instskip(NEXT) | instid1(VALU_DEP_1)
	v_mul_f32_e32 v6, v7, v4
	v_fma_f32 v8, -v1, v6, v7
	s_delay_alu instid0(VALU_DEP_1) | instskip(NEXT) | instid1(VALU_DEP_1)
	v_fmac_f32_e32 v6, v8, v4
	v_fma_f32 v1, -v1, v6, v7
	s_delay_alu instid0(VALU_DEP_1) | instskip(SKIP_1) | instid1(VALU_DEP_2)
	v_div_fmas_f32 v1, v1, v4, v6
	v_add_f32_e32 v4, 0, v3
	v_div_fixup_f32 v1, v1, v2, 1.0
	v_fma_f32 v2, v3, 0, -1.0
	s_delay_alu instid0(VALU_DEP_2) | instskip(NEXT) | instid1(VALU_DEP_2)
	v_mul_f32_e32 v3, v4, v1
	v_mul_f32_e32 v4, v2, v1
                                        ; implicit-def: $vgpr1_vgpr2
.LBB164_30:
	s_and_not1_saveexec_b32 s5, s5
	s_cbranch_execz .LBB164_32
; %bb.31:
	v_div_scale_f32 v3, null, v1, v1, v2
	v_div_scale_f32 v7, vcc_lo, v2, v1, v2
	s_delay_alu instid0(VALU_DEP_2) | instskip(SKIP_2) | instid1(VALU_DEP_1)
	v_rcp_f32_e32 v4, v3
	s_waitcnt_depctr 0xfff
	v_fma_f32 v6, -v3, v4, 1.0
	v_fmac_f32_e32 v4, v6, v4
	s_delay_alu instid0(VALU_DEP_1) | instskip(NEXT) | instid1(VALU_DEP_1)
	v_mul_f32_e32 v6, v7, v4
	v_fma_f32 v8, -v3, v6, v7
	s_delay_alu instid0(VALU_DEP_1) | instskip(NEXT) | instid1(VALU_DEP_1)
	v_fmac_f32_e32 v6, v8, v4
	v_fma_f32 v3, -v3, v6, v7
	s_delay_alu instid0(VALU_DEP_1) | instskip(NEXT) | instid1(VALU_DEP_1)
	v_div_fmas_f32 v3, v3, v4, v6
	v_div_fixup_f32 v4, v3, v1, v2
	s_delay_alu instid0(VALU_DEP_1) | instskip(NEXT) | instid1(VALU_DEP_1)
	v_fmac_f32_e32 v1, v2, v4
	v_div_scale_f32 v2, null, v1, v1, 1.0
	v_div_scale_f32 v7, vcc_lo, 1.0, v1, 1.0
	s_delay_alu instid0(VALU_DEP_2) | instskip(SKIP_2) | instid1(VALU_DEP_1)
	v_rcp_f32_e32 v3, v2
	s_waitcnt_depctr 0xfff
	v_fma_f32 v6, -v2, v3, 1.0
	v_fmac_f32_e32 v3, v6, v3
	s_delay_alu instid0(VALU_DEP_1) | instskip(NEXT) | instid1(VALU_DEP_1)
	v_mul_f32_e32 v6, v7, v3
	v_fma_f32 v8, -v2, v6, v7
	s_delay_alu instid0(VALU_DEP_1) | instskip(NEXT) | instid1(VALU_DEP_1)
	v_fmac_f32_e32 v6, v8, v3
	v_fma_f32 v2, -v2, v6, v7
	s_delay_alu instid0(VALU_DEP_1) | instskip(SKIP_1) | instid1(VALU_DEP_2)
	v_div_fmas_f32 v2, v2, v3, v6
	v_fma_f32 v3, v4, 0, 1.0
	v_div_fixup_f32 v1, v2, v1, 1.0
	s_delay_alu instid0(VALU_DEP_1)
	v_mul_f32_e32 v3, v3, v1
	v_mul_f32_e64 v4, -v4, v1
.LBB164_32:
	s_or_b32 exec_lo, exec_lo, s5
	s_mov_b32 s5, 0
	ds_store_b64 v5, v[3:4]
.LBB164_33:
	s_and_b32 vcc_lo, exec_lo, s5
	s_cbranch_vccz .LBB164_35
; %bb.34:
	v_dual_mov_b32 v1, 1.0 :: v_dual_mov_b32 v2, 0
	ds_store_b64 v5, v[1:2]
.LBB164_35:
	s_or_b32 exec_lo, exec_lo, s6
	s_mul_i32 s5, s14, 0xffffffe4
	s_add_i32 s15, s15, -1
	s_add_i32 s5, s5, s7
	s_cmp_ge_u32 s14, s15
	s_waitcnt lgkmcnt(0)
	s_cselect_b32 s5, s5, 28
	; wave barrier
	buffer_gl0_inv
	v_cmp_gt_i32_e32 vcc_lo, s5, v0
	s_mov_b32 s5, -1
	s_and_saveexec_b32 s6, vcc_lo
	s_cbranch_execz .LBB164_78
; %bb.36:
	s_load_b32 s0, s[0:1], 0x50
	v_mad_u64_u32 v[1:2], null, s14, 28, v[0:1]
	v_or_b32_e64 v8, 0, 4
	s_waitcnt lgkmcnt(0)
	s_delay_alu instid0(VALU_DEP_2) | instskip(SKIP_1) | instid1(SALU_CYCLE_1)
	v_mad_i64_i32 v[2:3], null, s0, v1, 0
	s_lshl_b64 s[0:1], s[10:11], 3
	s_add_u32 s6, s8, s0
	s_addc_u32 s7, s9, s1
	s_cmpk_eq_i32 s4, 0x6f
	s_delay_alu instid0(VALU_DEP_1) | instskip(NEXT) | instid1(VALU_DEP_1)
	v_lshlrev_b64 v[0:1], 3, v[2:3]
	v_add_co_u32 v6, vcc_lo, s6, v0
	s_delay_alu instid0(VALU_DEP_2)
	v_add_co_ci_u32_e32 v7, vcc_lo, s7, v1, vcc_lo
	s_cbranch_scc1 .LBB164_58
; %bb.37:
	s_add_u32 s4, s8, s0
	s_addc_u32 s5, s9, s1
	v_add_co_u32 v2, vcc_lo, s4, v0
	v_add_co_ci_u32_e32 v3, vcc_lo, s5, v1, vcc_lo
	s_mov_b32 s5, 0
	s_delay_alu instid0(VALU_DEP_2) | instskip(NEXT) | instid1(VALU_DEP_2)
	v_add_co_u32 v9, vcc_lo, v2, 4
	v_add_co_ci_u32_e32 v10, vcc_lo, 0, v3, vcc_lo
	s_mov_b32 s6, s5
	s_mov_b32 s10, s5
	s_branch .LBB164_39
.LBB164_38:                             ;   in Loop: Header=BB164_39 Depth=1
	s_cmp_ge_i32 s10, s29
	s_cselect_b32 s4, -1, 0
	s_add_i32 s6, s6, 1
	s_delay_alu instid0(SALU_CYCLE_1) | instskip(SKIP_1) | instid1(SALU_CYCLE_1)
	s_cmp_eq_u32 s6, 3
	s_cselect_b32 s7, -1, 0
	s_or_b32 s4, s4, s7
	s_delay_alu instid0(SALU_CYCLE_1)
	s_and_not1_b32 vcc_lo, exec_lo, s4
	s_cbranch_vccz .LBB164_57
.LBB164_39:                             ; =>This Loop Header: Depth=1
                                        ;     Child Loop BB164_42 Depth 2
                                        ;       Child Loop BB164_43 Depth 3
                                        ;       Child Loop BB164_46 Depth 3
                                        ;         Child Loop BB164_47 Depth 4
                                        ;       Child Loop BB164_51 Depth 3
                                        ;         Child Loop BB164_53 Depth 4
	s_mov_b32 s7, s5
	s_getpc_b64 s[12:13]
	s_add_u32 s12, s12, __const._ZL30rocblas_trsm_small_left_deviceILi28ELi28ELb0E19rocblas_complex_numIfES1_PKPKS1_PKPS1_Ev13rocblas_fill_18rocblas_operation_17rocblas_diagonal_iiT3_T4_lilT5_lili.step_sizes@rel32@lo+4
	s_addc_u32 s13, s13, __const._ZL30rocblas_trsm_small_left_deviceILi28ELi28ELb0E19rocblas_complex_numIfES1_PKPKS1_PKPS1_Ev13rocblas_fill_18rocblas_operation_17rocblas_diagonal_iiT3_T4_lilT5_lili.step_sizes@rel32@hi+12
	s_lshl_b64 s[14:15], s[6:7], 2
	s_delay_alu instid0(SALU_CYCLE_1) | instskip(SKIP_4) | instid1(SALU_CYCLE_1)
	s_add_u32 s12, s14, s12
	s_addc_u32 s13, s15, s13
	s_load_b32 s12, s[12:13], 0x0
	s_waitcnt lgkmcnt(0)
	s_add_i32 s7, s12, -1
	s_add_i32 s4, s7, s10
	s_delay_alu instid0(SALU_CYCLE_1)
	s_cmp_ge_i32 s4, s29
	s_cbranch_scc1 .LBB164_38
; %bb.40:                               ;   in Loop: Header=BB164_39 Depth=1
	s_ashr_i32 s11, s10, 31
	s_ashr_i32 s13, s12, 31
	s_lshl_b64 s[14:15], s[10:11], 3
	s_max_i32 s18, s12, 1
	v_add_co_u32 v2, vcc_lo, v9, s14
	v_add_co_ci_u32_e32 v3, vcc_lo, s15, v10, vcc_lo
	s_lshl_b64 s[14:15], s[12:13], 3
	s_mul_i32 s11, s10, 0xe0
	s_mul_i32 s13, s12, 0xe0
	;; [unrolled: 1-line block ×4, first 2 shown]
	s_branch .LBB164_42
.LBB164_41:                             ;   in Loop: Header=BB164_42 Depth=2
	v_add_co_u32 v2, vcc_lo, v2, s14
	s_add_i32 s10, s10, s12
	v_add_co_ci_u32_e32 v3, vcc_lo, s15, v3, vcc_lo
	s_add_i32 s4, s7, s10
	s_add_i32 s11, s11, s13
	;; [unrolled: 1-line block ×3, first 2 shown]
	s_cmp_ge_i32 s4, s29
	s_cbranch_scc1 .LBB164_38
.LBB164_42:                             ;   Parent Loop BB164_39 Depth=1
                                        ; =>  This Loop Header: Depth=2
                                        ;       Child Loop BB164_43 Depth 3
                                        ;       Child Loop BB164_46 Depth 3
                                        ;         Child Loop BB164_47 Depth 4
                                        ;       Child Loop BB164_51 Depth 3
                                        ;         Child Loop BB164_53 Depth 4
	v_dual_mov_b32 v5, v3 :: v_dual_mov_b32 v4, v2
	s_mov_b32 s4, 4
	s_mov_b32 s16, s18
	.p2align	6
.LBB164_43:                             ;   Parent Loop BB164_39 Depth=1
                                        ;     Parent Loop BB164_42 Depth=2
                                        ; =>    This Inner Loop Header: Depth=3
	global_load_b64 v[11:12], v[4:5], off offset:-4
	v_add_co_u32 v4, vcc_lo, v4, 8
	v_add_co_ci_u32_e32 v5, vcc_lo, 0, v5, vcc_lo
	s_add_i32 s16, s16, -1
	s_add_i32 s17, s4, 0
	s_add_i32 s4, s4, 8
	s_cmp_eq_u32 s16, 0
	s_waitcnt vmcnt(0)
	v_mul_f32_e32 v13, s2, v12
	s_delay_alu instid0(VALU_DEP_1) | instskip(NEXT) | instid1(VALU_DEP_1)
	v_dual_mul_f32 v14, s3, v12 :: v_dual_fmac_f32 v13, s3, v11
	v_fma_f32 v12, v11, s2, -v14
	scratch_store_b64 off, v[12:13], s17 offset:-4
	s_cbranch_scc0 .LBB164_43
; %bb.44:                               ;   in Loop: Header=BB164_42 Depth=2
	s_cmp_lt_i32 s10, 1
	s_cbranch_scc1 .LBB164_49
; %bb.45:                               ;   in Loop: Header=BB164_42 Depth=2
	s_mov_b32 s4, 0
	s_mov_b32 s16, s11
	.p2align	6
.LBB164_46:                             ;   Parent Loop BB164_39 Depth=1
                                        ;     Parent Loop BB164_42 Depth=2
                                        ; =>    This Loop Header: Depth=3
                                        ;         Child Loop BB164_47 Depth 4
	s_lshl_b64 s[22:23], s[4:5], 3
	v_mov_b32_e32 v11, v8
	v_add_co_u32 v4, vcc_lo, v6, s22
	v_add_co_ci_u32_e32 v5, vcc_lo, s23, v7, vcc_lo
	s_mov_b32 s17, s16
	s_mov_b32 s21, s18
	global_load_b64 v[4:5], v[4:5], off
	.p2align	6
.LBB164_47:                             ;   Parent Loop BB164_39 Depth=1
                                        ;     Parent Loop BB164_42 Depth=2
                                        ;       Parent Loop BB164_46 Depth=3
                                        ; =>      This Inner Loop Header: Depth=4
	scratch_load_b64 v[12:13], v11, off offset:-4
	v_mov_b32_e32 v14, s17
	s_add_i32 s21, s21, -1
	s_addk_i32 s17, 0xe0
	s_cmp_eq_u32 s21, 0
	ds_load_b64 v[14:15], v14
	s_waitcnt vmcnt(1) lgkmcnt(0)
	v_mul_f32_e32 v16, v15, v5
	v_mul_f32_e32 v15, v15, v4
	s_delay_alu instid0(VALU_DEP_1) | instskip(SKIP_1) | instid1(VALU_DEP_1)
	v_fmac_f32_e32 v15, v14, v5
	s_waitcnt vmcnt(0)
	v_sub_f32_e32 v13, v13, v15
	v_fma_f32 v16, v14, v4, -v16
	s_delay_alu instid0(VALU_DEP_1)
	v_sub_f32_e32 v12, v12, v16
	scratch_store_b64 v11, v[12:13], off offset:-4
	v_add_nc_u32_e32 v11, 8, v11
	s_cbranch_scc0 .LBB164_47
; %bb.48:                               ;   in Loop: Header=BB164_46 Depth=3
	s_add_i32 s4, s4, 1
	s_add_i32 s16, s16, 8
	s_cmp_ge_i32 s4, s10
	s_cbranch_scc0 .LBB164_46
.LBB164_49:                             ;   in Loop: Header=BB164_42 Depth=2
	s_mov_b32 s4, 0
	s_mov_b32 s21, s19
	s_branch .LBB164_51
.LBB164_50:                             ;   in Loop: Header=BB164_51 Depth=3
	s_mul_i32 s17, s16, 0xe8
	s_lshl_b32 s22, s4, 3
	v_mov_b32_e32 v11, s17
	s_ashr_i32 s17, s16, 31
	s_add_i32 s4, s4, 1
	s_lshl_b64 s[16:17], s[16:17], 3
	s_addk_i32 s21, 0xe0
	ds_load_b64 v[11:12], v11
	s_waitcnt vmcnt(0) lgkmcnt(0)
	v_mul_f32_e32 v13, v12, v5
	v_mul_f32_e32 v14, v11, v5
	s_delay_alu instid0(VALU_DEP_2) | instskip(NEXT) | instid1(VALU_DEP_2)
	v_fma_f32 v13, v11, v4, -v13
	v_fmac_f32_e32 v14, v12, v4
	v_add_co_u32 v4, vcc_lo, v6, s16
	v_add_co_ci_u32_e32 v5, vcc_lo, s17, v7, vcc_lo
	s_add_i32 s16, s22, 0
	s_cmp_eq_u32 s4, s18
	scratch_store_b64 off, v[13:14], s16
	global_store_b64 v[4:5], v[13:14], off
	s_cbranch_scc1 .LBB164_41
.LBB164_51:                             ;   Parent Loop BB164_39 Depth=1
                                        ;     Parent Loop BB164_42 Depth=2
                                        ; =>    This Loop Header: Depth=3
                                        ;         Child Loop BB164_53 Depth 4
	s_cmp_lg_u32 s4, 0
	s_cbranch_scc0 .LBB164_55
; %bb.52:                               ;   in Loop: Header=BB164_51 Depth=3
	s_lshl_b32 s16, s4, 3
	v_mov_b32_e32 v12, 0
	s_add_i32 s17, s16, 0
	v_add_nc_u32_e64 v11, s16, 0
	scratch_load_b64 v[4:5], off, s17
	s_add_i32 s16, s4, s10
	s_mov_b32 s17, 0
	s_mov_b32 s22, s21
	.p2align	6
.LBB164_53:                             ;   Parent Loop BB164_39 Depth=1
                                        ;     Parent Loop BB164_42 Depth=2
                                        ;       Parent Loop BB164_51 Depth=3
                                        ; =>      This Inner Loop Header: Depth=4
	scratch_load_b64 v[13:14], v12, off
	v_mov_b32_e32 v15, s22
	s_add_i32 s17, s17, 1
	s_add_i32 s22, s22, 8
	s_cmp_ge_u32 s17, s4
	v_add_nc_u32_e32 v12, 8, v12
	ds_load_b64 v[15:16], v15
	s_waitcnt vmcnt(0) lgkmcnt(0)
	v_mul_f32_e32 v17, v16, v14
	v_mul_f32_e32 v14, v15, v14
	s_delay_alu instid0(VALU_DEP_2) | instskip(NEXT) | instid1(VALU_DEP_2)
	v_fma_f32 v15, v15, v13, -v17
	v_fmac_f32_e32 v14, v16, v13
	s_delay_alu instid0(VALU_DEP_1)
	v_dual_sub_f32 v4, v4, v15 :: v_dual_sub_f32 v5, v5, v14
	scratch_store_b64 v11, v[4:5], off
	s_cbranch_scc0 .LBB164_53
; %bb.54:                               ;   in Loop: Header=BB164_51 Depth=3
	s_branch .LBB164_50
.LBB164_55:                             ;   in Loop: Header=BB164_51 Depth=3
                                        ; implicit-def: $vgpr4
                                        ; implicit-def: $sgpr16
	s_cbranch_execz .LBB164_50
; %bb.56:                               ;   in Loop: Header=BB164_51 Depth=3
	scratch_load_b64 v[4:5], off, off
	s_mov_b32 s16, s10
	s_branch .LBB164_50
.LBB164_57:
	s_mov_b32 s5, 0
.LBB164_58:
	s_delay_alu instid0(SALU_CYCLE_1)
	s_and_b32 vcc_lo, exec_lo, s5
	s_cbranch_vccz .LBB164_78
; %bb.59:
	s_add_u32 s0, s8, s0
	s_addc_u32 s1, s9, s1
	v_add_co_u32 v0, vcc_lo, s0, v0
	v_add_co_ci_u32_e32 v1, vcc_lo, s1, v1, vcc_lo
	s_mul_i32 s10, s29, 0xe0
	s_delay_alu instid0(VALU_DEP_2) | instskip(NEXT) | instid1(VALU_DEP_2)
	v_add_co_u32 v2, vcc_lo, v0, 4
	v_add_co_ci_u32_e32 v3, vcc_lo, 0, v1, vcc_lo
	s_mov_b32 s1, 0
	s_addk_i32 s10, 0xff20
	s_mov_b32 s4, s28
	s_mov_b32 s0, s1
	s_branch .LBB164_61
.LBB164_60:                             ;   in Loop: Header=BB164_61 Depth=1
	s_cmp_lt_i32 s4, 0
	s_cselect_b32 s5, -1, 0
	s_add_i32 s0, s0, 1
	s_delay_alu instid0(SALU_CYCLE_1) | instskip(SKIP_1) | instid1(SALU_CYCLE_1)
	s_cmp_eq_u32 s0, 3
	s_cselect_b32 s6, -1, 0
	s_or_b32 s5, s5, s6
	s_delay_alu instid0(SALU_CYCLE_1)
	s_and_b32 vcc_lo, exec_lo, s5
	s_cbranch_vccnz .LBB164_78
.LBB164_61:                             ; =>This Loop Header: Depth=1
                                        ;     Child Loop BB164_64 Depth 2
                                        ;       Child Loop BB164_65 Depth 3
                                        ;       Child Loop BB164_67 Depth 3
                                        ;         Child Loop BB164_68 Depth 4
                                        ;       Child Loop BB164_72 Depth 3
                                        ;         Child Loop BB164_74 Depth 4
	s_getpc_b64 s[6:7]
	s_add_u32 s6, s6, __const._ZL30rocblas_trsm_small_left_deviceILi28ELi28ELb0E19rocblas_complex_numIfES1_PKPKS1_PKPS1_Ev13rocblas_fill_18rocblas_operation_17rocblas_diagonal_iiT3_T4_lilT5_lili.step_sizes@rel32@lo+4
	s_addc_u32 s7, s7, __const._ZL30rocblas_trsm_small_left_deviceILi28ELi28ELb0E19rocblas_complex_numIfES1_PKPKS1_PKPS1_Ev13rocblas_fill_18rocblas_operation_17rocblas_diagonal_iiT3_T4_lilT5_lili.step_sizes@rel32@hi+12
	s_lshl_b64 s[8:9], s[0:1], 2
	s_delay_alu instid0(SALU_CYCLE_1) | instskip(SKIP_4) | instid1(SALU_CYCLE_1)
	s_add_u32 s6, s8, s6
	s_addc_u32 s7, s9, s7
	s_load_b32 s11, s[6:7], 0x0
	s_waitcnt lgkmcnt(0)
	s_add_i32 s12, s11, -1
	s_cmp_lt_i32 s4, s12
	s_cbranch_scc1 .LBB164_60
; %bb.62:                               ;   in Loop: Header=BB164_61 Depth=1
	s_lshl_b32 s5, s4, 3
	s_lshl_b32 s6, s11, 3
	s_max_i32 s13, s11, 1
	s_add_i32 s14, s10, s5
	s_sub_i32 s15, 0, s6
	s_mul_i32 s16, s4, 0xe8
	s_mul_i32 s17, s11, 0xffffff18
	s_branch .LBB164_64
.LBB164_63:                             ;   in Loop: Header=BB164_64 Depth=2
	s_sub_i32 s4, s4, s11
	s_add_i32 s14, s14, s15
	s_add_i32 s16, s16, s17
	s_cmp_lt_i32 s4, s12
	s_cbranch_scc1 .LBB164_60
.LBB164_64:                             ;   Parent Loop BB164_61 Depth=1
                                        ; =>  This Loop Header: Depth=2
                                        ;       Child Loop BB164_65 Depth 3
                                        ;       Child Loop BB164_67 Depth 3
                                        ;         Child Loop BB164_68 Depth 4
                                        ;       Child Loop BB164_72 Depth 3
                                        ;         Child Loop BB164_74 Depth 4
	s_ashr_i32 s5, s4, 31
	s_delay_alu instid0(SALU_CYCLE_1) | instskip(NEXT) | instid1(SALU_CYCLE_1)
	s_lshl_b64 s[6:7], s[4:5], 3
	v_add_co_u32 v0, vcc_lo, v2, s6
	v_add_co_ci_u32_e32 v1, vcc_lo, s7, v3, vcc_lo
	s_mov_b32 s6, 4
	s_mov_b32 s7, s13
	.p2align	6
.LBB164_65:                             ;   Parent Loop BB164_61 Depth=1
                                        ;     Parent Loop BB164_64 Depth=2
                                        ; =>    This Inner Loop Header: Depth=3
	global_load_b64 v[4:5], v[0:1], off offset:-4
	v_add_co_u32 v0, vcc_lo, v0, -8
	v_add_co_ci_u32_e32 v1, vcc_lo, -1, v1, vcc_lo
	s_add_i32 s7, s7, -1
	s_add_i32 s8, s6, 0
	s_add_i32 s6, s6, 8
	s_cmp_eq_u32 s7, 0
	s_waitcnt vmcnt(0)
	v_mul_f32_e32 v10, s2, v5
	s_delay_alu instid0(VALU_DEP_1) | instskip(NEXT) | instid1(VALU_DEP_1)
	v_dual_mul_f32 v9, s3, v5 :: v_dual_fmac_f32 v10, s3, v4
	v_fma_f32 v9, v4, s2, -v9
	scratch_store_b64 off, v[9:10], s8 offset:-4
	s_cbranch_scc0 .LBB164_65
; %bb.66:                               ;   in Loop: Header=BB164_64 Depth=2
	s_cmp_le_i32 s28, s4
	s_mov_b32 s8, s14
	s_mov_b32 s6, s28
	s_cbranch_scc1 .LBB164_70
	.p2align	6
.LBB164_67:                             ;   Parent Loop BB164_61 Depth=1
                                        ;     Parent Loop BB164_64 Depth=2
                                        ; =>    This Loop Header: Depth=3
                                        ;         Child Loop BB164_68 Depth 4
	s_ashr_i32 s7, s6, 31
	v_mov_b32_e32 v4, v8
	s_lshl_b64 s[18:19], s[6:7], 3
	s_mov_b32 s7, s13
	v_add_co_u32 v0, vcc_lo, v6, s18
	v_add_co_ci_u32_e32 v1, vcc_lo, s19, v7, vcc_lo
	s_mov_b32 s9, s8
	global_load_b64 v[0:1], v[0:1], off
	.p2align	6
.LBB164_68:                             ;   Parent Loop BB164_61 Depth=1
                                        ;     Parent Loop BB164_64 Depth=2
                                        ;       Parent Loop BB164_67 Depth=3
                                        ; =>      This Inner Loop Header: Depth=4
	scratch_load_b64 v[9:10], v4, off offset:-4
	v_mov_b32_e32 v5, s9
	s_add_i32 s7, s7, -1
	s_add_i32 s9, s9, -8
	s_cmp_eq_u32 s7, 0
	ds_load_b64 v[11:12], v5
	s_waitcnt vmcnt(1) lgkmcnt(0)
	v_mul_f32_e32 v5, v12, v1
	v_mul_f32_e32 v12, v12, v0
	s_delay_alu instid0(VALU_DEP_1) | instskip(SKIP_1) | instid1(VALU_DEP_1)
	v_fmac_f32_e32 v12, v11, v1
	s_waitcnt vmcnt(0)
	v_sub_f32_e32 v10, v10, v12
	v_fma_f32 v5, v11, v0, -v5
	s_delay_alu instid0(VALU_DEP_1)
	v_sub_f32_e32 v9, v9, v5
	scratch_store_b64 v4, v[9:10], off offset:-4
	v_add_nc_u32_e32 v4, 8, v4
	s_cbranch_scc0 .LBB164_68
; %bb.69:                               ;   in Loop: Header=BB164_67 Depth=3
	s_add_i32 s6, s6, -1
	s_addk_i32 s8, 0xff20
	s_cmp_le_i32 s6, s4
	s_cbranch_scc0 .LBB164_67
.LBB164_70:                             ;   in Loop: Header=BB164_64 Depth=2
	s_mov_b32 s18, 0
	s_mov_b32 s19, s16
	s_branch .LBB164_72
.LBB164_71:                             ;   in Loop: Header=BB164_72 Depth=3
	s_mulk_i32 s8, 0xe8
	s_lshl_b64 s[6:7], s[6:7], 3
	v_mov_b32_e32 v4, s8
	s_lshl_b32 s8, s18, 3
	s_add_i32 s18, s18, 1
	s_add_i32 s19, s19, -8
	ds_load_b64 v[4:5], v4
	s_waitcnt vmcnt(0) lgkmcnt(0)
	v_mul_f32_e32 v9, v5, v1
	v_mul_f32_e32 v10, v4, v1
	s_delay_alu instid0(VALU_DEP_2) | instskip(NEXT) | instid1(VALU_DEP_2)
	v_fma_f32 v9, v4, v0, -v9
	v_fmac_f32_e32 v10, v5, v0
	v_add_co_u32 v0, vcc_lo, v6, s6
	v_add_co_ci_u32_e32 v1, vcc_lo, s7, v7, vcc_lo
	s_add_i32 s6, s8, 0
	s_cmp_eq_u32 s18, s13
	scratch_store_b64 off, v[9:10], s6
	global_store_b64 v[0:1], v[9:10], off
	s_cbranch_scc1 .LBB164_63
.LBB164_72:                             ;   Parent Loop BB164_61 Depth=1
                                        ;     Parent Loop BB164_64 Depth=2
                                        ; =>    This Loop Header: Depth=3
                                        ;         Child Loop BB164_74 Depth 4
	s_cmp_lg_u32 s18, 0
	s_cbranch_scc0 .LBB164_76
; %bb.73:                               ;   in Loop: Header=BB164_72 Depth=3
	s_lshl_b32 s6, s18, 3
	v_mov_b32_e32 v5, 0
	s_add_i32 s7, s6, 0
	v_add_nc_u32_e64 v4, s6, 0
	scratch_load_b64 v[0:1], off, s7
	s_mov_b32 s6, 0
	s_mov_b32 s7, s19
	.p2align	6
.LBB164_74:                             ;   Parent Loop BB164_61 Depth=1
                                        ;     Parent Loop BB164_64 Depth=2
                                        ;       Parent Loop BB164_72 Depth=3
                                        ; =>      This Inner Loop Header: Depth=4
	scratch_load_b64 v[9:10], v5, off
	v_mov_b32_e32 v11, s7
	s_add_i32 s6, s6, 1
	s_addk_i32 s7, 0xff20
	s_cmp_ge_u32 s6, s18
	v_add_nc_u32_e32 v5, 8, v5
	ds_load_b64 v[11:12], v11
	s_waitcnt vmcnt(0) lgkmcnt(0)
	v_mul_f32_e32 v13, v12, v10
	v_mul_f32_e32 v10, v11, v10
	s_delay_alu instid0(VALU_DEP_2) | instskip(NEXT) | instid1(VALU_DEP_2)
	v_fma_f32 v11, v11, v9, -v13
	v_fmac_f32_e32 v10, v12, v9
	s_delay_alu instid0(VALU_DEP_1)
	v_dual_sub_f32 v0, v0, v11 :: v_dual_sub_f32 v1, v1, v10
	scratch_store_b64 v4, v[0:1], off
	s_cbranch_scc0 .LBB164_74
; %bb.75:                               ;   in Loop: Header=BB164_72 Depth=3
	s_sub_i32 s8, s4, s18
	s_delay_alu instid0(SALU_CYCLE_1) | instskip(NEXT) | instid1(SALU_CYCLE_1)
	s_ashr_i32 s9, s8, 31
	s_mov_b64 s[6:7], s[8:9]
	s_branch .LBB164_71
.LBB164_76:                             ;   in Loop: Header=BB164_72 Depth=3
                                        ; implicit-def: $vgpr0
                                        ; implicit-def: $sgpr8
                                        ; implicit-def: $sgpr6_sgpr7
	s_cbranch_execz .LBB164_71
; %bb.77:                               ;   in Loop: Header=BB164_72 Depth=3
	scratch_load_b64 v[0:1], off, off
	s_mov_b64 s[6:7], s[4:5]
	s_mov_b32 s8, s4
	s_branch .LBB164_71
.LBB164_78:
	s_endpgm
	.section	.rodata,"a",@progbits
	.p2align	6, 0x0
	.amdhsa_kernel _ZL30rocblas_trsm_small_left_deviceILi28ELi28ELb0E19rocblas_complex_numIfES1_PKPKS1_PKPS1_Ev13rocblas_fill_18rocblas_operation_17rocblas_diagonal_iiT3_T4_lilT5_lili
		.amdhsa_group_segment_fixed_size 6272
		.amdhsa_private_segment_fixed_size 240
		.amdhsa_kernarg_size 360
		.amdhsa_user_sgpr_count 14
		.amdhsa_user_sgpr_dispatch_ptr 0
		.amdhsa_user_sgpr_queue_ptr 0
		.amdhsa_user_sgpr_kernarg_segment_ptr 1
		.amdhsa_user_sgpr_dispatch_id 0
		.amdhsa_user_sgpr_private_segment_size 0
		.amdhsa_wavefront_size32 1
		.amdhsa_uses_dynamic_stack 0
		.amdhsa_enable_private_segment 1
		.amdhsa_system_sgpr_workgroup_id_x 1
		.amdhsa_system_sgpr_workgroup_id_y 0
		.amdhsa_system_sgpr_workgroup_id_z 1
		.amdhsa_system_sgpr_workgroup_info 0
		.amdhsa_system_vgpr_workitem_id 0
		.amdhsa_next_free_vgpr 18
		.amdhsa_next_free_sgpr 34
		.amdhsa_reserve_vcc 1
		.amdhsa_float_round_mode_32 0
		.amdhsa_float_round_mode_16_64 0
		.amdhsa_float_denorm_mode_32 3
		.amdhsa_float_denorm_mode_16_64 3
		.amdhsa_dx10_clamp 1
		.amdhsa_ieee_mode 1
		.amdhsa_fp16_overflow 0
		.amdhsa_workgroup_processor_mode 1
		.amdhsa_memory_ordered 1
		.amdhsa_forward_progress 0
		.amdhsa_shared_vgpr_count 0
		.amdhsa_exception_fp_ieee_invalid_op 0
		.amdhsa_exception_fp_denorm_src 0
		.amdhsa_exception_fp_ieee_div_zero 0
		.amdhsa_exception_fp_ieee_overflow 0
		.amdhsa_exception_fp_ieee_underflow 0
		.amdhsa_exception_fp_ieee_inexact 0
		.amdhsa_exception_int_div_zero 0
	.end_amdhsa_kernel
	.section	.text._ZL30rocblas_trsm_small_left_deviceILi28ELi28ELb0E19rocblas_complex_numIfES1_PKPKS1_PKPS1_Ev13rocblas_fill_18rocblas_operation_17rocblas_diagonal_iiT3_T4_lilT5_lili,"axG",@progbits,_ZL30rocblas_trsm_small_left_deviceILi28ELi28ELb0E19rocblas_complex_numIfES1_PKPKS1_PKPS1_Ev13rocblas_fill_18rocblas_operation_17rocblas_diagonal_iiT3_T4_lilT5_lili,comdat
.Lfunc_end164:
	.size	_ZL30rocblas_trsm_small_left_deviceILi28ELi28ELb0E19rocblas_complex_numIfES1_PKPKS1_PKPS1_Ev13rocblas_fill_18rocblas_operation_17rocblas_diagonal_iiT3_T4_lilT5_lili, .Lfunc_end164-_ZL30rocblas_trsm_small_left_deviceILi28ELi28ELb0E19rocblas_complex_numIfES1_PKPKS1_PKPS1_Ev13rocblas_fill_18rocblas_operation_17rocblas_diagonal_iiT3_T4_lilT5_lili
                                        ; -- End function
	.section	.AMDGPU.csdata,"",@progbits
; Kernel info:
; codeLenInByte = 3120
; NumSgprs: 36
; NumVgprs: 18
; ScratchSize: 240
; MemoryBound: 0
; FloatMode: 240
; IeeeMode: 1
; LDSByteSize: 6272 bytes/workgroup (compile time only)
; SGPRBlocks: 4
; VGPRBlocks: 2
; NumSGPRsForWavesPerEU: 36
; NumVGPRsForWavesPerEU: 18
; Occupancy: 5
; WaveLimiterHint : 1
; COMPUTE_PGM_RSRC2:SCRATCH_EN: 1
; COMPUTE_PGM_RSRC2:USER_SGPR: 14
; COMPUTE_PGM_RSRC2:TRAP_HANDLER: 0
; COMPUTE_PGM_RSRC2:TGID_X_EN: 1
; COMPUTE_PGM_RSRC2:TGID_Y_EN: 0
; COMPUTE_PGM_RSRC2:TGID_Z_EN: 1
; COMPUTE_PGM_RSRC2:TIDIG_COMP_CNT: 0
	.section	.text._ZL38rocblas_trsm_small_left_device_sharedBILi28ELi28ELb1E19rocblas_complex_numIfES1_PKPKS1_PKPS1_Ev13rocblas_fill_18rocblas_operation_17rocblas_diagonal_iiT3_T4_lilT5_lili,"axG",@progbits,_ZL38rocblas_trsm_small_left_device_sharedBILi28ELi28ELb1E19rocblas_complex_numIfES1_PKPKS1_PKPS1_Ev13rocblas_fill_18rocblas_operation_17rocblas_diagonal_iiT3_T4_lilT5_lili,comdat
	.globl	_ZL38rocblas_trsm_small_left_device_sharedBILi28ELi28ELb1E19rocblas_complex_numIfES1_PKPKS1_PKPS1_Ev13rocblas_fill_18rocblas_operation_17rocblas_diagonal_iiT3_T4_lilT5_lili ; -- Begin function _ZL38rocblas_trsm_small_left_device_sharedBILi28ELi28ELb1E19rocblas_complex_numIfES1_PKPKS1_PKPS1_Ev13rocblas_fill_18rocblas_operation_17rocblas_diagonal_iiT3_T4_lilT5_lili
	.p2align	8
	.type	_ZL38rocblas_trsm_small_left_device_sharedBILi28ELi28ELb1E19rocblas_complex_numIfES1_PKPKS1_PKPS1_Ev13rocblas_fill_18rocblas_operation_17rocblas_diagonal_iiT3_T4_lilT5_lili,@function
_ZL38rocblas_trsm_small_left_device_sharedBILi28ELi28ELb1E19rocblas_complex_numIfES1_PKPKS1_PKPS1_Ev13rocblas_fill_18rocblas_operation_17rocblas_diagonal_iiT3_T4_lilT5_lili: ; @_ZL38rocblas_trsm_small_left_device_sharedBILi28ELi28ELb1E19rocblas_complex_numIfES1_PKPKS1_PKPS1_Ev13rocblas_fill_18rocblas_operation_17rocblas_diagonal_iiT3_T4_lilT5_lili
; %bb.0:
	s_clause 0x1
	s_load_b128 s[8:11], s[0:1], 0x40
	s_load_b128 s[4:7], s[0:1], 0x4
	s_mov_b32 s20, s15
	s_mov_b32 s21, 0
	s_load_b32 s15, s[0:1], 0x68
	s_lshl_b64 s[22:23], s[20:21], 3
	s_mov_b32 s29, exec_lo
	s_waitcnt lgkmcnt(0)
	s_add_u32 s2, s8, s22
	s_addc_u32 s3, s9, s23
	s_load_b64 s[12:13], s[0:1], 0x14
	s_load_b64 s[2:3], s[2:3], 0x0
	s_min_i32 s20, s6, 28
	s_delay_alu instid0(SALU_CYCLE_1)
	s_add_i32 s28, s20, -1
	v_cmpx_gt_i32_e64 s20, v0
	s_cbranch_execz .LBB165_35
; %bb.1:
	s_clause 0x1
	s_load_b32 s8, s[0:1], 0x30
	s_load_b128 s[16:19], s[0:1], 0x20
	s_waitcnt lgkmcnt(0)
	s_ashr_i32 s9, s8, 31
	s_cmpk_lg_i32 s4, 0x71
	s_cselect_b32 s30, -1, 0
	s_add_u32 s16, s16, s22
	s_addc_u32 s17, s17, s23
	v_cndmask_b32_e64 v7, 0, 1, s30
	s_load_b64 s[16:17], s[16:17], 0x0
	s_cmp_lt_u32 s28, 3
	s_cbranch_scc1 .LBB165_20
; %bb.2:
	v_lshlrev_b32_e32 v8, 3, v0
	s_lshl_b64 s[22:23], s[18:19], 3
	s_mul_hi_i32 s31, s8, 24
	s_waitcnt lgkmcnt(0)
	s_add_u32 s21, s16, s22
	s_addc_u32 s22, s17, s23
	v_add_co_u32 v1, s21, s21, v8
	s_delay_alu instid0(VALU_DEP_1)
	v_add_co_ci_u32_e64 v2, null, s22, 0, s21
	s_and_b32 s21, s20, -4
	s_mul_i32 s33, s8, 24
	s_lshl_b64 s[22:23], s[8:9], 5
	s_lshl_b64 s[24:25], s[8:9], 4
	s_lshl_b64 s[26:27], s[8:9], 3
	s_mov_b32 s34, 0
	s_branch .LBB165_4
.LBB165_3:                              ;   in Loop: Header=BB165_4 Depth=1
	global_load_b32 v3, v[5:6], off
	v_add_co_u32 v1, vcc_lo, v1, s22
	v_add_co_ci_u32_e32 v2, vcc_lo, s23, v2, vcc_lo
	s_add_i32 s34, s34, 4
	s_delay_alu instid0(SALU_CYCLE_1)
	s_cmp_eq_u32 s21, s34
	s_waitcnt vmcnt(0)
	ds_store_b64 v8, v[3:4] offset:672
	v_add_nc_u32_e32 v8, 0x380, v8
	s_cbranch_scc1 .LBB165_20
.LBB165_4:                              ; =>This Inner Loop Header: Depth=1
	s_and_b32 vcc_lo, exec_lo, s30
	s_cbranch_vccz .LBB165_6
; %bb.5:                                ;   in Loop: Header=BB165_4 Depth=1
	global_load_b32 v4, v[1:2], off offset:4
	s_cbranch_execz .LBB165_7
	s_branch .LBB165_8
.LBB165_6:                              ;   in Loop: Header=BB165_4 Depth=1
                                        ; implicit-def: $vgpr4
.LBB165_7:                              ;   in Loop: Header=BB165_4 Depth=1
	global_load_b32 v3, v[1:2], off offset:4
	s_waitcnt vmcnt(0)
	v_xor_b32_e32 v4, 0x80000000, v3
.LBB165_8:                              ;   in Loop: Header=BB165_4 Depth=1
	global_load_b32 v3, v[1:2], off
	v_add_co_u32 v5, vcc_lo, v1, s26
	v_add_co_ci_u32_e32 v6, vcc_lo, s27, v2, vcc_lo
	s_and_not1_b32 vcc_lo, exec_lo, s30
	s_waitcnt vmcnt(0)
	ds_store_b64 v8, v[3:4]
	s_cbranch_vccnz .LBB165_10
; %bb.9:                                ;   in Loop: Header=BB165_4 Depth=1
	global_load_b32 v4, v[5:6], off offset:4
	s_cbranch_execz .LBB165_11
	s_branch .LBB165_12
.LBB165_10:                             ;   in Loop: Header=BB165_4 Depth=1
                                        ; implicit-def: $vgpr4
.LBB165_11:                             ;   in Loop: Header=BB165_4 Depth=1
	global_load_b32 v3, v[5:6], off offset:4
	s_waitcnt vmcnt(0)
	v_xor_b32_e32 v4, 0x80000000, v3
.LBB165_12:                             ;   in Loop: Header=BB165_4 Depth=1
	global_load_b32 v3, v[5:6], off
	v_add_co_u32 v5, vcc_lo, v1, s24
	v_add_co_ci_u32_e32 v6, vcc_lo, s25, v2, vcc_lo
	s_and_not1_b32 vcc_lo, exec_lo, s30
	s_waitcnt vmcnt(0)
	ds_store_b64 v8, v[3:4] offset:224
	s_cbranch_vccnz .LBB165_14
; %bb.13:                               ;   in Loop: Header=BB165_4 Depth=1
	global_load_b32 v4, v[5:6], off offset:4
	s_cbranch_execz .LBB165_15
	s_branch .LBB165_16
.LBB165_14:                             ;   in Loop: Header=BB165_4 Depth=1
                                        ; implicit-def: $vgpr4
.LBB165_15:                             ;   in Loop: Header=BB165_4 Depth=1
	global_load_b32 v3, v[5:6], off offset:4
	s_waitcnt vmcnt(0)
	v_xor_b32_e32 v4, 0x80000000, v3
.LBB165_16:                             ;   in Loop: Header=BB165_4 Depth=1
	global_load_b32 v3, v[5:6], off
	v_add_co_u32 v5, vcc_lo, v1, s33
	v_add_co_ci_u32_e32 v6, vcc_lo, s31, v2, vcc_lo
	s_and_not1_b32 vcc_lo, exec_lo, s30
	s_waitcnt vmcnt(0)
	ds_store_b64 v8, v[3:4] offset:448
	s_cbranch_vccnz .LBB165_18
; %bb.17:                               ;   in Loop: Header=BB165_4 Depth=1
	global_load_b32 v4, v[5:6], off offset:4
	s_cbranch_execnz .LBB165_3
	s_branch .LBB165_19
.LBB165_18:                             ;   in Loop: Header=BB165_4 Depth=1
                                        ; implicit-def: $vgpr4
.LBB165_19:                             ;   in Loop: Header=BB165_4 Depth=1
	global_load_b32 v3, v[5:6], off offset:4
	s_waitcnt vmcnt(0)
	v_xor_b32_e32 v4, 0x80000000, v3
	s_branch .LBB165_3
.LBB165_20:
	s_and_b32 s22, s20, 3
	s_delay_alu instid0(SALU_CYCLE_1)
	s_cmp_eq_u32 s22, 0
	s_cbranch_scc1 .LBB165_27
; %bb.21:
	s_mul_i32 s23, s9, s21
	s_mul_hi_u32 s25, s8, s21
	s_mul_i32 s24, s8, s21
	s_add_i32 s25, s25, s23
	s_lshl_b64 s[18:19], s[18:19], 3
	s_lshl_b64 s[24:25], s[24:25], 3
	v_lshlrev_b32_e32 v1, 3, v0
	s_add_u32 s18, s24, s18
	s_addc_u32 s19, s25, s19
	s_waitcnt lgkmcnt(0)
	s_add_u32 s16, s16, s18
	s_addc_u32 s17, s17, s19
	v_add_co_u32 v1, s16, s16, v1
	s_delay_alu instid0(VALU_DEP_1) | instskip(SKIP_1) | instid1(VALU_DEP_2)
	v_add_co_ci_u32_e64 v2, null, s17, 0, s16
	s_mulk_i32 s21, 0xe0
	v_add_co_u32 v1, vcc_lo, v1, 4
	v_lshl_add_u32 v5, v0, 3, s21
	s_delay_alu instid0(VALU_DEP_3)
	v_add_co_ci_u32_e32 v2, vcc_lo, 0, v2, vcc_lo
	s_lshl_b64 s[8:9], s[8:9], 3
	s_set_inst_prefetch_distance 0x1
	s_branch .LBB165_23
	.p2align	6
.LBB165_22:                             ;   in Loop: Header=BB165_23 Depth=1
	global_load_b32 v3, v[1:2], off offset:-4
	v_add_co_u32 v1, vcc_lo, v1, s8
	v_add_co_ci_u32_e32 v2, vcc_lo, s9, v2, vcc_lo
	s_add_i32 s22, s22, -1
	s_delay_alu instid0(SALU_CYCLE_1)
	s_cmp_lg_u32 s22, 0
	s_waitcnt vmcnt(0)
	ds_store_b64 v5, v[3:4]
	v_add_nc_u32_e32 v5, 0xe0, v5
	s_cbranch_scc0 .LBB165_27
.LBB165_23:                             ; =>This Inner Loop Header: Depth=1
	v_cmp_ne_u32_e32 vcc_lo, 1, v7
	s_mov_b32 s16, -1
                                        ; implicit-def: $vgpr4
	s_cbranch_vccnz .LBB165_25
; %bb.24:                               ;   in Loop: Header=BB165_23 Depth=1
	global_load_b32 v4, v[1:2], off
	s_mov_b32 s16, 0
.LBB165_25:                             ;   in Loop: Header=BB165_23 Depth=1
	s_delay_alu instid0(SALU_CYCLE_1)
	s_and_not1_b32 vcc_lo, exec_lo, s16
	s_cbranch_vccnz .LBB165_22
; %bb.26:                               ;   in Loop: Header=BB165_23 Depth=1
	global_load_b32 v3, v[1:2], off
	s_waitcnt vmcnt(0)
	v_xor_b32_e32 v4, 0x80000000, v3
	s_branch .LBB165_22
.LBB165_27:
	s_set_inst_prefetch_distance 0x2
	v_mul_u32_u24_e32 v1, 29, v0
	s_cmpk_lg_i32 s5, 0x84
	s_mov_b32 s5, -1
	s_delay_alu instid0(VALU_DEP_1)
	v_lshlrev_b32_e32 v5, 3, v1
	s_cbranch_scc0 .LBB165_33
; %bb.28:
	ds_load_b64 v[1:2], v5
	s_waitcnt lgkmcnt(0)
	v_cmp_gt_f32_e32 vcc_lo, 0, v1
	v_cndmask_b32_e64 v3, v1, -v1, vcc_lo
	v_cmp_gt_f32_e32 vcc_lo, 0, v2
	v_cndmask_b32_e64 v4, v2, -v2, vcc_lo
	s_delay_alu instid0(VALU_DEP_1) | instskip(SKIP_1) | instid1(SALU_CYCLE_1)
	v_cmp_ngt_f32_e32 vcc_lo, v3, v4
                                        ; implicit-def: $vgpr3
	s_and_saveexec_b32 s5, vcc_lo
	s_xor_b32 s5, exec_lo, s5
	s_cbranch_execz .LBB165_30
; %bb.29:
	v_div_scale_f32 v3, null, v2, v2, v1
	v_div_scale_f32 v7, vcc_lo, v1, v2, v1
	s_delay_alu instid0(VALU_DEP_2) | instskip(SKIP_2) | instid1(VALU_DEP_1)
	v_rcp_f32_e32 v4, v3
	s_waitcnt_depctr 0xfff
	v_fma_f32 v6, -v3, v4, 1.0
	v_fmac_f32_e32 v4, v6, v4
	s_delay_alu instid0(VALU_DEP_1) | instskip(NEXT) | instid1(VALU_DEP_1)
	v_mul_f32_e32 v6, v7, v4
	v_fma_f32 v8, -v3, v6, v7
	s_delay_alu instid0(VALU_DEP_1) | instskip(NEXT) | instid1(VALU_DEP_1)
	v_fmac_f32_e32 v6, v8, v4
	v_fma_f32 v3, -v3, v6, v7
	s_delay_alu instid0(VALU_DEP_1) | instskip(NEXT) | instid1(VALU_DEP_1)
	v_div_fmas_f32 v3, v3, v4, v6
	v_div_fixup_f32 v3, v3, v2, v1
	s_delay_alu instid0(VALU_DEP_1) | instskip(NEXT) | instid1(VALU_DEP_1)
	v_fmac_f32_e32 v2, v1, v3
	v_div_scale_f32 v1, null, v2, v2, 1.0
	v_div_scale_f32 v7, vcc_lo, 1.0, v2, 1.0
	s_delay_alu instid0(VALU_DEP_2) | instskip(SKIP_2) | instid1(VALU_DEP_1)
	v_rcp_f32_e32 v4, v1
	s_waitcnt_depctr 0xfff
	v_fma_f32 v6, -v1, v4, 1.0
	v_fmac_f32_e32 v4, v6, v4
	s_delay_alu instid0(VALU_DEP_1) | instskip(NEXT) | instid1(VALU_DEP_1)
	v_mul_f32_e32 v6, v7, v4
	v_fma_f32 v8, -v1, v6, v7
	s_delay_alu instid0(VALU_DEP_1) | instskip(NEXT) | instid1(VALU_DEP_1)
	v_fmac_f32_e32 v6, v8, v4
	v_fma_f32 v1, -v1, v6, v7
	s_delay_alu instid0(VALU_DEP_1) | instskip(SKIP_1) | instid1(VALU_DEP_2)
	v_div_fmas_f32 v1, v1, v4, v6
	v_add_f32_e32 v4, 0, v3
	v_div_fixup_f32 v1, v1, v2, 1.0
	v_fma_f32 v2, v3, 0, -1.0
	s_delay_alu instid0(VALU_DEP_2) | instskip(NEXT) | instid1(VALU_DEP_2)
	v_mul_f32_e32 v3, v4, v1
	v_mul_f32_e32 v4, v2, v1
                                        ; implicit-def: $vgpr1_vgpr2
.LBB165_30:
	s_and_not1_saveexec_b32 s5, s5
	s_cbranch_execz .LBB165_32
; %bb.31:
	v_div_scale_f32 v3, null, v1, v1, v2
	v_div_scale_f32 v7, vcc_lo, v2, v1, v2
	s_delay_alu instid0(VALU_DEP_2) | instskip(SKIP_2) | instid1(VALU_DEP_1)
	v_rcp_f32_e32 v4, v3
	s_waitcnt_depctr 0xfff
	v_fma_f32 v6, -v3, v4, 1.0
	v_fmac_f32_e32 v4, v6, v4
	s_delay_alu instid0(VALU_DEP_1) | instskip(NEXT) | instid1(VALU_DEP_1)
	v_mul_f32_e32 v6, v7, v4
	v_fma_f32 v8, -v3, v6, v7
	s_delay_alu instid0(VALU_DEP_1) | instskip(NEXT) | instid1(VALU_DEP_1)
	v_fmac_f32_e32 v6, v8, v4
	v_fma_f32 v3, -v3, v6, v7
	s_delay_alu instid0(VALU_DEP_1) | instskip(NEXT) | instid1(VALU_DEP_1)
	v_div_fmas_f32 v3, v3, v4, v6
	v_div_fixup_f32 v4, v3, v1, v2
	s_delay_alu instid0(VALU_DEP_1) | instskip(NEXT) | instid1(VALU_DEP_1)
	v_fmac_f32_e32 v1, v2, v4
	v_div_scale_f32 v2, null, v1, v1, 1.0
	v_div_scale_f32 v7, vcc_lo, 1.0, v1, 1.0
	s_delay_alu instid0(VALU_DEP_2) | instskip(SKIP_2) | instid1(VALU_DEP_1)
	v_rcp_f32_e32 v3, v2
	s_waitcnt_depctr 0xfff
	v_fma_f32 v6, -v2, v3, 1.0
	v_fmac_f32_e32 v3, v6, v3
	s_delay_alu instid0(VALU_DEP_1) | instskip(NEXT) | instid1(VALU_DEP_1)
	v_mul_f32_e32 v6, v7, v3
	v_fma_f32 v8, -v2, v6, v7
	s_delay_alu instid0(VALU_DEP_1) | instskip(NEXT) | instid1(VALU_DEP_1)
	v_fmac_f32_e32 v6, v8, v3
	v_fma_f32 v2, -v2, v6, v7
	s_delay_alu instid0(VALU_DEP_1) | instskip(SKIP_1) | instid1(VALU_DEP_2)
	v_div_fmas_f32 v2, v2, v3, v6
	v_fma_f32 v3, v4, 0, 1.0
	v_div_fixup_f32 v1, v2, v1, 1.0
	s_delay_alu instid0(VALU_DEP_1)
	v_mul_f32_e32 v3, v3, v1
	v_mul_f32_e64 v4, -v4, v1
.LBB165_32:
	s_or_b32 exec_lo, exec_lo, s5
	s_mov_b32 s5, 0
	ds_store_b64 v5, v[3:4]
.LBB165_33:
	s_and_b32 vcc_lo, exec_lo, s5
	s_cbranch_vccz .LBB165_35
; %bb.34:
	v_dual_mov_b32 v1, 1.0 :: v_dual_mov_b32 v2, 0
	ds_store_b64 v5, v[1:2]
.LBB165_35:
	s_or_b32 exec_lo, exec_lo, s29
	s_waitcnt lgkmcnt(0)
	s_load_b32 s16, s[0:1], 0x50
	s_lshl_b64 s[0:1], s[10:11], 3
	s_mul_i32 s5, s14, 0xffffffe4
	s_mul_i32 s8, s14, 28
	s_waitcnt lgkmcnt(0)
	s_ashr_i32 s17, s16, 31
	s_add_u32 s18, s2, s0
	s_addc_u32 s19, s3, s1
	s_add_i32 s15, s15, -1
	s_add_i32 s5, s5, s7
	s_mul_hi_i32 s11, s16, s8
	s_cmp_ge_u32 s14, s15
	s_mul_i32 s10, s16, s8
	s_cselect_b32 s5, s5, 28
	s_lshl_b64 s[10:11], s[10:11], 3
	s_ashr_i32 s9, s8, 31
	s_add_u32 s7, s18, s10
	s_addc_u32 s18, s19, s11
	v_cmp_gt_i32_e32 vcc_lo, s5, v0
	s_cmp_gt_i32 s6, 0
	s_mov_b32 s10, 0
	s_cselect_b32 s5, -1, 0
	s_delay_alu instid0(SALU_CYCLE_1) | instskip(NEXT) | instid1(SALU_CYCLE_1)
	s_and_b32 s19, vcc_lo, s5
	s_and_saveexec_b32 s5, s19
	s_cbranch_execz .LBB165_42
; %bb.36:
	s_cmp_lt_i32 s6, 8
	s_cbranch_scc1 .LBB165_39
; %bb.37:
	v_mad_i64_i32 v[1:2], null, s16, v0, 0
	v_lshl_add_u32 v3, v0, 3, 0x1880
	s_lshl_b32 s10, s20, 3
	s_mov_b64 s[14:15], 0
	s_and_b32 s11, s10, 0xc0
	s_mov_b32 s10, 0
	s_delay_alu instid0(VALU_DEP_2) | instskip(NEXT) | instid1(VALU_DEP_1)
	v_lshlrev_b64 v[1:2], 3, v[1:2]
	v_add_co_u32 v1, vcc_lo, s7, v1
	s_delay_alu instid0(VALU_DEP_2)
	v_add_co_ci_u32_e32 v2, vcc_lo, s18, v2, vcc_lo
.LBB165_38:                             ; =>This Inner Loop Header: Depth=1
	s_delay_alu instid0(VALU_DEP_2) | instskip(NEXT) | instid1(VALU_DEP_2)
	v_add_co_u32 v16, vcc_lo, v1, s14
	v_add_co_ci_u32_e32 v17, vcc_lo, s15, v2, vcc_lo
	s_add_i32 s10, s10, 8
	s_add_u32 s14, s14, 64
	s_addc_u32 s15, s15, 0
	s_clause 0x3
	global_load_b128 v[4:7], v[16:17], off
	global_load_b128 v[8:11], v[16:17], off offset:16
	global_load_b128 v[12:15], v[16:17], off offset:32
	;; [unrolled: 1-line block ×3, first 2 shown]
	s_cmp_lg_u32 s11, s14
	s_waitcnt vmcnt(3)
	v_dual_mul_f32 v21, s13, v5 :: v_dual_mul_f32 v22, s13, v7
	v_dual_mul_f32 v20, s12, v5 :: v_dual_mul_f32 v5, s12, v7
	s_waitcnt vmcnt(2)
	v_dual_mul_f32 v23, s13, v9 :: v_dual_mul_f32 v24, s13, v11
	s_waitcnt vmcnt(1)
	v_dual_mul_f32 v7, s12, v9 :: v_dual_mul_f32 v26, s13, v15
	v_dual_mul_f32 v9, s12, v11 :: v_dual_fmac_f32 v20, s13, v4
	s_waitcnt vmcnt(0)
	v_dual_mul_f32 v25, s13, v13 :: v_dual_mul_f32 v28, s13, v19
	v_mul_f32_e32 v11, s12, v13
	v_mul_f32_e32 v13, s12, v15
	;; [unrolled: 1-line block ×5, first 2 shown]
	v_fma_f32 v19, s12, v4, -v21
	v_fma_f32 v4, s12, v6, -v22
	v_fmac_f32_e32 v5, s13, v6
	v_fma_f32 v6, s12, v8, -v23
	v_fmac_f32_e32 v7, s13, v8
	;; [unrolled: 2-line block ×7, first 2 shown]
	ds_store_2addr_b64 v3, v[19:20], v[4:5] offset1:28
	ds_store_2addr_b64 v3, v[6:7], v[8:9] offset0:56 offset1:84
	ds_store_2addr_b64 v3, v[10:11], v[12:13] offset0:112 offset1:140
	ds_store_2addr_b64 v3, v[14:15], v[16:17] offset0:168 offset1:196
	v_add_nc_u32_e32 v3, 0x700, v3
	s_cbranch_scc1 .LBB165_38
.LBB165_39:
	s_and_b32 s14, s20, 7
	s_mov_b32 s11, 0
	s_cmp_eq_u32 s14, 0
	s_cbranch_scc1 .LBB165_42
; %bb.40:
	v_lshlrev_b32_e32 v3, 3, v0
	s_lshl_b64 s[22:23], s[8:9], 3
	s_lshl_b64 s[24:25], s[10:11], 3
	s_mulk_i32 s10, 0xe0
	s_delay_alu instid0(VALU_DEP_1) | instskip(NEXT) | instid1(VALU_DEP_1)
	v_add_co_u32 v4, s11, s22, v3
	v_add_co_ci_u32_e64 v5, null, s23, 0, s11
	s_add_u32 s11, s2, s24
	s_addc_u32 s15, s3, s25
	s_add_u32 s22, s11, s0
	s_addc_u32 s23, s15, s1
	v_mul_lo_u32 v5, v5, s16
	v_mad_u64_u32 v[1:2], null, v4, s16, s[22:23]
	v_mul_lo_u32 v4, v4, s17
	v_add3_u32 v3, s10, v3, 0x1880
	s_delay_alu instid0(VALU_DEP_3) | instskip(NEXT) | instid1(VALU_DEP_3)
	v_add_co_u32 v1, vcc_lo, v1, 4
	v_add3_u32 v2, v5, v2, v4
	s_delay_alu instid0(VALU_DEP_1)
	v_add_co_ci_u32_e32 v2, vcc_lo, 0, v2, vcc_lo
	.p2align	6
.LBB165_41:                             ; =>This Inner Loop Header: Depth=1
	global_load_b64 v[4:5], v[1:2], off offset:-4
	v_add_co_u32 v1, vcc_lo, v1, 8
	v_add_co_ci_u32_e32 v2, vcc_lo, 0, v2, vcc_lo
	s_add_i32 s14, s14, -1
	s_delay_alu instid0(SALU_CYCLE_1) | instskip(SKIP_2) | instid1(VALU_DEP_1)
	s_cmp_lg_u32 s14, 0
	s_waitcnt vmcnt(0)
	v_mul_f32_e32 v6, s12, v5
	v_dual_mul_f32 v7, s13, v5 :: v_dual_fmac_f32 v6, s13, v4
	s_delay_alu instid0(VALU_DEP_1)
	v_fma_f32 v5, s12, v4, -v7
	ds_store_b64 v3, v[5:6]
	v_add_nc_u32_e32 v3, 0xe0, v3
	s_cbranch_scc1 .LBB165_41
.LBB165_42:
	s_or_b32 exec_lo, exec_lo, s5
	v_or_b32_e64 v5, 0, 4
	s_cmpk_eq_i32 s4, 0x6f
	s_mov_b32 s4, -1
	s_waitcnt vmcnt(0) lgkmcnt(0)
	s_waitcnt_vscnt null, 0x0
	; wave barrier
	s_waitcnt lgkmcnt(0)
	buffer_gl0_inv
	s_cbranch_scc1 .LBB165_63
; %bb.43:
	v_lshl_add_u32 v3, v0, 3, 0x1880
	s_lshl_b32 s10, s20, 3
	s_mov_b32 s5, 0
	s_add_i32 s10, s10, -8
	s_mov_b32 s4, s5
	s_mov_b32 s11, s28
	s_branch .LBB165_45
.LBB165_44:                             ;   in Loop: Header=BB165_45 Depth=1
	s_cmp_lt_i32 s11, 0
	s_cselect_b32 s12, -1, 0
	s_add_i32 s4, s4, 1
	s_delay_alu instid0(SALU_CYCLE_1) | instskip(SKIP_1) | instid1(SALU_CYCLE_1)
	s_cmp_eq_u32 s4, 3
	s_cselect_b32 s13, -1, 0
	s_or_b32 s12, s12, s13
	s_delay_alu instid0(SALU_CYCLE_1)
	s_and_not1_b32 vcc_lo, exec_lo, s12
	s_cbranch_vccz .LBB165_62
.LBB165_45:                             ; =>This Loop Header: Depth=1
                                        ;     Child Loop BB165_48 Depth 2
                                        ;       Child Loop BB165_49 Depth 3
                                        ;       Child Loop BB165_51 Depth 3
                                        ;         Child Loop BB165_52 Depth 4
                                        ;       Child Loop BB165_56 Depth 3
                                        ;         Child Loop BB165_58 Depth 4
	s_getpc_b64 s[12:13]
	s_add_u32 s12, s12, __const._ZL38rocblas_trsm_small_left_device_sharedBILi28ELi28ELb1E19rocblas_complex_numIfES1_PKPKS1_PKPS1_Ev13rocblas_fill_18rocblas_operation_17rocblas_diagonal_iiT3_T4_lilT5_lili.step_sizes@rel32@lo+4
	s_addc_u32 s13, s13, __const._ZL38rocblas_trsm_small_left_device_sharedBILi28ELi28ELb1E19rocblas_complex_numIfES1_PKPKS1_PKPS1_Ev13rocblas_fill_18rocblas_operation_17rocblas_diagonal_iiT3_T4_lilT5_lili.step_sizes@rel32@hi+12
	s_lshl_b64 s[14:15], s[4:5], 2
	s_delay_alu instid0(SALU_CYCLE_1) | instskip(SKIP_4) | instid1(SALU_CYCLE_1)
	s_add_u32 s12, s14, s12
	s_addc_u32 s13, s15, s13
	s_load_b32 s12, s[12:13], 0x0
	s_waitcnt lgkmcnt(0)
	s_add_i32 s13, s12, -1
	s_cmp_lt_i32 s11, s13
	s_cbranch_scc1 .LBB165_44
; %bb.46:                               ;   in Loop: Header=BB165_45 Depth=1
	s_mul_i32 s21, s11, 0xe0
	s_max_i32 s14, s12, 1
	v_add_nc_u32_e32 v4, s21, v3
	s_mul_i32 s15, s12, 0xffffff20
	s_add_i32 s21, s10, s21
	s_mul_i32 s22, s11, 0xe8
	s_mul_i32 s23, s12, 0xffffff18
	s_branch .LBB165_48
.LBB165_47:                             ;   in Loop: Header=BB165_48 Depth=2
	v_add_nc_u32_e32 v4, s15, v4
	s_sub_i32 s11, s11, s12
	s_add_i32 s21, s21, s15
	s_add_i32 s22, s22, s23
	s_cmp_lt_i32 s11, s13
	s_cbranch_scc1 .LBB165_44
.LBB165_48:                             ;   Parent Loop BB165_45 Depth=1
                                        ; =>  This Loop Header: Depth=2
                                        ;       Child Loop BB165_49 Depth 3
                                        ;       Child Loop BB165_51 Depth 3
                                        ;         Child Loop BB165_52 Depth 4
                                        ;       Child Loop BB165_56 Depth 3
                                        ;         Child Loop BB165_58 Depth 4
	v_dual_mov_b32 v1, 0 :: v_dual_mov_b32 v2, v4
	s_mov_b32 s24, s14
.LBB165_49:                             ;   Parent Loop BB165_45 Depth=1
                                        ;     Parent Loop BB165_48 Depth=2
                                        ; =>    This Inner Loop Header: Depth=3
	ds_load_b64 v[6:7], v2
	v_add_nc_u32_e32 v2, 0xffffff20, v2
	s_add_i32 s24, s24, -1
	s_delay_alu instid0(SALU_CYCLE_1)
	s_cmp_eq_u32 s24, 0
	s_waitcnt lgkmcnt(0)
	scratch_store_b64 v1, v[6:7], off
	v_add_nc_u32_e32 v1, 8, v1
	s_cbranch_scc0 .LBB165_49
; %bb.50:                               ;   in Loop: Header=BB165_48 Depth=2
	s_cmp_le_i32 s28, s11
	s_mov_b32 s24, s21
	s_mov_b32 s25, s28
	s_cbranch_scc1 .LBB165_54
	.p2align	6
.LBB165_51:                             ;   Parent Loop BB165_45 Depth=1
                                        ;     Parent Loop BB165_48 Depth=2
                                        ; =>    This Loop Header: Depth=3
                                        ;         Child Loop BB165_52 Depth 4
	s_mul_i32 s26, s25, 28
	v_mov_b32_e32 v6, v5
	v_add_lshl_u32 v1, s26, v0, 3
	s_mov_b32 s26, s24
	s_mov_b32 s27, s14
	ds_load_b64 v[1:2], v1 offset:6272
	.p2align	6
.LBB165_52:                             ;   Parent Loop BB165_45 Depth=1
                                        ;     Parent Loop BB165_48 Depth=2
                                        ;       Parent Loop BB165_51 Depth=3
                                        ; =>      This Inner Loop Header: Depth=4
	scratch_load_b64 v[7:8], v6, off offset:-4
	v_mov_b32_e32 v9, s26
	s_add_i32 s27, s27, -1
	s_addk_i32 s26, 0xff20
	s_cmp_eq_u32 s27, 0
	ds_load_b64 v[9:10], v9
	s_waitcnt lgkmcnt(0)
	v_mul_f32_e32 v11, v10, v2
	v_mul_f32_e32 v10, v10, v1
	s_delay_alu instid0(VALU_DEP_2) | instskip(SKIP_1) | instid1(VALU_DEP_1)
	v_fma_f32 v11, v9, v1, -v11
	s_waitcnt vmcnt(0)
	v_dual_fmac_f32 v10, v9, v2 :: v_dual_sub_f32 v7, v7, v11
	s_delay_alu instid0(VALU_DEP_1)
	v_sub_f32_e32 v8, v8, v10
	scratch_store_b64 v6, v[7:8], off offset:-4
	v_add_nc_u32_e32 v6, 8, v6
	s_cbranch_scc0 .LBB165_52
; %bb.53:                               ;   in Loop: Header=BB165_51 Depth=3
	s_add_i32 s25, s25, -1
	s_add_i32 s24, s24, -8
	s_cmp_le_i32 s25, s11
	s_cbranch_scc0 .LBB165_51
.LBB165_54:                             ;   in Loop: Header=BB165_48 Depth=2
	s_mul_i32 s24, s11, 28
	s_mov_b32 s25, 0
	s_mov_b32 s26, s22
	s_branch .LBB165_56
.LBB165_55:                             ;   in Loop: Header=BB165_56 Depth=3
	s_mulk_i32 s29, 0xe8
	s_addk_i32 s26, 0xff20
	v_mov_b32_e32 v6, s29
	s_lshl_b32 s29, s25, 3
	s_add_i32 s25, s25, 1
	ds_load_b64 v[6:7], v6
	s_waitcnt vmcnt(0) lgkmcnt(0)
	v_mul_f32_e32 v8, v7, v2
	v_mul_f32_e32 v9, v6, v2
	v_add_lshl_u32 v2, s27, v0, 3
	s_add_i32 s27, s29, 0
	s_cmp_eq_u32 s25, s14
	v_fma_f32 v8, v6, v1, -v8
	v_fmac_f32_e32 v9, v7, v1
	scratch_store_b64 off, v[8:9], s27
	ds_store_b64 v2, v[8:9] offset:6272
	s_cbranch_scc1 .LBB165_47
.LBB165_56:                             ;   Parent Loop BB165_45 Depth=1
                                        ;     Parent Loop BB165_48 Depth=2
                                        ; =>    This Loop Header: Depth=3
                                        ;         Child Loop BB165_58 Depth 4
	s_cmp_lg_u32 s25, 0
	s_cbranch_scc0 .LBB165_60
; %bb.57:                               ;   in Loop: Header=BB165_56 Depth=3
	s_lshl_b32 s27, s25, 3
	v_mov_b32_e32 v7, 0
	s_add_i32 s29, s27, 0
	v_add_nc_u32_e64 v6, s27, 0
	scratch_load_b64 v[1:2], off, s29
	s_sub_i32 s29, s11, s25
	s_mov_b32 s30, 0
	s_mul_i32 s27, s29, 28
	s_mov_b32 s31, s26
	.p2align	6
.LBB165_58:                             ;   Parent Loop BB165_45 Depth=1
                                        ;     Parent Loop BB165_48 Depth=2
                                        ;       Parent Loop BB165_56 Depth=3
                                        ; =>      This Inner Loop Header: Depth=4
	scratch_load_b64 v[8:9], v7, off
	v_mov_b32_e32 v10, s31
	s_add_i32 s30, s30, 1
	s_add_i32 s31, s31, -8
	s_cmp_ge_u32 s30, s25
	v_add_nc_u32_e32 v7, 8, v7
	ds_load_b64 v[10:11], v10
	s_waitcnt vmcnt(0) lgkmcnt(0)
	v_mul_f32_e32 v12, v11, v9
	v_mul_f32_e32 v9, v10, v9
	s_delay_alu instid0(VALU_DEP_2) | instskip(NEXT) | instid1(VALU_DEP_2)
	v_fma_f32 v10, v10, v8, -v12
	v_fmac_f32_e32 v9, v11, v8
	s_delay_alu instid0(VALU_DEP_1)
	v_dual_sub_f32 v1, v1, v10 :: v_dual_sub_f32 v2, v2, v9
	scratch_store_b64 v6, v[1:2], off
	s_cbranch_scc0 .LBB165_58
; %bb.59:                               ;   in Loop: Header=BB165_56 Depth=3
	s_branch .LBB165_55
.LBB165_60:                             ;   in Loop: Header=BB165_56 Depth=3
                                        ; implicit-def: $vgpr1
                                        ; implicit-def: $sgpr29
                                        ; implicit-def: $sgpr27
	s_cbranch_execz .LBB165_55
; %bb.61:                               ;   in Loop: Header=BB165_56 Depth=3
	scratch_load_b64 v[1:2], off, off
	s_mov_b32 s27, s24
	s_mov_b32 s29, s11
	s_branch .LBB165_55
.LBB165_62:
	s_mov_b32 s4, 0
.LBB165_63:
	s_delay_alu instid0(SALU_CYCLE_1)
	s_and_b32 vcc_lo, exec_lo, s4
	s_cbranch_vccz .LBB165_84
; %bb.64:
	v_lshl_add_u32 v1, v0, 3, 0x1880
	s_mov_b32 s5, 0
	s_delay_alu instid0(SALU_CYCLE_1)
	s_mov_b32 s4, s5
	s_mov_b32 s10, s5
	s_branch .LBB165_66
.LBB165_65:                             ;   in Loop: Header=BB165_66 Depth=1
	s_cmp_ge_i32 s10, s20
	s_cselect_b32 s11, -1, 0
	s_add_i32 s4, s4, 1
	s_delay_alu instid0(SALU_CYCLE_1) | instskip(SKIP_1) | instid1(SALU_CYCLE_1)
	s_cmp_eq_u32 s4, 3
	s_cselect_b32 s12, -1, 0
	s_or_b32 s11, s11, s12
	s_delay_alu instid0(SALU_CYCLE_1)
	s_and_b32 vcc_lo, exec_lo, s11
	s_cbranch_vccnz .LBB165_84
.LBB165_66:                             ; =>This Loop Header: Depth=1
                                        ;     Child Loop BB165_69 Depth 2
                                        ;       Child Loop BB165_70 Depth 3
                                        ;       Child Loop BB165_73 Depth 3
                                        ;         Child Loop BB165_74 Depth 4
                                        ;       Child Loop BB165_78 Depth 3
                                        ;         Child Loop BB165_80 Depth 4
	s_getpc_b64 s[12:13]
	s_add_u32 s12, s12, __const._ZL38rocblas_trsm_small_left_device_sharedBILi28ELi28ELb1E19rocblas_complex_numIfES1_PKPKS1_PKPS1_Ev13rocblas_fill_18rocblas_operation_17rocblas_diagonal_iiT3_T4_lilT5_lili.step_sizes@rel32@lo+4
	s_addc_u32 s13, s13, __const._ZL38rocblas_trsm_small_left_device_sharedBILi28ELi28ELb1E19rocblas_complex_numIfES1_PKPKS1_PKPS1_Ev13rocblas_fill_18rocblas_operation_17rocblas_diagonal_iiT3_T4_lilT5_lili.step_sizes@rel32@hi+12
	s_lshl_b64 s[14:15], s[4:5], 2
	s_delay_alu instid0(SALU_CYCLE_1) | instskip(SKIP_4) | instid1(SALU_CYCLE_1)
	s_add_u32 s12, s14, s12
	s_addc_u32 s13, s15, s13
	s_load_b32 s11, s[12:13], 0x0
	s_waitcnt lgkmcnt(0)
	s_add_i32 s12, s11, -1
	s_add_i32 s13, s12, s10
	s_delay_alu instid0(SALU_CYCLE_1)
	s_cmp_ge_i32 s13, s20
	s_cbranch_scc1 .LBB165_65
; %bb.67:                               ;   in Loop: Header=BB165_66 Depth=1
	v_mad_u64_u32 v[2:3], null, 0xe0, s10, v[1:2]
	s_max_i32 s13, s11, 1
	s_mul_i32 s14, s11, 0xe0
	s_lshl_b32 s15, s10, 3
	s_lshl_b32 s21, s11, 3
	s_mul_i32 s22, s10, 0xe8
	s_mul_i32 s23, s11, 0xe8
	s_branch .LBB165_69
.LBB165_68:                             ;   in Loop: Header=BB165_69 Depth=2
	s_add_i32 s10, s10, s11
	v_add_nc_u32_e32 v2, s14, v2
	s_add_i32 s24, s12, s10
	s_add_i32 s15, s15, s21
	;; [unrolled: 1-line block ×3, first 2 shown]
	s_cmp_ge_i32 s24, s20
	s_cbranch_scc1 .LBB165_65
.LBB165_69:                             ;   Parent Loop BB165_66 Depth=1
                                        ; =>  This Loop Header: Depth=2
                                        ;       Child Loop BB165_70 Depth 3
                                        ;       Child Loop BB165_73 Depth 3
                                        ;         Child Loop BB165_74 Depth 4
                                        ;       Child Loop BB165_78 Depth 3
                                        ;         Child Loop BB165_80 Depth 4
	v_dual_mov_b32 v3, 0 :: v_dual_mov_b32 v4, v2
	s_mov_b32 s24, s13
.LBB165_70:                             ;   Parent Loop BB165_66 Depth=1
                                        ;     Parent Loop BB165_69 Depth=2
                                        ; =>    This Inner Loop Header: Depth=3
	ds_load_b64 v[6:7], v4
	v_add_nc_u32_e32 v4, 0xe0, v4
	s_add_i32 s24, s24, -1
	s_delay_alu instid0(SALU_CYCLE_1)
	s_cmp_eq_u32 s24, 0
	s_waitcnt lgkmcnt(0)
	scratch_store_b64 v3, v[6:7], off
	v_add_nc_u32_e32 v3, 8, v3
	s_cbranch_scc0 .LBB165_70
; %bb.71:                               ;   in Loop: Header=BB165_69 Depth=2
	s_cmp_lt_i32 s10, 1
	s_cbranch_scc1 .LBB165_76
; %bb.72:                               ;   in Loop: Header=BB165_69 Depth=2
	s_mov_b32 s24, 0
	s_mov_b32 s25, s15
	.p2align	6
.LBB165_73:                             ;   Parent Loop BB165_66 Depth=1
                                        ;     Parent Loop BB165_69 Depth=2
                                        ; =>    This Loop Header: Depth=3
                                        ;         Child Loop BB165_74 Depth 4
	s_mul_i32 s26, s24, 28
	v_mov_b32_e32 v6, v5
	v_add_lshl_u32 v3, s26, v0, 3
	s_mov_b32 s26, s25
	s_mov_b32 s27, s13
	ds_load_b64 v[3:4], v3 offset:6272
	.p2align	6
.LBB165_74:                             ;   Parent Loop BB165_66 Depth=1
                                        ;     Parent Loop BB165_69 Depth=2
                                        ;       Parent Loop BB165_73 Depth=3
                                        ; =>      This Inner Loop Header: Depth=4
	scratch_load_b64 v[7:8], v6, off offset:-4
	v_mov_b32_e32 v9, s26
	s_add_i32 s27, s27, -1
	s_add_i32 s26, s26, 8
	s_cmp_eq_u32 s27, 0
	ds_load_b64 v[9:10], v9
	s_waitcnt lgkmcnt(0)
	v_mul_f32_e32 v11, v10, v4
	v_mul_f32_e32 v10, v10, v3
	s_delay_alu instid0(VALU_DEP_1) | instskip(SKIP_1) | instid1(VALU_DEP_1)
	v_fmac_f32_e32 v10, v9, v4
	s_waitcnt vmcnt(0)
	v_sub_f32_e32 v8, v8, v10
	v_fma_f32 v11, v9, v3, -v11
	s_delay_alu instid0(VALU_DEP_1)
	v_sub_f32_e32 v7, v7, v11
	scratch_store_b64 v6, v[7:8], off offset:-4
	v_add_nc_u32_e32 v6, 8, v6
	s_cbranch_scc0 .LBB165_74
; %bb.75:                               ;   in Loop: Header=BB165_73 Depth=3
	s_add_i32 s24, s24, 1
	s_addk_i32 s25, 0xe0
	s_cmp_ge_i32 s24, s10
	s_cbranch_scc0 .LBB165_73
.LBB165_76:                             ;   in Loop: Header=BB165_69 Depth=2
	s_mov_b32 s24, 0
	s_mov_b32 s25, s22
	s_branch .LBB165_78
.LBB165_77:                             ;   in Loop: Header=BB165_78 Depth=3
	s_mul_i32 s27, s26, 0xe8
	s_mul_i32 s26, s26, 28
	v_mov_b32_e32 v6, s27
	s_lshl_b32 s27, s24, 3
	s_add_i32 s24, s24, 1
	s_add_i32 s25, s25, 8
	ds_load_b64 v[6:7], v6
	s_waitcnt vmcnt(0) lgkmcnt(0)
	v_mul_f32_e32 v8, v7, v4
	v_mul_f32_e32 v9, v6, v4
	s_delay_alu instid0(VALU_DEP_2) | instskip(NEXT) | instid1(VALU_DEP_2)
	v_fma_f32 v8, v6, v3, -v8
	v_fmac_f32_e32 v9, v7, v3
	v_add_lshl_u32 v3, s26, v0, 3
	s_add_i32 s26, s27, 0
	s_cmp_eq_u32 s24, s13
	scratch_store_b64 off, v[8:9], s26
	ds_store_b64 v3, v[8:9] offset:6272
	s_cbranch_scc1 .LBB165_68
.LBB165_78:                             ;   Parent Loop BB165_66 Depth=1
                                        ;     Parent Loop BB165_69 Depth=2
                                        ; =>    This Loop Header: Depth=3
                                        ;         Child Loop BB165_80 Depth 4
	s_cmp_lg_u32 s24, 0
	s_cbranch_scc0 .LBB165_82
; %bb.79:                               ;   in Loop: Header=BB165_78 Depth=3
	s_lshl_b32 s26, s24, 3
	v_mov_b32_e32 v7, 0
	s_add_i32 s27, s26, 0
	v_add_nc_u32_e64 v6, s26, 0
	scratch_load_b64 v[3:4], off, s27
	s_add_i32 s26, s24, s10
	s_mov_b32 s27, 0
	s_mov_b32 s28, s25
	.p2align	6
.LBB165_80:                             ;   Parent Loop BB165_66 Depth=1
                                        ;     Parent Loop BB165_69 Depth=2
                                        ;       Parent Loop BB165_78 Depth=3
                                        ; =>      This Inner Loop Header: Depth=4
	scratch_load_b64 v[8:9], v7, off
	v_mov_b32_e32 v10, s28
	s_add_i32 s27, s27, 1
	s_addk_i32 s28, 0xe0
	s_cmp_ge_u32 s27, s24
	v_add_nc_u32_e32 v7, 8, v7
	ds_load_b64 v[10:11], v10
	s_waitcnt vmcnt(0) lgkmcnt(0)
	v_mul_f32_e32 v12, v11, v9
	v_mul_f32_e32 v9, v10, v9
	s_delay_alu instid0(VALU_DEP_2) | instskip(NEXT) | instid1(VALU_DEP_2)
	v_fma_f32 v10, v10, v8, -v12
	v_fmac_f32_e32 v9, v11, v8
	s_delay_alu instid0(VALU_DEP_1)
	v_dual_sub_f32 v3, v3, v10 :: v_dual_sub_f32 v4, v4, v9
	scratch_store_b64 v6, v[3:4], off
	s_cbranch_scc0 .LBB165_80
; %bb.81:                               ;   in Loop: Header=BB165_78 Depth=3
	s_branch .LBB165_77
.LBB165_82:                             ;   in Loop: Header=BB165_78 Depth=3
                                        ; implicit-def: $vgpr3
                                        ; implicit-def: $sgpr26
	s_cbranch_execz .LBB165_77
; %bb.83:                               ;   in Loop: Header=BB165_78 Depth=3
	scratch_load_b64 v[3:4], off, off
	s_mov_b32 s26, s10
	s_branch .LBB165_77
.LBB165_84:
	s_waitcnt vmcnt(0) lgkmcnt(0)
	s_waitcnt_vscnt null, 0x0
	; wave barrier
	s_waitcnt lgkmcnt(0)
	s_waitcnt_vscnt null, 0x0
	buffer_gl0_inv
	s_and_saveexec_b32 s4, s19
	s_cbranch_execz .LBB165_91
; %bb.85:
	s_cmp_lt_i32 s6, 8
	s_mov_b32 s4, 0
	s_cbranch_scc1 .LBB165_88
; %bb.86:
	v_mad_i64_i32 v[1:2], null, s16, v0, 0
	v_lshl_add_u32 v3, v0, 3, 0x1880
	s_lshl_b32 s4, s20, 3
	s_delay_alu instid0(SALU_CYCLE_1) | instskip(SKIP_1) | instid1(VALU_DEP_2)
	s_and_b32 s5, s4, 0xc0
	s_mov_b32 s4, 0
	v_lshlrev_b64 v[1:2], 3, v[1:2]
	s_delay_alu instid0(VALU_DEP_1) | instskip(NEXT) | instid1(VALU_DEP_2)
	v_add_co_u32 v1, vcc_lo, s7, v1
	v_add_co_ci_u32_e32 v2, vcc_lo, s18, v2, vcc_lo
	s_mov_b64 s[6:7], 0
	.p2align	6
.LBB165_87:                             ; =>This Inner Loop Header: Depth=1
	ds_load_2addr_b64 v[4:7], v3 offset1:28
	ds_load_2addr_b64 v[8:11], v3 offset0:56 offset1:84
	ds_load_2addr_b64 v[12:15], v3 offset0:112 offset1:140
	;; [unrolled: 1-line block ×3, first 2 shown]
	v_add_co_u32 v20, vcc_lo, v1, s6
	v_add_co_ci_u32_e32 v21, vcc_lo, s7, v2, vcc_lo
	s_add_i32 s4, s4, 8
	v_add_nc_u32_e32 v3, 0x700, v3
	s_add_u32 s6, s6, 64
	s_addc_u32 s7, s7, 0
	s_cmp_lg_u32 s5, s6
	s_waitcnt lgkmcnt(3)
	global_store_b128 v[20:21], v[4:7], off
	s_waitcnt lgkmcnt(2)
	global_store_b128 v[20:21], v[8:11], off offset:16
	s_waitcnt lgkmcnt(1)
	global_store_b128 v[20:21], v[12:15], off offset:32
	;; [unrolled: 2-line block ×3, first 2 shown]
	s_cbranch_scc1 .LBB165_87
.LBB165_88:
	s_and_b32 s6, s20, 7
	s_mov_b32 s5, 0
	s_cmp_eq_u32 s6, 0
	s_cbranch_scc1 .LBB165_91
; %bb.89:
	v_lshlrev_b32_e32 v2, 3, v0
	s_lshl_b64 s[8:9], s[8:9], 3
	s_lshl_b64 s[10:11], s[4:5], 3
	s_delay_alu instid0(SALU_CYCLE_1) | instskip(NEXT) | instid1(VALU_DEP_1)
	s_add_u32 s2, s2, s10
	v_add_co_u32 v3, s5, s8, v2
	s_delay_alu instid0(VALU_DEP_1) | instskip(SKIP_3) | instid1(VALU_DEP_1)
	v_add_co_ci_u32_e64 v4, null, s9, 0, s5
	s_addc_u32 s3, s3, s11
	s_add_u32 s0, s2, s0
	s_addc_u32 s1, s3, s1
	v_mul_lo_u32 v4, v4, s16
	v_mad_u64_u32 v[0:1], null, v3, s16, s[0:1]
	v_mul_lo_u32 v3, v3, s17
	s_mul_i32 s0, s4, 0xe0
	s_delay_alu instid0(SALU_CYCLE_1) | instskip(NEXT) | instid1(VALU_DEP_2)
	v_add3_u32 v2, s0, v2, 0x1880
	v_add3_u32 v1, v4, v1, v3
.LBB165_90:                             ; =>This Inner Loop Header: Depth=1
	ds_load_b64 v[3:4], v2
	v_add_nc_u32_e32 v2, 0xe0, v2
	s_add_i32 s6, s6, -1
	s_delay_alu instid0(SALU_CYCLE_1)
	s_cmp_lg_u32 s6, 0
	s_waitcnt lgkmcnt(0)
	global_store_b64 v[0:1], v[3:4], off
	v_add_co_u32 v0, vcc_lo, v0, 8
	v_add_co_ci_u32_e32 v1, vcc_lo, 0, v1, vcc_lo
	s_cbranch_scc1 .LBB165_90
.LBB165_91:
	s_nop 0
	s_sendmsg sendmsg(MSG_DEALLOC_VGPRS)
	s_endpgm
	.section	.rodata,"a",@progbits
	.p2align	6, 0x0
	.amdhsa_kernel _ZL38rocblas_trsm_small_left_device_sharedBILi28ELi28ELb1E19rocblas_complex_numIfES1_PKPKS1_PKPS1_Ev13rocblas_fill_18rocblas_operation_17rocblas_diagonal_iiT3_T4_lilT5_lili
		.amdhsa_group_segment_fixed_size 12544
		.amdhsa_private_segment_fixed_size 240
		.amdhsa_kernarg_size 360
		.amdhsa_user_sgpr_count 14
		.amdhsa_user_sgpr_dispatch_ptr 0
		.amdhsa_user_sgpr_queue_ptr 0
		.amdhsa_user_sgpr_kernarg_segment_ptr 1
		.amdhsa_user_sgpr_dispatch_id 0
		.amdhsa_user_sgpr_private_segment_size 0
		.amdhsa_wavefront_size32 1
		.amdhsa_uses_dynamic_stack 0
		.amdhsa_enable_private_segment 1
		.amdhsa_system_sgpr_workgroup_id_x 1
		.amdhsa_system_sgpr_workgroup_id_y 0
		.amdhsa_system_sgpr_workgroup_id_z 1
		.amdhsa_system_sgpr_workgroup_info 0
		.amdhsa_system_vgpr_workitem_id 0
		.amdhsa_next_free_vgpr 29
		.amdhsa_next_free_sgpr 35
		.amdhsa_reserve_vcc 1
		.amdhsa_float_round_mode_32 0
		.amdhsa_float_round_mode_16_64 0
		.amdhsa_float_denorm_mode_32 3
		.amdhsa_float_denorm_mode_16_64 3
		.amdhsa_dx10_clamp 1
		.amdhsa_ieee_mode 1
		.amdhsa_fp16_overflow 0
		.amdhsa_workgroup_processor_mode 1
		.amdhsa_memory_ordered 1
		.amdhsa_forward_progress 0
		.amdhsa_shared_vgpr_count 0
		.amdhsa_exception_fp_ieee_invalid_op 0
		.amdhsa_exception_fp_denorm_src 0
		.amdhsa_exception_fp_ieee_div_zero 0
		.amdhsa_exception_fp_ieee_overflow 0
		.amdhsa_exception_fp_ieee_underflow 0
		.amdhsa_exception_fp_ieee_inexact 0
		.amdhsa_exception_int_div_zero 0
	.end_amdhsa_kernel
	.section	.text._ZL38rocblas_trsm_small_left_device_sharedBILi28ELi28ELb1E19rocblas_complex_numIfES1_PKPKS1_PKPS1_Ev13rocblas_fill_18rocblas_operation_17rocblas_diagonal_iiT3_T4_lilT5_lili,"axG",@progbits,_ZL38rocblas_trsm_small_left_device_sharedBILi28ELi28ELb1E19rocblas_complex_numIfES1_PKPKS1_PKPS1_Ev13rocblas_fill_18rocblas_operation_17rocblas_diagonal_iiT3_T4_lilT5_lili,comdat
.Lfunc_end165:
	.size	_ZL38rocblas_trsm_small_left_device_sharedBILi28ELi28ELb1E19rocblas_complex_numIfES1_PKPKS1_PKPS1_Ev13rocblas_fill_18rocblas_operation_17rocblas_diagonal_iiT3_T4_lilT5_lili, .Lfunc_end165-_ZL38rocblas_trsm_small_left_device_sharedBILi28ELi28ELb1E19rocblas_complex_numIfES1_PKPKS1_PKPS1_Ev13rocblas_fill_18rocblas_operation_17rocblas_diagonal_iiT3_T4_lilT5_lili
                                        ; -- End function
	.section	.AMDGPU.csdata,"",@progbits
; Kernel info:
; codeLenInByte = 3956
; NumSgprs: 37
; NumVgprs: 29
; ScratchSize: 240
; MemoryBound: 0
; FloatMode: 240
; IeeeMode: 1
; LDSByteSize: 12544 bytes/workgroup (compile time only)
; SGPRBlocks: 4
; VGPRBlocks: 3
; NumSGPRsForWavesPerEU: 37
; NumVGPRsForWavesPerEU: 29
; Occupancy: 3
; WaveLimiterHint : 1
; COMPUTE_PGM_RSRC2:SCRATCH_EN: 1
; COMPUTE_PGM_RSRC2:USER_SGPR: 14
; COMPUTE_PGM_RSRC2:TRAP_HANDLER: 0
; COMPUTE_PGM_RSRC2:TGID_X_EN: 1
; COMPUTE_PGM_RSRC2:TGID_Y_EN: 0
; COMPUTE_PGM_RSRC2:TGID_Z_EN: 1
; COMPUTE_PGM_RSRC2:TIDIG_COMP_CNT: 0
	.section	.text._ZL30rocblas_trsm_small_left_deviceILi28ELi28ELb1E19rocblas_complex_numIfES1_PKPKS1_PKPS1_Ev13rocblas_fill_18rocblas_operation_17rocblas_diagonal_iiT3_T4_lilT5_lili,"axG",@progbits,_ZL30rocblas_trsm_small_left_deviceILi28ELi28ELb1E19rocblas_complex_numIfES1_PKPKS1_PKPS1_Ev13rocblas_fill_18rocblas_operation_17rocblas_diagonal_iiT3_T4_lilT5_lili,comdat
	.globl	_ZL30rocblas_trsm_small_left_deviceILi28ELi28ELb1E19rocblas_complex_numIfES1_PKPKS1_PKPS1_Ev13rocblas_fill_18rocblas_operation_17rocblas_diagonal_iiT3_T4_lilT5_lili ; -- Begin function _ZL30rocblas_trsm_small_left_deviceILi28ELi28ELb1E19rocblas_complex_numIfES1_PKPKS1_PKPS1_Ev13rocblas_fill_18rocblas_operation_17rocblas_diagonal_iiT3_T4_lilT5_lili
	.p2align	8
	.type	_ZL30rocblas_trsm_small_left_deviceILi28ELi28ELb1E19rocblas_complex_numIfES1_PKPKS1_PKPS1_Ev13rocblas_fill_18rocblas_operation_17rocblas_diagonal_iiT3_T4_lilT5_lili,@function
_ZL30rocblas_trsm_small_left_deviceILi28ELi28ELb1E19rocblas_complex_numIfES1_PKPKS1_PKPS1_Ev13rocblas_fill_18rocblas_operation_17rocblas_diagonal_iiT3_T4_lilT5_lili: ; @_ZL30rocblas_trsm_small_left_deviceILi28ELi28ELb1E19rocblas_complex_numIfES1_PKPKS1_PKPS1_Ev13rocblas_fill_18rocblas_operation_17rocblas_diagonal_iiT3_T4_lilT5_lili
; %bb.0:
	s_clause 0x1
	s_load_b128 s[8:11], s[0:1], 0x40
	s_load_b128 s[4:7], s[0:1], 0x4
	s_mov_b32 s12, s15
	s_mov_b32 s13, 0
	s_load_b32 s29, s[0:1], 0x68
	s_lshl_b64 s[22:23], s[12:13], 3
	s_waitcnt lgkmcnt(0)
	s_add_u32 s8, s8, s22
	s_addc_u32 s9, s9, s23
	s_load_b64 s[2:3], s[0:1], 0x14
	s_load_b64 s[8:9], s[8:9], 0x0
	s_min_i32 s15, s6, 28
	s_mov_b32 s6, exec_lo
	s_add_i32 s28, s15, -1
	v_cmpx_gt_i32_e64 s15, v0
	s_cbranch_execz .LBB166_35
; %bb.1:
	s_clause 0x1
	s_load_b32 s20, s[0:1], 0x30
	s_load_b128 s[16:19], s[0:1], 0x20
	v_lshlrev_b32_e32 v8, 3, v0
	s_waitcnt lgkmcnt(0)
	s_ashr_i32 s21, s20, 31
	s_cmpk_lg_i32 s4, 0x71
	s_cselect_b32 s12, -1, 0
	s_add_u32 s16, s16, s22
	s_addc_u32 s17, s17, s23
	v_cndmask_b32_e64 v7, 0, 1, s12
	s_load_b64 s[16:17], s[16:17], 0x0
	s_cmp_lt_u32 s28, 3
	s_cbranch_scc1 .LBB166_20
; %bb.2:
	s_lshl_b64 s[22:23], s[18:19], 3
	v_mov_b32_e32 v9, v8
	s_waitcnt lgkmcnt(0)
	s_add_u32 s13, s16, s22
	s_addc_u32 s22, s17, s23
	v_add_co_u32 v1, s13, s13, v8
	s_delay_alu instid0(VALU_DEP_1)
	v_add_co_ci_u32_e64 v2, null, s22, 0, s13
	s_and_b32 s13, s15, -4
	s_mul_hi_i32 s30, s20, 24
	s_mul_i32 s31, s20, 24
	s_lshl_b64 s[22:23], s[20:21], 5
	s_lshl_b64 s[24:25], s[20:21], 4
	;; [unrolled: 1-line block ×3, first 2 shown]
	s_mov_b32 s33, 0
	s_branch .LBB166_4
.LBB166_3:                              ;   in Loop: Header=BB166_4 Depth=1
	global_load_b32 v3, v[5:6], off
	v_add_co_u32 v1, vcc_lo, v1, s22
	v_add_co_ci_u32_e32 v2, vcc_lo, s23, v2, vcc_lo
	s_add_i32 s33, s33, 4
	s_delay_alu instid0(SALU_CYCLE_1)
	s_cmp_eq_u32 s13, s33
	s_waitcnt vmcnt(0)
	ds_store_b64 v9, v[3:4] offset:672
	v_add_nc_u32_e32 v9, 0x380, v9
	s_cbranch_scc1 .LBB166_20
.LBB166_4:                              ; =>This Inner Loop Header: Depth=1
	s_and_b32 vcc_lo, exec_lo, s12
	s_cbranch_vccz .LBB166_6
; %bb.5:                                ;   in Loop: Header=BB166_4 Depth=1
	global_load_b32 v4, v[1:2], off offset:4
	s_cbranch_execz .LBB166_7
	s_branch .LBB166_8
.LBB166_6:                              ;   in Loop: Header=BB166_4 Depth=1
                                        ; implicit-def: $vgpr4
.LBB166_7:                              ;   in Loop: Header=BB166_4 Depth=1
	global_load_b32 v3, v[1:2], off offset:4
	s_waitcnt vmcnt(0)
	v_xor_b32_e32 v4, 0x80000000, v3
.LBB166_8:                              ;   in Loop: Header=BB166_4 Depth=1
	global_load_b32 v3, v[1:2], off
	v_add_co_u32 v5, vcc_lo, v1, s26
	v_add_co_ci_u32_e32 v6, vcc_lo, s27, v2, vcc_lo
	s_and_not1_b32 vcc_lo, exec_lo, s12
	s_waitcnt vmcnt(0)
	ds_store_b64 v9, v[3:4]
	s_cbranch_vccnz .LBB166_10
; %bb.9:                                ;   in Loop: Header=BB166_4 Depth=1
	global_load_b32 v4, v[5:6], off offset:4
	s_cbranch_execz .LBB166_11
	s_branch .LBB166_12
.LBB166_10:                             ;   in Loop: Header=BB166_4 Depth=1
                                        ; implicit-def: $vgpr4
.LBB166_11:                             ;   in Loop: Header=BB166_4 Depth=1
	global_load_b32 v3, v[5:6], off offset:4
	s_waitcnt vmcnt(0)
	v_xor_b32_e32 v4, 0x80000000, v3
.LBB166_12:                             ;   in Loop: Header=BB166_4 Depth=1
	global_load_b32 v3, v[5:6], off
	v_add_co_u32 v5, vcc_lo, v1, s24
	v_add_co_ci_u32_e32 v6, vcc_lo, s25, v2, vcc_lo
	s_and_not1_b32 vcc_lo, exec_lo, s12
	s_waitcnt vmcnt(0)
	ds_store_b64 v9, v[3:4] offset:224
	s_cbranch_vccnz .LBB166_14
; %bb.13:                               ;   in Loop: Header=BB166_4 Depth=1
	global_load_b32 v4, v[5:6], off offset:4
	s_cbranch_execz .LBB166_15
	s_branch .LBB166_16
.LBB166_14:                             ;   in Loop: Header=BB166_4 Depth=1
                                        ; implicit-def: $vgpr4
.LBB166_15:                             ;   in Loop: Header=BB166_4 Depth=1
	global_load_b32 v3, v[5:6], off offset:4
	s_waitcnt vmcnt(0)
	v_xor_b32_e32 v4, 0x80000000, v3
.LBB166_16:                             ;   in Loop: Header=BB166_4 Depth=1
	global_load_b32 v3, v[5:6], off
	v_add_co_u32 v5, vcc_lo, v1, s31
	v_add_co_ci_u32_e32 v6, vcc_lo, s30, v2, vcc_lo
	s_and_not1_b32 vcc_lo, exec_lo, s12
	s_waitcnt vmcnt(0)
	ds_store_b64 v9, v[3:4] offset:448
	s_cbranch_vccnz .LBB166_18
; %bb.17:                               ;   in Loop: Header=BB166_4 Depth=1
	global_load_b32 v4, v[5:6], off offset:4
	s_cbranch_execnz .LBB166_3
	s_branch .LBB166_19
.LBB166_18:                             ;   in Loop: Header=BB166_4 Depth=1
                                        ; implicit-def: $vgpr4
.LBB166_19:                             ;   in Loop: Header=BB166_4 Depth=1
	global_load_b32 v3, v[5:6], off offset:4
	s_waitcnt vmcnt(0)
	v_xor_b32_e32 v4, 0x80000000, v3
	s_branch .LBB166_3
.LBB166_20:
	s_and_b32 s22, s15, 3
	s_delay_alu instid0(SALU_CYCLE_1)
	s_cmp_eq_u32 s22, 0
	s_cbranch_scc1 .LBB166_27
; %bb.21:
	s_mul_i32 s12, s21, s13
	s_mul_hi_u32 s23, s20, s13
	s_mul_i32 s24, s20, s13
	s_add_i32 s25, s23, s12
	s_lshl_b64 s[18:19], s[18:19], 3
	s_lshl_b64 s[24:25], s[24:25], 3
	s_mul_i32 s12, s13, 0xe0
	s_add_u32 s13, s24, s18
	s_addc_u32 s18, s25, s19
	s_waitcnt lgkmcnt(0)
	s_add_u32 s13, s16, s13
	s_addc_u32 s16, s17, s18
	v_add_co_u32 v1, s13, s13, v8
	s_delay_alu instid0(VALU_DEP_1) | instskip(SKIP_1) | instid1(VALU_DEP_3)
	v_add_co_ci_u32_e64 v2, null, s16, 0, s13
	v_lshl_add_u32 v5, v0, 3, s12
	v_add_co_u32 v1, vcc_lo, v1, 4
	s_delay_alu instid0(VALU_DEP_3)
	v_add_co_ci_u32_e32 v2, vcc_lo, 0, v2, vcc_lo
	s_lshl_b64 s[12:13], s[20:21], 3
	s_set_inst_prefetch_distance 0x1
	s_branch .LBB166_23
	.p2align	6
.LBB166_22:                             ;   in Loop: Header=BB166_23 Depth=1
	global_load_b32 v3, v[1:2], off offset:-4
	v_add_co_u32 v1, vcc_lo, v1, s12
	v_add_co_ci_u32_e32 v2, vcc_lo, s13, v2, vcc_lo
	s_add_i32 s22, s22, -1
	s_delay_alu instid0(SALU_CYCLE_1)
	s_cmp_lg_u32 s22, 0
	s_waitcnt vmcnt(0)
	ds_store_b64 v5, v[3:4]
	v_add_nc_u32_e32 v5, 0xe0, v5
	s_cbranch_scc0 .LBB166_27
.LBB166_23:                             ; =>This Inner Loop Header: Depth=1
	v_cmp_ne_u32_e32 vcc_lo, 1, v7
	s_mov_b32 s16, -1
                                        ; implicit-def: $vgpr4
	s_cbranch_vccnz .LBB166_25
; %bb.24:                               ;   in Loop: Header=BB166_23 Depth=1
	global_load_b32 v4, v[1:2], off
	s_mov_b32 s16, 0
.LBB166_25:                             ;   in Loop: Header=BB166_23 Depth=1
	s_delay_alu instid0(SALU_CYCLE_1)
	s_and_not1_b32 vcc_lo, exec_lo, s16
	s_cbranch_vccnz .LBB166_22
; %bb.26:                               ;   in Loop: Header=BB166_23 Depth=1
	global_load_b32 v3, v[1:2], off
	s_waitcnt vmcnt(0)
	v_xor_b32_e32 v4, 0x80000000, v3
	s_branch .LBB166_22
.LBB166_27:
	s_set_inst_prefetch_distance 0x2
	v_mul_u32_u24_e32 v1, 29, v0
	s_cmpk_lg_i32 s5, 0x84
	s_mov_b32 s5, -1
	s_delay_alu instid0(VALU_DEP_1)
	v_lshlrev_b32_e32 v5, 3, v1
	s_cbranch_scc0 .LBB166_33
; %bb.28:
	ds_load_b64 v[1:2], v5
	s_waitcnt lgkmcnt(0)
	v_cmp_gt_f32_e32 vcc_lo, 0, v1
	v_cndmask_b32_e64 v3, v1, -v1, vcc_lo
	v_cmp_gt_f32_e32 vcc_lo, 0, v2
	v_cndmask_b32_e64 v4, v2, -v2, vcc_lo
	s_delay_alu instid0(VALU_DEP_1) | instskip(SKIP_1) | instid1(SALU_CYCLE_1)
	v_cmp_ngt_f32_e32 vcc_lo, v3, v4
                                        ; implicit-def: $vgpr3
	s_and_saveexec_b32 s5, vcc_lo
	s_xor_b32 s5, exec_lo, s5
	s_cbranch_execz .LBB166_30
; %bb.29:
	v_div_scale_f32 v3, null, v2, v2, v1
	v_div_scale_f32 v7, vcc_lo, v1, v2, v1
	s_delay_alu instid0(VALU_DEP_2) | instskip(SKIP_2) | instid1(VALU_DEP_1)
	v_rcp_f32_e32 v4, v3
	s_waitcnt_depctr 0xfff
	v_fma_f32 v6, -v3, v4, 1.0
	v_fmac_f32_e32 v4, v6, v4
	s_delay_alu instid0(VALU_DEP_1) | instskip(NEXT) | instid1(VALU_DEP_1)
	v_mul_f32_e32 v6, v7, v4
	v_fma_f32 v8, -v3, v6, v7
	s_delay_alu instid0(VALU_DEP_1) | instskip(NEXT) | instid1(VALU_DEP_1)
	v_fmac_f32_e32 v6, v8, v4
	v_fma_f32 v3, -v3, v6, v7
	s_delay_alu instid0(VALU_DEP_1) | instskip(NEXT) | instid1(VALU_DEP_1)
	v_div_fmas_f32 v3, v3, v4, v6
	v_div_fixup_f32 v3, v3, v2, v1
	s_delay_alu instid0(VALU_DEP_1) | instskip(NEXT) | instid1(VALU_DEP_1)
	v_fmac_f32_e32 v2, v1, v3
	v_div_scale_f32 v1, null, v2, v2, 1.0
	v_div_scale_f32 v7, vcc_lo, 1.0, v2, 1.0
	s_delay_alu instid0(VALU_DEP_2) | instskip(SKIP_2) | instid1(VALU_DEP_1)
	v_rcp_f32_e32 v4, v1
	s_waitcnt_depctr 0xfff
	v_fma_f32 v6, -v1, v4, 1.0
	v_fmac_f32_e32 v4, v6, v4
	s_delay_alu instid0(VALU_DEP_1) | instskip(NEXT) | instid1(VALU_DEP_1)
	v_mul_f32_e32 v6, v7, v4
	v_fma_f32 v8, -v1, v6, v7
	s_delay_alu instid0(VALU_DEP_1) | instskip(NEXT) | instid1(VALU_DEP_1)
	v_fmac_f32_e32 v6, v8, v4
	v_fma_f32 v1, -v1, v6, v7
	s_delay_alu instid0(VALU_DEP_1) | instskip(SKIP_1) | instid1(VALU_DEP_2)
	v_div_fmas_f32 v1, v1, v4, v6
	v_add_f32_e32 v4, 0, v3
	v_div_fixup_f32 v1, v1, v2, 1.0
	v_fma_f32 v2, v3, 0, -1.0
	s_delay_alu instid0(VALU_DEP_2) | instskip(NEXT) | instid1(VALU_DEP_2)
	v_mul_f32_e32 v3, v4, v1
	v_mul_f32_e32 v4, v2, v1
                                        ; implicit-def: $vgpr1_vgpr2
.LBB166_30:
	s_and_not1_saveexec_b32 s5, s5
	s_cbranch_execz .LBB166_32
; %bb.31:
	v_div_scale_f32 v3, null, v1, v1, v2
	v_div_scale_f32 v7, vcc_lo, v2, v1, v2
	s_delay_alu instid0(VALU_DEP_2) | instskip(SKIP_2) | instid1(VALU_DEP_1)
	v_rcp_f32_e32 v4, v3
	s_waitcnt_depctr 0xfff
	v_fma_f32 v6, -v3, v4, 1.0
	v_fmac_f32_e32 v4, v6, v4
	s_delay_alu instid0(VALU_DEP_1) | instskip(NEXT) | instid1(VALU_DEP_1)
	v_mul_f32_e32 v6, v7, v4
	v_fma_f32 v8, -v3, v6, v7
	s_delay_alu instid0(VALU_DEP_1) | instskip(NEXT) | instid1(VALU_DEP_1)
	v_fmac_f32_e32 v6, v8, v4
	v_fma_f32 v3, -v3, v6, v7
	s_delay_alu instid0(VALU_DEP_1) | instskip(NEXT) | instid1(VALU_DEP_1)
	v_div_fmas_f32 v3, v3, v4, v6
	v_div_fixup_f32 v4, v3, v1, v2
	s_delay_alu instid0(VALU_DEP_1) | instskip(NEXT) | instid1(VALU_DEP_1)
	v_fmac_f32_e32 v1, v2, v4
	v_div_scale_f32 v2, null, v1, v1, 1.0
	v_div_scale_f32 v7, vcc_lo, 1.0, v1, 1.0
	s_delay_alu instid0(VALU_DEP_2) | instskip(SKIP_2) | instid1(VALU_DEP_1)
	v_rcp_f32_e32 v3, v2
	s_waitcnt_depctr 0xfff
	v_fma_f32 v6, -v2, v3, 1.0
	v_fmac_f32_e32 v3, v6, v3
	s_delay_alu instid0(VALU_DEP_1) | instskip(NEXT) | instid1(VALU_DEP_1)
	v_mul_f32_e32 v6, v7, v3
	v_fma_f32 v8, -v2, v6, v7
	s_delay_alu instid0(VALU_DEP_1) | instskip(NEXT) | instid1(VALU_DEP_1)
	v_fmac_f32_e32 v6, v8, v3
	v_fma_f32 v2, -v2, v6, v7
	s_delay_alu instid0(VALU_DEP_1) | instskip(SKIP_1) | instid1(VALU_DEP_2)
	v_div_fmas_f32 v2, v2, v3, v6
	v_fma_f32 v3, v4, 0, 1.0
	v_div_fixup_f32 v1, v2, v1, 1.0
	s_delay_alu instid0(VALU_DEP_1)
	v_mul_f32_e32 v3, v3, v1
	v_mul_f32_e64 v4, -v4, v1
.LBB166_32:
	s_or_b32 exec_lo, exec_lo, s5
	s_mov_b32 s5, 0
	ds_store_b64 v5, v[3:4]
.LBB166_33:
	s_and_b32 vcc_lo, exec_lo, s5
	s_cbranch_vccz .LBB166_35
; %bb.34:
	v_dual_mov_b32 v1, 1.0 :: v_dual_mov_b32 v2, 0
	ds_store_b64 v5, v[1:2]
.LBB166_35:
	s_or_b32 exec_lo, exec_lo, s6
	s_mul_i32 s5, s14, 0xffffffe4
	s_add_i32 s29, s29, -1
	s_add_i32 s5, s5, s7
	s_cmp_ge_u32 s14, s29
	s_waitcnt lgkmcnt(0)
	s_cselect_b32 s5, s5, 28
	; wave barrier
	buffer_gl0_inv
	v_cmp_gt_i32_e32 vcc_lo, s5, v0
	s_mov_b32 s5, -1
	s_and_saveexec_b32 s6, vcc_lo
	s_cbranch_execz .LBB166_78
; %bb.36:
	s_load_b32 s0, s[0:1], 0x50
	v_mad_u64_u32 v[1:2], null, s14, 28, v[0:1]
	v_or_b32_e64 v6, 0, 4
	s_waitcnt lgkmcnt(0)
	s_delay_alu instid0(VALU_DEP_2) | instskip(SKIP_1) | instid1(SALU_CYCLE_1)
	v_mad_i64_i32 v[2:3], null, s0, v1, 0
	s_lshl_b64 s[0:1], s[10:11], 3
	s_add_u32 s6, s8, s0
	s_addc_u32 s7, s9, s1
	s_cmpk_eq_i32 s4, 0x6f
	s_delay_alu instid0(VALU_DEP_1) | instskip(NEXT) | instid1(VALU_DEP_1)
	v_lshlrev_b64 v[0:1], 3, v[2:3]
	v_add_co_u32 v4, vcc_lo, s6, v0
	s_delay_alu instid0(VALU_DEP_2)
	v_add_co_ci_u32_e32 v5, vcc_lo, s7, v1, vcc_lo
	s_cbranch_scc1 .LBB166_57
; %bb.37:
	s_add_u32 s4, s8, s0
	s_addc_u32 s5, s9, s1
	v_add_co_u32 v2, vcc_lo, s4, v0
	v_add_co_ci_u32_e32 v3, vcc_lo, s5, v1, vcc_lo
	s_lshl_b32 s14, s15, 3
	s_delay_alu instid0(VALU_DEP_2) | instskip(NEXT) | instid1(VALU_DEP_2)
	v_add_co_u32 v7, vcc_lo, v2, 4
	v_add_co_ci_u32_e32 v8, vcc_lo, 0, v3, vcc_lo
	s_mov_b32 s5, 0
	s_add_i32 s14, s14, -8
	s_mov_b32 s4, s5
	s_mov_b32 s6, s28
	s_branch .LBB166_39
.LBB166_38:                             ;   in Loop: Header=BB166_39 Depth=1
	s_cmp_lt_i32 s6, 0
	s_cselect_b32 s7, -1, 0
	s_add_i32 s4, s4, 1
	s_delay_alu instid0(SALU_CYCLE_1) | instskip(SKIP_1) | instid1(SALU_CYCLE_1)
	s_cmp_eq_u32 s4, 3
	s_cselect_b32 s10, -1, 0
	s_or_b32 s7, s7, s10
	s_delay_alu instid0(SALU_CYCLE_1)
	s_and_not1_b32 vcc_lo, exec_lo, s7
	s_cbranch_vccz .LBB166_56
.LBB166_39:                             ; =>This Loop Header: Depth=1
                                        ;     Child Loop BB166_42 Depth 2
                                        ;       Child Loop BB166_43 Depth 3
                                        ;       Child Loop BB166_45 Depth 3
                                        ;         Child Loop BB166_46 Depth 4
                                        ;       Child Loop BB166_50 Depth 3
                                        ;         Child Loop BB166_52 Depth 4
	s_getpc_b64 s[10:11]
	s_add_u32 s10, s10, __const._ZL30rocblas_trsm_small_left_deviceILi28ELi28ELb1E19rocblas_complex_numIfES1_PKPKS1_PKPS1_Ev13rocblas_fill_18rocblas_operation_17rocblas_diagonal_iiT3_T4_lilT5_lili.step_sizes@rel32@lo+4
	s_addc_u32 s11, s11, __const._ZL30rocblas_trsm_small_left_deviceILi28ELi28ELb1E19rocblas_complex_numIfES1_PKPKS1_PKPS1_Ev13rocblas_fill_18rocblas_operation_17rocblas_diagonal_iiT3_T4_lilT5_lili.step_sizes@rel32@hi+12
	s_lshl_b64 s[12:13], s[4:5], 2
	s_delay_alu instid0(SALU_CYCLE_1) | instskip(SKIP_4) | instid1(SALU_CYCLE_1)
	s_add_u32 s10, s12, s10
	s_addc_u32 s11, s13, s11
	s_load_b32 s16, s[10:11], 0x0
	s_waitcnt lgkmcnt(0)
	s_add_i32 s17, s16, -1
	s_cmp_lt_i32 s6, s17
	s_cbranch_scc1 .LBB166_38
; %bb.40:                               ;   in Loop: Header=BB166_39 Depth=1
	s_mul_i32 s7, s6, 0xe0
	s_max_i32 s18, s16, 1
	s_add_i32 s19, s14, s7
	s_mul_i32 s20, s16, 0xffffff20
	s_mul_i32 s21, s6, 0xe8
	;; [unrolled: 1-line block ×3, first 2 shown]
	s_branch .LBB166_42
.LBB166_41:                             ;   in Loop: Header=BB166_42 Depth=2
	s_sub_i32 s6, s6, s16
	s_add_i32 s19, s19, s20
	s_add_i32 s21, s21, s22
	s_cmp_lt_i32 s6, s17
	s_cbranch_scc1 .LBB166_38
.LBB166_42:                             ;   Parent Loop BB166_39 Depth=1
                                        ; =>  This Loop Header: Depth=2
                                        ;       Child Loop BB166_43 Depth 3
                                        ;       Child Loop BB166_45 Depth 3
                                        ;         Child Loop BB166_46 Depth 4
                                        ;       Child Loop BB166_50 Depth 3
                                        ;         Child Loop BB166_52 Depth 4
	s_ashr_i32 s7, s6, 31
	s_delay_alu instid0(SALU_CYCLE_1) | instskip(NEXT) | instid1(SALU_CYCLE_1)
	s_lshl_b64 s[10:11], s[6:7], 3
	v_add_co_u32 v2, vcc_lo, v7, s10
	v_add_co_ci_u32_e32 v3, vcc_lo, s11, v8, vcc_lo
	s_mov_b32 s10, 4
	s_mov_b32 s11, s18
	.p2align	6
.LBB166_43:                             ;   Parent Loop BB166_39 Depth=1
                                        ;     Parent Loop BB166_42 Depth=2
                                        ; =>    This Inner Loop Header: Depth=3
	global_load_b64 v[9:10], v[2:3], off offset:-4
	v_add_co_u32 v2, vcc_lo, v2, -8
	v_add_co_ci_u32_e32 v3, vcc_lo, -1, v3, vcc_lo
	s_add_i32 s11, s11, -1
	s_add_i32 s12, s10, 0
	s_add_i32 s10, s10, 8
	s_cmp_eq_u32 s11, 0
	s_waitcnt vmcnt(0)
	v_mul_f32_e32 v11, s2, v10
	s_delay_alu instid0(VALU_DEP_1) | instskip(NEXT) | instid1(VALU_DEP_1)
	v_dual_mul_f32 v12, s3, v10 :: v_dual_fmac_f32 v11, s3, v9
	v_fma_f32 v10, v9, s2, -v12
	scratch_store_b64 off, v[10:11], s12 offset:-4
	s_cbranch_scc0 .LBB166_43
; %bb.44:                               ;   in Loop: Header=BB166_42 Depth=2
	s_cmp_le_i32 s28, s6
	s_mov_b32 s12, s19
	s_mov_b32 s10, s28
	s_cbranch_scc1 .LBB166_48
	.p2align	6
.LBB166_45:                             ;   Parent Loop BB166_39 Depth=1
                                        ;     Parent Loop BB166_42 Depth=2
                                        ; =>    This Loop Header: Depth=3
                                        ;         Child Loop BB166_46 Depth 4
	s_ashr_i32 s11, s10, 31
	v_mov_b32_e32 v9, v6
	s_lshl_b64 s[24:25], s[10:11], 3
	s_mov_b32 s11, s12
	v_add_co_u32 v2, vcc_lo, v4, s24
	v_add_co_ci_u32_e32 v3, vcc_lo, s25, v5, vcc_lo
	s_mov_b32 s13, s18
	global_load_b64 v[2:3], v[2:3], off
	.p2align	6
.LBB166_46:                             ;   Parent Loop BB166_39 Depth=1
                                        ;     Parent Loop BB166_42 Depth=2
                                        ;       Parent Loop BB166_45 Depth=3
                                        ; =>      This Inner Loop Header: Depth=4
	scratch_load_b64 v[10:11], v9, off offset:-4
	v_mov_b32_e32 v12, s11
	s_add_i32 s13, s13, -1
	s_addk_i32 s11, 0xff20
	s_cmp_eq_u32 s13, 0
	ds_load_b64 v[12:13], v12
	s_waitcnt vmcnt(1) lgkmcnt(0)
	v_mul_f32_e32 v14, v13, v3
	v_mul_f32_e32 v13, v13, v2
	s_delay_alu instid0(VALU_DEP_1) | instskip(SKIP_1) | instid1(VALU_DEP_1)
	v_fmac_f32_e32 v13, v12, v3
	s_waitcnt vmcnt(0)
	v_sub_f32_e32 v11, v11, v13
	v_fma_f32 v14, v12, v2, -v14
	s_delay_alu instid0(VALU_DEP_1)
	v_sub_f32_e32 v10, v10, v14
	scratch_store_b64 v9, v[10:11], off offset:-4
	v_add_nc_u32_e32 v9, 8, v9
	s_cbranch_scc0 .LBB166_46
; %bb.47:                               ;   in Loop: Header=BB166_45 Depth=3
	s_add_i32 s10, s10, -1
	s_add_i32 s12, s12, -8
	s_cmp_le_i32 s10, s6
	s_cbranch_scc0 .LBB166_45
.LBB166_48:                             ;   in Loop: Header=BB166_42 Depth=2
	s_mov_b32 s23, 0
	s_mov_b32 s24, s21
	s_branch .LBB166_50
.LBB166_49:                             ;   in Loop: Header=BB166_50 Depth=3
	s_mulk_i32 s12, 0xe8
	s_lshl_b64 s[10:11], s[10:11], 3
	v_mov_b32_e32 v9, s12
	s_lshl_b32 s12, s23, 3
	s_add_i32 s23, s23, 1
	s_addk_i32 s24, 0xff20
	ds_load_b64 v[9:10], v9
	s_waitcnt vmcnt(0) lgkmcnt(0)
	v_mul_f32_e32 v11, v10, v3
	v_mul_f32_e32 v12, v9, v3
	s_delay_alu instid0(VALU_DEP_2) | instskip(NEXT) | instid1(VALU_DEP_2)
	v_fma_f32 v11, v9, v2, -v11
	v_fmac_f32_e32 v12, v10, v2
	v_add_co_u32 v2, vcc_lo, v4, s10
	v_add_co_ci_u32_e32 v3, vcc_lo, s11, v5, vcc_lo
	s_add_i32 s10, s12, 0
	s_cmp_eq_u32 s23, s18
	scratch_store_b64 off, v[11:12], s10
	global_store_b64 v[2:3], v[11:12], off
	s_cbranch_scc1 .LBB166_41
.LBB166_50:                             ;   Parent Loop BB166_39 Depth=1
                                        ;     Parent Loop BB166_42 Depth=2
                                        ; =>    This Loop Header: Depth=3
                                        ;         Child Loop BB166_52 Depth 4
	s_cmp_lg_u32 s23, 0
	s_cbranch_scc0 .LBB166_54
; %bb.51:                               ;   in Loop: Header=BB166_50 Depth=3
	s_lshl_b32 s10, s23, 3
	v_mov_b32_e32 v10, 0
	s_add_i32 s11, s10, 0
	v_add_nc_u32_e64 v9, s10, 0
	scratch_load_b64 v[2:3], off, s11
	s_mov_b32 s10, 0
	s_mov_b32 s11, s24
	.p2align	6
.LBB166_52:                             ;   Parent Loop BB166_39 Depth=1
                                        ;     Parent Loop BB166_42 Depth=2
                                        ;       Parent Loop BB166_50 Depth=3
                                        ; =>      This Inner Loop Header: Depth=4
	scratch_load_b64 v[11:12], v10, off
	v_mov_b32_e32 v13, s11
	s_add_i32 s10, s10, 1
	s_add_i32 s11, s11, -8
	s_cmp_ge_u32 s10, s23
	v_add_nc_u32_e32 v10, 8, v10
	ds_load_b64 v[13:14], v13
	s_waitcnt vmcnt(0) lgkmcnt(0)
	v_mul_f32_e32 v15, v14, v12
	v_mul_f32_e32 v12, v13, v12
	s_delay_alu instid0(VALU_DEP_2) | instskip(NEXT) | instid1(VALU_DEP_2)
	v_fma_f32 v13, v13, v11, -v15
	v_fmac_f32_e32 v12, v14, v11
	s_delay_alu instid0(VALU_DEP_1)
	v_dual_sub_f32 v2, v2, v13 :: v_dual_sub_f32 v3, v3, v12
	scratch_store_b64 v9, v[2:3], off
	s_cbranch_scc0 .LBB166_52
; %bb.53:                               ;   in Loop: Header=BB166_50 Depth=3
	s_sub_i32 s12, s6, s23
	s_delay_alu instid0(SALU_CYCLE_1) | instskip(NEXT) | instid1(SALU_CYCLE_1)
	s_ashr_i32 s13, s12, 31
	s_mov_b64 s[10:11], s[12:13]
	s_branch .LBB166_49
.LBB166_54:                             ;   in Loop: Header=BB166_50 Depth=3
                                        ; implicit-def: $vgpr2
                                        ; implicit-def: $sgpr12
                                        ; implicit-def: $sgpr10_sgpr11
	s_cbranch_execz .LBB166_49
; %bb.55:                               ;   in Loop: Header=BB166_50 Depth=3
	scratch_load_b64 v[2:3], off, off
	s_mov_b64 s[10:11], s[6:7]
	s_mov_b32 s12, s6
	s_branch .LBB166_49
.LBB166_56:
	s_mov_b32 s5, 0
.LBB166_57:
	s_delay_alu instid0(SALU_CYCLE_1)
	s_and_b32 vcc_lo, exec_lo, s5
	s_cbranch_vccz .LBB166_78
; %bb.58:
	s_add_u32 s0, s8, s0
	s_addc_u32 s1, s9, s1
	v_add_co_u32 v0, vcc_lo, s0, v0
	v_add_co_ci_u32_e32 v1, vcc_lo, s1, v1, vcc_lo
	s_mov_b32 s1, 0
	s_delay_alu instid0(VALU_DEP_2) | instskip(NEXT) | instid1(VALU_DEP_2)
	v_add_co_u32 v7, vcc_lo, v0, 4
	v_add_co_ci_u32_e32 v8, vcc_lo, 0, v1, vcc_lo
	s_mov_b32 s4, s1
	s_mov_b32 s6, s1
	s_branch .LBB166_60
.LBB166_59:                             ;   in Loop: Header=BB166_60 Depth=1
	s_cmp_ge_i32 s4, s15
	s_cselect_b32 s0, -1, 0
	s_add_i32 s6, s6, 1
	s_delay_alu instid0(SALU_CYCLE_1) | instskip(SKIP_1) | instid1(SALU_CYCLE_1)
	s_cmp_eq_u32 s6, 3
	s_cselect_b32 s5, -1, 0
	s_or_b32 s0, s0, s5
	s_delay_alu instid0(SALU_CYCLE_1)
	s_and_b32 vcc_lo, exec_lo, s0
	s_cbranch_vccnz .LBB166_78
.LBB166_60:                             ; =>This Loop Header: Depth=1
                                        ;     Child Loop BB166_63 Depth 2
                                        ;       Child Loop BB166_64 Depth 3
                                        ;       Child Loop BB166_67 Depth 3
                                        ;         Child Loop BB166_68 Depth 4
                                        ;       Child Loop BB166_72 Depth 3
                                        ;         Child Loop BB166_74 Depth 4
	s_mov_b32 s7, s1
	s_getpc_b64 s[8:9]
	s_add_u32 s8, s8, __const._ZL30rocblas_trsm_small_left_deviceILi28ELi28ELb1E19rocblas_complex_numIfES1_PKPKS1_PKPS1_Ev13rocblas_fill_18rocblas_operation_17rocblas_diagonal_iiT3_T4_lilT5_lili.step_sizes@rel32@lo+4
	s_addc_u32 s9, s9, __const._ZL30rocblas_trsm_small_left_deviceILi28ELi28ELb1E19rocblas_complex_numIfES1_PKPKS1_PKPS1_Ev13rocblas_fill_18rocblas_operation_17rocblas_diagonal_iiT3_T4_lilT5_lili.step_sizes@rel32@hi+12
	s_lshl_b64 s[10:11], s[6:7], 2
	s_delay_alu instid0(SALU_CYCLE_1) | instskip(SKIP_4) | instid1(SALU_CYCLE_1)
	s_add_u32 s8, s10, s8
	s_addc_u32 s9, s11, s9
	s_load_b32 s8, s[8:9], 0x0
	s_waitcnt lgkmcnt(0)
	s_add_i32 s7, s8, -1
	s_add_i32 s0, s7, s4
	s_delay_alu instid0(SALU_CYCLE_1)
	s_cmp_ge_i32 s0, s15
	s_cbranch_scc1 .LBB166_59
; %bb.61:                               ;   in Loop: Header=BB166_60 Depth=1
	s_ashr_i32 s5, s4, 31
	s_ashr_i32 s9, s8, 31
	s_lshl_b64 s[10:11], s[4:5], 3
	s_max_i32 s14, s8, 1
	v_add_co_u32 v0, vcc_lo, v7, s10
	v_add_co_ci_u32_e32 v1, vcc_lo, s11, v8, vcc_lo
	s_lshl_b64 s[10:11], s[8:9], 3
	s_lshl_b32 s5, s4, 3
	s_lshl_b32 s9, s8, 3
	s_mul_i32 s16, s4, 0xe8
	s_mul_i32 s17, s8, 0xe8
	s_branch .LBB166_63
.LBB166_62:                             ;   in Loop: Header=BB166_63 Depth=2
	v_add_co_u32 v0, vcc_lo, v0, s10
	s_add_i32 s4, s4, s8
	v_add_co_ci_u32_e32 v1, vcc_lo, s11, v1, vcc_lo
	s_add_i32 s0, s7, s4
	s_add_i32 s5, s5, s9
	;; [unrolled: 1-line block ×3, first 2 shown]
	s_cmp_ge_i32 s0, s15
	s_cbranch_scc1 .LBB166_59
.LBB166_63:                             ;   Parent Loop BB166_60 Depth=1
                                        ; =>  This Loop Header: Depth=2
                                        ;       Child Loop BB166_64 Depth 3
                                        ;       Child Loop BB166_67 Depth 3
                                        ;         Child Loop BB166_68 Depth 4
                                        ;       Child Loop BB166_72 Depth 3
                                        ;         Child Loop BB166_74 Depth 4
	v_dual_mov_b32 v3, v1 :: v_dual_mov_b32 v2, v0
	s_mov_b32 s0, 4
	s_mov_b32 s12, s14
	.p2align	6
.LBB166_64:                             ;   Parent Loop BB166_60 Depth=1
                                        ;     Parent Loop BB166_63 Depth=2
                                        ; =>    This Inner Loop Header: Depth=3
	global_load_b64 v[9:10], v[2:3], off offset:-4
	v_add_co_u32 v2, vcc_lo, v2, 8
	v_add_co_ci_u32_e32 v3, vcc_lo, 0, v3, vcc_lo
	s_add_i32 s12, s12, -1
	s_add_i32 s13, s0, 0
	s_add_i32 s0, s0, 8
	s_cmp_eq_u32 s12, 0
	s_waitcnt vmcnt(0)
	v_mul_f32_e32 v11, s2, v10
	s_delay_alu instid0(VALU_DEP_1) | instskip(NEXT) | instid1(VALU_DEP_1)
	v_dual_mul_f32 v12, s3, v10 :: v_dual_fmac_f32 v11, s3, v9
	v_fma_f32 v10, v9, s2, -v12
	scratch_store_b64 off, v[10:11], s13 offset:-4
	s_cbranch_scc0 .LBB166_64
; %bb.65:                               ;   in Loop: Header=BB166_63 Depth=2
	s_cmp_lt_i32 s4, 1
	s_cbranch_scc1 .LBB166_70
; %bb.66:                               ;   in Loop: Header=BB166_63 Depth=2
	s_mov_b32 s0, 0
	s_mov_b32 s12, s5
	.p2align	6
.LBB166_67:                             ;   Parent Loop BB166_60 Depth=1
                                        ;     Parent Loop BB166_63 Depth=2
                                        ; =>    This Loop Header: Depth=3
                                        ;         Child Loop BB166_68 Depth 4
	s_lshl_b64 s[18:19], s[0:1], 3
	v_mov_b32_e32 v9, v6
	v_add_co_u32 v2, vcc_lo, v4, s18
	v_add_co_ci_u32_e32 v3, vcc_lo, s19, v5, vcc_lo
	s_mov_b32 s13, s12
	s_mov_b32 s18, s14
	global_load_b64 v[2:3], v[2:3], off
	.p2align	6
.LBB166_68:                             ;   Parent Loop BB166_60 Depth=1
                                        ;     Parent Loop BB166_63 Depth=2
                                        ;       Parent Loop BB166_67 Depth=3
                                        ; =>      This Inner Loop Header: Depth=4
	scratch_load_b64 v[10:11], v9, off offset:-4
	v_mov_b32_e32 v12, s13
	s_add_i32 s18, s18, -1
	s_add_i32 s13, s13, 8
	s_cmp_eq_u32 s18, 0
	ds_load_b64 v[12:13], v12
	s_waitcnt vmcnt(1) lgkmcnt(0)
	v_mul_f32_e32 v14, v13, v3
	v_mul_f32_e32 v13, v13, v2
	s_delay_alu instid0(VALU_DEP_1) | instskip(SKIP_1) | instid1(VALU_DEP_1)
	v_fmac_f32_e32 v13, v12, v3
	s_waitcnt vmcnt(0)
	v_sub_f32_e32 v11, v11, v13
	v_fma_f32 v14, v12, v2, -v14
	s_delay_alu instid0(VALU_DEP_1)
	v_sub_f32_e32 v10, v10, v14
	scratch_store_b64 v9, v[10:11], off offset:-4
	v_add_nc_u32_e32 v9, 8, v9
	s_cbranch_scc0 .LBB166_68
; %bb.69:                               ;   in Loop: Header=BB166_67 Depth=3
	s_add_i32 s0, s0, 1
	s_addk_i32 s12, 0xe0
	s_cmp_ge_i32 s0, s4
	s_cbranch_scc0 .LBB166_67
.LBB166_70:                             ;   in Loop: Header=BB166_63 Depth=2
	s_mov_b32 s0, 0
	s_mov_b32 s18, s16
	s_branch .LBB166_72
.LBB166_71:                             ;   in Loop: Header=BB166_72 Depth=3
	s_mul_i32 s13, s12, 0xe8
	s_lshl_b32 s19, s0, 3
	v_mov_b32_e32 v9, s13
	s_ashr_i32 s13, s12, 31
	s_add_i32 s0, s0, 1
	s_lshl_b64 s[12:13], s[12:13], 3
	s_add_i32 s18, s18, 8
	ds_load_b64 v[9:10], v9
	s_waitcnt vmcnt(0) lgkmcnt(0)
	v_mul_f32_e32 v11, v10, v3
	v_mul_f32_e32 v12, v9, v3
	s_delay_alu instid0(VALU_DEP_2) | instskip(NEXT) | instid1(VALU_DEP_2)
	v_fma_f32 v11, v9, v2, -v11
	v_fmac_f32_e32 v12, v10, v2
	v_add_co_u32 v2, vcc_lo, v4, s12
	v_add_co_ci_u32_e32 v3, vcc_lo, s13, v5, vcc_lo
	s_add_i32 s12, s19, 0
	s_cmp_eq_u32 s0, s14
	scratch_store_b64 off, v[11:12], s12
	global_store_b64 v[2:3], v[11:12], off
	s_cbranch_scc1 .LBB166_62
.LBB166_72:                             ;   Parent Loop BB166_60 Depth=1
                                        ;     Parent Loop BB166_63 Depth=2
                                        ; =>    This Loop Header: Depth=3
                                        ;         Child Loop BB166_74 Depth 4
	s_cmp_lg_u32 s0, 0
	s_cbranch_scc0 .LBB166_76
; %bb.73:                               ;   in Loop: Header=BB166_72 Depth=3
	s_lshl_b32 s12, s0, 3
	v_mov_b32_e32 v10, 0
	s_add_i32 s13, s12, 0
	v_add_nc_u32_e64 v9, s12, 0
	scratch_load_b64 v[2:3], off, s13
	s_add_i32 s12, s0, s4
	s_mov_b32 s13, 0
	s_mov_b32 s19, s18
	.p2align	6
.LBB166_74:                             ;   Parent Loop BB166_60 Depth=1
                                        ;     Parent Loop BB166_63 Depth=2
                                        ;       Parent Loop BB166_72 Depth=3
                                        ; =>      This Inner Loop Header: Depth=4
	scratch_load_b64 v[11:12], v10, off
	v_mov_b32_e32 v13, s19
	s_add_i32 s13, s13, 1
	s_addk_i32 s19, 0xe0
	s_cmp_ge_u32 s13, s0
	v_add_nc_u32_e32 v10, 8, v10
	ds_load_b64 v[13:14], v13
	s_waitcnt vmcnt(0) lgkmcnt(0)
	v_mul_f32_e32 v15, v14, v12
	v_mul_f32_e32 v12, v13, v12
	s_delay_alu instid0(VALU_DEP_2) | instskip(NEXT) | instid1(VALU_DEP_2)
	v_fma_f32 v13, v13, v11, -v15
	v_fmac_f32_e32 v12, v14, v11
	s_delay_alu instid0(VALU_DEP_1)
	v_dual_sub_f32 v2, v2, v13 :: v_dual_sub_f32 v3, v3, v12
	scratch_store_b64 v9, v[2:3], off
	s_cbranch_scc0 .LBB166_74
; %bb.75:                               ;   in Loop: Header=BB166_72 Depth=3
	s_branch .LBB166_71
.LBB166_76:                             ;   in Loop: Header=BB166_72 Depth=3
                                        ; implicit-def: $vgpr2
                                        ; implicit-def: $sgpr12
	s_cbranch_execz .LBB166_71
; %bb.77:                               ;   in Loop: Header=BB166_72 Depth=3
	scratch_load_b64 v[2:3], off, off
	s_mov_b32 s12, s4
	s_branch .LBB166_71
.LBB166_78:
	s_endpgm
	.section	.rodata,"a",@progbits
	.p2align	6, 0x0
	.amdhsa_kernel _ZL30rocblas_trsm_small_left_deviceILi28ELi28ELb1E19rocblas_complex_numIfES1_PKPKS1_PKPS1_Ev13rocblas_fill_18rocblas_operation_17rocblas_diagonal_iiT3_T4_lilT5_lili
		.amdhsa_group_segment_fixed_size 6272
		.amdhsa_private_segment_fixed_size 240
		.amdhsa_kernarg_size 360
		.amdhsa_user_sgpr_count 14
		.amdhsa_user_sgpr_dispatch_ptr 0
		.amdhsa_user_sgpr_queue_ptr 0
		.amdhsa_user_sgpr_kernarg_segment_ptr 1
		.amdhsa_user_sgpr_dispatch_id 0
		.amdhsa_user_sgpr_private_segment_size 0
		.amdhsa_wavefront_size32 1
		.amdhsa_uses_dynamic_stack 0
		.amdhsa_enable_private_segment 1
		.amdhsa_system_sgpr_workgroup_id_x 1
		.amdhsa_system_sgpr_workgroup_id_y 0
		.amdhsa_system_sgpr_workgroup_id_z 1
		.amdhsa_system_sgpr_workgroup_info 0
		.amdhsa_system_vgpr_workitem_id 0
		.amdhsa_next_free_vgpr 16
		.amdhsa_next_free_sgpr 34
		.amdhsa_reserve_vcc 1
		.amdhsa_float_round_mode_32 0
		.amdhsa_float_round_mode_16_64 0
		.amdhsa_float_denorm_mode_32 3
		.amdhsa_float_denorm_mode_16_64 3
		.amdhsa_dx10_clamp 1
		.amdhsa_ieee_mode 1
		.amdhsa_fp16_overflow 0
		.amdhsa_workgroup_processor_mode 1
		.amdhsa_memory_ordered 1
		.amdhsa_forward_progress 0
		.amdhsa_shared_vgpr_count 0
		.amdhsa_exception_fp_ieee_invalid_op 0
		.amdhsa_exception_fp_denorm_src 0
		.amdhsa_exception_fp_ieee_div_zero 0
		.amdhsa_exception_fp_ieee_overflow 0
		.amdhsa_exception_fp_ieee_underflow 0
		.amdhsa_exception_fp_ieee_inexact 0
		.amdhsa_exception_int_div_zero 0
	.end_amdhsa_kernel
	.section	.text._ZL30rocblas_trsm_small_left_deviceILi28ELi28ELb1E19rocblas_complex_numIfES1_PKPKS1_PKPS1_Ev13rocblas_fill_18rocblas_operation_17rocblas_diagonal_iiT3_T4_lilT5_lili,"axG",@progbits,_ZL30rocblas_trsm_small_left_deviceILi28ELi28ELb1E19rocblas_complex_numIfES1_PKPKS1_PKPS1_Ev13rocblas_fill_18rocblas_operation_17rocblas_diagonal_iiT3_T4_lilT5_lili,comdat
.Lfunc_end166:
	.size	_ZL30rocblas_trsm_small_left_deviceILi28ELi28ELb1E19rocblas_complex_numIfES1_PKPKS1_PKPS1_Ev13rocblas_fill_18rocblas_operation_17rocblas_diagonal_iiT3_T4_lilT5_lili, .Lfunc_end166-_ZL30rocblas_trsm_small_left_deviceILi28ELi28ELb1E19rocblas_complex_numIfES1_PKPKS1_PKPS1_Ev13rocblas_fill_18rocblas_operation_17rocblas_diagonal_iiT3_T4_lilT5_lili
                                        ; -- End function
	.section	.AMDGPU.csdata,"",@progbits
; Kernel info:
; codeLenInByte = 3112
; NumSgprs: 36
; NumVgprs: 16
; ScratchSize: 240
; MemoryBound: 0
; FloatMode: 240
; IeeeMode: 1
; LDSByteSize: 6272 bytes/workgroup (compile time only)
; SGPRBlocks: 4
; VGPRBlocks: 1
; NumSGPRsForWavesPerEU: 36
; NumVGPRsForWavesPerEU: 16
; Occupancy: 5
; WaveLimiterHint : 1
; COMPUTE_PGM_RSRC2:SCRATCH_EN: 1
; COMPUTE_PGM_RSRC2:USER_SGPR: 14
; COMPUTE_PGM_RSRC2:TRAP_HANDLER: 0
; COMPUTE_PGM_RSRC2:TGID_X_EN: 1
; COMPUTE_PGM_RSRC2:TGID_Y_EN: 0
; COMPUTE_PGM_RSRC2:TGID_Z_EN: 1
; COMPUTE_PGM_RSRC2:TIDIG_COMP_CNT: 0
	.section	.text._ZL31rocblas_trsm_small_right_deviceI19rocblas_complex_numIfES1_PKPKS1_PKPS1_Li28EEv13rocblas_fill_18rocblas_operation_17rocblas_diagonal_iiT0_T1_lilT2_lili,"axG",@progbits,_ZL31rocblas_trsm_small_right_deviceI19rocblas_complex_numIfES1_PKPKS1_PKPS1_Li28EEv13rocblas_fill_18rocblas_operation_17rocblas_diagonal_iiT0_T1_lilT2_lili,comdat
	.globl	_ZL31rocblas_trsm_small_right_deviceI19rocblas_complex_numIfES1_PKPKS1_PKPS1_Li28EEv13rocblas_fill_18rocblas_operation_17rocblas_diagonal_iiT0_T1_lilT2_lili ; -- Begin function _ZL31rocblas_trsm_small_right_deviceI19rocblas_complex_numIfES1_PKPKS1_PKPS1_Li28EEv13rocblas_fill_18rocblas_operation_17rocblas_diagonal_iiT0_T1_lilT2_lili
	.p2align	8
	.type	_ZL31rocblas_trsm_small_right_deviceI19rocblas_complex_numIfES1_PKPKS1_PKPS1_Li28EEv13rocblas_fill_18rocblas_operation_17rocblas_diagonal_iiT0_T1_lilT2_lili,@function
_ZL31rocblas_trsm_small_right_deviceI19rocblas_complex_numIfES1_PKPKS1_PKPS1_Li28EEv13rocblas_fill_18rocblas_operation_17rocblas_diagonal_iiT0_T1_lilT2_lili: ; @_ZL31rocblas_trsm_small_right_deviceI19rocblas_complex_numIfES1_PKPKS1_PKPS1_Li28EEv13rocblas_fill_18rocblas_operation_17rocblas_diagonal_iiT0_T1_lilT2_lili
; %bb.0:
	s_clause 0x1
	s_load_b128 s[16:19], s[0:1], 0x40
	s_load_b256 s[4:11], s[0:1], 0x0
	s_mov_b32 s12, s15
	s_mov_b32 s13, 0
	s_load_b32 s15, s[0:1], 0x68
	s_lshl_b64 s[24:25], s[12:13], 3
	s_mov_b32 s31, exec_lo
	s_waitcnt lgkmcnt(0)
	s_add_u32 s2, s16, s24
	s_addc_u32 s3, s17, s25
	s_min_i32 s11, s8, 28
	s_load_b64 s[2:3], s[2:3], 0x0
	s_add_i32 s30, s11, -1
	v_cmpx_gt_i32_e64 s11, v0
	s_cbranch_execz .LBB167_29
; %bb.1:
	s_clause 0x1
	s_load_b32 s16, s[0:1], 0x30
	s_load_b128 s[20:23], s[0:1], 0x20
	s_waitcnt lgkmcnt(0)
	s_ashr_i32 s17, s16, 31
	s_cmpk_lg_i32 s5, 0x71
	s_cselect_b32 s12, -1, 0
	s_add_u32 s20, s20, s24
	s_addc_u32 s21, s21, s25
	v_cndmask_b32_e64 v7, 0, 1, s12
	s_load_b64 s[20:21], s[20:21], 0x0
	s_cmp_lt_u32 s30, 3
	s_cbranch_scc1 .LBB167_20
; %bb.2:
	v_lshlrev_b32_e32 v8, 3, v0
	s_lshl_b64 s[24:25], s[22:23], 3
	s_mul_hi_i32 s33, s16, 24
	s_waitcnt lgkmcnt(0)
	s_add_u32 s13, s20, s24
	s_addc_u32 s24, s21, s25
	v_add_co_u32 v1, s13, s13, v8
	s_delay_alu instid0(VALU_DEP_1)
	v_add_co_ci_u32_e64 v2, null, s24, 0, s13
	s_and_b32 s13, s11, -4
	s_mul_i32 s34, s16, 24
	s_lshl_b64 s[24:25], s[16:17], 5
	s_lshl_b64 s[26:27], s[16:17], 4
	;; [unrolled: 1-line block ×3, first 2 shown]
	s_mov_b32 s35, 0
	s_branch .LBB167_4
.LBB167_3:                              ;   in Loop: Header=BB167_4 Depth=1
	global_load_b32 v3, v[5:6], off
	v_add_co_u32 v1, vcc_lo, v1, s24
	v_add_co_ci_u32_e32 v2, vcc_lo, s25, v2, vcc_lo
	s_add_i32 s35, s35, 4
	s_delay_alu instid0(SALU_CYCLE_1)
	s_cmp_eq_u32 s13, s35
	s_waitcnt vmcnt(0)
	ds_store_b64 v8, v[3:4] offset:672
	v_add_nc_u32_e32 v8, 0x380, v8
	s_cbranch_scc1 .LBB167_20
.LBB167_4:                              ; =>This Inner Loop Header: Depth=1
	s_and_b32 vcc_lo, exec_lo, s12
	s_cbranch_vccz .LBB167_6
; %bb.5:                                ;   in Loop: Header=BB167_4 Depth=1
	global_load_b32 v4, v[1:2], off offset:4
	s_cbranch_execz .LBB167_7
	s_branch .LBB167_8
.LBB167_6:                              ;   in Loop: Header=BB167_4 Depth=1
                                        ; implicit-def: $vgpr4
.LBB167_7:                              ;   in Loop: Header=BB167_4 Depth=1
	global_load_b32 v3, v[1:2], off offset:4
	s_waitcnt vmcnt(0)
	v_xor_b32_e32 v4, 0x80000000, v3
.LBB167_8:                              ;   in Loop: Header=BB167_4 Depth=1
	global_load_b32 v3, v[1:2], off
	v_add_co_u32 v5, vcc_lo, v1, s28
	v_add_co_ci_u32_e32 v6, vcc_lo, s29, v2, vcc_lo
	s_and_not1_b32 vcc_lo, exec_lo, s12
	s_waitcnt vmcnt(0)
	ds_store_b64 v8, v[3:4]
	s_cbranch_vccnz .LBB167_10
; %bb.9:                                ;   in Loop: Header=BB167_4 Depth=1
	global_load_b32 v4, v[5:6], off offset:4
	s_cbranch_execz .LBB167_11
	s_branch .LBB167_12
.LBB167_10:                             ;   in Loop: Header=BB167_4 Depth=1
                                        ; implicit-def: $vgpr4
.LBB167_11:                             ;   in Loop: Header=BB167_4 Depth=1
	global_load_b32 v3, v[5:6], off offset:4
	s_waitcnt vmcnt(0)
	v_xor_b32_e32 v4, 0x80000000, v3
.LBB167_12:                             ;   in Loop: Header=BB167_4 Depth=1
	global_load_b32 v3, v[5:6], off
	v_add_co_u32 v5, vcc_lo, v1, s26
	v_add_co_ci_u32_e32 v6, vcc_lo, s27, v2, vcc_lo
	s_and_not1_b32 vcc_lo, exec_lo, s12
	s_waitcnt vmcnt(0)
	ds_store_b64 v8, v[3:4] offset:224
	s_cbranch_vccnz .LBB167_14
; %bb.13:                               ;   in Loop: Header=BB167_4 Depth=1
	global_load_b32 v4, v[5:6], off offset:4
	s_cbranch_execz .LBB167_15
	s_branch .LBB167_16
.LBB167_14:                             ;   in Loop: Header=BB167_4 Depth=1
                                        ; implicit-def: $vgpr4
.LBB167_15:                             ;   in Loop: Header=BB167_4 Depth=1
	global_load_b32 v3, v[5:6], off offset:4
	s_waitcnt vmcnt(0)
	v_xor_b32_e32 v4, 0x80000000, v3
.LBB167_16:                             ;   in Loop: Header=BB167_4 Depth=1
	global_load_b32 v3, v[5:6], off
	v_add_co_u32 v5, vcc_lo, v1, s34
	v_add_co_ci_u32_e32 v6, vcc_lo, s33, v2, vcc_lo
	s_and_not1_b32 vcc_lo, exec_lo, s12
	s_waitcnt vmcnt(0)
	ds_store_b64 v8, v[3:4] offset:448
	s_cbranch_vccnz .LBB167_18
; %bb.17:                               ;   in Loop: Header=BB167_4 Depth=1
	global_load_b32 v4, v[5:6], off offset:4
	s_cbranch_execnz .LBB167_3
	s_branch .LBB167_19
.LBB167_18:                             ;   in Loop: Header=BB167_4 Depth=1
                                        ; implicit-def: $vgpr4
.LBB167_19:                             ;   in Loop: Header=BB167_4 Depth=1
	global_load_b32 v3, v[5:6], off offset:4
	s_waitcnt vmcnt(0)
	v_xor_b32_e32 v4, 0x80000000, v3
	s_branch .LBB167_3
.LBB167_20:
	s_and_b32 s24, s11, 3
	s_delay_alu instid0(SALU_CYCLE_1)
	s_cmp_eq_u32 s24, 0
	s_cbranch_scc1 .LBB167_27
; %bb.21:
	s_mul_i32 s12, s17, s13
	s_mul_hi_u32 s25, s16, s13
	s_mul_i32 s26, s16, s13
	s_add_i32 s27, s25, s12
	s_lshl_b64 s[22:23], s[22:23], 3
	s_lshl_b64 s[26:27], s[26:27], 3
	v_lshlrev_b32_e32 v1, 3, v0
	s_mul_i32 s12, s13, 0xe0
	s_add_u32 s13, s26, s22
	s_addc_u32 s22, s27, s23
	s_waitcnt lgkmcnt(0)
	s_add_u32 s13, s20, s13
	s_addc_u32 s20, s21, s22
	v_add_co_u32 v1, s13, s13, v1
	s_delay_alu instid0(VALU_DEP_1) | instskip(SKIP_1) | instid1(VALU_DEP_3)
	v_add_co_ci_u32_e64 v2, null, s20, 0, s13
	v_lshl_add_u32 v5, v0, 3, s12
	v_add_co_u32 v1, vcc_lo, v1, 4
	s_delay_alu instid0(VALU_DEP_3)
	v_add_co_ci_u32_e32 v2, vcc_lo, 0, v2, vcc_lo
	s_lshl_b64 s[12:13], s[16:17], 3
	s_set_inst_prefetch_distance 0x1
	s_branch .LBB167_23
	.p2align	6
.LBB167_22:                             ;   in Loop: Header=BB167_23 Depth=1
	global_load_b32 v3, v[1:2], off offset:-4
	v_add_co_u32 v1, vcc_lo, v1, s12
	v_add_co_ci_u32_e32 v2, vcc_lo, s13, v2, vcc_lo
	s_add_i32 s24, s24, -1
	s_delay_alu instid0(SALU_CYCLE_1)
	s_cmp_lg_u32 s24, 0
	s_waitcnt vmcnt(0)
	ds_store_b64 v5, v[3:4]
	v_add_nc_u32_e32 v5, 0xe0, v5
	s_cbranch_scc0 .LBB167_27
.LBB167_23:                             ; =>This Inner Loop Header: Depth=1
	v_cmp_ne_u32_e32 vcc_lo, 1, v7
	s_mov_b32 s16, -1
                                        ; implicit-def: $vgpr4
	s_cbranch_vccnz .LBB167_25
; %bb.24:                               ;   in Loop: Header=BB167_23 Depth=1
	global_load_b32 v4, v[1:2], off
	s_mov_b32 s16, 0
.LBB167_25:                             ;   in Loop: Header=BB167_23 Depth=1
	s_delay_alu instid0(SALU_CYCLE_1)
	s_and_not1_b32 vcc_lo, exec_lo, s16
	s_cbranch_vccnz .LBB167_22
; %bb.26:                               ;   in Loop: Header=BB167_23 Depth=1
	global_load_b32 v3, v[1:2], off
	s_waitcnt vmcnt(0)
	v_xor_b32_e32 v4, 0x80000000, v3
	s_branch .LBB167_22
.LBB167_27:
	s_set_inst_prefetch_distance 0x2
	s_cmpk_eq_i32 s6, 0x84
	s_cbranch_scc0 .LBB167_29
; %bb.28:
	v_mul_u32_u24_e32 v2, 29, v0
	v_mov_b32_e32 v1, 1.0
	s_delay_alu instid0(VALU_DEP_2)
	v_dual_mov_b32 v2, 0 :: v_dual_lshlrev_b32 v3, 3, v2
	ds_store_b64 v3, v[1:2]
.LBB167_29:
	s_or_b32 exec_lo, exec_lo, s31
	s_load_b32 s0, s[0:1], 0x50
	s_lshl_b64 s[12:13], s[18:19], 3
	s_mul_i32 s16, s14, 0xffffffe4
	s_waitcnt lgkmcnt(0)
	s_add_u32 s1, s2, s12
	s_addc_u32 s6, s3, s13
	s_add_i32 s15, s15, -1
	s_add_i32 s16, s16, s7
	s_cmp_ge_u32 s14, s15
	s_mul_hi_i32 s17, s14, 0xe0
	s_cselect_b32 s7, s16, 28
	s_mul_i32 s16, s14, 0xe0
	v_cmp_gt_i32_e32 vcc_lo, s7, v0
	s_add_u32 s18, s1, s16
	s_addc_u32 s19, s6, s17
	s_cmp_gt_i32 s8, 0
	s_mov_b32 s22, 0
	s_cselect_b32 s1, -1, 0
	s_delay_alu instid0(SALU_CYCLE_1) | instskip(NEXT) | instid1(SALU_CYCLE_1)
	s_and_b32 s20, vcc_lo, s1
	s_and_saveexec_b32 s21, s20
	s_cbranch_execz .LBB167_36
; %bb.30:
	s_ashr_i32 s1, s0, 31
	s_cmp_lt_u32 s8, 4
	s_cbranch_scc1 .LBB167_33
; %bb.31:
	v_lshlrev_b32_e32 v1, 3, v0
	v_lshl_add_u32 v3, v0, 3, 0x1880
	s_and_b32 s22, s8, 0x7ffffffc
	s_lshl_b64 s[14:15], s[0:1], 3
	s_mov_b32 s23, 0
	v_add_co_u32 v1, s6, s18, v1
	s_delay_alu instid0(VALU_DEP_1)
	v_add_co_ci_u32_e64 v2, null, s19, 0, s6
	s_lshl_b64 s[6:7], s[0:1], 5
.LBB167_32:                             ; =>This Inner Loop Header: Depth=1
	s_delay_alu instid0(VALU_DEP_2) | instskip(NEXT) | instid1(VALU_DEP_2)
	v_add_co_u32 v4, vcc_lo, v1, s14
	v_add_co_ci_u32_e32 v5, vcc_lo, s15, v2, vcc_lo
	global_load_b64 v[6:7], v[1:2], off
	v_add_co_u32 v8, vcc_lo, v4, s14
	v_add_co_ci_u32_e32 v9, vcc_lo, s15, v5, vcc_lo
	global_load_b64 v[4:5], v[4:5], off
	v_add_co_u32 v10, vcc_lo, v8, s14
	v_add_co_ci_u32_e32 v11, vcc_lo, s15, v9, vcc_lo
	v_add_co_u32 v1, vcc_lo, v1, s6
	s_clause 0x1
	global_load_b64 v[8:9], v[8:9], off
	global_load_b64 v[10:11], v[10:11], off
	v_add_co_ci_u32_e32 v2, vcc_lo, s7, v2, vcc_lo
	s_add_i32 s23, s23, 4
	s_delay_alu instid0(SALU_CYCLE_1)
	s_cmp_lg_u32 s22, s23
	s_waitcnt vmcnt(3)
	v_mul_f32_e32 v12, s10, v7
	s_waitcnt vmcnt(2)
	v_dual_mul_f32 v13, s9, v7 :: v_dual_mul_f32 v14, s10, v5
	v_mul_f32_e32 v7, s9, v5
	s_delay_alu instid0(VALU_DEP_3) | instskip(NEXT) | instid1(VALU_DEP_3)
	v_fma_f32 v12, s9, v6, -v12
	v_fmac_f32_e32 v13, s10, v6
	s_delay_alu instid0(VALU_DEP_4)
	v_fma_f32 v6, s9, v4, -v14
	s_waitcnt vmcnt(0)
	v_dual_fmac_f32 v7, s10, v4 :: v_dual_mul_f32 v14, s10, v11
	v_mul_f32_e32 v4, s10, v9
	v_mul_f32_e32 v5, s9, v9
	;; [unrolled: 1-line block ×3, first 2 shown]
	s_delay_alu instid0(VALU_DEP_3) | instskip(NEXT) | instid1(VALU_DEP_3)
	v_fma_f32 v4, s9, v8, -v4
	v_fmac_f32_e32 v5, s10, v8
	v_fma_f32 v8, s9, v10, -v14
	s_delay_alu instid0(VALU_DEP_4)
	v_fmac_f32_e32 v9, s10, v10
	ds_store_2addr_b64 v3, v[12:13], v[6:7] offset1:28
	ds_store_2addr_b64 v3, v[4:5], v[8:9] offset0:56 offset1:84
	v_add_nc_u32_e32 v3, 0x380, v3
	s_cbranch_scc1 .LBB167_32
.LBB167_33:
	s_and_b32 s14, s8, 3
	s_delay_alu instid0(SALU_CYCLE_1)
	s_cmp_eq_u32 s14, 0
	s_cbranch_scc1 .LBB167_36
; %bb.34:
	s_mul_hi_i32 s7, s0, s22
	s_mul_i32 s6, s0, s22
	v_lshlrev_b32_e32 v1, 3, v0
	s_lshl_b64 s[6:7], s[6:7], 3
	s_mul_i32 s15, s22, 0xe0
	s_add_u32 s6, s6, s16
	s_addc_u32 s7, s7, s17
	s_add_u32 s6, s6, s12
	s_addc_u32 s7, s7, s13
	;; [unrolled: 2-line block ×3, first 2 shown]
	v_add_co_u32 v2, s6, s6, v1
	s_delay_alu instid0(VALU_DEP_1) | instskip(SKIP_1) | instid1(VALU_DEP_3)
	v_add_co_ci_u32_e64 v4, null, s7, 0, s6
	v_add3_u32 v3, s15, v1, 0x1880
	v_add_co_u32 v1, vcc_lo, v2, 4
	s_delay_alu instid0(VALU_DEP_3)
	v_add_co_ci_u32_e32 v2, vcc_lo, 0, v4, vcc_lo
	s_lshl_b64 s[6:7], s[0:1], 3
	.p2align	6
.LBB167_35:                             ; =>This Inner Loop Header: Depth=1
	global_load_b64 v[4:5], v[1:2], off offset:-4
	v_add_co_u32 v1, vcc_lo, v1, s6
	v_add_co_ci_u32_e32 v2, vcc_lo, s7, v2, vcc_lo
	s_add_i32 s14, s14, -1
	s_delay_alu instid0(SALU_CYCLE_1) | instskip(SKIP_2) | instid1(VALU_DEP_1)
	s_cmp_lg_u32 s14, 0
	s_waitcnt vmcnt(0)
	v_mul_f32_e32 v6, s9, v5
	v_dual_mul_f32 v7, s10, v5 :: v_dual_fmac_f32 v6, s10, v4
	s_delay_alu instid0(VALU_DEP_1)
	v_fma_f32 v5, s9, v4, -v7
	ds_store_b64 v3, v[5:6]
	v_add_nc_u32_e32 v3, 0xe0, v3
	s_cbranch_scc1 .LBB167_35
.LBB167_36:
	s_or_b32 exec_lo, exec_lo, s21
	s_cmpk_eq_i32 s5, 0x6f
	s_waitcnt lgkmcnt(0)
	s_cselect_b32 s1, -1, 0
	s_cmpk_eq_i32 s4, 0x79
	; wave barrier
	buffer_gl0_inv
	s_cselect_b32 s6, -1, 0
	s_cmpk_lg_i32 s4, 0x79
	s_cselect_b32 s5, -1, 0
	s_and_b32 s6, s6, s1
	s_delay_alu instid0(SALU_CYCLE_1)
	s_and_not1_b32 vcc_lo, exec_lo, s6
	s_mov_b32 s6, -1
	s_cbranch_vccz .LBB167_144
; %bb.37:
	s_cmpk_lg_i32 s4, 0x7a
	s_cselect_b32 s4, -1, 0
	s_xor_b32 s1, s1, -1
	s_delay_alu instid0(SALU_CYCLE_1)
	s_or_b32 s4, s4, s1
	s_cmp_gt_i32 s8, 3
	s_cselect_b32 s1, -1, 0
	s_and_b32 vcc_lo, exec_lo, s4
	s_mov_b32 s4, -1
	s_cbranch_vccz .LBB167_111
; %bb.38:
	s_and_not1_b32 vcc_lo, exec_lo, s5
	s_cbranch_vccnz .LBB167_78
; %bb.39:
	s_and_not1_b32 vcc_lo, exec_lo, s1
	s_mov_b32 s6, 0
	s_cbranch_vccnz .LBB167_62
; %bb.40:
	v_lshl_add_u32 v13, v0, 3, 0x1880
	s_mov_b32 s4, 0
	s_mov_b32 s5, 0
.LBB167_41:                             ; =>This Loop Header: Depth=1
                                        ;     Child Loop BB167_43 Depth 2
	s_delay_alu instid0(SALU_CYCLE_1) | instskip(NEXT) | instid1(SALU_CYCLE_1)
	s_mul_i32 s9, s5, 28
	s_add_i32 s6, s9, 56
	s_add_i32 s7, s9, 28
	v_add_lshl_u32 v7, s6, v0, 3
	v_add_lshl_u32 v8, s9, v0, 3
	;; [unrolled: 1-line block ×3, first 2 shown]
	s_cmp_eq_u32 s5, 0
	s_delay_alu instid0(VALU_DEP_3)
	v_add_nc_u32_e32 v1, 0x1800, v7
	ds_load_b64 v[5:6], v8 offset:6272
	ds_load_b64 v[11:12], v9 offset:6272
	ds_load_2addr_b64 v[1:4], v1 offset0:16 offset1:44
	s_cbranch_scc1 .LBB167_44
; %bb.42:                               ;   in Loop: Header=BB167_41 Depth=1
	v_mov_b32_e32 v10, v13
	s_mov_b32 s9, 0
	s_mov_b32 s10, s4
.LBB167_43:                             ;   Parent Loop BB167_41 Depth=1
                                        ; =>  This Inner Loop Header: Depth=2
	ds_load_2addr_b64 v[14:17], v10 offset1:28
	v_mov_b32_e32 v30, s10
	s_add_i32 s9, s9, 2
	s_addk_i32 s10, 0x1c0
	s_cmp_ge_u32 s9, s5
	ds_load_b128 v[18:21], v30
	ds_load_b128 v[22:25], v30 offset:16
	ds_load_b128 v[26:29], v30 offset:224
	ds_load_b128 v[30:33], v30 offset:240
	s_waitcnt lgkmcnt(3)
	v_dual_mul_f32 v35, v18, v15 :: v_dual_add_nc_u32 v10, 0x1c0, v10
	s_waitcnt lgkmcnt(2)
	v_mul_f32_e32 v37, v23, v15
	s_waitcnt lgkmcnt(1)
	v_dual_mul_f32 v38, v25, v15 :: v_dual_mul_f32 v39, v27, v17
	v_dual_mul_f32 v25, v25, v14 :: v_dual_mul_f32 v40, v26, v17
	v_mul_f32_e32 v34, v19, v15
	v_dual_mul_f32 v36, v21, v15 :: v_dual_mul_f32 v23, v23, v14
	v_mul_f32_e32 v21, v21, v14
	s_delay_alu instid0(VALU_DEP_4)
	v_fmac_f32_e32 v25, v24, v15
	v_fmac_f32_e32 v35, v19, v14
	v_dual_mul_f32 v41, v29, v17 :: v_dual_fmac_f32 v40, v27, v16
	s_waitcnt lgkmcnt(0)
	v_dual_mul_f32 v29, v29, v16 :: v_dual_mul_f32 v42, v31, v17
	v_dual_sub_f32 v4, v4, v25 :: v_dual_mul_f32 v31, v31, v16
	v_sub_f32_e32 v6, v6, v35
	v_fmac_f32_e32 v21, v20, v15
	v_fma_f32 v18, v18, v14, -v34
	v_fma_f32 v19, v20, v14, -v36
	;; [unrolled: 1-line block ×3, first 2 shown]
	v_sub_f32_e32 v6, v6, v40
	v_fma_f32 v14, v24, v14, -v38
	v_fmac_f32_e32 v31, v30, v17
	v_fmac_f32_e32 v29, v28, v17
	;; [unrolled: 1-line block ×3, first 2 shown]
	v_mul_f32_e32 v43, v33, v17
	v_dual_mul_f32 v33, v33, v16 :: v_dual_sub_f32 v12, v12, v21
	v_fma_f32 v15, v26, v16, -v39
	v_fma_f32 v22, v28, v16, -v41
	v_fma_f32 v24, v30, v16, -v42
	s_delay_alu instid0(VALU_DEP_4) | instskip(SKIP_3) | instid1(VALU_DEP_4)
	v_fmac_f32_e32 v33, v32, v17
	v_sub_f32_e32 v5, v5, v18
	v_sub_f32_e32 v11, v11, v19
	;; [unrolled: 1-line block ×3, first 2 shown]
	v_dual_sub_f32 v3, v3, v14 :: v_dual_sub_f32 v4, v4, v33
	v_sub_f32_e32 v12, v12, v29
	v_sub_f32_e32 v2, v2, v23
	v_fma_f32 v16, v32, v16, -v43
	v_sub_f32_e32 v5, v5, v15
	v_sub_f32_e32 v11, v11, v22
	s_delay_alu instid0(VALU_DEP_4) | instskip(NEXT) | instid1(VALU_DEP_4)
	v_dual_sub_f32 v1, v1, v24 :: v_dual_sub_f32 v2, v2, v31
	v_sub_f32_e32 v3, v3, v16
	s_cbranch_scc0 .LBB167_43
.LBB167_44:                             ;   in Loop: Header=BB167_41 Depth=1
	s_mul_i32 s9, s5, 0xe8
	v_add_nc_u32_e32 v16, 0x1880, v8
	v_dual_mov_b32 v7, s9 :: v_dual_add_nc_u32 v14, 0x1880, v7
	v_add_nc_u32_e32 v15, 0x1880, v9
	ds_load_b64 v[7:8], v7
	s_waitcnt lgkmcnt(0)
	v_cmp_gt_f32_e32 vcc_lo, 0, v7
	v_cndmask_b32_e64 v9, v7, -v7, vcc_lo
	v_cmp_gt_f32_e32 vcc_lo, 0, v8
	v_cndmask_b32_e64 v10, v8, -v8, vcc_lo
	s_delay_alu instid0(VALU_DEP_1)
	v_cmp_ngt_f32_e32 vcc_lo, v9, v10
	s_cbranch_vccz .LBB167_46
; %bb.45:                               ;   in Loop: Header=BB167_41 Depth=1
	v_div_scale_f32 v9, null, v8, v8, v7
	v_div_scale_f32 v18, vcc_lo, v7, v8, v7
	s_delay_alu instid0(VALU_DEP_2) | instskip(SKIP_2) | instid1(VALU_DEP_1)
	v_rcp_f32_e32 v10, v9
	s_waitcnt_depctr 0xfff
	v_fma_f32 v17, -v9, v10, 1.0
	v_fmac_f32_e32 v10, v17, v10
	s_delay_alu instid0(VALU_DEP_1) | instskip(NEXT) | instid1(VALU_DEP_1)
	v_mul_f32_e32 v17, v18, v10
	v_fma_f32 v19, -v9, v17, v18
	s_delay_alu instid0(VALU_DEP_1) | instskip(NEXT) | instid1(VALU_DEP_1)
	v_fmac_f32_e32 v17, v19, v10
	v_fma_f32 v9, -v9, v17, v18
	s_delay_alu instid0(VALU_DEP_1) | instskip(NEXT) | instid1(VALU_DEP_1)
	v_div_fmas_f32 v9, v9, v10, v17
	v_div_fixup_f32 v9, v9, v8, v7
	s_delay_alu instid0(VALU_DEP_1) | instskip(NEXT) | instid1(VALU_DEP_1)
	v_fma_f32 v10, v7, v9, v8
	v_div_scale_f32 v17, null, v10, v10, 1.0
	v_div_scale_f32 v20, vcc_lo, 1.0, v10, 1.0
	s_delay_alu instid0(VALU_DEP_2) | instskip(SKIP_2) | instid1(VALU_DEP_1)
	v_rcp_f32_e32 v18, v17
	s_waitcnt_depctr 0xfff
	v_fma_f32 v19, -v17, v18, 1.0
	v_fmac_f32_e32 v18, v19, v18
	s_delay_alu instid0(VALU_DEP_1) | instskip(NEXT) | instid1(VALU_DEP_1)
	v_mul_f32_e32 v19, v20, v18
	v_fma_f32 v21, -v17, v19, v20
	s_delay_alu instid0(VALU_DEP_1) | instskip(NEXT) | instid1(VALU_DEP_1)
	v_fmac_f32_e32 v19, v21, v18
	v_fma_f32 v17, -v17, v19, v20
	s_delay_alu instid0(VALU_DEP_1) | instskip(SKIP_1) | instid1(VALU_DEP_2)
	v_div_fmas_f32 v17, v17, v18, v19
	v_fma_f32 v18, v5, v9, v6
	v_div_fixup_f32 v10, v17, v10, 1.0
	v_fma_f32 v17, v6, v9, -v5
	s_delay_alu instid0(VALU_DEP_2) | instskip(NEXT) | instid1(VALU_DEP_2)
	v_mul_f32_e32 v9, v18, v10
	v_mul_f32_e32 v10, v17, v10
	s_cbranch_execz .LBB167_47
	s_branch .LBB167_48
.LBB167_46:                             ;   in Loop: Header=BB167_41 Depth=1
                                        ; implicit-def: $vgpr10
.LBB167_47:                             ;   in Loop: Header=BB167_41 Depth=1
	v_div_scale_f32 v9, null, v7, v7, v8
	v_div_scale_f32 v18, vcc_lo, v8, v7, v8
	s_delay_alu instid0(VALU_DEP_2) | instskip(SKIP_2) | instid1(VALU_DEP_1)
	v_rcp_f32_e32 v10, v9
	s_waitcnt_depctr 0xfff
	v_fma_f32 v17, -v9, v10, 1.0
	v_fmac_f32_e32 v10, v17, v10
	s_delay_alu instid0(VALU_DEP_1) | instskip(NEXT) | instid1(VALU_DEP_1)
	v_mul_f32_e32 v17, v18, v10
	v_fma_f32 v19, -v9, v17, v18
	s_delay_alu instid0(VALU_DEP_1) | instskip(NEXT) | instid1(VALU_DEP_1)
	v_fmac_f32_e32 v17, v19, v10
	v_fma_f32 v9, -v9, v17, v18
	s_delay_alu instid0(VALU_DEP_1) | instskip(NEXT) | instid1(VALU_DEP_1)
	v_div_fmas_f32 v9, v9, v10, v17
	v_div_fixup_f32 v9, v9, v7, v8
	s_delay_alu instid0(VALU_DEP_1) | instskip(NEXT) | instid1(VALU_DEP_1)
	v_fmac_f32_e32 v7, v8, v9
	v_div_scale_f32 v8, null, v7, v7, 1.0
	v_div_scale_f32 v18, vcc_lo, 1.0, v7, 1.0
	s_delay_alu instid0(VALU_DEP_2) | instskip(SKIP_2) | instid1(VALU_DEP_1)
	v_rcp_f32_e32 v10, v8
	s_waitcnt_depctr 0xfff
	v_fma_f32 v17, -v8, v10, 1.0
	v_fmac_f32_e32 v10, v17, v10
	s_delay_alu instid0(VALU_DEP_1) | instskip(NEXT) | instid1(VALU_DEP_1)
	v_mul_f32_e32 v17, v18, v10
	v_fma_f32 v19, -v8, v17, v18
	s_delay_alu instid0(VALU_DEP_1) | instskip(NEXT) | instid1(VALU_DEP_1)
	v_fmac_f32_e32 v17, v19, v10
	v_fma_f32 v8, -v8, v17, v18
	s_delay_alu instid0(VALU_DEP_1) | instskip(SKIP_2) | instid1(VALU_DEP_3)
	v_div_fmas_f32 v8, v8, v10, v17
	v_fma_f32 v10, v6, v9, v5
	v_fma_f32 v5, -v5, v9, v6
	v_div_fixup_f32 v7, v8, v7, 1.0
	s_delay_alu instid0(VALU_DEP_1) | instskip(NEXT) | instid1(VALU_DEP_3)
	v_mul_f32_e32 v9, v10, v7
	v_mul_f32_e32 v10, v5, v7
.LBB167_48:                             ;   in Loop: Header=BB167_41 Depth=1
	v_mov_b32_e32 v5, s9
	ds_store_b64 v16, v[9:10]
	ds_load_2addr_b64 v[5:8], v5 offset0:1 offset1:29
	s_waitcnt lgkmcnt(0)
	v_cmp_gt_f32_e32 vcc_lo, 0, v7
	v_mul_f32_e32 v17, v10, v6
	v_mul_f32_e32 v6, v9, v6
	v_cndmask_b32_e64 v18, v7, -v7, vcc_lo
	v_cmp_gt_f32_e32 vcc_lo, 0, v8
	s_delay_alu instid0(VALU_DEP_4) | instskip(NEXT) | instid1(VALU_DEP_4)
	v_fma_f32 v17, v9, v5, -v17
	v_fmac_f32_e32 v6, v10, v5
	v_cndmask_b32_e64 v19, v8, -v8, vcc_lo
	s_delay_alu instid0(VALU_DEP_2) | instskip(NEXT) | instid1(VALU_DEP_2)
	v_dual_sub_f32 v5, v11, v17 :: v_dual_sub_f32 v6, v12, v6
	v_cmp_ngt_f32_e32 vcc_lo, v18, v19
	s_cbranch_vccz .LBB167_50
; %bb.49:                               ;   in Loop: Header=BB167_41 Depth=1
	v_div_scale_f32 v11, null, v8, v8, v7
	v_div_scale_f32 v17, vcc_lo, v7, v8, v7
	s_delay_alu instid0(VALU_DEP_2) | instskip(SKIP_2) | instid1(VALU_DEP_1)
	v_rcp_f32_e32 v12, v11
	s_waitcnt_depctr 0xfff
	v_fma_f32 v16, -v11, v12, 1.0
	v_fmac_f32_e32 v12, v16, v12
	s_delay_alu instid0(VALU_DEP_1) | instskip(NEXT) | instid1(VALU_DEP_1)
	v_mul_f32_e32 v16, v17, v12
	v_fma_f32 v18, -v11, v16, v17
	s_delay_alu instid0(VALU_DEP_1) | instskip(NEXT) | instid1(VALU_DEP_1)
	v_fmac_f32_e32 v16, v18, v12
	v_fma_f32 v11, -v11, v16, v17
	s_delay_alu instid0(VALU_DEP_1) | instskip(NEXT) | instid1(VALU_DEP_1)
	v_div_fmas_f32 v11, v11, v12, v16
	v_div_fixup_f32 v11, v11, v8, v7
	s_delay_alu instid0(VALU_DEP_1) | instskip(NEXT) | instid1(VALU_DEP_1)
	v_fma_f32 v12, v7, v11, v8
	v_div_scale_f32 v16, null, v12, v12, 1.0
	v_div_scale_f32 v19, vcc_lo, 1.0, v12, 1.0
	s_delay_alu instid0(VALU_DEP_2) | instskip(SKIP_2) | instid1(VALU_DEP_1)
	v_rcp_f32_e32 v17, v16
	s_waitcnt_depctr 0xfff
	v_fma_f32 v18, -v16, v17, 1.0
	v_fmac_f32_e32 v17, v18, v17
	s_delay_alu instid0(VALU_DEP_1) | instskip(NEXT) | instid1(VALU_DEP_1)
	v_mul_f32_e32 v18, v19, v17
	v_fma_f32 v20, -v16, v18, v19
	s_delay_alu instid0(VALU_DEP_1) | instskip(NEXT) | instid1(VALU_DEP_1)
	v_fmac_f32_e32 v18, v20, v17
	v_fma_f32 v16, -v16, v18, v19
	s_delay_alu instid0(VALU_DEP_1) | instskip(SKIP_1) | instid1(VALU_DEP_2)
	v_div_fmas_f32 v16, v16, v17, v18
	v_fma_f32 v17, v11, v5, v6
	v_div_fixup_f32 v12, v16, v12, 1.0
	v_fma_f32 v16, v11, v6, -v5
	s_delay_alu instid0(VALU_DEP_2) | instskip(NEXT) | instid1(VALU_DEP_2)
	v_mul_f32_e32 v11, v17, v12
	v_mul_f32_e32 v12, v16, v12
	s_cbranch_execz .LBB167_51
	s_branch .LBB167_52
.LBB167_50:                             ;   in Loop: Header=BB167_41 Depth=1
                                        ; implicit-def: $vgpr12
.LBB167_51:                             ;   in Loop: Header=BB167_41 Depth=1
	v_div_scale_f32 v11, null, v7, v7, v8
	v_div_scale_f32 v17, vcc_lo, v8, v7, v8
	s_delay_alu instid0(VALU_DEP_2) | instskip(SKIP_2) | instid1(VALU_DEP_1)
	v_rcp_f32_e32 v12, v11
	s_waitcnt_depctr 0xfff
	v_fma_f32 v16, -v11, v12, 1.0
	v_fmac_f32_e32 v12, v16, v12
	s_delay_alu instid0(VALU_DEP_1) | instskip(NEXT) | instid1(VALU_DEP_1)
	v_mul_f32_e32 v16, v17, v12
	v_fma_f32 v18, -v11, v16, v17
	s_delay_alu instid0(VALU_DEP_1) | instskip(NEXT) | instid1(VALU_DEP_1)
	v_fmac_f32_e32 v16, v18, v12
	v_fma_f32 v11, -v11, v16, v17
	s_delay_alu instid0(VALU_DEP_1) | instskip(NEXT) | instid1(VALU_DEP_1)
	v_div_fmas_f32 v11, v11, v12, v16
	v_div_fixup_f32 v11, v11, v7, v8
	s_delay_alu instid0(VALU_DEP_1) | instskip(NEXT) | instid1(VALU_DEP_1)
	v_fmac_f32_e32 v7, v8, v11
	v_div_scale_f32 v8, null, v7, v7, 1.0
	v_div_scale_f32 v17, vcc_lo, 1.0, v7, 1.0
	s_delay_alu instid0(VALU_DEP_2) | instskip(SKIP_2) | instid1(VALU_DEP_1)
	v_rcp_f32_e32 v12, v8
	s_waitcnt_depctr 0xfff
	v_fma_f32 v16, -v8, v12, 1.0
	v_fmac_f32_e32 v12, v16, v12
	s_delay_alu instid0(VALU_DEP_1) | instskip(NEXT) | instid1(VALU_DEP_1)
	v_mul_f32_e32 v16, v17, v12
	v_fma_f32 v18, -v8, v16, v17
	s_delay_alu instid0(VALU_DEP_1) | instskip(NEXT) | instid1(VALU_DEP_1)
	v_fmac_f32_e32 v16, v18, v12
	v_fma_f32 v8, -v8, v16, v17
	s_delay_alu instid0(VALU_DEP_1) | instskip(SKIP_2) | instid1(VALU_DEP_3)
	v_div_fmas_f32 v8, v8, v12, v16
	v_fma_f32 v12, v11, v6, v5
	v_fma_f32 v5, -v11, v5, v6
	v_div_fixup_f32 v7, v8, v7, 1.0
	s_delay_alu instid0(VALU_DEP_1) | instskip(NEXT) | instid1(VALU_DEP_3)
	v_mul_f32_e32 v11, v12, v7
	v_mul_f32_e32 v12, v5, v7
.LBB167_52:                             ;   in Loop: Header=BB167_41 Depth=1
	s_add_i32 s7, s7, s5
	s_delay_alu instid0(SALU_CYCLE_1) | instskip(NEXT) | instid1(SALU_CYCLE_1)
	s_lshl_b32 s7, s7, 3
	v_dual_mov_b32 v5, s9 :: v_dual_mov_b32 v16, s7
	ds_load_2addr_b64 v[5:8], v5 offset0:2 offset1:58
	ds_load_b64 v[16:17], v16 offset:16
	ds_store_b64 v15, v[11:12]
	s_waitcnt lgkmcnt(2)
	v_mul_f32_e32 v18, v10, v6
	v_cmp_gt_f32_e32 vcc_lo, 0, v7
	s_waitcnt lgkmcnt(1)
	v_mul_f32_e32 v20, v12, v17
	v_dual_mul_f32 v17, v11, v17 :: v_dual_mul_f32 v6, v9, v6
	v_fma_f32 v18, v9, v5, -v18
	v_cndmask_b32_e64 v19, v7, -v7, vcc_lo
	v_cmp_gt_f32_e32 vcc_lo, 0, v8
	s_delay_alu instid0(VALU_DEP_4) | instskip(NEXT) | instid1(VALU_DEP_4)
	v_fmac_f32_e32 v17, v12, v16
	v_sub_f32_e32 v1, v1, v18
	v_fma_f32 v20, v11, v16, -v20
	v_fmac_f32_e32 v6, v10, v5
	v_cndmask_b32_e64 v5, v8, -v8, vcc_lo
	s_delay_alu instid0(VALU_DEP_1) | instskip(NEXT) | instid1(VALU_DEP_3)
	v_cmp_ngt_f32_e32 vcc_lo, v19, v5
	v_dual_sub_f32 v5, v1, v20 :: v_dual_sub_f32 v2, v2, v6
	s_delay_alu instid0(VALU_DEP_1)
	v_sub_f32_e32 v6, v2, v17
	s_cbranch_vccz .LBB167_54
; %bb.53:                               ;   in Loop: Header=BB167_41 Depth=1
	v_div_scale_f32 v1, null, v8, v8, v7
	v_div_scale_f32 v16, vcc_lo, v7, v8, v7
	s_delay_alu instid0(VALU_DEP_2) | instskip(SKIP_2) | instid1(VALU_DEP_1)
	v_rcp_f32_e32 v2, v1
	s_waitcnt_depctr 0xfff
	v_fma_f32 v15, -v1, v2, 1.0
	v_fmac_f32_e32 v2, v15, v2
	s_delay_alu instid0(VALU_DEP_1) | instskip(NEXT) | instid1(VALU_DEP_1)
	v_mul_f32_e32 v15, v16, v2
	v_fma_f32 v17, -v1, v15, v16
	s_delay_alu instid0(VALU_DEP_1) | instskip(NEXT) | instid1(VALU_DEP_1)
	v_fmac_f32_e32 v15, v17, v2
	v_fma_f32 v1, -v1, v15, v16
	s_delay_alu instid0(VALU_DEP_1) | instskip(NEXT) | instid1(VALU_DEP_1)
	v_div_fmas_f32 v1, v1, v2, v15
	v_div_fixup_f32 v1, v1, v8, v7
	s_delay_alu instid0(VALU_DEP_1) | instskip(NEXT) | instid1(VALU_DEP_1)
	v_fma_f32 v2, v7, v1, v8
	v_div_scale_f32 v15, null, v2, v2, 1.0
	v_div_scale_f32 v18, vcc_lo, 1.0, v2, 1.0
	s_delay_alu instid0(VALU_DEP_2) | instskip(SKIP_2) | instid1(VALU_DEP_1)
	v_rcp_f32_e32 v16, v15
	s_waitcnt_depctr 0xfff
	v_fma_f32 v17, -v15, v16, 1.0
	v_fmac_f32_e32 v16, v17, v16
	s_delay_alu instid0(VALU_DEP_1) | instskip(NEXT) | instid1(VALU_DEP_1)
	v_mul_f32_e32 v17, v18, v16
	v_fma_f32 v19, -v15, v17, v18
	s_delay_alu instid0(VALU_DEP_1) | instskip(NEXT) | instid1(VALU_DEP_1)
	v_fmac_f32_e32 v17, v19, v16
	v_fma_f32 v15, -v15, v17, v18
	s_delay_alu instid0(VALU_DEP_1) | instskip(SKIP_1) | instid1(VALU_DEP_2)
	v_div_fmas_f32 v15, v15, v16, v17
	v_fma_f32 v16, v1, v5, v6
	v_div_fixup_f32 v2, v15, v2, 1.0
	v_fma_f32 v15, v1, v6, -v5
	s_delay_alu instid0(VALU_DEP_2) | instskip(NEXT) | instid1(VALU_DEP_2)
	v_mul_f32_e32 v1, v16, v2
	v_mul_f32_e32 v2, v15, v2
	s_cbranch_execz .LBB167_55
	s_branch .LBB167_56
.LBB167_54:                             ;   in Loop: Header=BB167_41 Depth=1
                                        ; implicit-def: $vgpr2
.LBB167_55:                             ;   in Loop: Header=BB167_41 Depth=1
	v_div_scale_f32 v1, null, v7, v7, v8
	v_div_scale_f32 v16, vcc_lo, v8, v7, v8
	s_delay_alu instid0(VALU_DEP_2) | instskip(SKIP_2) | instid1(VALU_DEP_1)
	v_rcp_f32_e32 v2, v1
	s_waitcnt_depctr 0xfff
	v_fma_f32 v15, -v1, v2, 1.0
	v_fmac_f32_e32 v2, v15, v2
	s_delay_alu instid0(VALU_DEP_1) | instskip(NEXT) | instid1(VALU_DEP_1)
	v_mul_f32_e32 v15, v16, v2
	v_fma_f32 v17, -v1, v15, v16
	s_delay_alu instid0(VALU_DEP_1) | instskip(NEXT) | instid1(VALU_DEP_1)
	v_fmac_f32_e32 v15, v17, v2
	v_fma_f32 v1, -v1, v15, v16
	s_delay_alu instid0(VALU_DEP_1) | instskip(NEXT) | instid1(VALU_DEP_1)
	v_div_fmas_f32 v1, v1, v2, v15
	v_div_fixup_f32 v1, v1, v7, v8
	s_delay_alu instid0(VALU_DEP_1) | instskip(NEXT) | instid1(VALU_DEP_1)
	v_fmac_f32_e32 v7, v8, v1
	v_div_scale_f32 v2, null, v7, v7, 1.0
	v_div_scale_f32 v16, vcc_lo, 1.0, v7, 1.0
	s_delay_alu instid0(VALU_DEP_2) | instskip(SKIP_2) | instid1(VALU_DEP_1)
	v_rcp_f32_e32 v8, v2
	s_waitcnt_depctr 0xfff
	v_fma_f32 v15, -v2, v8, 1.0
	v_fmac_f32_e32 v8, v15, v8
	s_delay_alu instid0(VALU_DEP_1) | instskip(NEXT) | instid1(VALU_DEP_1)
	v_mul_f32_e32 v15, v16, v8
	v_fma_f32 v17, -v2, v15, v16
	s_delay_alu instid0(VALU_DEP_1) | instskip(NEXT) | instid1(VALU_DEP_1)
	v_fmac_f32_e32 v15, v17, v8
	v_fma_f32 v2, -v2, v15, v16
	s_delay_alu instid0(VALU_DEP_1) | instskip(SKIP_2) | instid1(VALU_DEP_3)
	v_div_fmas_f32 v2, v2, v8, v15
	v_fma_f32 v8, v1, v6, v5
	v_fma_f32 v5, -v1, v5, v6
	v_div_fixup_f32 v2, v2, v7, 1.0
	s_delay_alu instid0(VALU_DEP_1) | instskip(NEXT) | instid1(VALU_DEP_3)
	v_mul_f32_e32 v1, v8, v2
	v_mul_f32_e32 v2, v5, v2
.LBB167_56:                             ;   in Loop: Header=BB167_41 Depth=1
	s_add_i32 s6, s6, s5
	v_mov_b32_e32 v5, s9
	s_lshl_b32 s6, s6, 3
	v_mov_b32_e32 v15, s7
	v_mov_b32_e32 v17, s6
	ds_load_2addr_b64 v[5:8], v5 offset0:3 offset1:87
	ds_load_b64 v[15:16], v15 offset:24
	ds_load_b64 v[17:18], v17 offset:24
	ds_store_b64 v14, v[1:2]
	s_waitcnt lgkmcnt(3)
	v_cmp_gt_f32_e32 vcc_lo, 0, v7
	s_waitcnt lgkmcnt(2)
	v_mul_f32_e32 v20, v12, v16
	v_dual_mul_f32 v16, v11, v16 :: v_dual_mul_f32 v19, v10, v6
	v_mul_f32_e32 v6, v9, v6
	v_cndmask_b32_e64 v21, v7, -v7, vcc_lo
	v_cmp_gt_f32_e32 vcc_lo, 0, v8
	s_delay_alu instid0(VALU_DEP_4)
	v_fmac_f32_e32 v16, v12, v15
	v_fma_f32 v9, v9, v5, -v19
	s_waitcnt lgkmcnt(1)
	v_dual_fmac_f32 v6, v10, v5 :: v_dual_mul_f32 v5, v1, v18
	v_mul_f32_e32 v22, v2, v18
	v_fma_f32 v10, v11, v15, -v20
	s_delay_alu instid0(VALU_DEP_3) | instskip(NEXT) | instid1(VALU_DEP_4)
	v_dual_sub_f32 v3, v3, v9 :: v_dual_sub_f32 v4, v4, v6
	v_fmac_f32_e32 v5, v2, v17
	v_cndmask_b32_e64 v6, v8, -v8, vcc_lo
	v_fma_f32 v9, v1, v17, -v22
	s_delay_alu instid0(VALU_DEP_4) | instskip(NEXT) | instid1(VALU_DEP_3)
	v_dual_sub_f32 v3, v3, v10 :: v_dual_sub_f32 v4, v4, v16
	v_cmp_ngt_f32_e32 vcc_lo, v21, v6
	s_delay_alu instid0(VALU_DEP_2) | instskip(NEXT) | instid1(VALU_DEP_3)
	v_sub_f32_e32 v3, v3, v9
	v_sub_f32_e32 v4, v4, v5
	s_cbranch_vccz .LBB167_58
; %bb.57:                               ;   in Loop: Header=BB167_41 Depth=1
	v_div_scale_f32 v1, null, v8, v8, v7
	v_div_scale_f32 v6, vcc_lo, v7, v8, v7
	s_delay_alu instid0(VALU_DEP_2) | instskip(SKIP_2) | instid1(VALU_DEP_1)
	v_rcp_f32_e32 v2, v1
	s_waitcnt_depctr 0xfff
	v_fma_f32 v5, -v1, v2, 1.0
	v_fmac_f32_e32 v2, v5, v2
	s_delay_alu instid0(VALU_DEP_1) | instskip(NEXT) | instid1(VALU_DEP_1)
	v_mul_f32_e32 v5, v6, v2
	v_fma_f32 v9, -v1, v5, v6
	s_delay_alu instid0(VALU_DEP_1) | instskip(NEXT) | instid1(VALU_DEP_1)
	v_fmac_f32_e32 v5, v9, v2
	v_fma_f32 v1, -v1, v5, v6
	s_delay_alu instid0(VALU_DEP_1) | instskip(NEXT) | instid1(VALU_DEP_1)
	v_div_fmas_f32 v1, v1, v2, v5
	v_div_fixup_f32 v1, v1, v8, v7
	s_delay_alu instid0(VALU_DEP_1) | instskip(NEXT) | instid1(VALU_DEP_1)
	v_fma_f32 v2, v7, v1, v8
	v_div_scale_f32 v5, null, v2, v2, 1.0
	v_div_scale_f32 v10, vcc_lo, 1.0, v2, 1.0
	s_delay_alu instid0(VALU_DEP_2) | instskip(SKIP_2) | instid1(VALU_DEP_1)
	v_rcp_f32_e32 v6, v5
	s_waitcnt_depctr 0xfff
	v_fma_f32 v9, -v5, v6, 1.0
	v_fmac_f32_e32 v6, v9, v6
	s_delay_alu instid0(VALU_DEP_1) | instskip(NEXT) | instid1(VALU_DEP_1)
	v_mul_f32_e32 v9, v10, v6
	v_fma_f32 v11, -v5, v9, v10
	s_delay_alu instid0(VALU_DEP_1) | instskip(NEXT) | instid1(VALU_DEP_1)
	v_fmac_f32_e32 v9, v11, v6
	v_fma_f32 v5, -v5, v9, v10
	s_delay_alu instid0(VALU_DEP_1) | instskip(SKIP_1) | instid1(VALU_DEP_2)
	v_div_fmas_f32 v5, v5, v6, v9
	v_fma_f32 v6, v1, v3, v4
	v_div_fixup_f32 v2, v5, v2, 1.0
	v_fma_f32 v5, v1, v4, -v3
	s_delay_alu instid0(VALU_DEP_2) | instskip(NEXT) | instid1(VALU_DEP_2)
	v_mul_f32_e32 v1, v6, v2
	v_mul_f32_e32 v2, v5, v2
	s_cbranch_execz .LBB167_59
	s_branch .LBB167_60
.LBB167_58:                             ;   in Loop: Header=BB167_41 Depth=1
                                        ; implicit-def: $vgpr2
.LBB167_59:                             ;   in Loop: Header=BB167_41 Depth=1
	v_div_scale_f32 v1, null, v7, v7, v8
	v_div_scale_f32 v6, vcc_lo, v8, v7, v8
	s_delay_alu instid0(VALU_DEP_2) | instskip(SKIP_2) | instid1(VALU_DEP_1)
	v_rcp_f32_e32 v2, v1
	s_waitcnt_depctr 0xfff
	v_fma_f32 v5, -v1, v2, 1.0
	v_fmac_f32_e32 v2, v5, v2
	s_delay_alu instid0(VALU_DEP_1) | instskip(NEXT) | instid1(VALU_DEP_1)
	v_mul_f32_e32 v5, v6, v2
	v_fma_f32 v9, -v1, v5, v6
	s_delay_alu instid0(VALU_DEP_1) | instskip(NEXT) | instid1(VALU_DEP_1)
	v_fmac_f32_e32 v5, v9, v2
	v_fma_f32 v1, -v1, v5, v6
	s_delay_alu instid0(VALU_DEP_1) | instskip(NEXT) | instid1(VALU_DEP_1)
	v_div_fmas_f32 v1, v1, v2, v5
	v_div_fixup_f32 v1, v1, v7, v8
	s_delay_alu instid0(VALU_DEP_1) | instskip(NEXT) | instid1(VALU_DEP_1)
	v_fmac_f32_e32 v7, v8, v1
	v_div_scale_f32 v2, null, v7, v7, 1.0
	v_div_scale_f32 v8, vcc_lo, 1.0, v7, 1.0
	s_delay_alu instid0(VALU_DEP_2) | instskip(SKIP_2) | instid1(VALU_DEP_1)
	v_rcp_f32_e32 v5, v2
	s_waitcnt_depctr 0xfff
	v_fma_f32 v6, -v2, v5, 1.0
	v_fmac_f32_e32 v5, v6, v5
	s_delay_alu instid0(VALU_DEP_1) | instskip(NEXT) | instid1(VALU_DEP_1)
	v_mul_f32_e32 v6, v8, v5
	v_fma_f32 v9, -v2, v6, v8
	s_delay_alu instid0(VALU_DEP_1) | instskip(NEXT) | instid1(VALU_DEP_1)
	v_fmac_f32_e32 v6, v9, v5
	v_fma_f32 v2, -v2, v6, v8
	s_delay_alu instid0(VALU_DEP_1) | instskip(SKIP_2) | instid1(VALU_DEP_3)
	v_div_fmas_f32 v2, v2, v5, v6
	v_fma_f32 v5, v1, v4, v3
	v_fma_f32 v3, -v1, v3, v4
	v_div_fixup_f32 v2, v2, v7, 1.0
	s_delay_alu instid0(VALU_DEP_1) | instskip(NEXT) | instid1(VALU_DEP_3)
	v_mul_f32_e32 v1, v5, v2
	v_mul_f32_e32 v2, v3, v2
.LBB167_60:                             ;   in Loop: Header=BB167_41 Depth=1
	s_add_i32 s6, s5, 4
	s_add_i32 s5, s5, 7
	;; [unrolled: 1-line block ×3, first 2 shown]
	s_cmp_ge_i32 s5, s11
	ds_store_b64 v14, v[1:2] offset:224
	s_cbranch_scc1 .LBB167_62
; %bb.61:                               ;   in Loop: Header=BB167_41 Depth=1
	s_mov_b32 s5, s6
	s_branch .LBB167_41
.LBB167_62:
	s_cmp_ge_i32 s6, s11
	s_cbranch_scc1 .LBB167_77
; %bb.63:
	v_lshl_add_u32 v7, v0, 3, 0x1880
	s_add_i32 s4, s6, -1
	s_lshl_b32 s5, s6, 3
	s_mov_b32 s7, 0
	s_mov_b32 s9, s6
	s_branch .LBB167_65
.LBB167_64:                             ;   in Loop: Header=BB167_65 Depth=1
	v_add_nc_u16 v1, s9, 1
	s_add_i32 s6, s6, 1
	s_add_i32 s7, s7, 1
	;; [unrolled: 1-line block ×3, first 2 shown]
	s_cmp_ge_i32 s6, s11
	v_readfirstlane_b32 s9, v1
	ds_store_b64 v8, v[5:6]
	s_cbranch_scc1 .LBB167_77
.LBB167_65:                             ; =>This Loop Header: Depth=1
                                        ;     Child Loop BB167_68 Depth 2
                                        ;     Child Loop BB167_72 Depth 2
	s_mul_i32 s10, s6, 28
	s_cmp_eq_u32 s6, 0
	v_add_lshl_u32 v3, s10, v0, 3
	ds_load_b64 v[1:2], v3 offset:6272
	s_cbranch_scc1 .LBB167_73
; %bb.66:                               ;   in Loop: Header=BB167_65 Depth=1
	s_add_i32 s10, s4, s7
	s_delay_alu instid0(SALU_CYCLE_1)
	s_cmp_lt_u32 s10, 3
	s_cbranch_scc1 .LBB167_70
; %bb.67:                               ;   in Loop: Header=BB167_65 Depth=1
	v_mov_b32_e32 v4, v7
	s_and_b32 s10, s6, -4
	s_mov_b32 s14, 0
	s_mov_b32 s15, s5
	s_set_inst_prefetch_distance 0x1
	.p2align	6
.LBB167_68:                             ;   Parent Loop BB167_65 Depth=1
                                        ; =>  This Inner Loop Header: Depth=2
	v_mov_b32_e32 v5, s15
	s_add_i32 s14, s14, 4
	s_addk_i32 s15, 0x380
	s_cmp_eq_u32 s10, s14
	ds_load_2addr_b64 v[8:11], v4 offset1:28
	ds_load_2addr_b64 v[12:15], v5 offset1:28
	ds_load_2addr_b64 v[16:19], v4 offset0:56 offset1:84
	ds_load_2addr_b64 v[20:23], v5 offset0:56 offset1:84
	v_add_nc_u32_e32 v4, 0x380, v4
	s_waitcnt lgkmcnt(2)
	v_mul_f32_e32 v6, v12, v9
	v_mul_f32_e32 v5, v13, v9
	s_waitcnt lgkmcnt(0)
	v_dual_mul_f32 v9, v15, v11 :: v_dual_mul_f32 v24, v21, v17
	s_delay_alu instid0(VALU_DEP_3) | instskip(SKIP_2) | instid1(VALU_DEP_4)
	v_dual_mul_f32 v11, v14, v11 :: v_dual_fmac_f32 v6, v13, v8
	v_mul_f32_e32 v17, v20, v17
	v_fma_f32 v5, v12, v8, -v5
	v_fma_f32 v9, v14, v10, -v9
	v_mul_f32_e32 v8, v23, v19
	s_delay_alu instid0(VALU_DEP_4)
	v_dual_sub_f32 v2, v2, v6 :: v_dual_fmac_f32 v17, v21, v16
	v_fmac_f32_e32 v11, v15, v10
	v_sub_f32_e32 v1, v1, v5
	v_mul_f32_e32 v5, v22, v19
	v_fma_f32 v6, v20, v16, -v24
	v_fma_f32 v8, v22, v18, -v8
	s_delay_alu instid0(VALU_DEP_4) | instskip(NEXT) | instid1(VALU_DEP_1)
	v_dual_sub_f32 v2, v2, v11 :: v_dual_sub_f32 v1, v1, v9
	v_dual_fmac_f32 v5, v23, v18 :: v_dual_sub_f32 v2, v2, v17
	s_delay_alu instid0(VALU_DEP_1) | instskip(NEXT) | instid1(VALU_DEP_1)
	v_dual_sub_f32 v1, v1, v6 :: v_dual_sub_f32 v2, v2, v5
	v_sub_f32_e32 v1, v1, v8
	s_cbranch_scc0 .LBB167_68
; %bb.69:                               ;   in Loop: Header=BB167_65 Depth=1
	s_set_inst_prefetch_distance 0x2
	s_and_b32 s14, s6, 3
	s_delay_alu instid0(SALU_CYCLE_1)
	s_cmp_eq_u32 s14, 0
	s_cbranch_scc0 .LBB167_71
	s_branch .LBB167_73
.LBB167_70:                             ;   in Loop: Header=BB167_65 Depth=1
	s_mov_b32 s10, 0
	s_and_b32 s14, s6, 3
	s_delay_alu instid0(SALU_CYCLE_1)
	s_cmp_eq_u32 s14, 0
	s_cbranch_scc1 .LBB167_73
.LBB167_71:                             ;   in Loop: Header=BB167_65 Depth=1
	s_and_b32 s14, s9, 3
	s_mulk_i32 s10, 0xe0
	.p2align	6
.LBB167_72:                             ;   Parent Loop BB167_65 Depth=1
                                        ; =>  This Inner Loop Header: Depth=2
	s_delay_alu instid0(SALU_CYCLE_1)
	s_add_i32 s15, s5, s10
	v_add_nc_u32_e32 v4, s10, v7
	v_mov_b32_e32 v6, s15
	s_add_i32 s14, s14, -1
	s_addk_i32 s10, 0xe0
	s_cmp_lg_u32 s14, 0
	ds_load_b64 v[4:5], v4
	ds_load_b64 v[8:9], v6
	s_waitcnt lgkmcnt(0)
	v_mul_f32_e32 v6, v9, v5
	v_mul_f32_e32 v5, v8, v5
	s_delay_alu instid0(VALU_DEP_2) | instskip(NEXT) | instid1(VALU_DEP_2)
	v_fma_f32 v6, v8, v4, -v6
	v_fmac_f32_e32 v5, v9, v4
	s_delay_alu instid0(VALU_DEP_1)
	v_dual_sub_f32 v1, v1, v6 :: v_dual_sub_f32 v2, v2, v5
	s_cbranch_scc1 .LBB167_72
.LBB167_73:                             ;   in Loop: Header=BB167_65 Depth=1
	s_mul_i32 s10, s6, 0xe8
	s_delay_alu instid0(SALU_CYCLE_1)
	v_dual_mov_b32 v3, s10 :: v_dual_add_nc_u32 v8, 0x1880, v3
	ds_load_b64 v[3:4], v3
	s_waitcnt lgkmcnt(0)
	v_cmp_gt_f32_e32 vcc_lo, 0, v3
	v_cndmask_b32_e64 v5, v3, -v3, vcc_lo
	v_cmp_gt_f32_e32 vcc_lo, 0, v4
	v_cndmask_b32_e64 v6, v4, -v4, vcc_lo
	s_delay_alu instid0(VALU_DEP_1)
	v_cmp_ngt_f32_e32 vcc_lo, v5, v6
	s_cbranch_vccz .LBB167_75
; %bb.74:                               ;   in Loop: Header=BB167_65 Depth=1
	v_div_scale_f32 v5, null, v4, v4, v3
	v_div_scale_f32 v10, vcc_lo, v3, v4, v3
	s_delay_alu instid0(VALU_DEP_2) | instskip(SKIP_2) | instid1(VALU_DEP_1)
	v_rcp_f32_e32 v6, v5
	s_waitcnt_depctr 0xfff
	v_fma_f32 v9, -v5, v6, 1.0
	v_fmac_f32_e32 v6, v9, v6
	s_delay_alu instid0(VALU_DEP_1) | instskip(NEXT) | instid1(VALU_DEP_1)
	v_mul_f32_e32 v9, v10, v6
	v_fma_f32 v11, -v5, v9, v10
	s_delay_alu instid0(VALU_DEP_1) | instskip(NEXT) | instid1(VALU_DEP_1)
	v_fmac_f32_e32 v9, v11, v6
	v_fma_f32 v5, -v5, v9, v10
	s_delay_alu instid0(VALU_DEP_1) | instskip(NEXT) | instid1(VALU_DEP_1)
	v_div_fmas_f32 v5, v5, v6, v9
	v_div_fixup_f32 v5, v5, v4, v3
	s_delay_alu instid0(VALU_DEP_1) | instskip(NEXT) | instid1(VALU_DEP_1)
	v_fma_f32 v6, v3, v5, v4
	v_div_scale_f32 v9, null, v6, v6, 1.0
	v_div_scale_f32 v12, vcc_lo, 1.0, v6, 1.0
	s_delay_alu instid0(VALU_DEP_2) | instskip(SKIP_2) | instid1(VALU_DEP_1)
	v_rcp_f32_e32 v10, v9
	s_waitcnt_depctr 0xfff
	v_fma_f32 v11, -v9, v10, 1.0
	v_fmac_f32_e32 v10, v11, v10
	s_delay_alu instid0(VALU_DEP_1) | instskip(NEXT) | instid1(VALU_DEP_1)
	v_mul_f32_e32 v11, v12, v10
	v_fma_f32 v13, -v9, v11, v12
	s_delay_alu instid0(VALU_DEP_1) | instskip(NEXT) | instid1(VALU_DEP_1)
	v_fmac_f32_e32 v11, v13, v10
	v_fma_f32 v9, -v9, v11, v12
	s_delay_alu instid0(VALU_DEP_1) | instskip(SKIP_1) | instid1(VALU_DEP_2)
	v_div_fmas_f32 v9, v9, v10, v11
	v_fma_f32 v10, v1, v5, v2
	v_div_fixup_f32 v6, v9, v6, 1.0
	v_fma_f32 v9, v2, v5, -v1
	s_delay_alu instid0(VALU_DEP_2) | instskip(NEXT) | instid1(VALU_DEP_2)
	v_mul_f32_e32 v5, v10, v6
	v_mul_f32_e32 v6, v9, v6
	s_cbranch_execnz .LBB167_64
	s_branch .LBB167_76
.LBB167_75:                             ;   in Loop: Header=BB167_65 Depth=1
                                        ; implicit-def: $vgpr5
.LBB167_76:                             ;   in Loop: Header=BB167_65 Depth=1
	v_div_scale_f32 v5, null, v3, v3, v4
	v_div_scale_f32 v10, vcc_lo, v4, v3, v4
	s_delay_alu instid0(VALU_DEP_2) | instskip(SKIP_2) | instid1(VALU_DEP_1)
	v_rcp_f32_e32 v6, v5
	s_waitcnt_depctr 0xfff
	v_fma_f32 v9, -v5, v6, 1.0
	v_fmac_f32_e32 v6, v9, v6
	s_delay_alu instid0(VALU_DEP_1) | instskip(NEXT) | instid1(VALU_DEP_1)
	v_mul_f32_e32 v9, v10, v6
	v_fma_f32 v11, -v5, v9, v10
	s_delay_alu instid0(VALU_DEP_1) | instskip(NEXT) | instid1(VALU_DEP_1)
	v_fmac_f32_e32 v9, v11, v6
	v_fma_f32 v5, -v5, v9, v10
	s_delay_alu instid0(VALU_DEP_1) | instskip(NEXT) | instid1(VALU_DEP_1)
	v_div_fmas_f32 v5, v5, v6, v9
	v_div_fixup_f32 v5, v5, v3, v4
	s_delay_alu instid0(VALU_DEP_1) | instskip(NEXT) | instid1(VALU_DEP_1)
	v_fmac_f32_e32 v3, v4, v5
	v_div_scale_f32 v4, null, v3, v3, 1.0
	v_div_scale_f32 v10, vcc_lo, 1.0, v3, 1.0
	s_delay_alu instid0(VALU_DEP_2) | instskip(SKIP_2) | instid1(VALU_DEP_1)
	v_rcp_f32_e32 v6, v4
	s_waitcnt_depctr 0xfff
	v_fma_f32 v9, -v4, v6, 1.0
	v_fmac_f32_e32 v6, v9, v6
	s_delay_alu instid0(VALU_DEP_1) | instskip(NEXT) | instid1(VALU_DEP_1)
	v_mul_f32_e32 v9, v10, v6
	v_fma_f32 v11, -v4, v9, v10
	s_delay_alu instid0(VALU_DEP_1) | instskip(NEXT) | instid1(VALU_DEP_1)
	v_fmac_f32_e32 v9, v11, v6
	v_fma_f32 v4, -v4, v9, v10
	s_delay_alu instid0(VALU_DEP_1) | instskip(SKIP_2) | instid1(VALU_DEP_3)
	v_div_fmas_f32 v4, v4, v6, v9
	v_fma_f32 v6, v2, v5, v1
	v_fma_f32 v1, -v1, v5, v2
	v_div_fixup_f32 v3, v4, v3, 1.0
	s_delay_alu instid0(VALU_DEP_1) | instskip(NEXT) | instid1(VALU_DEP_3)
	v_mul_f32_e32 v5, v6, v3
	v_mul_f32_e32 v6, v1, v3
	s_branch .LBB167_64
.LBB167_77:
	s_mov_b32 s4, 0
.LBB167_78:
	s_delay_alu instid0(SALU_CYCLE_1)
	s_and_b32 vcc_lo, exec_lo, s4
	s_cbranch_vccz .LBB167_110
; %bb.79:
	s_and_not1_b32 vcc_lo, exec_lo, s1
	s_mov_b32 s6, s30
	s_cbranch_vccnz .LBB167_101
; %bb.80:
	v_lshlrev_b32_e32 v1, 3, v0
	s_mul_i32 s4, s11, 0xe0
	s_mov_b32 s5, s30
	s_delay_alu instid0(VALU_DEP_1) | instskip(SKIP_1) | instid1(SALU_CYCLE_1)
	v_add3_u32 v13, s4, v1, 0x16c0
	s_mul_i32 s4, s11, 0xe8
	s_addk_i32 s4, 0xfe20
.LBB167_81:                             ; =>This Loop Header: Depth=1
                                        ;     Child Loop BB167_82 Depth 2
	s_mul_i32 s7, s5, 28
	s_mov_b32 s10, s4
	s_sub_i32 s6, s7, 56
	s_sub_i32 s9, s7, 28
	v_add_lshl_u32 v5, s6, v0, 3
	v_add_lshl_u32 v6, s7, v0, 3
	;; [unrolled: 1-line block ×3, first 2 shown]
	s_cmp_le_i32 s30, s5
	s_mov_b32 s14, s30
	v_dual_mov_b32 v12, v13 :: v_dual_add_nc_u32 v1, 0x1400, v5
	ds_load_b64 v[9:10], v6 offset:6272
	ds_load_b64 v[7:8], v11 offset:6272
	ds_load_2addr_b64 v[1:4], v1 offset0:116 offset1:144
	s_cbranch_scc1 .LBB167_83
.LBB167_82:                             ;   Parent Loop BB167_81 Depth=1
                                        ; =>  This Inner Loop Header: Depth=2
	ds_load_2addr_b64 v[14:17], v12 offset1:28
	v_mov_b32_e32 v30, s10
	s_add_i32 s14, s14, -2
	s_addk_i32 s10, 0xfe40
	s_cmp_le_i32 s14, s5
	ds_load_2addr_b64 v[18:21], v30 offset0:30 offset1:31
	ds_load_2addr_b64 v[22:25], v30 offset0:28 offset1:29
	;; [unrolled: 1-line block ×3, first 2 shown]
	ds_load_2addr_b64 v[30:33], v30 offset1:1
	s_waitcnt lgkmcnt(3)
	v_dual_mul_f32 v35, v20, v17 :: v_dual_add_nc_u32 v12, 0xfffffe40, v12
	s_waitcnt lgkmcnt(2)
	v_mul_f32_e32 v37, v25, v17
	s_waitcnt lgkmcnt(1)
	v_dual_mul_f32 v38, v23, v17 :: v_dual_mul_f32 v39, v29, v15
	v_dual_mul_f32 v23, v23, v16 :: v_dual_mul_f32 v40, v28, v15
	;; [unrolled: 1-line block ×3, first 2 shown]
	v_mul_f32_e32 v41, v27, v15
	s_delay_alu instid0(VALU_DEP_3) | instskip(SKIP_3) | instid1(VALU_DEP_3)
	v_dual_fmac_f32 v23, v22, v17 :: v_dual_fmac_f32 v40, v29, v14
	v_fmac_f32_e32 v35, v21, v16
	s_waitcnt lgkmcnt(0)
	v_dual_mul_f32 v27, v27, v14 :: v_dual_mul_f32 v42, v33, v15
	v_dual_sub_f32 v2, v2, v23 :: v_dual_mul_f32 v33, v33, v14
	s_delay_alu instid0(VALU_DEP_3) | instskip(SKIP_1) | instid1(VALU_DEP_2)
	v_dual_sub_f32 v10, v10, v35 :: v_dual_fmac_f32 v25, v24, v17
	v_dual_mul_f32 v34, v21, v17 :: v_dual_mul_f32 v19, v19, v16
	v_dual_fmac_f32 v33, v32, v15 :: v_dual_sub_f32 v10, v10, v40
	s_delay_alu instid0(VALU_DEP_3) | instskip(NEXT) | instid1(VALU_DEP_3)
	v_dual_mul_f32 v43, v31, v15 :: v_dual_sub_f32 v4, v4, v25
	v_fma_f32 v20, v20, v16, -v34
	v_fma_f32 v21, v18, v16, -v36
	s_delay_alu instid0(VALU_DEP_3)
	v_dual_fmac_f32 v27, v26, v15 :: v_dual_sub_f32 v4, v4, v33
	v_fmac_f32_e32 v19, v18, v17
	v_mul_f32_e32 v31, v31, v14
	v_fma_f32 v18, v24, v16, -v37
	v_fma_f32 v16, v22, v16, -v38
	;; [unrolled: 1-line block ×3, first 2 shown]
	v_sub_f32_e32 v8, v8, v19
	v_fma_f32 v22, v26, v14, -v41
	v_fma_f32 v24, v32, v14, -v42
	;; [unrolled: 1-line block ×3, first 2 shown]
	v_fmac_f32_e32 v31, v30, v15
	v_sub_f32_e32 v9, v9, v20
	v_sub_f32_e32 v7, v7, v21
	;; [unrolled: 1-line block ×3, first 2 shown]
	s_delay_alu instid0(VALU_DEP_4) | instskip(NEXT) | instid1(VALU_DEP_4)
	v_dual_sub_f32 v1, v1, v16 :: v_dual_sub_f32 v2, v2, v31
	v_sub_f32_e32 v9, v9, v17
	s_delay_alu instid0(VALU_DEP_4) | instskip(NEXT) | instid1(VALU_DEP_4)
	v_dual_sub_f32 v7, v7, v22 :: v_dual_sub_f32 v8, v8, v27
	v_sub_f32_e32 v3, v3, v24
	s_delay_alu instid0(VALU_DEP_4)
	v_sub_f32_e32 v1, v1, v14
	s_cbranch_scc0 .LBB167_82
.LBB167_83:                             ;   in Loop: Header=BB167_81 Depth=1
	s_mul_i32 s10, s5, 0xe8
	v_add_nc_u32_e32 v16, 0x1880, v11
	v_add_nc_u32_e32 v15, 0x1880, v5
	v_dual_mov_b32 v5, s10 :: v_dual_add_nc_u32 v14, 0x17a0, v5
	v_add_nc_u32_e32 v17, 0x1880, v6
	ds_load_b64 v[11:12], v5
	s_waitcnt lgkmcnt(0)
	v_cmp_gt_f32_e32 vcc_lo, 0, v11
	v_cndmask_b32_e64 v5, v11, -v11, vcc_lo
	v_cmp_gt_f32_e32 vcc_lo, 0, v12
	v_cndmask_b32_e64 v6, v12, -v12, vcc_lo
	s_delay_alu instid0(VALU_DEP_1)
	v_cmp_ngt_f32_e32 vcc_lo, v5, v6
	s_cbranch_vccz .LBB167_85
; %bb.84:                               ;   in Loop: Header=BB167_81 Depth=1
	v_div_scale_f32 v5, null, v12, v12, v11
	v_div_scale_f32 v19, vcc_lo, v11, v12, v11
	s_delay_alu instid0(VALU_DEP_2) | instskip(SKIP_2) | instid1(VALU_DEP_1)
	v_rcp_f32_e32 v6, v5
	s_waitcnt_depctr 0xfff
	v_fma_f32 v18, -v5, v6, 1.0
	v_fmac_f32_e32 v6, v18, v6
	s_delay_alu instid0(VALU_DEP_1) | instskip(NEXT) | instid1(VALU_DEP_1)
	v_mul_f32_e32 v18, v19, v6
	v_fma_f32 v20, -v5, v18, v19
	s_delay_alu instid0(VALU_DEP_1) | instskip(NEXT) | instid1(VALU_DEP_1)
	v_fmac_f32_e32 v18, v20, v6
	v_fma_f32 v5, -v5, v18, v19
	s_delay_alu instid0(VALU_DEP_1) | instskip(NEXT) | instid1(VALU_DEP_1)
	v_div_fmas_f32 v5, v5, v6, v18
	v_div_fixup_f32 v5, v5, v12, v11
	s_delay_alu instid0(VALU_DEP_1) | instskip(NEXT) | instid1(VALU_DEP_1)
	v_fma_f32 v6, v11, v5, v12
	v_div_scale_f32 v18, null, v6, v6, 1.0
	v_div_scale_f32 v21, vcc_lo, 1.0, v6, 1.0
	s_delay_alu instid0(VALU_DEP_2) | instskip(SKIP_2) | instid1(VALU_DEP_1)
	v_rcp_f32_e32 v19, v18
	s_waitcnt_depctr 0xfff
	v_fma_f32 v20, -v18, v19, 1.0
	v_fmac_f32_e32 v19, v20, v19
	s_delay_alu instid0(VALU_DEP_1) | instskip(NEXT) | instid1(VALU_DEP_1)
	v_mul_f32_e32 v20, v21, v19
	v_fma_f32 v22, -v18, v20, v21
	s_delay_alu instid0(VALU_DEP_1) | instskip(NEXT) | instid1(VALU_DEP_1)
	v_fmac_f32_e32 v20, v22, v19
	v_fma_f32 v18, -v18, v20, v21
	s_delay_alu instid0(VALU_DEP_1) | instskip(SKIP_1) | instid1(VALU_DEP_2)
	v_div_fmas_f32 v18, v18, v19, v20
	v_fma_f32 v19, v9, v5, v10
	v_div_fixup_f32 v6, v18, v6, 1.0
	v_fma_f32 v18, v10, v5, -v9
	s_delay_alu instid0(VALU_DEP_2) | instskip(NEXT) | instid1(VALU_DEP_2)
	v_mul_f32_e32 v5, v19, v6
	v_mul_f32_e32 v6, v18, v6
	s_cbranch_execz .LBB167_86
	s_branch .LBB167_87
.LBB167_85:                             ;   in Loop: Header=BB167_81 Depth=1
                                        ; implicit-def: $vgpr6
.LBB167_86:                             ;   in Loop: Header=BB167_81 Depth=1
	v_div_scale_f32 v5, null, v11, v11, v12
	v_div_scale_f32 v19, vcc_lo, v12, v11, v12
	s_delay_alu instid0(VALU_DEP_2) | instskip(SKIP_2) | instid1(VALU_DEP_1)
	v_rcp_f32_e32 v6, v5
	s_waitcnt_depctr 0xfff
	v_fma_f32 v18, -v5, v6, 1.0
	v_fmac_f32_e32 v6, v18, v6
	s_delay_alu instid0(VALU_DEP_1) | instskip(NEXT) | instid1(VALU_DEP_1)
	v_mul_f32_e32 v18, v19, v6
	v_fma_f32 v20, -v5, v18, v19
	s_delay_alu instid0(VALU_DEP_1) | instskip(NEXT) | instid1(VALU_DEP_1)
	v_fmac_f32_e32 v18, v20, v6
	v_fma_f32 v5, -v5, v18, v19
	s_delay_alu instid0(VALU_DEP_1) | instskip(NEXT) | instid1(VALU_DEP_1)
	v_div_fmas_f32 v5, v5, v6, v18
	v_div_fixup_f32 v5, v5, v11, v12
	s_delay_alu instid0(VALU_DEP_1) | instskip(NEXT) | instid1(VALU_DEP_1)
	v_fmac_f32_e32 v11, v12, v5
	v_div_scale_f32 v6, null, v11, v11, 1.0
	v_div_scale_f32 v19, vcc_lo, 1.0, v11, 1.0
	s_delay_alu instid0(VALU_DEP_2) | instskip(SKIP_2) | instid1(VALU_DEP_1)
	v_rcp_f32_e32 v12, v6
	s_waitcnt_depctr 0xfff
	v_fma_f32 v18, -v6, v12, 1.0
	v_fmac_f32_e32 v12, v18, v12
	s_delay_alu instid0(VALU_DEP_1) | instskip(NEXT) | instid1(VALU_DEP_1)
	v_mul_f32_e32 v18, v19, v12
	v_fma_f32 v20, -v6, v18, v19
	s_delay_alu instid0(VALU_DEP_1) | instskip(NEXT) | instid1(VALU_DEP_1)
	v_fmac_f32_e32 v18, v20, v12
	v_fma_f32 v6, -v6, v18, v19
	s_delay_alu instid0(VALU_DEP_1) | instskip(SKIP_2) | instid1(VALU_DEP_3)
	v_div_fmas_f32 v6, v6, v12, v18
	v_fma_f32 v12, v10, v5, v9
	v_fma_f32 v9, -v9, v5, v10
	v_div_fixup_f32 v6, v6, v11, 1.0
	s_delay_alu instid0(VALU_DEP_1) | instskip(NEXT) | instid1(VALU_DEP_3)
	v_mul_f32_e32 v5, v12, v6
	v_mul_f32_e32 v6, v9, v6
.LBB167_87:                             ;   in Loop: Header=BB167_81 Depth=1
	s_add_i32 s14, s5, s7
	s_addk_i32 s10, 0xff18
	s_lshl_b32 s14, s14, 3
	v_mov_b32_e32 v10, s10
	s_add_i32 s14, s14, -8
	s_delay_alu instid0(SALU_CYCLE_1)
	v_mov_b32_e32 v9, s14
	ds_load_b64 v[11:12], v9
	ds_load_b64 v[9:10], v10
	ds_store_b64 v17, v[5:6]
	s_waitcnt lgkmcnt(2)
	v_mul_f32_e32 v18, v6, v12
	s_waitcnt lgkmcnt(1)
	v_cmp_gt_f32_e32 vcc_lo, 0, v9
	s_delay_alu instid0(VALU_DEP_2) | instskip(SKIP_4) | instid1(VALU_DEP_2)
	v_fma_f32 v18, v5, v11, -v18
	v_cndmask_b32_e64 v19, v9, -v9, vcc_lo
	v_cmp_gt_f32_e32 vcc_lo, 0, v10
	v_mul_f32_e32 v12, v5, v12
	v_cndmask_b32_e64 v20, v10, -v10, vcc_lo
	v_dual_fmac_f32 v12, v6, v11 :: v_dual_sub_f32 v11, v7, v18
	s_delay_alu instid0(VALU_DEP_2) | instskip(NEXT) | instid1(VALU_DEP_2)
	v_cmp_ngt_f32_e32 vcc_lo, v19, v20
	v_sub_f32_e32 v12, v8, v12
	s_cbranch_vccz .LBB167_89
; %bb.88:                               ;   in Loop: Header=BB167_81 Depth=1
	v_div_scale_f32 v7, null, v10, v10, v9
	v_div_scale_f32 v18, vcc_lo, v9, v10, v9
	s_delay_alu instid0(VALU_DEP_2) | instskip(SKIP_2) | instid1(VALU_DEP_1)
	v_rcp_f32_e32 v8, v7
	s_waitcnt_depctr 0xfff
	v_fma_f32 v17, -v7, v8, 1.0
	v_fmac_f32_e32 v8, v17, v8
	s_delay_alu instid0(VALU_DEP_1) | instskip(NEXT) | instid1(VALU_DEP_1)
	v_mul_f32_e32 v17, v18, v8
	v_fma_f32 v19, -v7, v17, v18
	s_delay_alu instid0(VALU_DEP_1) | instskip(NEXT) | instid1(VALU_DEP_1)
	v_fmac_f32_e32 v17, v19, v8
	v_fma_f32 v7, -v7, v17, v18
	s_delay_alu instid0(VALU_DEP_1) | instskip(NEXT) | instid1(VALU_DEP_1)
	v_div_fmas_f32 v7, v7, v8, v17
	v_div_fixup_f32 v7, v7, v10, v9
	s_delay_alu instid0(VALU_DEP_1) | instskip(NEXT) | instid1(VALU_DEP_1)
	v_fma_f32 v8, v9, v7, v10
	v_div_scale_f32 v17, null, v8, v8, 1.0
	v_div_scale_f32 v20, vcc_lo, 1.0, v8, 1.0
	s_delay_alu instid0(VALU_DEP_2) | instskip(SKIP_2) | instid1(VALU_DEP_1)
	v_rcp_f32_e32 v18, v17
	s_waitcnt_depctr 0xfff
	v_fma_f32 v19, -v17, v18, 1.0
	v_fmac_f32_e32 v18, v19, v18
	s_delay_alu instid0(VALU_DEP_1) | instskip(NEXT) | instid1(VALU_DEP_1)
	v_mul_f32_e32 v19, v20, v18
	v_fma_f32 v21, -v17, v19, v20
	s_delay_alu instid0(VALU_DEP_1) | instskip(NEXT) | instid1(VALU_DEP_1)
	v_fmac_f32_e32 v19, v21, v18
	v_fma_f32 v17, -v17, v19, v20
	s_delay_alu instid0(VALU_DEP_1) | instskip(SKIP_1) | instid1(VALU_DEP_2)
	v_div_fmas_f32 v17, v17, v18, v19
	v_fma_f32 v18, v7, v11, v12
	v_div_fixup_f32 v8, v17, v8, 1.0
	v_fma_f32 v17, v7, v12, -v11
	s_delay_alu instid0(VALU_DEP_2) | instskip(NEXT) | instid1(VALU_DEP_2)
	v_mul_f32_e32 v7, v18, v8
	v_mul_f32_e32 v8, v17, v8
	s_cbranch_execz .LBB167_90
	s_branch .LBB167_91
.LBB167_89:                             ;   in Loop: Header=BB167_81 Depth=1
                                        ; implicit-def: $vgpr8
.LBB167_90:                             ;   in Loop: Header=BB167_81 Depth=1
	v_div_scale_f32 v7, null, v9, v9, v10
	v_div_scale_f32 v18, vcc_lo, v10, v9, v10
	s_delay_alu instid0(VALU_DEP_2) | instskip(SKIP_2) | instid1(VALU_DEP_1)
	v_rcp_f32_e32 v8, v7
	s_waitcnt_depctr 0xfff
	v_fma_f32 v17, -v7, v8, 1.0
	v_fmac_f32_e32 v8, v17, v8
	s_delay_alu instid0(VALU_DEP_1) | instskip(NEXT) | instid1(VALU_DEP_1)
	v_mul_f32_e32 v17, v18, v8
	v_fma_f32 v19, -v7, v17, v18
	s_delay_alu instid0(VALU_DEP_1) | instskip(NEXT) | instid1(VALU_DEP_1)
	v_fmac_f32_e32 v17, v19, v8
	v_fma_f32 v7, -v7, v17, v18
	s_delay_alu instid0(VALU_DEP_1) | instskip(NEXT) | instid1(VALU_DEP_1)
	v_div_fmas_f32 v7, v7, v8, v17
	v_div_fixup_f32 v7, v7, v9, v10
	s_delay_alu instid0(VALU_DEP_1) | instskip(NEXT) | instid1(VALU_DEP_1)
	v_fmac_f32_e32 v9, v10, v7
	v_div_scale_f32 v8, null, v9, v9, 1.0
	v_div_scale_f32 v18, vcc_lo, 1.0, v9, 1.0
	s_delay_alu instid0(VALU_DEP_2) | instskip(SKIP_2) | instid1(VALU_DEP_1)
	v_rcp_f32_e32 v10, v8
	s_waitcnt_depctr 0xfff
	v_fma_f32 v17, -v8, v10, 1.0
	v_fmac_f32_e32 v10, v17, v10
	s_delay_alu instid0(VALU_DEP_1) | instskip(NEXT) | instid1(VALU_DEP_1)
	v_mul_f32_e32 v17, v18, v10
	v_fma_f32 v19, -v8, v17, v18
	s_delay_alu instid0(VALU_DEP_1) | instskip(NEXT) | instid1(VALU_DEP_1)
	v_fmac_f32_e32 v17, v19, v10
	v_fma_f32 v8, -v8, v17, v18
	s_delay_alu instid0(VALU_DEP_1) | instskip(SKIP_1) | instid1(VALU_DEP_2)
	v_div_fmas_f32 v8, v8, v10, v17
	v_fma_f32 v10, v7, v12, v11
	v_div_fixup_f32 v8, v8, v9, 1.0
	v_fma_f32 v9, -v7, v11, v12
	s_delay_alu instid0(VALU_DEP_2) | instskip(NEXT) | instid1(VALU_DEP_2)
	v_mul_f32_e32 v7, v10, v8
	v_mul_f32_e32 v8, v9, v8
.LBB167_91:                             ;   in Loop: Header=BB167_81 Depth=1
	s_add_i32 s14, s5, -2
	s_addk_i32 s10, 0xff18
	s_add_i32 s15, s7, s14
	s_add_i32 s14, s9, s14
	s_lshl_b32 s15, s15, 3
	s_lshl_b32 s14, s14, 3
	s_delay_alu instid0(SALU_CYCLE_1)
	v_dual_mov_b32 v9, s15 :: v_dual_mov_b32 v10, s14
	v_mov_b32_e32 v19, s10
	ds_load_b64 v[11:12], v9
	ds_load_b64 v[17:18], v10
	;; [unrolled: 1-line block ×3, first 2 shown]
	ds_store_b64 v16, v[7:8]
	s_waitcnt lgkmcnt(2)
	v_dual_mul_f32 v19, v6, v12 :: v_dual_mul_f32 v20, v8, v18
	s_waitcnt lgkmcnt(1)
	v_cmp_gt_f32_e32 vcc_lo, 0, v9
	v_mul_f32_e32 v12, v5, v12
	v_mul_f32_e32 v18, v7, v18
	v_fma_f32 v19, v5, v11, -v19
	v_fma_f32 v20, v7, v17, -v20
	v_cndmask_b32_e64 v21, v9, -v9, vcc_lo
	v_cmp_gt_f32_e32 vcc_lo, 0, v10
	s_delay_alu instid0(VALU_DEP_4) | instskip(SKIP_2) | instid1(VALU_DEP_3)
	v_dual_fmac_f32 v18, v8, v17 :: v_dual_sub_f32 v3, v3, v19
	v_fmac_f32_e32 v12, v6, v11
	v_cndmask_b32_e64 v11, v10, -v10, vcc_lo
	v_sub_f32_e32 v3, v3, v20
	s_delay_alu instid0(VALU_DEP_3) | instskip(NEXT) | instid1(VALU_DEP_3)
	v_sub_f32_e32 v4, v4, v12
	v_cmp_ngt_f32_e32 vcc_lo, v21, v11
	s_delay_alu instid0(VALU_DEP_2)
	v_sub_f32_e32 v4, v4, v18
	s_cbranch_vccz .LBB167_93
; %bb.92:                               ;   in Loop: Header=BB167_81 Depth=1
	v_div_scale_f32 v11, null, v10, v10, v9
	v_div_scale_f32 v17, vcc_lo, v9, v10, v9
	s_delay_alu instid0(VALU_DEP_2) | instskip(SKIP_2) | instid1(VALU_DEP_1)
	v_rcp_f32_e32 v12, v11
	s_waitcnt_depctr 0xfff
	v_fma_f32 v16, -v11, v12, 1.0
	v_fmac_f32_e32 v12, v16, v12
	s_delay_alu instid0(VALU_DEP_1) | instskip(NEXT) | instid1(VALU_DEP_1)
	v_mul_f32_e32 v16, v17, v12
	v_fma_f32 v18, -v11, v16, v17
	s_delay_alu instid0(VALU_DEP_1) | instskip(NEXT) | instid1(VALU_DEP_1)
	v_fmac_f32_e32 v16, v18, v12
	v_fma_f32 v11, -v11, v16, v17
	s_delay_alu instid0(VALU_DEP_1) | instskip(NEXT) | instid1(VALU_DEP_1)
	v_div_fmas_f32 v11, v11, v12, v16
	v_div_fixup_f32 v11, v11, v10, v9
	s_delay_alu instid0(VALU_DEP_1) | instskip(NEXT) | instid1(VALU_DEP_1)
	v_fma_f32 v12, v9, v11, v10
	v_div_scale_f32 v16, null, v12, v12, 1.0
	v_div_scale_f32 v19, vcc_lo, 1.0, v12, 1.0
	s_delay_alu instid0(VALU_DEP_2) | instskip(SKIP_2) | instid1(VALU_DEP_1)
	v_rcp_f32_e32 v17, v16
	s_waitcnt_depctr 0xfff
	v_fma_f32 v18, -v16, v17, 1.0
	v_fmac_f32_e32 v17, v18, v17
	s_delay_alu instid0(VALU_DEP_1) | instskip(NEXT) | instid1(VALU_DEP_1)
	v_mul_f32_e32 v18, v19, v17
	v_fma_f32 v20, -v16, v18, v19
	s_delay_alu instid0(VALU_DEP_1) | instskip(NEXT) | instid1(VALU_DEP_1)
	v_fmac_f32_e32 v18, v20, v17
	v_fma_f32 v16, -v16, v18, v19
	s_delay_alu instid0(VALU_DEP_1) | instskip(SKIP_1) | instid1(VALU_DEP_2)
	v_div_fmas_f32 v16, v16, v17, v18
	v_fma_f32 v17, v11, v3, v4
	v_div_fixup_f32 v12, v16, v12, 1.0
	v_fma_f32 v16, v11, v4, -v3
	s_delay_alu instid0(VALU_DEP_2) | instskip(NEXT) | instid1(VALU_DEP_2)
	v_mul_f32_e32 v11, v17, v12
	v_mul_f32_e32 v12, v16, v12
	s_cbranch_execz .LBB167_94
	s_branch .LBB167_95
.LBB167_93:                             ;   in Loop: Header=BB167_81 Depth=1
                                        ; implicit-def: $vgpr12
.LBB167_94:                             ;   in Loop: Header=BB167_81 Depth=1
	v_div_scale_f32 v11, null, v9, v9, v10
	v_div_scale_f32 v17, vcc_lo, v10, v9, v10
	s_delay_alu instid0(VALU_DEP_2) | instskip(SKIP_2) | instid1(VALU_DEP_1)
	v_rcp_f32_e32 v12, v11
	s_waitcnt_depctr 0xfff
	v_fma_f32 v16, -v11, v12, 1.0
	v_fmac_f32_e32 v12, v16, v12
	s_delay_alu instid0(VALU_DEP_1) | instskip(NEXT) | instid1(VALU_DEP_1)
	v_mul_f32_e32 v16, v17, v12
	v_fma_f32 v18, -v11, v16, v17
	s_delay_alu instid0(VALU_DEP_1) | instskip(NEXT) | instid1(VALU_DEP_1)
	v_fmac_f32_e32 v16, v18, v12
	v_fma_f32 v11, -v11, v16, v17
	s_delay_alu instid0(VALU_DEP_1) | instskip(NEXT) | instid1(VALU_DEP_1)
	v_div_fmas_f32 v11, v11, v12, v16
	v_div_fixup_f32 v11, v11, v9, v10
	s_delay_alu instid0(VALU_DEP_1) | instskip(NEXT) | instid1(VALU_DEP_1)
	v_fmac_f32_e32 v9, v10, v11
	v_div_scale_f32 v10, null, v9, v9, 1.0
	v_div_scale_f32 v17, vcc_lo, 1.0, v9, 1.0
	s_delay_alu instid0(VALU_DEP_2) | instskip(SKIP_2) | instid1(VALU_DEP_1)
	v_rcp_f32_e32 v12, v10
	s_waitcnt_depctr 0xfff
	v_fma_f32 v16, -v10, v12, 1.0
	v_fmac_f32_e32 v12, v16, v12
	s_delay_alu instid0(VALU_DEP_1) | instskip(NEXT) | instid1(VALU_DEP_1)
	v_mul_f32_e32 v16, v17, v12
	v_fma_f32 v18, -v10, v16, v17
	s_delay_alu instid0(VALU_DEP_1) | instskip(NEXT) | instid1(VALU_DEP_1)
	v_fmac_f32_e32 v16, v18, v12
	v_fma_f32 v10, -v10, v16, v17
	s_delay_alu instid0(VALU_DEP_1) | instskip(SKIP_2) | instid1(VALU_DEP_3)
	v_div_fmas_f32 v10, v10, v12, v16
	v_fma_f32 v12, v11, v4, v3
	v_fma_f32 v3, -v11, v3, v4
	v_div_fixup_f32 v9, v10, v9, 1.0
	s_delay_alu instid0(VALU_DEP_1) | instskip(NEXT) | instid1(VALU_DEP_3)
	v_mul_f32_e32 v11, v12, v9
	v_mul_f32_e32 v12, v3, v9
.LBB167_95:                             ;   in Loop: Header=BB167_81 Depth=1
	s_add_i32 s14, s5, -3
	s_delay_alu instid0(SALU_CYCLE_1) | instskip(SKIP_3) | instid1(SALU_CYCLE_1)
	s_add_i32 s7, s7, s14
	s_add_i32 s9, s9, s14
	s_lshl_b32 s7, s7, 3
	s_lshl_b32 s9, s9, 3
	v_dual_mov_b32 v3, s7 :: v_dual_mov_b32 v4, s9
	s_add_i32 s6, s6, s14
	s_delay_alu instid0(SALU_CYCLE_1) | instskip(SKIP_4) | instid1(SALU_CYCLE_1)
	s_lshl_b32 s6, s6, 3
	ds_load_b64 v[9:10], v3
	ds_load_b64 v[16:17], v4
	v_mov_b32_e32 v18, s6
	s_add_i32 s6, s10, 0xffffff18
	v_mov_b32_e32 v3, s6
	ds_load_b64 v[18:19], v18
	ds_load_b64 v[3:4], v3
	ds_store_b64 v15, v[11:12]
	s_waitcnt lgkmcnt(3)
	v_dual_mul_f32 v20, v6, v10 :: v_dual_mul_f32 v21, v8, v17
	v_dual_mul_f32 v10, v5, v10 :: v_dual_mul_f32 v17, v7, v17
	s_delay_alu instid0(VALU_DEP_2) | instskip(NEXT) | instid1(VALU_DEP_3)
	v_fma_f32 v5, v5, v9, -v20
	v_fma_f32 v7, v7, v16, -v21
	s_delay_alu instid0(VALU_DEP_3)
	v_fmac_f32_e32 v10, v6, v9
	s_waitcnt lgkmcnt(2)
	v_mul_f32_e32 v22, v12, v19
	s_waitcnt lgkmcnt(1)
	v_cmp_gt_f32_e32 vcc_lo, 0, v3
	v_sub_f32_e32 v1, v1, v5
	v_mul_f32_e32 v19, v11, v19
	v_dual_fmac_f32 v17, v8, v16 :: v_dual_sub_f32 v2, v2, v10
	v_cndmask_b32_e64 v6, v3, -v3, vcc_lo
	v_cmp_gt_f32_e32 vcc_lo, 0, v4
	v_fma_f32 v8, v11, v18, -v22
	s_delay_alu instid0(VALU_DEP_4) | instskip(SKIP_2) | instid1(VALU_DEP_1)
	v_dual_fmac_f32 v19, v12, v18 :: v_dual_sub_f32 v2, v2, v17
	v_sub_f32_e32 v1, v1, v7
	v_cndmask_b32_e64 v5, v4, -v4, vcc_lo
	v_cmp_ngt_f32_e32 vcc_lo, v6, v5
	s_delay_alu instid0(VALU_DEP_3)
	v_dual_sub_f32 v5, v1, v8 :: v_dual_sub_f32 v6, v2, v19
	s_cbranch_vccz .LBB167_97
; %bb.96:                               ;   in Loop: Header=BB167_81 Depth=1
	v_div_scale_f32 v1, null, v4, v4, v3
	v_div_scale_f32 v8, vcc_lo, v3, v4, v3
	s_delay_alu instid0(VALU_DEP_2) | instskip(SKIP_2) | instid1(VALU_DEP_1)
	v_rcp_f32_e32 v2, v1
	s_waitcnt_depctr 0xfff
	v_fma_f32 v7, -v1, v2, 1.0
	v_fmac_f32_e32 v2, v7, v2
	s_delay_alu instid0(VALU_DEP_1) | instskip(NEXT) | instid1(VALU_DEP_1)
	v_mul_f32_e32 v7, v8, v2
	v_fma_f32 v9, -v1, v7, v8
	s_delay_alu instid0(VALU_DEP_1) | instskip(NEXT) | instid1(VALU_DEP_1)
	v_fmac_f32_e32 v7, v9, v2
	v_fma_f32 v1, -v1, v7, v8
	s_delay_alu instid0(VALU_DEP_1) | instskip(NEXT) | instid1(VALU_DEP_1)
	v_div_fmas_f32 v1, v1, v2, v7
	v_div_fixup_f32 v1, v1, v4, v3
	s_delay_alu instid0(VALU_DEP_1) | instskip(NEXT) | instid1(VALU_DEP_1)
	v_fma_f32 v2, v3, v1, v4
	v_div_scale_f32 v7, null, v2, v2, 1.0
	v_div_scale_f32 v10, vcc_lo, 1.0, v2, 1.0
	s_delay_alu instid0(VALU_DEP_2) | instskip(SKIP_2) | instid1(VALU_DEP_1)
	v_rcp_f32_e32 v8, v7
	s_waitcnt_depctr 0xfff
	v_fma_f32 v9, -v7, v8, 1.0
	v_fmac_f32_e32 v8, v9, v8
	s_delay_alu instid0(VALU_DEP_1) | instskip(NEXT) | instid1(VALU_DEP_1)
	v_mul_f32_e32 v9, v10, v8
	v_fma_f32 v11, -v7, v9, v10
	s_delay_alu instid0(VALU_DEP_1) | instskip(NEXT) | instid1(VALU_DEP_1)
	v_fmac_f32_e32 v9, v11, v8
	v_fma_f32 v7, -v7, v9, v10
	s_delay_alu instid0(VALU_DEP_1) | instskip(SKIP_1) | instid1(VALU_DEP_2)
	v_div_fmas_f32 v7, v7, v8, v9
	v_fma_f32 v8, v1, v5, v6
	v_div_fixup_f32 v2, v7, v2, 1.0
	v_fma_f32 v7, v1, v6, -v5
	s_delay_alu instid0(VALU_DEP_2) | instskip(NEXT) | instid1(VALU_DEP_2)
	v_mul_f32_e32 v1, v8, v2
	v_mul_f32_e32 v2, v7, v2
	s_cbranch_execz .LBB167_98
	s_branch .LBB167_99
.LBB167_97:                             ;   in Loop: Header=BB167_81 Depth=1
                                        ; implicit-def: $vgpr2
.LBB167_98:                             ;   in Loop: Header=BB167_81 Depth=1
	v_div_scale_f32 v1, null, v3, v3, v4
	v_div_scale_f32 v8, vcc_lo, v4, v3, v4
	s_delay_alu instid0(VALU_DEP_2) | instskip(SKIP_2) | instid1(VALU_DEP_1)
	v_rcp_f32_e32 v2, v1
	s_waitcnt_depctr 0xfff
	v_fma_f32 v7, -v1, v2, 1.0
	v_fmac_f32_e32 v2, v7, v2
	s_delay_alu instid0(VALU_DEP_1) | instskip(NEXT) | instid1(VALU_DEP_1)
	v_mul_f32_e32 v7, v8, v2
	v_fma_f32 v9, -v1, v7, v8
	s_delay_alu instid0(VALU_DEP_1) | instskip(NEXT) | instid1(VALU_DEP_1)
	v_fmac_f32_e32 v7, v9, v2
	v_fma_f32 v1, -v1, v7, v8
	s_delay_alu instid0(VALU_DEP_1) | instskip(NEXT) | instid1(VALU_DEP_1)
	v_div_fmas_f32 v1, v1, v2, v7
	v_div_fixup_f32 v1, v1, v3, v4
	s_delay_alu instid0(VALU_DEP_1) | instskip(NEXT) | instid1(VALU_DEP_1)
	v_fmac_f32_e32 v3, v4, v1
	v_div_scale_f32 v2, null, v3, v3, 1.0
	v_div_scale_f32 v8, vcc_lo, 1.0, v3, 1.0
	s_delay_alu instid0(VALU_DEP_2) | instskip(SKIP_2) | instid1(VALU_DEP_1)
	v_rcp_f32_e32 v4, v2
	s_waitcnt_depctr 0xfff
	v_fma_f32 v7, -v2, v4, 1.0
	v_fmac_f32_e32 v4, v7, v4
	s_delay_alu instid0(VALU_DEP_1) | instskip(NEXT) | instid1(VALU_DEP_1)
	v_mul_f32_e32 v7, v8, v4
	v_fma_f32 v9, -v2, v7, v8
	s_delay_alu instid0(VALU_DEP_1) | instskip(NEXT) | instid1(VALU_DEP_1)
	v_fmac_f32_e32 v7, v9, v4
	v_fma_f32 v2, -v2, v7, v8
	s_delay_alu instid0(VALU_DEP_1) | instskip(SKIP_1) | instid1(VALU_DEP_2)
	v_div_fmas_f32 v2, v2, v4, v7
	v_fma_f32 v4, v1, v6, v5
	v_div_fixup_f32 v2, v2, v3, 1.0
	v_fma_f32 v3, -v1, v5, v6
	s_delay_alu instid0(VALU_DEP_2) | instskip(NEXT) | instid1(VALU_DEP_2)
	v_mul_f32_e32 v1, v4, v2
	v_mul_f32_e32 v2, v3, v2
.LBB167_99:                             ;   in Loop: Header=BB167_81 Depth=1
	s_add_i32 s6, s5, -4
	s_sub_i32 s4, s4, 32
	s_cmp_lt_i32 s5, 7
	ds_store_b64 v14, v[1:2]
	s_cbranch_scc1 .LBB167_101
; %bb.100:                              ;   in Loop: Header=BB167_81 Depth=1
	s_mov_b32 s5, s6
	s_branch .LBB167_81
.LBB167_101:
	s_cmp_lt_i32 s6, 0
	s_cbranch_scc1 .LBB167_110
; %bb.102:
	v_lshlrev_b32_e32 v1, 3, v0
	s_mul_i32 s4, s11, 0xe0
	s_lshl_b32 s5, s6, 3
	s_delay_alu instid0(VALU_DEP_1) | instskip(SKIP_1) | instid1(SALU_CYCLE_1)
	v_add3_u32 v7, s4, v1, 0x17a0
	s_add_i32 s4, s4, s5
	s_addk_i32 s4, 0xff20
	s_branch .LBB167_104
.LBB167_103:                            ;   in Loop: Header=BB167_104 Depth=1
	s_add_i32 s5, s6, -1
	s_add_i32 s4, s4, -8
	s_cmp_lt_i32 s6, 1
	s_mov_b32 s6, s5
	ds_store_b64 v8, v[5:6]
	s_cbranch_scc1 .LBB167_110
.LBB167_104:                            ; =>This Loop Header: Depth=1
                                        ;     Child Loop BB167_105 Depth 2
	s_mul_i32 s5, s6, 28
	v_mov_b32_e32 v4, v7
	v_add_lshl_u32 v3, s5, v0, 3
	s_cmp_le_i32 s30, s6
	s_mov_b32 s5, s4
	s_mov_b32 s7, s30
	ds_load_b64 v[1:2], v3 offset:6272
	s_cbranch_scc1 .LBB167_106
	.p2align	6
.LBB167_105:                            ;   Parent Loop BB167_104 Depth=1
                                        ; =>  This Inner Loop Header: Depth=2
	v_mov_b32_e32 v8, s5
	s_add_i32 s7, s7, -1
	s_addk_i32 s5, 0xff20
	s_cmp_le_i32 s7, s6
	ds_load_b64 v[5:6], v4
	ds_load_b64 v[8:9], v8
	v_add_nc_u32_e32 v4, 0xffffff20, v4
	s_waitcnt lgkmcnt(0)
	v_mul_f32_e32 v10, v9, v6
	v_mul_f32_e32 v6, v8, v6
	s_delay_alu instid0(VALU_DEP_2) | instskip(NEXT) | instid1(VALU_DEP_1)
	v_fma_f32 v8, v8, v5, -v10
	v_sub_f32_e32 v1, v1, v8
	s_delay_alu instid0(VALU_DEP_3) | instskip(NEXT) | instid1(VALU_DEP_1)
	v_fmac_f32_e32 v6, v9, v5
	v_sub_f32_e32 v2, v2, v6
	s_cbranch_scc0 .LBB167_105
.LBB167_106:                            ;   in Loop: Header=BB167_104 Depth=1
	s_mul_i32 s5, s6, 0xe8
	s_delay_alu instid0(SALU_CYCLE_1)
	v_dual_mov_b32 v3, s5 :: v_dual_add_nc_u32 v8, 0x1880, v3
	ds_load_b64 v[3:4], v3
	s_waitcnt lgkmcnt(0)
	v_cmp_gt_f32_e32 vcc_lo, 0, v3
	v_cndmask_b32_e64 v5, v3, -v3, vcc_lo
	v_cmp_gt_f32_e32 vcc_lo, 0, v4
	v_cndmask_b32_e64 v6, v4, -v4, vcc_lo
	s_delay_alu instid0(VALU_DEP_1)
	v_cmp_ngt_f32_e32 vcc_lo, v5, v6
	s_cbranch_vccz .LBB167_108
; %bb.107:                              ;   in Loop: Header=BB167_104 Depth=1
	v_div_scale_f32 v5, null, v4, v4, v3
	v_div_scale_f32 v10, vcc_lo, v3, v4, v3
	s_delay_alu instid0(VALU_DEP_2) | instskip(SKIP_2) | instid1(VALU_DEP_1)
	v_rcp_f32_e32 v6, v5
	s_waitcnt_depctr 0xfff
	v_fma_f32 v9, -v5, v6, 1.0
	v_fmac_f32_e32 v6, v9, v6
	s_delay_alu instid0(VALU_DEP_1) | instskip(NEXT) | instid1(VALU_DEP_1)
	v_mul_f32_e32 v9, v10, v6
	v_fma_f32 v11, -v5, v9, v10
	s_delay_alu instid0(VALU_DEP_1) | instskip(NEXT) | instid1(VALU_DEP_1)
	v_fmac_f32_e32 v9, v11, v6
	v_fma_f32 v5, -v5, v9, v10
	s_delay_alu instid0(VALU_DEP_1) | instskip(NEXT) | instid1(VALU_DEP_1)
	v_div_fmas_f32 v5, v5, v6, v9
	v_div_fixup_f32 v5, v5, v4, v3
	s_delay_alu instid0(VALU_DEP_1) | instskip(NEXT) | instid1(VALU_DEP_1)
	v_fma_f32 v6, v3, v5, v4
	v_div_scale_f32 v9, null, v6, v6, 1.0
	v_div_scale_f32 v12, vcc_lo, 1.0, v6, 1.0
	s_delay_alu instid0(VALU_DEP_2) | instskip(SKIP_2) | instid1(VALU_DEP_1)
	v_rcp_f32_e32 v10, v9
	s_waitcnt_depctr 0xfff
	v_fma_f32 v11, -v9, v10, 1.0
	v_fmac_f32_e32 v10, v11, v10
	s_delay_alu instid0(VALU_DEP_1) | instskip(NEXT) | instid1(VALU_DEP_1)
	v_mul_f32_e32 v11, v12, v10
	v_fma_f32 v13, -v9, v11, v12
	s_delay_alu instid0(VALU_DEP_1) | instskip(NEXT) | instid1(VALU_DEP_1)
	v_fmac_f32_e32 v11, v13, v10
	v_fma_f32 v9, -v9, v11, v12
	s_delay_alu instid0(VALU_DEP_1) | instskip(SKIP_1) | instid1(VALU_DEP_2)
	v_div_fmas_f32 v9, v9, v10, v11
	v_fma_f32 v10, v1, v5, v2
	v_div_fixup_f32 v6, v9, v6, 1.0
	v_fma_f32 v9, v2, v5, -v1
	s_delay_alu instid0(VALU_DEP_2) | instskip(NEXT) | instid1(VALU_DEP_2)
	v_mul_f32_e32 v5, v10, v6
	v_mul_f32_e32 v6, v9, v6
	s_cbranch_execnz .LBB167_103
	s_branch .LBB167_109
.LBB167_108:                            ;   in Loop: Header=BB167_104 Depth=1
                                        ; implicit-def: $vgpr5
.LBB167_109:                            ;   in Loop: Header=BB167_104 Depth=1
	v_div_scale_f32 v5, null, v3, v3, v4
	v_div_scale_f32 v10, vcc_lo, v4, v3, v4
	s_delay_alu instid0(VALU_DEP_2) | instskip(SKIP_2) | instid1(VALU_DEP_1)
	v_rcp_f32_e32 v6, v5
	s_waitcnt_depctr 0xfff
	v_fma_f32 v9, -v5, v6, 1.0
	v_fmac_f32_e32 v6, v9, v6
	s_delay_alu instid0(VALU_DEP_1) | instskip(NEXT) | instid1(VALU_DEP_1)
	v_mul_f32_e32 v9, v10, v6
	v_fma_f32 v11, -v5, v9, v10
	s_delay_alu instid0(VALU_DEP_1) | instskip(NEXT) | instid1(VALU_DEP_1)
	v_fmac_f32_e32 v9, v11, v6
	v_fma_f32 v5, -v5, v9, v10
	s_delay_alu instid0(VALU_DEP_1) | instskip(NEXT) | instid1(VALU_DEP_1)
	v_div_fmas_f32 v5, v5, v6, v9
	v_div_fixup_f32 v5, v5, v3, v4
	s_delay_alu instid0(VALU_DEP_1) | instskip(NEXT) | instid1(VALU_DEP_1)
	v_fmac_f32_e32 v3, v4, v5
	v_div_scale_f32 v4, null, v3, v3, 1.0
	v_div_scale_f32 v10, vcc_lo, 1.0, v3, 1.0
	s_delay_alu instid0(VALU_DEP_2) | instskip(SKIP_2) | instid1(VALU_DEP_1)
	v_rcp_f32_e32 v6, v4
	s_waitcnt_depctr 0xfff
	v_fma_f32 v9, -v4, v6, 1.0
	v_fmac_f32_e32 v6, v9, v6
	s_delay_alu instid0(VALU_DEP_1) | instskip(NEXT) | instid1(VALU_DEP_1)
	v_mul_f32_e32 v9, v10, v6
	v_fma_f32 v11, -v4, v9, v10
	s_delay_alu instid0(VALU_DEP_1) | instskip(NEXT) | instid1(VALU_DEP_1)
	v_fmac_f32_e32 v9, v11, v6
	v_fma_f32 v4, -v4, v9, v10
	s_delay_alu instid0(VALU_DEP_1) | instskip(SKIP_2) | instid1(VALU_DEP_3)
	v_div_fmas_f32 v4, v4, v6, v9
	v_fma_f32 v6, v2, v5, v1
	v_fma_f32 v1, -v1, v5, v2
	v_div_fixup_f32 v3, v4, v3, 1.0
	s_delay_alu instid0(VALU_DEP_1) | instskip(NEXT) | instid1(VALU_DEP_3)
	v_mul_f32_e32 v5, v6, v3
	v_mul_f32_e32 v6, v1, v3
	s_branch .LBB167_103
.LBB167_110:
	s_mov_b32 s4, 0
.LBB167_111:
	s_delay_alu instid0(SALU_CYCLE_1)
	s_and_not1_b32 vcc_lo, exec_lo, s4
	s_cbranch_vccnz .LBB167_143
; %bb.112:
	s_and_not1_b32 vcc_lo, exec_lo, s1
	s_mul_i32 s1, s11, 0xe0
	s_mov_b32 s6, s30
	s_cbranch_vccnz .LBB167_134
; %bb.113:
	v_lshlrev_b32_e32 v1, 3, v0
	s_mul_i32 s4, s11, 0xe8
	s_mov_b32 s5, s30
	s_addk_i32 s4, 0xfc70
	s_delay_alu instid0(VALU_DEP_1)
	v_add3_u32 v13, s1, v1, 0x16c0
.LBB167_114:                            ; =>This Loop Header: Depth=1
                                        ;     Child Loop BB167_115 Depth 2
	s_mul_i32 s6, s5, 28
	s_delay_alu instid0(VALU_DEP_1)
	v_mov_b32_e32 v14, v13
	s_sub_i32 s9, s6, 28
	v_add_lshl_u32 v3, s6, v0, 3
	s_sub_i32 s7, s6, 56
	v_add_lshl_u32 v4, s9, v0, 3
	s_addk_i32 s6, 0xffac
	v_add_lshl_u32 v9, s7, v0, 3
	v_add_lshl_u32 v10, s6, v0, 3
	ds_load_b64 v[1:2], v3 offset:6272
	ds_load_b64 v[11:12], v4 offset:6272
	;; [unrolled: 1-line block ×4, first 2 shown]
	s_cmp_le_i32 s30, s5
	s_mov_b32 s9, s4
	s_mov_b32 s10, s30
	s_cbranch_scc1 .LBB167_116
.LBB167_115:                            ;   Parent Loop BB167_114 Depth=1
                                        ; =>  This Inner Loop Header: Depth=2
	v_mov_b32_e32 v31, s9
	ds_load_2addr_b64 v[15:18], v14 offset1:28
	v_add_nc_u32_e32 v14, 0xfffffe40, v14
	s_add_i32 s10, s10, -2
	s_add_i32 s9, s9, -16
	ds_load_2addr_b64 v[19:22], v31 offset0:84 offset1:85
	ds_load_2addr_b64 v[23:26], v31 offset0:56 offset1:57
	;; [unrolled: 1-line block ×3, first 2 shown]
	ds_load_2addr_b64 v[31:34], v31 offset1:1
	s_cmp_le_i32 s10, s5
	s_waitcnt lgkmcnt(3)
	v_dual_mul_f32 v35, v22, v18 :: v_dual_mul_f32 v40, v20, v16
	v_dual_mul_f32 v36, v21, v18 :: v_dual_mul_f32 v41, v19, v16
	s_waitcnt lgkmcnt(2)
	v_dual_mul_f32 v37, v26, v18 :: v_dual_mul_f32 v42, v24, v16
	s_waitcnt lgkmcnt(1)
	v_dual_mul_f32 v26, v26, v17 :: v_dual_mul_f32 v43, v28, v16
	v_dual_mul_f32 v38, v30, v18 :: v_dual_fmac_f32 v41, v20, v15
	v_fma_f32 v21, v21, v17, -v35
	s_waitcnt lgkmcnt(0)
	v_dual_mul_f32 v39, v34, v18 :: v_dual_mul_f32 v24, v24, v15
	v_mul_f32_e32 v28, v28, v15
	v_fmac_f32_e32 v36, v22, v17
	v_fma_f32 v22, v25, v17, -v37
	v_mul_f32_e32 v30, v30, v17
	v_fma_f32 v20, v27, v15, -v43
	v_fmac_f32_e32 v26, v25, v18
	v_fma_f32 v25, v29, v17, -v38
	v_sub_f32_e32 v1, v1, v21
	v_mul_f32_e32 v34, v34, v17
	v_mul_f32_e32 v44, v32, v16
	v_fma_f32 v17, v33, v17, -v39
	v_dual_sub_f32 v7, v7, v25 :: v_dual_mul_f32 v32, v32, v15
	s_delay_alu instid0(VALU_DEP_4) | instskip(SKIP_1) | instid1(VALU_DEP_4)
	v_fmac_f32_e32 v34, v33, v18
	v_sub_f32_e32 v11, v11, v22
	v_sub_f32_e32 v5, v5, v17
	v_fmac_f32_e32 v30, v29, v18
	v_fma_f32 v18, v19, v15, -v40
	v_fma_f32 v19, v23, v15, -v42
	v_fmac_f32_e32 v28, v27, v16
	v_fma_f32 v15, v31, v15, -v44
	v_fmac_f32_e32 v24, v23, v16
	v_fmac_f32_e32 v32, v31, v16
	v_sub_f32_e32 v8, v8, v30
	s_delay_alu instid0(VALU_DEP_4) | instskip(SKIP_2) | instid1(VALU_DEP_4)
	v_dual_sub_f32 v6, v6, v34 :: v_dual_sub_f32 v5, v5, v15
	v_dual_sub_f32 v11, v11, v19 :: v_dual_sub_f32 v2, v2, v36
	;; [unrolled: 1-line block ×4, first 2 shown]
	s_delay_alu instid0(VALU_DEP_3) | instskip(SKIP_1) | instid1(VALU_DEP_4)
	v_sub_f32_e32 v2, v2, v41
	v_sub_f32_e32 v6, v6, v32
	;; [unrolled: 1-line block ×3, first 2 shown]
	s_cbranch_scc0 .LBB167_115
.LBB167_116:                            ;   in Loop: Header=BB167_114 Depth=1
	s_mul_i32 s9, s5, 0xe8
	v_add_nc_u32_e32 v17, 0x1880, v3
	v_dual_mov_b32 v3, s9 :: v_dual_add_nc_u32 v16, 0x1880, v4
	v_add_nc_u32_e32 v15, 0x1880, v9
	v_add_nc_u32_e32 v14, 0x1880, v10
	ds_load_b64 v[3:4], v3
	s_waitcnt lgkmcnt(0)
	v_cmp_gt_f32_e32 vcc_lo, 0, v3
	v_cndmask_b32_e64 v9, v3, -v3, vcc_lo
	v_cmp_gt_f32_e32 vcc_lo, 0, v4
	v_cndmask_b32_e64 v10, v4, -v4, vcc_lo
	s_delay_alu instid0(VALU_DEP_1)
	v_cmp_ngt_f32_e32 vcc_lo, v9, v10
	s_cbranch_vccz .LBB167_118
; %bb.117:                              ;   in Loop: Header=BB167_114 Depth=1
	v_div_scale_f32 v9, null, v4, v4, v3
	v_div_scale_f32 v19, vcc_lo, v3, v4, v3
	s_delay_alu instid0(VALU_DEP_2) | instskip(SKIP_2) | instid1(VALU_DEP_1)
	v_rcp_f32_e32 v10, v9
	s_waitcnt_depctr 0xfff
	v_fma_f32 v18, -v9, v10, 1.0
	v_fmac_f32_e32 v10, v18, v10
	s_delay_alu instid0(VALU_DEP_1) | instskip(NEXT) | instid1(VALU_DEP_1)
	v_mul_f32_e32 v18, v19, v10
	v_fma_f32 v20, -v9, v18, v19
	s_delay_alu instid0(VALU_DEP_1) | instskip(NEXT) | instid1(VALU_DEP_1)
	v_fmac_f32_e32 v18, v20, v10
	v_fma_f32 v9, -v9, v18, v19
	s_delay_alu instid0(VALU_DEP_1) | instskip(NEXT) | instid1(VALU_DEP_1)
	v_div_fmas_f32 v9, v9, v10, v18
	v_div_fixup_f32 v9, v9, v4, v3
	s_delay_alu instid0(VALU_DEP_1) | instskip(NEXT) | instid1(VALU_DEP_1)
	v_fma_f32 v10, v3, v9, v4
	v_div_scale_f32 v18, null, v10, v10, 1.0
	v_div_scale_f32 v21, vcc_lo, 1.0, v10, 1.0
	s_delay_alu instid0(VALU_DEP_2) | instskip(SKIP_2) | instid1(VALU_DEP_1)
	v_rcp_f32_e32 v19, v18
	s_waitcnt_depctr 0xfff
	v_fma_f32 v20, -v18, v19, 1.0
	v_fmac_f32_e32 v19, v20, v19
	s_delay_alu instid0(VALU_DEP_1) | instskip(NEXT) | instid1(VALU_DEP_1)
	v_mul_f32_e32 v20, v21, v19
	v_fma_f32 v22, -v18, v20, v21
	s_delay_alu instid0(VALU_DEP_1) | instskip(NEXT) | instid1(VALU_DEP_1)
	v_fmac_f32_e32 v20, v22, v19
	v_fma_f32 v18, -v18, v20, v21
	s_delay_alu instid0(VALU_DEP_1) | instskip(SKIP_1) | instid1(VALU_DEP_2)
	v_div_fmas_f32 v18, v18, v19, v20
	v_fma_f32 v19, v1, v9, v2
	v_div_fixup_f32 v10, v18, v10, 1.0
	v_fma_f32 v18, v2, v9, -v1
	s_delay_alu instid0(VALU_DEP_2) | instskip(NEXT) | instid1(VALU_DEP_2)
	v_mul_f32_e32 v9, v19, v10
	v_mul_f32_e32 v10, v18, v10
	s_cbranch_execz .LBB167_119
	s_branch .LBB167_120
.LBB167_118:                            ;   in Loop: Header=BB167_114 Depth=1
                                        ; implicit-def: $vgpr10
.LBB167_119:                            ;   in Loop: Header=BB167_114 Depth=1
	v_div_scale_f32 v9, null, v3, v3, v4
	v_div_scale_f32 v19, vcc_lo, v4, v3, v4
	s_delay_alu instid0(VALU_DEP_2) | instskip(SKIP_2) | instid1(VALU_DEP_1)
	v_rcp_f32_e32 v10, v9
	s_waitcnt_depctr 0xfff
	v_fma_f32 v18, -v9, v10, 1.0
	v_fmac_f32_e32 v10, v18, v10
	s_delay_alu instid0(VALU_DEP_1) | instskip(NEXT) | instid1(VALU_DEP_1)
	v_mul_f32_e32 v18, v19, v10
	v_fma_f32 v20, -v9, v18, v19
	s_delay_alu instid0(VALU_DEP_1) | instskip(NEXT) | instid1(VALU_DEP_1)
	v_fmac_f32_e32 v18, v20, v10
	v_fma_f32 v9, -v9, v18, v19
	s_delay_alu instid0(VALU_DEP_1) | instskip(NEXT) | instid1(VALU_DEP_1)
	v_div_fmas_f32 v9, v9, v10, v18
	v_div_fixup_f32 v9, v9, v3, v4
	s_delay_alu instid0(VALU_DEP_1) | instskip(NEXT) | instid1(VALU_DEP_1)
	v_fmac_f32_e32 v3, v4, v9
	v_div_scale_f32 v4, null, v3, v3, 1.0
	v_div_scale_f32 v19, vcc_lo, 1.0, v3, 1.0
	s_delay_alu instid0(VALU_DEP_2) | instskip(SKIP_2) | instid1(VALU_DEP_1)
	v_rcp_f32_e32 v10, v4
	s_waitcnt_depctr 0xfff
	v_fma_f32 v18, -v4, v10, 1.0
	v_fmac_f32_e32 v10, v18, v10
	s_delay_alu instid0(VALU_DEP_1) | instskip(NEXT) | instid1(VALU_DEP_1)
	v_mul_f32_e32 v18, v19, v10
	v_fma_f32 v20, -v4, v18, v19
	s_delay_alu instid0(VALU_DEP_1) | instskip(NEXT) | instid1(VALU_DEP_1)
	v_fmac_f32_e32 v18, v20, v10
	v_fma_f32 v4, -v4, v18, v19
	s_delay_alu instid0(VALU_DEP_1) | instskip(SKIP_2) | instid1(VALU_DEP_3)
	v_div_fmas_f32 v4, v4, v10, v18
	v_fma_f32 v10, v2, v9, v1
	v_fma_f32 v1, -v1, v9, v2
	v_div_fixup_f32 v3, v4, v3, 1.0
	s_delay_alu instid0(VALU_DEP_1) | instskip(NEXT) | instid1(VALU_DEP_3)
	v_mul_f32_e32 v9, v10, v3
	v_mul_f32_e32 v10, v1, v3
.LBB167_120:                            ;   in Loop: Header=BB167_114 Depth=1
	s_addk_i32 s9, 0xff18
	ds_store_b64 v17, v[9:10]
	v_mov_b32_e32 v1, s9
	ds_load_2addr_b64 v[1:4], v1 offset1:1
	s_waitcnt lgkmcnt(0)
	v_mul_f32_e32 v18, v10, v4
	v_cmp_gt_f32_e32 vcc_lo, 0, v1
	s_delay_alu instid0(VALU_DEP_2) | instskip(SKIP_4) | instid1(VALU_DEP_2)
	v_fma_f32 v18, v9, v3, -v18
	v_cndmask_b32_e64 v19, v1, -v1, vcc_lo
	v_cmp_gt_f32_e32 vcc_lo, 0, v2
	v_mul_f32_e32 v4, v9, v4
	v_cndmask_b32_e64 v20, v2, -v2, vcc_lo
	v_dual_fmac_f32 v4, v10, v3 :: v_dual_sub_f32 v3, v11, v18
	s_delay_alu instid0(VALU_DEP_2) | instskip(NEXT) | instid1(VALU_DEP_2)
	v_cmp_ngt_f32_e32 vcc_lo, v19, v20
	v_sub_f32_e32 v4, v12, v4
	s_cbranch_vccz .LBB167_122
; %bb.121:                              ;   in Loop: Header=BB167_114 Depth=1
	v_div_scale_f32 v11, null, v2, v2, v1
	v_div_scale_f32 v18, vcc_lo, v1, v2, v1
	s_delay_alu instid0(VALU_DEP_2) | instskip(SKIP_2) | instid1(VALU_DEP_1)
	v_rcp_f32_e32 v12, v11
	s_waitcnt_depctr 0xfff
	v_fma_f32 v17, -v11, v12, 1.0
	v_fmac_f32_e32 v12, v17, v12
	s_delay_alu instid0(VALU_DEP_1) | instskip(NEXT) | instid1(VALU_DEP_1)
	v_mul_f32_e32 v17, v18, v12
	v_fma_f32 v19, -v11, v17, v18
	s_delay_alu instid0(VALU_DEP_1) | instskip(NEXT) | instid1(VALU_DEP_1)
	v_fmac_f32_e32 v17, v19, v12
	v_fma_f32 v11, -v11, v17, v18
	s_delay_alu instid0(VALU_DEP_1) | instskip(NEXT) | instid1(VALU_DEP_1)
	v_div_fmas_f32 v11, v11, v12, v17
	v_div_fixup_f32 v11, v11, v2, v1
	s_delay_alu instid0(VALU_DEP_1) | instskip(NEXT) | instid1(VALU_DEP_1)
	v_fma_f32 v12, v1, v11, v2
	v_div_scale_f32 v17, null, v12, v12, 1.0
	v_div_scale_f32 v20, vcc_lo, 1.0, v12, 1.0
	s_delay_alu instid0(VALU_DEP_2) | instskip(SKIP_2) | instid1(VALU_DEP_1)
	v_rcp_f32_e32 v18, v17
	s_waitcnt_depctr 0xfff
	v_fma_f32 v19, -v17, v18, 1.0
	v_fmac_f32_e32 v18, v19, v18
	s_delay_alu instid0(VALU_DEP_1) | instskip(NEXT) | instid1(VALU_DEP_1)
	v_mul_f32_e32 v19, v20, v18
	v_fma_f32 v21, -v17, v19, v20
	s_delay_alu instid0(VALU_DEP_1) | instskip(NEXT) | instid1(VALU_DEP_1)
	v_fmac_f32_e32 v19, v21, v18
	v_fma_f32 v17, -v17, v19, v20
	s_delay_alu instid0(VALU_DEP_1) | instskip(SKIP_1) | instid1(VALU_DEP_2)
	v_div_fmas_f32 v17, v17, v18, v19
	v_fma_f32 v18, v11, v3, v4
	v_div_fixup_f32 v12, v17, v12, 1.0
	v_fma_f32 v17, v11, v4, -v3
	s_delay_alu instid0(VALU_DEP_2) | instskip(NEXT) | instid1(VALU_DEP_2)
	v_mul_f32_e32 v11, v18, v12
	v_mul_f32_e32 v12, v17, v12
	s_cbranch_execz .LBB167_123
	s_branch .LBB167_124
.LBB167_122:                            ;   in Loop: Header=BB167_114 Depth=1
                                        ; implicit-def: $vgpr12
.LBB167_123:                            ;   in Loop: Header=BB167_114 Depth=1
	v_div_scale_f32 v11, null, v1, v1, v2
	v_div_scale_f32 v18, vcc_lo, v2, v1, v2
	s_delay_alu instid0(VALU_DEP_2) | instskip(SKIP_2) | instid1(VALU_DEP_1)
	v_rcp_f32_e32 v12, v11
	s_waitcnt_depctr 0xfff
	v_fma_f32 v17, -v11, v12, 1.0
	v_fmac_f32_e32 v12, v17, v12
	s_delay_alu instid0(VALU_DEP_1) | instskip(NEXT) | instid1(VALU_DEP_1)
	v_mul_f32_e32 v17, v18, v12
	v_fma_f32 v19, -v11, v17, v18
	s_delay_alu instid0(VALU_DEP_1) | instskip(NEXT) | instid1(VALU_DEP_1)
	v_fmac_f32_e32 v17, v19, v12
	v_fma_f32 v11, -v11, v17, v18
	s_delay_alu instid0(VALU_DEP_1) | instskip(NEXT) | instid1(VALU_DEP_1)
	v_div_fmas_f32 v11, v11, v12, v17
	v_div_fixup_f32 v11, v11, v1, v2
	s_delay_alu instid0(VALU_DEP_1) | instskip(NEXT) | instid1(VALU_DEP_1)
	v_fmac_f32_e32 v1, v2, v11
	v_div_scale_f32 v2, null, v1, v1, 1.0
	v_div_scale_f32 v18, vcc_lo, 1.0, v1, 1.0
	s_delay_alu instid0(VALU_DEP_2) | instskip(SKIP_2) | instid1(VALU_DEP_1)
	v_rcp_f32_e32 v12, v2
	s_waitcnt_depctr 0xfff
	v_fma_f32 v17, -v2, v12, 1.0
	v_fmac_f32_e32 v12, v17, v12
	s_delay_alu instid0(VALU_DEP_1) | instskip(NEXT) | instid1(VALU_DEP_1)
	v_mul_f32_e32 v17, v18, v12
	v_fma_f32 v19, -v2, v17, v18
	s_delay_alu instid0(VALU_DEP_1) | instskip(NEXT) | instid1(VALU_DEP_1)
	v_fmac_f32_e32 v17, v19, v12
	v_fma_f32 v2, -v2, v17, v18
	s_delay_alu instid0(VALU_DEP_1) | instskip(SKIP_1) | instid1(VALU_DEP_2)
	v_div_fmas_f32 v2, v2, v12, v17
	v_fma_f32 v12, v11, v4, v3
	v_div_fixup_f32 v1, v2, v1, 1.0
	v_fma_f32 v2, -v11, v3, v4
	s_delay_alu instid0(VALU_DEP_2) | instskip(NEXT) | instid1(VALU_DEP_2)
	v_mul_f32_e32 v11, v12, v1
	v_mul_f32_e32 v12, v2, v1
.LBB167_124:                            ;   in Loop: Header=BB167_114 Depth=1
	s_add_i32 s7, s7, s5
	s_delay_alu instid0(SALU_CYCLE_1) | instskip(SKIP_1) | instid1(SALU_CYCLE_1)
	s_lshl_b32 s10, s7, 3
	s_add_i32 s7, s9, 0xffffff18
	v_dual_mov_b32 v1, s10 :: v_dual_mov_b32 v2, s7
	ds_load_b64 v[17:18], v1
	ds_load_2addr_b64 v[1:4], v2 offset1:1
	ds_store_b64 v16, v[11:12]
	s_waitcnt lgkmcnt(1)
	v_dual_mul_f32 v19, v10, v18 :: v_dual_mul_f32 v20, v12, v4
	v_cmp_gt_f32_e32 vcc_lo, 0, v1
	v_mul_f32_e32 v4, v11, v4
	s_delay_alu instid0(VALU_DEP_3)
	v_fma_f32 v19, v9, v17, -v19
	v_mul_f32_e32 v18, v9, v18
	v_cndmask_b32_e64 v21, v1, -v1, vcc_lo
	v_cmp_gt_f32_e32 vcc_lo, 0, v2
	v_fma_f32 v20, v11, v3, -v20
	v_fmac_f32_e32 v4, v12, v3
	v_dual_sub_f32 v3, v7, v19 :: v_dual_fmac_f32 v18, v10, v17
	v_cndmask_b32_e64 v17, v2, -v2, vcc_lo
	s_delay_alu instid0(VALU_DEP_2) | instskip(NEXT) | instid1(VALU_DEP_3)
	v_sub_f32_e32 v3, v3, v20
	v_sub_f32_e32 v7, v8, v18
	s_delay_alu instid0(VALU_DEP_3) | instskip(NEXT) | instid1(VALU_DEP_2)
	v_cmp_ngt_f32_e32 vcc_lo, v21, v17
	v_sub_f32_e32 v4, v7, v4
	s_cbranch_vccz .LBB167_126
; %bb.125:                              ;   in Loop: Header=BB167_114 Depth=1
	v_div_scale_f32 v7, null, v2, v2, v1
	v_div_scale_f32 v17, vcc_lo, v1, v2, v1
	s_delay_alu instid0(VALU_DEP_2) | instskip(SKIP_2) | instid1(VALU_DEP_1)
	v_rcp_f32_e32 v8, v7
	s_waitcnt_depctr 0xfff
	v_fma_f32 v16, -v7, v8, 1.0
	v_fmac_f32_e32 v8, v16, v8
	s_delay_alu instid0(VALU_DEP_1) | instskip(NEXT) | instid1(VALU_DEP_1)
	v_mul_f32_e32 v16, v17, v8
	v_fma_f32 v18, -v7, v16, v17
	s_delay_alu instid0(VALU_DEP_1) | instskip(NEXT) | instid1(VALU_DEP_1)
	v_fmac_f32_e32 v16, v18, v8
	v_fma_f32 v7, -v7, v16, v17
	s_delay_alu instid0(VALU_DEP_1) | instskip(NEXT) | instid1(VALU_DEP_1)
	v_div_fmas_f32 v7, v7, v8, v16
	v_div_fixup_f32 v7, v7, v2, v1
	s_delay_alu instid0(VALU_DEP_1) | instskip(NEXT) | instid1(VALU_DEP_1)
	v_fma_f32 v8, v1, v7, v2
	v_div_scale_f32 v16, null, v8, v8, 1.0
	v_div_scale_f32 v19, vcc_lo, 1.0, v8, 1.0
	s_delay_alu instid0(VALU_DEP_2) | instskip(SKIP_2) | instid1(VALU_DEP_1)
	v_rcp_f32_e32 v17, v16
	s_waitcnt_depctr 0xfff
	v_fma_f32 v18, -v16, v17, 1.0
	v_fmac_f32_e32 v17, v18, v17
	s_delay_alu instid0(VALU_DEP_1) | instskip(NEXT) | instid1(VALU_DEP_1)
	v_mul_f32_e32 v18, v19, v17
	v_fma_f32 v20, -v16, v18, v19
	s_delay_alu instid0(VALU_DEP_1) | instskip(NEXT) | instid1(VALU_DEP_1)
	v_fmac_f32_e32 v18, v20, v17
	v_fma_f32 v16, -v16, v18, v19
	s_delay_alu instid0(VALU_DEP_1) | instskip(SKIP_1) | instid1(VALU_DEP_2)
	v_div_fmas_f32 v16, v16, v17, v18
	v_fma_f32 v17, v7, v3, v4
	v_div_fixup_f32 v8, v16, v8, 1.0
	v_fma_f32 v16, v7, v4, -v3
	s_delay_alu instid0(VALU_DEP_2) | instskip(NEXT) | instid1(VALU_DEP_2)
	v_mul_f32_e32 v7, v17, v8
	v_mul_f32_e32 v8, v16, v8
	s_cbranch_execz .LBB167_127
	s_branch .LBB167_128
.LBB167_126:                            ;   in Loop: Header=BB167_114 Depth=1
                                        ; implicit-def: $vgpr8
.LBB167_127:                            ;   in Loop: Header=BB167_114 Depth=1
	v_div_scale_f32 v7, null, v1, v1, v2
	v_div_scale_f32 v17, vcc_lo, v2, v1, v2
	s_delay_alu instid0(VALU_DEP_2) | instskip(SKIP_2) | instid1(VALU_DEP_1)
	v_rcp_f32_e32 v8, v7
	s_waitcnt_depctr 0xfff
	v_fma_f32 v16, -v7, v8, 1.0
	v_fmac_f32_e32 v8, v16, v8
	s_delay_alu instid0(VALU_DEP_1) | instskip(NEXT) | instid1(VALU_DEP_1)
	v_mul_f32_e32 v16, v17, v8
	v_fma_f32 v18, -v7, v16, v17
	s_delay_alu instid0(VALU_DEP_1) | instskip(NEXT) | instid1(VALU_DEP_1)
	v_fmac_f32_e32 v16, v18, v8
	v_fma_f32 v7, -v7, v16, v17
	s_delay_alu instid0(VALU_DEP_1) | instskip(NEXT) | instid1(VALU_DEP_1)
	v_div_fmas_f32 v7, v7, v8, v16
	v_div_fixup_f32 v7, v7, v1, v2
	s_delay_alu instid0(VALU_DEP_1) | instskip(NEXT) | instid1(VALU_DEP_1)
	v_fmac_f32_e32 v1, v2, v7
	v_div_scale_f32 v2, null, v1, v1, 1.0
	v_div_scale_f32 v17, vcc_lo, 1.0, v1, 1.0
	s_delay_alu instid0(VALU_DEP_2) | instskip(SKIP_2) | instid1(VALU_DEP_1)
	v_rcp_f32_e32 v8, v2
	s_waitcnt_depctr 0xfff
	v_fma_f32 v16, -v2, v8, 1.0
	v_fmac_f32_e32 v8, v16, v8
	s_delay_alu instid0(VALU_DEP_1) | instskip(NEXT) | instid1(VALU_DEP_1)
	v_mul_f32_e32 v16, v17, v8
	v_fma_f32 v18, -v2, v16, v17
	s_delay_alu instid0(VALU_DEP_1) | instskip(NEXT) | instid1(VALU_DEP_1)
	v_fmac_f32_e32 v16, v18, v8
	v_fma_f32 v2, -v2, v16, v17
	s_delay_alu instid0(VALU_DEP_1) | instskip(SKIP_1) | instid1(VALU_DEP_2)
	v_div_fmas_f32 v2, v2, v8, v16
	v_fma_f32 v8, v7, v4, v3
	v_div_fixup_f32 v1, v2, v1, 1.0
	v_fma_f32 v2, -v7, v3, v4
	s_delay_alu instid0(VALU_DEP_2) | instskip(NEXT) | instid1(VALU_DEP_2)
	v_mul_f32_e32 v7, v8, v1
	v_mul_f32_e32 v8, v2, v1
.LBB167_128:                            ;   in Loop: Header=BB167_114 Depth=1
	s_add_i32 s6, s5, s6
	s_delay_alu instid0(SALU_CYCLE_1) | instskip(NEXT) | instid1(SALU_CYCLE_1)
	s_lshl_b32 s6, s6, 3
	s_add_i32 s6, s6, -8
	s_delay_alu instid0(SALU_CYCLE_1) | instskip(SKIP_1) | instid1(SALU_CYCLE_1)
	v_mov_b32_e32 v1, s6
	s_add_i32 s6, s7, 0xffffff18
	v_mov_b32_e32 v2, s6
	ds_load_2addr_b64 v[16:19], v1 offset1:1
	ds_load_2addr_b64 v[1:4], v2 offset1:1
	ds_store_b64 v15, v[7:8]
	s_waitcnt lgkmcnt(2)
	v_dual_mul_f32 v20, v10, v19 :: v_dual_mul_f32 v21, v12, v17
	s_waitcnt lgkmcnt(1)
	v_dual_mul_f32 v19, v9, v19 :: v_dual_mul_f32 v22, v8, v4
	v_cmp_gt_f32_e32 vcc_lo, 0, v1
	v_mul_f32_e32 v4, v7, v4
	v_fma_f32 v9, v9, v18, -v20
	s_delay_alu instid0(VALU_DEP_4) | instskip(SKIP_4) | instid1(VALU_DEP_4)
	v_fmac_f32_e32 v19, v10, v18
	v_mul_f32_e32 v17, v11, v17
	v_cndmask_b32_e64 v10, v1, -v1, vcc_lo
	v_cmp_gt_f32_e32 vcc_lo, 0, v2
	v_fma_f32 v11, v11, v16, -v21
	v_dual_sub_f32 v6, v6, v19 :: v_dual_fmac_f32 v17, v12, v16
	v_dual_sub_f32 v5, v5, v9 :: v_dual_fmac_f32 v4, v8, v3
	v_cndmask_b32_e64 v9, v2, -v2, vcc_lo
	v_fma_f32 v12, v7, v3, -v22
	s_delay_alu instid0(VALU_DEP_3) | instskip(NEXT) | instid1(VALU_DEP_3)
	v_dual_sub_f32 v6, v6, v17 :: v_dual_sub_f32 v3, v5, v11
	v_cmp_ngt_f32_e32 vcc_lo, v10, v9
	s_delay_alu instid0(VALU_DEP_2) | instskip(NEXT) | instid1(VALU_DEP_3)
	v_sub_f32_e32 v6, v6, v4
	v_sub_f32_e32 v5, v3, v12
	s_cbranch_vccz .LBB167_130
; %bb.129:                              ;   in Loop: Header=BB167_114 Depth=1
	v_div_scale_f32 v3, null, v2, v2, v1
	v_div_scale_f32 v8, vcc_lo, v1, v2, v1
	s_delay_alu instid0(VALU_DEP_2) | instskip(SKIP_2) | instid1(VALU_DEP_1)
	v_rcp_f32_e32 v4, v3
	s_waitcnt_depctr 0xfff
	v_fma_f32 v7, -v3, v4, 1.0
	v_fmac_f32_e32 v4, v7, v4
	s_delay_alu instid0(VALU_DEP_1) | instskip(NEXT) | instid1(VALU_DEP_1)
	v_mul_f32_e32 v7, v8, v4
	v_fma_f32 v9, -v3, v7, v8
	s_delay_alu instid0(VALU_DEP_1) | instskip(NEXT) | instid1(VALU_DEP_1)
	v_fmac_f32_e32 v7, v9, v4
	v_fma_f32 v3, -v3, v7, v8
	s_delay_alu instid0(VALU_DEP_1) | instskip(NEXT) | instid1(VALU_DEP_1)
	v_div_fmas_f32 v3, v3, v4, v7
	v_div_fixup_f32 v3, v3, v2, v1
	s_delay_alu instid0(VALU_DEP_1) | instskip(NEXT) | instid1(VALU_DEP_1)
	v_fma_f32 v4, v1, v3, v2
	v_div_scale_f32 v7, null, v4, v4, 1.0
	v_div_scale_f32 v10, vcc_lo, 1.0, v4, 1.0
	s_delay_alu instid0(VALU_DEP_2) | instskip(SKIP_2) | instid1(VALU_DEP_1)
	v_rcp_f32_e32 v8, v7
	s_waitcnt_depctr 0xfff
	v_fma_f32 v9, -v7, v8, 1.0
	v_fmac_f32_e32 v8, v9, v8
	s_delay_alu instid0(VALU_DEP_1) | instskip(NEXT) | instid1(VALU_DEP_1)
	v_mul_f32_e32 v9, v10, v8
	v_fma_f32 v11, -v7, v9, v10
	s_delay_alu instid0(VALU_DEP_1) | instskip(NEXT) | instid1(VALU_DEP_1)
	v_fmac_f32_e32 v9, v11, v8
	v_fma_f32 v7, -v7, v9, v10
	s_delay_alu instid0(VALU_DEP_1) | instskip(SKIP_1) | instid1(VALU_DEP_2)
	v_div_fmas_f32 v7, v7, v8, v9
	v_fma_f32 v8, v3, v5, v6
	v_div_fixup_f32 v4, v7, v4, 1.0
	v_fma_f32 v7, v3, v6, -v5
	s_delay_alu instid0(VALU_DEP_2) | instskip(NEXT) | instid1(VALU_DEP_2)
	v_mul_f32_e32 v3, v8, v4
	v_mul_f32_e32 v4, v7, v4
	s_cbranch_execz .LBB167_131
	s_branch .LBB167_132
.LBB167_130:                            ;   in Loop: Header=BB167_114 Depth=1
                                        ; implicit-def: $vgpr4
.LBB167_131:                            ;   in Loop: Header=BB167_114 Depth=1
	v_div_scale_f32 v3, null, v1, v1, v2
	v_div_scale_f32 v8, vcc_lo, v2, v1, v2
	s_delay_alu instid0(VALU_DEP_2) | instskip(SKIP_2) | instid1(VALU_DEP_1)
	v_rcp_f32_e32 v4, v3
	s_waitcnt_depctr 0xfff
	v_fma_f32 v7, -v3, v4, 1.0
	v_fmac_f32_e32 v4, v7, v4
	s_delay_alu instid0(VALU_DEP_1) | instskip(NEXT) | instid1(VALU_DEP_1)
	v_mul_f32_e32 v7, v8, v4
	v_fma_f32 v9, -v3, v7, v8
	s_delay_alu instid0(VALU_DEP_1) | instskip(NEXT) | instid1(VALU_DEP_1)
	v_fmac_f32_e32 v7, v9, v4
	v_fma_f32 v3, -v3, v7, v8
	s_delay_alu instid0(VALU_DEP_1) | instskip(NEXT) | instid1(VALU_DEP_1)
	v_div_fmas_f32 v3, v3, v4, v7
	v_div_fixup_f32 v3, v3, v1, v2
	s_delay_alu instid0(VALU_DEP_1) | instskip(NEXT) | instid1(VALU_DEP_1)
	v_fmac_f32_e32 v1, v2, v3
	v_div_scale_f32 v2, null, v1, v1, 1.0
	v_div_scale_f32 v8, vcc_lo, 1.0, v1, 1.0
	s_delay_alu instid0(VALU_DEP_2) | instskip(SKIP_2) | instid1(VALU_DEP_1)
	v_rcp_f32_e32 v4, v2
	s_waitcnt_depctr 0xfff
	v_fma_f32 v7, -v2, v4, 1.0
	v_fmac_f32_e32 v4, v7, v4
	s_delay_alu instid0(VALU_DEP_1) | instskip(NEXT) | instid1(VALU_DEP_1)
	v_mul_f32_e32 v7, v8, v4
	v_fma_f32 v9, -v2, v7, v8
	s_delay_alu instid0(VALU_DEP_1) | instskip(NEXT) | instid1(VALU_DEP_1)
	v_fmac_f32_e32 v7, v9, v4
	v_fma_f32 v2, -v2, v7, v8
	s_delay_alu instid0(VALU_DEP_1) | instskip(SKIP_1) | instid1(VALU_DEP_2)
	v_div_fmas_f32 v2, v2, v4, v7
	v_fma_f32 v4, v3, v6, v5
	v_div_fixup_f32 v1, v2, v1, 1.0
	v_fma_f32 v2, -v3, v5, v6
	s_delay_alu instid0(VALU_DEP_2) | instskip(NEXT) | instid1(VALU_DEP_2)
	v_mul_f32_e32 v3, v4, v1
	v_mul_f32_e32 v4, v2, v1
.LBB167_132:                            ;   in Loop: Header=BB167_114 Depth=1
	s_add_i32 s6, s5, -4
	s_addk_i32 s4, 0xfc80
	s_cmp_lt_i32 s5, 7
	ds_store_b64 v14, v[3:4]
	s_cbranch_scc1 .LBB167_134
; %bb.133:                              ;   in Loop: Header=BB167_114 Depth=1
	s_mov_b32 s5, s6
	s_branch .LBB167_114
.LBB167_134:
	s_cmp_lt_i32 s6, 0
	s_cbranch_scc1 .LBB167_143
; %bb.135:
	v_lshlrev_b32_e32 v1, 3, v0
	s_mul_i32 s4, s6, 0xe0
	s_lshl_b32 s5, s11, 3
	s_delay_alu instid0(VALU_DEP_1) | instskip(SKIP_1) | instid1(SALU_CYCLE_1)
	v_add3_u32 v7, s1, v1, 0x17a0
	s_add_i32 s1, s4, s5
	s_add_i32 s1, s1, -8
	s_branch .LBB167_137
.LBB167_136:                            ;   in Loop: Header=BB167_137 Depth=1
	s_add_i32 s4, s6, -1
	s_addk_i32 s1, 0xff20
	s_cmp_lt_i32 s6, 1
	s_mov_b32 s6, s4
	ds_store_b64 v8, v[5:6]
	s_cbranch_scc1 .LBB167_143
.LBB167_137:                            ; =>This Loop Header: Depth=1
                                        ;     Child Loop BB167_138 Depth 2
	s_mul_i32 s4, s6, 28
	v_mov_b32_e32 v4, v7
	v_add_lshl_u32 v3, s4, v0, 3
	s_cmp_le_i32 s30, s6
	s_mov_b32 s4, s1
	s_mov_b32 s5, s30
	ds_load_b64 v[1:2], v3 offset:6272
	s_cbranch_scc1 .LBB167_139
	.p2align	6
.LBB167_138:                            ;   Parent Loop BB167_137 Depth=1
                                        ; =>  This Inner Loop Header: Depth=2
	v_mov_b32_e32 v8, s4
	s_add_i32 s5, s5, -1
	s_add_i32 s4, s4, -8
	s_cmp_le_i32 s5, s6
	ds_load_b64 v[5:6], v4
	ds_load_b64 v[8:9], v8
	v_add_nc_u32_e32 v4, 0xffffff20, v4
	s_waitcnt lgkmcnt(0)
	v_mul_f32_e32 v10, v9, v6
	v_mul_f32_e32 v6, v8, v6
	s_delay_alu instid0(VALU_DEP_2) | instskip(NEXT) | instid1(VALU_DEP_1)
	v_fma_f32 v8, v8, v5, -v10
	v_sub_f32_e32 v1, v1, v8
	s_delay_alu instid0(VALU_DEP_3) | instskip(NEXT) | instid1(VALU_DEP_1)
	v_fmac_f32_e32 v6, v9, v5
	v_sub_f32_e32 v2, v2, v6
	s_cbranch_scc0 .LBB167_138
.LBB167_139:                            ;   in Loop: Header=BB167_137 Depth=1
	s_mul_i32 s4, s6, 0xe8
	s_delay_alu instid0(SALU_CYCLE_1)
	v_dual_mov_b32 v3, s4 :: v_dual_add_nc_u32 v8, 0x1880, v3
	ds_load_b64 v[3:4], v3
	s_waitcnt lgkmcnt(0)
	v_cmp_gt_f32_e32 vcc_lo, 0, v3
	v_cndmask_b32_e64 v5, v3, -v3, vcc_lo
	v_cmp_gt_f32_e32 vcc_lo, 0, v4
	v_cndmask_b32_e64 v6, v4, -v4, vcc_lo
	s_delay_alu instid0(VALU_DEP_1)
	v_cmp_ngt_f32_e32 vcc_lo, v5, v6
	s_cbranch_vccz .LBB167_141
; %bb.140:                              ;   in Loop: Header=BB167_137 Depth=1
	v_div_scale_f32 v5, null, v4, v4, v3
	v_div_scale_f32 v10, vcc_lo, v3, v4, v3
	s_delay_alu instid0(VALU_DEP_2) | instskip(SKIP_2) | instid1(VALU_DEP_1)
	v_rcp_f32_e32 v6, v5
	s_waitcnt_depctr 0xfff
	v_fma_f32 v9, -v5, v6, 1.0
	v_fmac_f32_e32 v6, v9, v6
	s_delay_alu instid0(VALU_DEP_1) | instskip(NEXT) | instid1(VALU_DEP_1)
	v_mul_f32_e32 v9, v10, v6
	v_fma_f32 v11, -v5, v9, v10
	s_delay_alu instid0(VALU_DEP_1) | instskip(NEXT) | instid1(VALU_DEP_1)
	v_fmac_f32_e32 v9, v11, v6
	v_fma_f32 v5, -v5, v9, v10
	s_delay_alu instid0(VALU_DEP_1) | instskip(NEXT) | instid1(VALU_DEP_1)
	v_div_fmas_f32 v5, v5, v6, v9
	v_div_fixup_f32 v5, v5, v4, v3
	s_delay_alu instid0(VALU_DEP_1) | instskip(NEXT) | instid1(VALU_DEP_1)
	v_fma_f32 v6, v3, v5, v4
	v_div_scale_f32 v9, null, v6, v6, 1.0
	v_div_scale_f32 v12, vcc_lo, 1.0, v6, 1.0
	s_delay_alu instid0(VALU_DEP_2) | instskip(SKIP_2) | instid1(VALU_DEP_1)
	v_rcp_f32_e32 v10, v9
	s_waitcnt_depctr 0xfff
	v_fma_f32 v11, -v9, v10, 1.0
	v_fmac_f32_e32 v10, v11, v10
	s_delay_alu instid0(VALU_DEP_1) | instskip(NEXT) | instid1(VALU_DEP_1)
	v_mul_f32_e32 v11, v12, v10
	v_fma_f32 v13, -v9, v11, v12
	s_delay_alu instid0(VALU_DEP_1) | instskip(NEXT) | instid1(VALU_DEP_1)
	v_fmac_f32_e32 v11, v13, v10
	v_fma_f32 v9, -v9, v11, v12
	s_delay_alu instid0(VALU_DEP_1) | instskip(SKIP_1) | instid1(VALU_DEP_2)
	v_div_fmas_f32 v9, v9, v10, v11
	v_fma_f32 v10, v1, v5, v2
	v_div_fixup_f32 v6, v9, v6, 1.0
	v_fma_f32 v9, v2, v5, -v1
	s_delay_alu instid0(VALU_DEP_2) | instskip(NEXT) | instid1(VALU_DEP_2)
	v_mul_f32_e32 v5, v10, v6
	v_mul_f32_e32 v6, v9, v6
	s_cbranch_execnz .LBB167_136
	s_branch .LBB167_142
.LBB167_141:                            ;   in Loop: Header=BB167_137 Depth=1
                                        ; implicit-def: $vgpr5
.LBB167_142:                            ;   in Loop: Header=BB167_137 Depth=1
	v_div_scale_f32 v5, null, v3, v3, v4
	v_div_scale_f32 v10, vcc_lo, v4, v3, v4
	s_delay_alu instid0(VALU_DEP_2) | instskip(SKIP_2) | instid1(VALU_DEP_1)
	v_rcp_f32_e32 v6, v5
	s_waitcnt_depctr 0xfff
	v_fma_f32 v9, -v5, v6, 1.0
	v_fmac_f32_e32 v6, v9, v6
	s_delay_alu instid0(VALU_DEP_1) | instskip(NEXT) | instid1(VALU_DEP_1)
	v_mul_f32_e32 v9, v10, v6
	v_fma_f32 v11, -v5, v9, v10
	s_delay_alu instid0(VALU_DEP_1) | instskip(NEXT) | instid1(VALU_DEP_1)
	v_fmac_f32_e32 v9, v11, v6
	v_fma_f32 v5, -v5, v9, v10
	s_delay_alu instid0(VALU_DEP_1) | instskip(NEXT) | instid1(VALU_DEP_1)
	v_div_fmas_f32 v5, v5, v6, v9
	v_div_fixup_f32 v5, v5, v3, v4
	s_delay_alu instid0(VALU_DEP_1) | instskip(NEXT) | instid1(VALU_DEP_1)
	v_fmac_f32_e32 v3, v4, v5
	v_div_scale_f32 v4, null, v3, v3, 1.0
	v_div_scale_f32 v10, vcc_lo, 1.0, v3, 1.0
	s_delay_alu instid0(VALU_DEP_2) | instskip(SKIP_2) | instid1(VALU_DEP_1)
	v_rcp_f32_e32 v6, v4
	s_waitcnt_depctr 0xfff
	v_fma_f32 v9, -v4, v6, 1.0
	v_fmac_f32_e32 v6, v9, v6
	s_delay_alu instid0(VALU_DEP_1) | instskip(NEXT) | instid1(VALU_DEP_1)
	v_mul_f32_e32 v9, v10, v6
	v_fma_f32 v11, -v4, v9, v10
	s_delay_alu instid0(VALU_DEP_1) | instskip(NEXT) | instid1(VALU_DEP_1)
	v_fmac_f32_e32 v9, v11, v6
	v_fma_f32 v4, -v4, v9, v10
	s_delay_alu instid0(VALU_DEP_1) | instskip(SKIP_2) | instid1(VALU_DEP_3)
	v_div_fmas_f32 v4, v4, v6, v9
	v_fma_f32 v6, v2, v5, v1
	v_fma_f32 v1, -v1, v5, v2
	v_div_fixup_f32 v3, v4, v3, 1.0
	s_delay_alu instid0(VALU_DEP_1) | instskip(NEXT) | instid1(VALU_DEP_3)
	v_mul_f32_e32 v5, v6, v3
	v_mul_f32_e32 v6, v1, v3
	s_branch .LBB167_136
.LBB167_143:
	s_mov_b32 s6, 0
.LBB167_144:
	s_delay_alu instid0(SALU_CYCLE_1)
	s_and_not1_b32 vcc_lo, exec_lo, s6
	s_cbranch_vccnz .LBB167_183
; %bb.145:
	s_cmp_lt_i32 s8, 4
	s_mov_b32 s5, 0
	s_cbranch_scc1 .LBB167_168
; %bb.146:
	v_lshl_add_u32 v13, v0, 3, 0x1880
	s_mov_b32 s1, 0
	s_mov_b32 s4, 0
.LBB167_147:                            ; =>This Loop Header: Depth=1
                                        ;     Child Loop BB167_149 Depth 2
	s_delay_alu instid0(SALU_CYCLE_1) | instskip(NEXT) | instid1(SALU_CYCLE_1)
	s_mul_i32 s5, s4, 28
	s_add_i32 s7, s5, 28
	v_add_lshl_u32 v3, s5, v0, 3
	s_add_i32 s6, s5, 56
	v_add_lshl_u32 v4, s7, v0, 3
	s_addk_i32 s5, 0x54
	v_add_lshl_u32 v9, s6, v0, 3
	v_add_lshl_u32 v10, s5, v0, 3
	ds_load_b64 v[1:2], v3 offset:6272
	ds_load_b64 v[11:12], v4 offset:6272
	;; [unrolled: 1-line block ×4, first 2 shown]
	s_cmp_eq_u32 s4, 0
	s_cbranch_scc1 .LBB167_150
; %bb.148:                              ;   in Loop: Header=BB167_147 Depth=1
	v_mov_b32_e32 v14, v13
	s_mov_b32 s9, 0
	s_mov_b32 s10, s1
.LBB167_149:                            ;   Parent Loop BB167_147 Depth=1
                                        ; =>  This Inner Loop Header: Depth=2
	s_delay_alu instid0(SALU_CYCLE_1)
	v_mov_b32_e32 v31, s10
	ds_load_2addr_b64 v[15:18], v14 offset1:28
	v_add_nc_u32_e32 v14, 0x1c0, v14
	s_add_i32 s9, s9, 2
	s_add_i32 s10, s10, 16
	ds_load_b128 v[19:22], v31
	ds_load_b128 v[23:26], v31 offset:224
	ds_load_b128 v[27:30], v31 offset:448
	;; [unrolled: 1-line block ×3, first 2 shown]
	s_cmp_ge_u32 s9, s4
	s_waitcnt lgkmcnt(3)
	v_dual_mul_f32 v35, v20, v16 :: v_dual_mul_f32 v40, v22, v18
	v_dual_mul_f32 v36, v19, v16 :: v_dual_mul_f32 v41, v21, v18
	s_waitcnt lgkmcnt(2)
	v_dual_mul_f32 v37, v24, v16 :: v_dual_mul_f32 v42, v26, v18
	s_waitcnt lgkmcnt(1)
	v_dual_mul_f32 v24, v24, v15 :: v_dual_mul_f32 v43, v30, v18
	v_dual_mul_f32 v38, v28, v16 :: v_dual_fmac_f32 v41, v22, v17
	s_waitcnt lgkmcnt(0)
	v_dual_mul_f32 v39, v32, v16 :: v_dual_mul_f32 v26, v26, v17
	v_fma_f32 v19, v19, v15, -v35
	v_mul_f32_e32 v30, v30, v17
	v_fmac_f32_e32 v36, v20, v15
	v_fma_f32 v20, v23, v15, -v37
	v_mul_f32_e32 v28, v28, v15
	v_fmac_f32_e32 v24, v23, v16
	v_fma_f32 v23, v27, v15, -v38
	v_dual_mul_f32 v44, v34, v18 :: v_dual_sub_f32 v1, v1, v19
	v_mul_f32_e32 v32, v32, v15
	v_fma_f32 v15, v31, v15, -v39
	v_mul_f32_e32 v34, v34, v17
	v_fma_f32 v22, v29, v17, -v43
	v_sub_f32_e32 v11, v11, v20
	s_delay_alu instid0(VALU_DEP_4)
	v_dual_fmac_f32 v28, v27, v16 :: v_dual_sub_f32 v5, v5, v15
	v_fmac_f32_e32 v32, v31, v16
	v_fma_f32 v16, v21, v17, -v40
	v_fma_f32 v21, v25, v17, -v42
	v_sub_f32_e32 v7, v7, v23
	v_fma_f32 v17, v33, v17, -v44
	v_fmac_f32_e32 v26, v25, v18
	v_fmac_f32_e32 v30, v29, v18
	;; [unrolled: 1-line block ×3, first 2 shown]
	v_sub_f32_e32 v8, v8, v28
	v_dual_sub_f32 v6, v6, v32 :: v_dual_sub_f32 v11, v11, v21
	v_dual_sub_f32 v2, v2, v36 :: v_dual_sub_f32 v7, v7, v22
	;; [unrolled: 1-line block ×3, first 2 shown]
	s_delay_alu instid0(VALU_DEP_2) | instskip(SKIP_2) | instid1(VALU_DEP_4)
	v_dual_sub_f32 v1, v1, v16 :: v_dual_sub_f32 v2, v2, v41
	v_sub_f32_e32 v8, v8, v30
	v_sub_f32_e32 v6, v6, v34
	v_sub_f32_e32 v12, v12, v26
	s_cbranch_scc0 .LBB167_149
.LBB167_150:                            ;   in Loop: Header=BB167_147 Depth=1
	s_mul_i32 s9, s4, 0xe8
	v_add_nc_u32_e32 v17, 0x1880, v3
	v_dual_mov_b32 v3, s9 :: v_dual_add_nc_u32 v16, 0x1880, v4
	v_add_nc_u32_e32 v15, 0x1880, v9
	v_add_nc_u32_e32 v14, 0x1880, v10
	ds_load_b64 v[3:4], v3
	s_waitcnt lgkmcnt(0)
	v_cmp_gt_f32_e32 vcc_lo, 0, v3
	v_cndmask_b32_e64 v9, v3, -v3, vcc_lo
	v_cmp_gt_f32_e32 vcc_lo, 0, v4
	v_cndmask_b32_e64 v10, v4, -v4, vcc_lo
	s_delay_alu instid0(VALU_DEP_1)
	v_cmp_ngt_f32_e32 vcc_lo, v9, v10
	s_cbranch_vccz .LBB167_152
; %bb.151:                              ;   in Loop: Header=BB167_147 Depth=1
	v_div_scale_f32 v9, null, v4, v4, v3
	v_div_scale_f32 v19, vcc_lo, v3, v4, v3
	s_delay_alu instid0(VALU_DEP_2) | instskip(SKIP_2) | instid1(VALU_DEP_1)
	v_rcp_f32_e32 v10, v9
	s_waitcnt_depctr 0xfff
	v_fma_f32 v18, -v9, v10, 1.0
	v_fmac_f32_e32 v10, v18, v10
	s_delay_alu instid0(VALU_DEP_1) | instskip(NEXT) | instid1(VALU_DEP_1)
	v_mul_f32_e32 v18, v19, v10
	v_fma_f32 v20, -v9, v18, v19
	s_delay_alu instid0(VALU_DEP_1) | instskip(NEXT) | instid1(VALU_DEP_1)
	v_fmac_f32_e32 v18, v20, v10
	v_fma_f32 v9, -v9, v18, v19
	s_delay_alu instid0(VALU_DEP_1) | instskip(NEXT) | instid1(VALU_DEP_1)
	v_div_fmas_f32 v9, v9, v10, v18
	v_div_fixup_f32 v9, v9, v4, v3
	s_delay_alu instid0(VALU_DEP_1) | instskip(NEXT) | instid1(VALU_DEP_1)
	v_fma_f32 v10, v3, v9, v4
	v_div_scale_f32 v18, null, v10, v10, 1.0
	v_div_scale_f32 v21, vcc_lo, 1.0, v10, 1.0
	s_delay_alu instid0(VALU_DEP_2) | instskip(SKIP_2) | instid1(VALU_DEP_1)
	v_rcp_f32_e32 v19, v18
	s_waitcnt_depctr 0xfff
	v_fma_f32 v20, -v18, v19, 1.0
	v_fmac_f32_e32 v19, v20, v19
	s_delay_alu instid0(VALU_DEP_1) | instskip(NEXT) | instid1(VALU_DEP_1)
	v_mul_f32_e32 v20, v21, v19
	v_fma_f32 v22, -v18, v20, v21
	s_delay_alu instid0(VALU_DEP_1) | instskip(NEXT) | instid1(VALU_DEP_1)
	v_fmac_f32_e32 v20, v22, v19
	v_fma_f32 v18, -v18, v20, v21
	s_delay_alu instid0(VALU_DEP_1) | instskip(SKIP_1) | instid1(VALU_DEP_2)
	v_div_fmas_f32 v18, v18, v19, v20
	v_fma_f32 v19, v1, v9, v2
	v_div_fixup_f32 v10, v18, v10, 1.0
	v_fma_f32 v18, v2, v9, -v1
	s_delay_alu instid0(VALU_DEP_2) | instskip(NEXT) | instid1(VALU_DEP_2)
	v_mul_f32_e32 v9, v19, v10
	v_mul_f32_e32 v10, v18, v10
	s_cbranch_execz .LBB167_153
	s_branch .LBB167_154
.LBB167_152:                            ;   in Loop: Header=BB167_147 Depth=1
                                        ; implicit-def: $vgpr10
.LBB167_153:                            ;   in Loop: Header=BB167_147 Depth=1
	v_div_scale_f32 v9, null, v3, v3, v4
	v_div_scale_f32 v19, vcc_lo, v4, v3, v4
	s_delay_alu instid0(VALU_DEP_2) | instskip(SKIP_2) | instid1(VALU_DEP_1)
	v_rcp_f32_e32 v10, v9
	s_waitcnt_depctr 0xfff
	v_fma_f32 v18, -v9, v10, 1.0
	v_fmac_f32_e32 v10, v18, v10
	s_delay_alu instid0(VALU_DEP_1) | instskip(NEXT) | instid1(VALU_DEP_1)
	v_mul_f32_e32 v18, v19, v10
	v_fma_f32 v20, -v9, v18, v19
	s_delay_alu instid0(VALU_DEP_1) | instskip(NEXT) | instid1(VALU_DEP_1)
	v_fmac_f32_e32 v18, v20, v10
	v_fma_f32 v9, -v9, v18, v19
	s_delay_alu instid0(VALU_DEP_1) | instskip(NEXT) | instid1(VALU_DEP_1)
	v_div_fmas_f32 v9, v9, v10, v18
	v_div_fixup_f32 v9, v9, v3, v4
	s_delay_alu instid0(VALU_DEP_1) | instskip(NEXT) | instid1(VALU_DEP_1)
	v_fmac_f32_e32 v3, v4, v9
	v_div_scale_f32 v4, null, v3, v3, 1.0
	v_div_scale_f32 v19, vcc_lo, 1.0, v3, 1.0
	s_delay_alu instid0(VALU_DEP_2) | instskip(SKIP_2) | instid1(VALU_DEP_1)
	v_rcp_f32_e32 v10, v4
	s_waitcnt_depctr 0xfff
	v_fma_f32 v18, -v4, v10, 1.0
	v_fmac_f32_e32 v10, v18, v10
	s_delay_alu instid0(VALU_DEP_1) | instskip(NEXT) | instid1(VALU_DEP_1)
	v_mul_f32_e32 v18, v19, v10
	v_fma_f32 v20, -v4, v18, v19
	s_delay_alu instid0(VALU_DEP_1) | instskip(NEXT) | instid1(VALU_DEP_1)
	v_fmac_f32_e32 v18, v20, v10
	v_fma_f32 v4, -v4, v18, v19
	s_delay_alu instid0(VALU_DEP_1) | instskip(SKIP_2) | instid1(VALU_DEP_3)
	v_div_fmas_f32 v4, v4, v10, v18
	v_fma_f32 v10, v2, v9, v1
	v_fma_f32 v1, -v1, v9, v2
	v_div_fixup_f32 v3, v4, v3, 1.0
	s_delay_alu instid0(VALU_DEP_1) | instskip(NEXT) | instid1(VALU_DEP_3)
	v_mul_f32_e32 v9, v10, v3
	v_mul_f32_e32 v10, v1, v3
.LBB167_154:                            ;   in Loop: Header=BB167_147 Depth=1
	s_add_i32 s7, s7, s4
	ds_store_b64 v17, v[9:10]
	s_lshl_b32 s7, s7, 3
	s_delay_alu instid0(SALU_CYCLE_1)
	v_mov_b32_e32 v1, s7
	ds_load_b128 v[1:4], v1
	s_waitcnt lgkmcnt(0)
	v_mul_f32_e32 v18, v10, v2
	v_cmp_gt_f32_e32 vcc_lo, 0, v3
	v_mul_f32_e32 v2, v9, v2
	s_delay_alu instid0(VALU_DEP_3) | instskip(SKIP_2) | instid1(VALU_DEP_3)
	v_fma_f32 v18, v9, v1, -v18
	v_cndmask_b32_e64 v19, v3, -v3, vcc_lo
	v_cmp_gt_f32_e32 vcc_lo, 0, v4
	v_dual_fmac_f32 v2, v10, v1 :: v_dual_sub_f32 v1, v11, v18
	v_cndmask_b32_e64 v20, v4, -v4, vcc_lo
	s_delay_alu instid0(VALU_DEP_2) | instskip(NEXT) | instid1(VALU_DEP_2)
	v_sub_f32_e32 v2, v12, v2
	v_cmp_ngt_f32_e32 vcc_lo, v19, v20
	s_cbranch_vccz .LBB167_156
; %bb.155:                              ;   in Loop: Header=BB167_147 Depth=1
	v_div_scale_f32 v11, null, v4, v4, v3
	v_div_scale_f32 v18, vcc_lo, v3, v4, v3
	s_delay_alu instid0(VALU_DEP_2) | instskip(SKIP_2) | instid1(VALU_DEP_1)
	v_rcp_f32_e32 v12, v11
	s_waitcnt_depctr 0xfff
	v_fma_f32 v17, -v11, v12, 1.0
	v_fmac_f32_e32 v12, v17, v12
	s_delay_alu instid0(VALU_DEP_1) | instskip(NEXT) | instid1(VALU_DEP_1)
	v_mul_f32_e32 v17, v18, v12
	v_fma_f32 v19, -v11, v17, v18
	s_delay_alu instid0(VALU_DEP_1) | instskip(NEXT) | instid1(VALU_DEP_1)
	v_fmac_f32_e32 v17, v19, v12
	v_fma_f32 v11, -v11, v17, v18
	s_delay_alu instid0(VALU_DEP_1) | instskip(NEXT) | instid1(VALU_DEP_1)
	v_div_fmas_f32 v11, v11, v12, v17
	v_div_fixup_f32 v11, v11, v4, v3
	s_delay_alu instid0(VALU_DEP_1) | instskip(NEXT) | instid1(VALU_DEP_1)
	v_fma_f32 v12, v3, v11, v4
	v_div_scale_f32 v17, null, v12, v12, 1.0
	v_div_scale_f32 v20, vcc_lo, 1.0, v12, 1.0
	s_delay_alu instid0(VALU_DEP_2) | instskip(SKIP_2) | instid1(VALU_DEP_1)
	v_rcp_f32_e32 v18, v17
	s_waitcnt_depctr 0xfff
	v_fma_f32 v19, -v17, v18, 1.0
	v_fmac_f32_e32 v18, v19, v18
	s_delay_alu instid0(VALU_DEP_1) | instskip(NEXT) | instid1(VALU_DEP_1)
	v_mul_f32_e32 v19, v20, v18
	v_fma_f32 v21, -v17, v19, v20
	s_delay_alu instid0(VALU_DEP_1) | instskip(NEXT) | instid1(VALU_DEP_1)
	v_fmac_f32_e32 v19, v21, v18
	v_fma_f32 v17, -v17, v19, v20
	s_delay_alu instid0(VALU_DEP_1) | instskip(SKIP_1) | instid1(VALU_DEP_2)
	v_div_fmas_f32 v17, v17, v18, v19
	v_fma_f32 v18, v11, v1, v2
	v_div_fixup_f32 v12, v17, v12, 1.0
	v_fma_f32 v17, v11, v2, -v1
	s_delay_alu instid0(VALU_DEP_2) | instskip(NEXT) | instid1(VALU_DEP_2)
	v_mul_f32_e32 v11, v18, v12
	v_mul_f32_e32 v12, v17, v12
	s_cbranch_execz .LBB167_157
	s_branch .LBB167_158
.LBB167_156:                            ;   in Loop: Header=BB167_147 Depth=1
                                        ; implicit-def: $vgpr12
.LBB167_157:                            ;   in Loop: Header=BB167_147 Depth=1
	v_div_scale_f32 v11, null, v3, v3, v4
	v_div_scale_f32 v18, vcc_lo, v4, v3, v4
	s_delay_alu instid0(VALU_DEP_2) | instskip(SKIP_2) | instid1(VALU_DEP_1)
	v_rcp_f32_e32 v12, v11
	s_waitcnt_depctr 0xfff
	v_fma_f32 v17, -v11, v12, 1.0
	v_fmac_f32_e32 v12, v17, v12
	s_delay_alu instid0(VALU_DEP_1) | instskip(NEXT) | instid1(VALU_DEP_1)
	v_mul_f32_e32 v17, v18, v12
	v_fma_f32 v19, -v11, v17, v18
	s_delay_alu instid0(VALU_DEP_1) | instskip(NEXT) | instid1(VALU_DEP_1)
	v_fmac_f32_e32 v17, v19, v12
	v_fma_f32 v11, -v11, v17, v18
	s_delay_alu instid0(VALU_DEP_1) | instskip(NEXT) | instid1(VALU_DEP_1)
	v_div_fmas_f32 v11, v11, v12, v17
	v_div_fixup_f32 v11, v11, v3, v4
	s_delay_alu instid0(VALU_DEP_1) | instskip(NEXT) | instid1(VALU_DEP_1)
	v_fmac_f32_e32 v3, v4, v11
	v_div_scale_f32 v4, null, v3, v3, 1.0
	v_div_scale_f32 v18, vcc_lo, 1.0, v3, 1.0
	s_delay_alu instid0(VALU_DEP_2) | instskip(SKIP_2) | instid1(VALU_DEP_1)
	v_rcp_f32_e32 v12, v4
	s_waitcnt_depctr 0xfff
	v_fma_f32 v17, -v4, v12, 1.0
	v_fmac_f32_e32 v12, v17, v12
	s_delay_alu instid0(VALU_DEP_1) | instskip(NEXT) | instid1(VALU_DEP_1)
	v_mul_f32_e32 v17, v18, v12
	v_fma_f32 v19, -v4, v17, v18
	s_delay_alu instid0(VALU_DEP_1) | instskip(NEXT) | instid1(VALU_DEP_1)
	v_fmac_f32_e32 v17, v19, v12
	v_fma_f32 v4, -v4, v17, v18
	s_delay_alu instid0(VALU_DEP_1) | instskip(SKIP_2) | instid1(VALU_DEP_3)
	v_div_fmas_f32 v4, v4, v12, v17
	v_fma_f32 v12, v11, v2, v1
	v_fma_f32 v1, -v11, v1, v2
	v_div_fixup_f32 v3, v4, v3, 1.0
	s_delay_alu instid0(VALU_DEP_1) | instskip(NEXT) | instid1(VALU_DEP_3)
	v_mul_f32_e32 v11, v12, v3
	v_mul_f32_e32 v12, v1, v3
.LBB167_158:                            ;   in Loop: Header=BB167_147 Depth=1
	s_add_i32 s6, s6, s4
	v_mov_b32_e32 v2, s9
	s_lshl_b32 s6, s6, 3
	s_delay_alu instid0(SALU_CYCLE_1)
	v_mov_b32_e32 v1, s6
	ds_load_b128 v[17:20], v1
	ds_load_b64 v[1:2], v2 offset:464
	ds_store_b64 v16, v[11:12]
	s_waitcnt lgkmcnt(2)
	v_mul_f32_e32 v3, v10, v18
	s_waitcnt lgkmcnt(1)
	v_cmp_gt_f32_e32 vcc_lo, 0, v1
	v_mul_f32_e32 v4, v9, v18
	v_mul_f32_e32 v18, v12, v20
	;; [unrolled: 1-line block ×3, first 2 shown]
	v_fma_f32 v3, v9, v17, -v3
	v_cndmask_b32_e64 v21, v1, -v1, vcc_lo
	v_cmp_gt_f32_e32 vcc_lo, 0, v2
	v_fma_f32 v18, v11, v19, -v18
	v_fmac_f32_e32 v20, v12, v19
	v_dual_sub_f32 v3, v7, v3 :: v_dual_fmac_f32 v4, v10, v17
	v_cndmask_b32_e64 v17, v2, -v2, vcc_lo
	s_delay_alu instid0(VALU_DEP_2) | instskip(NEXT) | instid1(VALU_DEP_2)
	v_dual_sub_f32 v3, v3, v18 :: v_dual_sub_f32 v4, v8, v4
	v_cmp_ngt_f32_e32 vcc_lo, v21, v17
	s_delay_alu instid0(VALU_DEP_2)
	v_sub_f32_e32 v4, v4, v20
	s_cbranch_vccz .LBB167_160
; %bb.159:                              ;   in Loop: Header=BB167_147 Depth=1
	v_div_scale_f32 v7, null, v2, v2, v1
	v_div_scale_f32 v17, vcc_lo, v1, v2, v1
	s_delay_alu instid0(VALU_DEP_2) | instskip(SKIP_2) | instid1(VALU_DEP_1)
	v_rcp_f32_e32 v8, v7
	s_waitcnt_depctr 0xfff
	v_fma_f32 v16, -v7, v8, 1.0
	v_fmac_f32_e32 v8, v16, v8
	s_delay_alu instid0(VALU_DEP_1) | instskip(NEXT) | instid1(VALU_DEP_1)
	v_mul_f32_e32 v16, v17, v8
	v_fma_f32 v18, -v7, v16, v17
	s_delay_alu instid0(VALU_DEP_1) | instskip(NEXT) | instid1(VALU_DEP_1)
	v_fmac_f32_e32 v16, v18, v8
	v_fma_f32 v7, -v7, v16, v17
	s_delay_alu instid0(VALU_DEP_1) | instskip(NEXT) | instid1(VALU_DEP_1)
	v_div_fmas_f32 v7, v7, v8, v16
	v_div_fixup_f32 v7, v7, v2, v1
	s_delay_alu instid0(VALU_DEP_1) | instskip(NEXT) | instid1(VALU_DEP_1)
	v_fma_f32 v8, v1, v7, v2
	v_div_scale_f32 v16, null, v8, v8, 1.0
	v_div_scale_f32 v19, vcc_lo, 1.0, v8, 1.0
	s_delay_alu instid0(VALU_DEP_2) | instskip(SKIP_2) | instid1(VALU_DEP_1)
	v_rcp_f32_e32 v17, v16
	s_waitcnt_depctr 0xfff
	v_fma_f32 v18, -v16, v17, 1.0
	v_fmac_f32_e32 v17, v18, v17
	s_delay_alu instid0(VALU_DEP_1) | instskip(NEXT) | instid1(VALU_DEP_1)
	v_mul_f32_e32 v18, v19, v17
	v_fma_f32 v20, -v16, v18, v19
	s_delay_alu instid0(VALU_DEP_1) | instskip(NEXT) | instid1(VALU_DEP_1)
	v_fmac_f32_e32 v18, v20, v17
	v_fma_f32 v16, -v16, v18, v19
	s_delay_alu instid0(VALU_DEP_1) | instskip(SKIP_1) | instid1(VALU_DEP_2)
	v_div_fmas_f32 v16, v16, v17, v18
	v_fma_f32 v17, v7, v3, v4
	v_div_fixup_f32 v8, v16, v8, 1.0
	v_fma_f32 v16, v7, v4, -v3
	s_delay_alu instid0(VALU_DEP_2) | instskip(NEXT) | instid1(VALU_DEP_2)
	v_mul_f32_e32 v7, v17, v8
	v_mul_f32_e32 v8, v16, v8
	s_cbranch_execz .LBB167_161
	s_branch .LBB167_162
.LBB167_160:                            ;   in Loop: Header=BB167_147 Depth=1
                                        ; implicit-def: $vgpr8
.LBB167_161:                            ;   in Loop: Header=BB167_147 Depth=1
	v_div_scale_f32 v7, null, v1, v1, v2
	v_div_scale_f32 v17, vcc_lo, v2, v1, v2
	s_delay_alu instid0(VALU_DEP_2) | instskip(SKIP_2) | instid1(VALU_DEP_1)
	v_rcp_f32_e32 v8, v7
	s_waitcnt_depctr 0xfff
	v_fma_f32 v16, -v7, v8, 1.0
	v_fmac_f32_e32 v8, v16, v8
	s_delay_alu instid0(VALU_DEP_1) | instskip(NEXT) | instid1(VALU_DEP_1)
	v_mul_f32_e32 v16, v17, v8
	v_fma_f32 v18, -v7, v16, v17
	s_delay_alu instid0(VALU_DEP_1) | instskip(NEXT) | instid1(VALU_DEP_1)
	v_fmac_f32_e32 v16, v18, v8
	v_fma_f32 v7, -v7, v16, v17
	s_delay_alu instid0(VALU_DEP_1) | instskip(NEXT) | instid1(VALU_DEP_1)
	v_div_fmas_f32 v7, v7, v8, v16
	v_div_fixup_f32 v7, v7, v1, v2
	s_delay_alu instid0(VALU_DEP_1) | instskip(NEXT) | instid1(VALU_DEP_1)
	v_fmac_f32_e32 v1, v2, v7
	v_div_scale_f32 v2, null, v1, v1, 1.0
	v_div_scale_f32 v17, vcc_lo, 1.0, v1, 1.0
	s_delay_alu instid0(VALU_DEP_2) | instskip(SKIP_2) | instid1(VALU_DEP_1)
	v_rcp_f32_e32 v8, v2
	s_waitcnt_depctr 0xfff
	v_fma_f32 v16, -v2, v8, 1.0
	v_fmac_f32_e32 v8, v16, v8
	s_delay_alu instid0(VALU_DEP_1) | instskip(NEXT) | instid1(VALU_DEP_1)
	v_mul_f32_e32 v16, v17, v8
	v_fma_f32 v18, -v2, v16, v17
	s_delay_alu instid0(VALU_DEP_1) | instskip(NEXT) | instid1(VALU_DEP_1)
	v_fmac_f32_e32 v16, v18, v8
	v_fma_f32 v2, -v2, v16, v17
	s_delay_alu instid0(VALU_DEP_1) | instskip(SKIP_1) | instid1(VALU_DEP_2)
	v_div_fmas_f32 v2, v2, v8, v16
	v_fma_f32 v8, v7, v4, v3
	v_div_fixup_f32 v1, v2, v1, 1.0
	v_fma_f32 v2, -v7, v3, v4
	s_delay_alu instid0(VALU_DEP_2) | instskip(NEXT) | instid1(VALU_DEP_2)
	v_mul_f32_e32 v7, v8, v1
	v_mul_f32_e32 v8, v2, v1
.LBB167_162:                            ;   in Loop: Header=BB167_147 Depth=1
	s_add_i32 s5, s5, s4
	s_delay_alu instid0(SALU_CYCLE_1) | instskip(NEXT) | instid1(SALU_CYCLE_1)
	s_lshl_b32 s5, s5, 3
	v_mov_b32_e32 v1, s5
	ds_load_b128 v[16:19], v1
	ds_load_b128 v[1:4], v1 offset:16
	ds_store_b64 v15, v[7:8]
	s_waitcnt lgkmcnt(2)
	v_mul_f32_e32 v20, v10, v17
	s_waitcnt lgkmcnt(1)
	v_dual_mul_f32 v17, v9, v17 :: v_dual_mul_f32 v22, v8, v2
	v_dual_mul_f32 v21, v12, v19 :: v_dual_mul_f32 v2, v7, v2
	v_cmp_gt_f32_e32 vcc_lo, 0, v3
	v_fma_f32 v9, v9, v16, -v20
	s_delay_alu instid0(VALU_DEP_3) | instskip(SKIP_2) | instid1(VALU_DEP_3)
	v_dual_fmac_f32 v17, v10, v16 :: v_dual_fmac_f32 v2, v8, v1
	v_mul_f32_e32 v19, v11, v19
	v_cndmask_b32_e64 v10, v3, -v3, vcc_lo
	v_sub_f32_e32 v6, v6, v17
	v_cmp_gt_f32_e32 vcc_lo, 0, v4
	v_fma_f32 v11, v11, v18, -v21
	v_fmac_f32_e32 v19, v12, v18
	v_sub_f32_e32 v5, v5, v9
	v_fma_f32 v12, v7, v1, -v22
	v_cndmask_b32_e64 v9, v4, -v4, vcc_lo
	s_delay_alu instid0(VALU_DEP_4) | instskip(NEXT) | instid1(VALU_DEP_4)
	v_sub_f32_e32 v6, v6, v19
	v_sub_f32_e32 v1, v5, v11
	s_delay_alu instid0(VALU_DEP_3) | instskip(NEXT) | instid1(VALU_DEP_2)
	v_cmp_ngt_f32_e32 vcc_lo, v10, v9
	v_dual_sub_f32 v6, v6, v2 :: v_dual_sub_f32 v5, v1, v12
	s_cbranch_vccz .LBB167_164
; %bb.163:                              ;   in Loop: Header=BB167_147 Depth=1
	v_div_scale_f32 v1, null, v4, v4, v3
	v_div_scale_f32 v8, vcc_lo, v3, v4, v3
	s_delay_alu instid0(VALU_DEP_2) | instskip(SKIP_2) | instid1(VALU_DEP_1)
	v_rcp_f32_e32 v2, v1
	s_waitcnt_depctr 0xfff
	v_fma_f32 v7, -v1, v2, 1.0
	v_fmac_f32_e32 v2, v7, v2
	s_delay_alu instid0(VALU_DEP_1) | instskip(NEXT) | instid1(VALU_DEP_1)
	v_mul_f32_e32 v7, v8, v2
	v_fma_f32 v9, -v1, v7, v8
	s_delay_alu instid0(VALU_DEP_1) | instskip(NEXT) | instid1(VALU_DEP_1)
	v_fmac_f32_e32 v7, v9, v2
	v_fma_f32 v1, -v1, v7, v8
	s_delay_alu instid0(VALU_DEP_1) | instskip(NEXT) | instid1(VALU_DEP_1)
	v_div_fmas_f32 v1, v1, v2, v7
	v_div_fixup_f32 v1, v1, v4, v3
	s_delay_alu instid0(VALU_DEP_1) | instskip(NEXT) | instid1(VALU_DEP_1)
	v_fma_f32 v2, v3, v1, v4
	v_div_scale_f32 v7, null, v2, v2, 1.0
	v_div_scale_f32 v10, vcc_lo, 1.0, v2, 1.0
	s_delay_alu instid0(VALU_DEP_2) | instskip(SKIP_2) | instid1(VALU_DEP_1)
	v_rcp_f32_e32 v8, v7
	s_waitcnt_depctr 0xfff
	v_fma_f32 v9, -v7, v8, 1.0
	v_fmac_f32_e32 v8, v9, v8
	s_delay_alu instid0(VALU_DEP_1) | instskip(NEXT) | instid1(VALU_DEP_1)
	v_mul_f32_e32 v9, v10, v8
	v_fma_f32 v11, -v7, v9, v10
	s_delay_alu instid0(VALU_DEP_1) | instskip(NEXT) | instid1(VALU_DEP_1)
	v_fmac_f32_e32 v9, v11, v8
	v_fma_f32 v7, -v7, v9, v10
	s_delay_alu instid0(VALU_DEP_1) | instskip(SKIP_1) | instid1(VALU_DEP_2)
	v_div_fmas_f32 v7, v7, v8, v9
	v_fma_f32 v8, v1, v5, v6
	v_div_fixup_f32 v2, v7, v2, 1.0
	v_fma_f32 v7, v1, v6, -v5
	s_delay_alu instid0(VALU_DEP_2) | instskip(NEXT) | instid1(VALU_DEP_2)
	v_mul_f32_e32 v1, v8, v2
	v_mul_f32_e32 v2, v7, v2
	s_cbranch_execz .LBB167_165
	s_branch .LBB167_166
.LBB167_164:                            ;   in Loop: Header=BB167_147 Depth=1
                                        ; implicit-def: $vgpr2
.LBB167_165:                            ;   in Loop: Header=BB167_147 Depth=1
	v_div_scale_f32 v1, null, v3, v3, v4
	v_div_scale_f32 v8, vcc_lo, v4, v3, v4
	s_delay_alu instid0(VALU_DEP_2) | instskip(SKIP_2) | instid1(VALU_DEP_1)
	v_rcp_f32_e32 v2, v1
	s_waitcnt_depctr 0xfff
	v_fma_f32 v7, -v1, v2, 1.0
	v_fmac_f32_e32 v2, v7, v2
	s_delay_alu instid0(VALU_DEP_1) | instskip(NEXT) | instid1(VALU_DEP_1)
	v_mul_f32_e32 v7, v8, v2
	v_fma_f32 v9, -v1, v7, v8
	s_delay_alu instid0(VALU_DEP_1) | instskip(NEXT) | instid1(VALU_DEP_1)
	v_fmac_f32_e32 v7, v9, v2
	v_fma_f32 v1, -v1, v7, v8
	s_delay_alu instid0(VALU_DEP_1) | instskip(NEXT) | instid1(VALU_DEP_1)
	v_div_fmas_f32 v1, v1, v2, v7
	v_div_fixup_f32 v1, v1, v3, v4
	s_delay_alu instid0(VALU_DEP_1) | instskip(NEXT) | instid1(VALU_DEP_1)
	v_fmac_f32_e32 v3, v4, v1
	v_div_scale_f32 v2, null, v3, v3, 1.0
	v_div_scale_f32 v8, vcc_lo, 1.0, v3, 1.0
	s_delay_alu instid0(VALU_DEP_2) | instskip(SKIP_2) | instid1(VALU_DEP_1)
	v_rcp_f32_e32 v4, v2
	s_waitcnt_depctr 0xfff
	v_fma_f32 v7, -v2, v4, 1.0
	v_fmac_f32_e32 v4, v7, v4
	s_delay_alu instid0(VALU_DEP_1) | instskip(NEXT) | instid1(VALU_DEP_1)
	v_mul_f32_e32 v7, v8, v4
	v_fma_f32 v9, -v2, v7, v8
	s_delay_alu instid0(VALU_DEP_1) | instskip(NEXT) | instid1(VALU_DEP_1)
	v_fmac_f32_e32 v7, v9, v4
	v_fma_f32 v2, -v2, v7, v8
	s_delay_alu instid0(VALU_DEP_1) | instskip(SKIP_1) | instid1(VALU_DEP_2)
	v_div_fmas_f32 v2, v2, v4, v7
	v_fma_f32 v4, v1, v6, v5
	v_div_fixup_f32 v2, v2, v3, 1.0
	v_fma_f32 v3, -v1, v5, v6
	s_delay_alu instid0(VALU_DEP_2) | instskip(NEXT) | instid1(VALU_DEP_2)
	v_mul_f32_e32 v1, v4, v2
	v_mul_f32_e32 v2, v3, v2
.LBB167_166:                            ;   in Loop: Header=BB167_147 Depth=1
	s_add_i32 s5, s4, 4
	s_add_i32 s4, s4, 7
	s_addk_i32 s1, 0x380
	s_cmp_ge_i32 s4, s11
	ds_store_b64 v14, v[1:2]
	s_cbranch_scc1 .LBB167_168
; %bb.167:                              ;   in Loop: Header=BB167_147 Depth=1
	s_mov_b32 s4, s5
	s_branch .LBB167_147
.LBB167_168:
	s_cmp_ge_i32 s5, s11
	s_cbranch_scc1 .LBB167_183
; %bb.169:
	v_lshl_add_u32 v1, v0, 3, 0x1880
	s_add_i32 s1, s5, -1
	s_mul_i32 s4, s5, 0xe0
	s_mov_b32 s6, 0
	s_mov_b32 s7, s5
	s_branch .LBB167_171
.LBB167_170:                            ;   in Loop: Header=BB167_171 Depth=1
	v_add_nc_u16 v2, s7, 1
	s_add_i32 s5, s5, 1
	s_add_i32 s6, s6, 1
	s_addk_i32 s4, 0xe0
	s_cmp_ge_i32 s5, s11
	v_readfirstlane_b32 s7, v2
	ds_store_b64 v8, v[6:7]
	s_cbranch_scc1 .LBB167_183
.LBB167_171:                            ; =>This Loop Header: Depth=1
                                        ;     Child Loop BB167_174 Depth 2
                                        ;     Child Loop BB167_178 Depth 2
	s_mul_i32 s9, s5, 28
	s_cmp_eq_u32 s5, 0
	v_add_lshl_u32 v6, s9, v0, 3
	ds_load_b64 v[2:3], v6 offset:6272
	s_cbranch_scc1 .LBB167_179
; %bb.172:                              ;   in Loop: Header=BB167_171 Depth=1
	s_add_i32 s9, s1, s6
	s_delay_alu instid0(SALU_CYCLE_1)
	s_cmp_lt_u32 s9, 3
	s_cbranch_scc1 .LBB167_176
; %bb.173:                              ;   in Loop: Header=BB167_171 Depth=1
	v_mov_b32_e32 v4, v1
	s_and_b32 s9, s5, -4
	s_mov_b32 s10, 0
	s_mov_b32 s14, s4
	s_set_inst_prefetch_distance 0x1
	.p2align	6
.LBB167_174:                            ;   Parent Loop BB167_171 Depth=1
                                        ; =>  This Inner Loop Header: Depth=2
	v_mov_b32_e32 v5, s14
	s_add_i32 s10, s10, 4
	s_add_i32 s14, s14, 32
	s_cmp_eq_u32 s9, s10
	ds_load_2addr_b64 v[7:10], v4 offset1:28
	ds_load_b128 v[11:14], v5
	ds_load_2addr_b64 v[15:18], v4 offset0:56 offset1:84
	ds_load_b128 v[19:22], v5 offset:16
	v_add_nc_u32_e32 v4, 0x380, v4
	s_waitcnt lgkmcnt(2)
	v_mul_f32_e32 v5, v12, v8
	v_dual_mul_f32 v8, v11, v8 :: v_dual_mul_f32 v23, v14, v10
	s_waitcnt lgkmcnt(0)
	v_mul_f32_e32 v24, v20, v16
	v_mul_f32_e32 v10, v13, v10
	v_fma_f32 v5, v11, v7, -v5
	v_fmac_f32_e32 v8, v12, v7
	v_dual_mul_f32 v16, v19, v16 :: v_dual_mul_f32 v7, v22, v18
	v_fma_f32 v11, v13, v9, -v23
	s_delay_alu instid0(VALU_DEP_4) | instskip(NEXT) | instid1(VALU_DEP_4)
	v_dual_sub_f32 v2, v2, v5 :: v_dual_mul_f32 v5, v21, v18
	v_dual_fmac_f32 v10, v14, v9 :: v_dual_sub_f32 v3, v3, v8
	v_fma_f32 v8, v19, v15, -v24
	s_delay_alu instid0(VALU_DEP_3) | instskip(SKIP_1) | instid1(VALU_DEP_4)
	v_dual_fmac_f32 v16, v20, v15 :: v_dual_fmac_f32 v5, v22, v17
	v_fma_f32 v7, v21, v17, -v7
	v_dual_sub_f32 v3, v3, v10 :: v_dual_sub_f32 v2, v2, v11
	s_delay_alu instid0(VALU_DEP_1) | instskip(NEXT) | instid1(VALU_DEP_1)
	v_sub_f32_e32 v3, v3, v16
	v_dual_sub_f32 v2, v2, v8 :: v_dual_sub_f32 v3, v3, v5
	s_delay_alu instid0(VALU_DEP_1)
	v_sub_f32_e32 v2, v2, v7
	s_cbranch_scc0 .LBB167_174
; %bb.175:                              ;   in Loop: Header=BB167_171 Depth=1
	s_set_inst_prefetch_distance 0x2
	s_and_b32 s10, s5, 3
	s_delay_alu instid0(SALU_CYCLE_1)
	s_cmp_eq_u32 s10, 0
	s_cbranch_scc0 .LBB167_177
	s_branch .LBB167_179
.LBB167_176:                            ;   in Loop: Header=BB167_171 Depth=1
	s_mov_b32 s9, 0
	s_and_b32 s10, s5, 3
	s_delay_alu instid0(SALU_CYCLE_1)
	s_cmp_eq_u32 s10, 0
	s_cbranch_scc1 .LBB167_179
.LBB167_177:                            ;   in Loop: Header=BB167_171 Depth=1
	s_waitcnt lgkmcnt(0)
	v_mad_u64_u32 v[4:5], null, 0xe0, s9, v[1:2]
	s_and_b32 s10, s7, 3
	s_lshl_b32 s9, s9, 3
	.p2align	6
.LBB167_178:                            ;   Parent Loop BB167_171 Depth=1
                                        ; =>  This Inner Loop Header: Depth=2
	s_delay_alu instid0(SALU_CYCLE_1)
	s_add_i32 s14, s4, s9
	s_add_i32 s10, s10, -1
	v_mov_b32_e32 v5, s14
	s_add_i32 s9, s9, 8
	s_cmp_lg_u32 s10, 0
	ds_load_b64 v[7:8], v4
	ds_load_b64 v[9:10], v5
	v_add_nc_u32_e32 v4, 0xe0, v4
	s_waitcnt lgkmcnt(0)
	v_mul_f32_e32 v5, v10, v8
	v_mul_f32_e32 v8, v9, v8
	s_delay_alu instid0(VALU_DEP_2) | instskip(NEXT) | instid1(VALU_DEP_2)
	v_fma_f32 v5, v9, v7, -v5
	v_fmac_f32_e32 v8, v10, v7
	s_delay_alu instid0(VALU_DEP_1)
	v_dual_sub_f32 v2, v2, v5 :: v_dual_sub_f32 v3, v3, v8
	s_cbranch_scc1 .LBB167_178
.LBB167_179:                            ;   in Loop: Header=BB167_171 Depth=1
	s_mul_i32 s9, s5, 0xe8
	v_add_nc_u32_e32 v8, 0x1880, v6
	v_mov_b32_e32 v4, s9
	ds_load_b64 v[4:5], v4
	s_waitcnt lgkmcnt(0)
	v_cmp_gt_f32_e32 vcc_lo, 0, v4
	v_cndmask_b32_e64 v6, v4, -v4, vcc_lo
	v_cmp_gt_f32_e32 vcc_lo, 0, v5
	v_cndmask_b32_e64 v7, v5, -v5, vcc_lo
	s_delay_alu instid0(VALU_DEP_1)
	v_cmp_ngt_f32_e32 vcc_lo, v6, v7
	s_cbranch_vccz .LBB167_181
; %bb.180:                              ;   in Loop: Header=BB167_171 Depth=1
	v_div_scale_f32 v6, null, v5, v5, v4
	v_div_scale_f32 v10, vcc_lo, v4, v5, v4
	s_delay_alu instid0(VALU_DEP_2) | instskip(SKIP_2) | instid1(VALU_DEP_1)
	v_rcp_f32_e32 v7, v6
	s_waitcnt_depctr 0xfff
	v_fma_f32 v9, -v6, v7, 1.0
	v_fmac_f32_e32 v7, v9, v7
	s_delay_alu instid0(VALU_DEP_1) | instskip(NEXT) | instid1(VALU_DEP_1)
	v_mul_f32_e32 v9, v10, v7
	v_fma_f32 v11, -v6, v9, v10
	s_delay_alu instid0(VALU_DEP_1) | instskip(NEXT) | instid1(VALU_DEP_1)
	v_fmac_f32_e32 v9, v11, v7
	v_fma_f32 v6, -v6, v9, v10
	s_delay_alu instid0(VALU_DEP_1) | instskip(NEXT) | instid1(VALU_DEP_1)
	v_div_fmas_f32 v6, v6, v7, v9
	v_div_fixup_f32 v6, v6, v5, v4
	s_delay_alu instid0(VALU_DEP_1) | instskip(NEXT) | instid1(VALU_DEP_1)
	v_fma_f32 v7, v4, v6, v5
	v_div_scale_f32 v9, null, v7, v7, 1.0
	v_div_scale_f32 v12, vcc_lo, 1.0, v7, 1.0
	s_delay_alu instid0(VALU_DEP_2) | instskip(SKIP_2) | instid1(VALU_DEP_1)
	v_rcp_f32_e32 v10, v9
	s_waitcnt_depctr 0xfff
	v_fma_f32 v11, -v9, v10, 1.0
	v_fmac_f32_e32 v10, v11, v10
	s_delay_alu instid0(VALU_DEP_1) | instskip(NEXT) | instid1(VALU_DEP_1)
	v_mul_f32_e32 v11, v12, v10
	v_fma_f32 v13, -v9, v11, v12
	s_delay_alu instid0(VALU_DEP_1) | instskip(NEXT) | instid1(VALU_DEP_1)
	v_fmac_f32_e32 v11, v13, v10
	v_fma_f32 v9, -v9, v11, v12
	s_delay_alu instid0(VALU_DEP_1) | instskip(SKIP_1) | instid1(VALU_DEP_2)
	v_div_fmas_f32 v9, v9, v10, v11
	v_fma_f32 v10, v2, v6, v3
	v_div_fixup_f32 v7, v9, v7, 1.0
	v_fma_f32 v9, v3, v6, -v2
	s_delay_alu instid0(VALU_DEP_2) | instskip(NEXT) | instid1(VALU_DEP_2)
	v_mul_f32_e32 v6, v10, v7
	v_mul_f32_e32 v7, v9, v7
	s_cbranch_execnz .LBB167_170
	s_branch .LBB167_182
.LBB167_181:                            ;   in Loop: Header=BB167_171 Depth=1
                                        ; implicit-def: $vgpr6
.LBB167_182:                            ;   in Loop: Header=BB167_171 Depth=1
	v_div_scale_f32 v6, null, v4, v4, v5
	v_div_scale_f32 v10, vcc_lo, v5, v4, v5
	s_delay_alu instid0(VALU_DEP_2) | instskip(SKIP_2) | instid1(VALU_DEP_1)
	v_rcp_f32_e32 v7, v6
	s_waitcnt_depctr 0xfff
	v_fma_f32 v9, -v6, v7, 1.0
	v_fmac_f32_e32 v7, v9, v7
	s_delay_alu instid0(VALU_DEP_1) | instskip(NEXT) | instid1(VALU_DEP_1)
	v_mul_f32_e32 v9, v10, v7
	v_fma_f32 v11, -v6, v9, v10
	s_delay_alu instid0(VALU_DEP_1) | instskip(NEXT) | instid1(VALU_DEP_1)
	v_fmac_f32_e32 v9, v11, v7
	v_fma_f32 v6, -v6, v9, v10
	s_delay_alu instid0(VALU_DEP_1) | instskip(NEXT) | instid1(VALU_DEP_1)
	v_div_fmas_f32 v6, v6, v7, v9
	v_div_fixup_f32 v6, v6, v4, v5
	s_delay_alu instid0(VALU_DEP_1) | instskip(NEXT) | instid1(VALU_DEP_1)
	v_fmac_f32_e32 v4, v5, v6
	v_div_scale_f32 v5, null, v4, v4, 1.0
	v_div_scale_f32 v10, vcc_lo, 1.0, v4, 1.0
	s_delay_alu instid0(VALU_DEP_2) | instskip(SKIP_2) | instid1(VALU_DEP_1)
	v_rcp_f32_e32 v7, v5
	s_waitcnt_depctr 0xfff
	v_fma_f32 v9, -v5, v7, 1.0
	v_fmac_f32_e32 v7, v9, v7
	s_delay_alu instid0(VALU_DEP_1) | instskip(NEXT) | instid1(VALU_DEP_1)
	v_mul_f32_e32 v9, v10, v7
	v_fma_f32 v11, -v5, v9, v10
	s_delay_alu instid0(VALU_DEP_1) | instskip(NEXT) | instid1(VALU_DEP_1)
	v_fmac_f32_e32 v9, v11, v7
	v_fma_f32 v5, -v5, v9, v10
	s_delay_alu instid0(VALU_DEP_1) | instskip(SKIP_2) | instid1(VALU_DEP_3)
	v_div_fmas_f32 v5, v5, v7, v9
	v_fma_f32 v7, v3, v6, v2
	v_fma_f32 v2, -v2, v6, v3
	v_div_fixup_f32 v4, v5, v4, 1.0
	s_delay_alu instid0(VALU_DEP_1) | instskip(NEXT) | instid1(VALU_DEP_3)
	v_mul_f32_e32 v6, v7, v4
	v_mul_f32_e32 v7, v2, v4
	s_branch .LBB167_170
.LBB167_183:
	s_and_saveexec_b32 s1, s20
	s_cbranch_execz .LBB167_190
; %bb.184:
	v_lshlrev_b32_e32 v3, 3, v0
	s_ashr_i32 s1, s0, 31
	s_cmp_lt_u32 s8, 4
	s_mov_b32 s9, 0
	s_cbranch_scc1 .LBB167_187
; %bb.185:
	v_add_co_u32 v1, s4, s18, v3
	s_delay_alu instid0(VALU_DEP_1)
	v_add_co_ci_u32_e64 v2, null, s19, 0, s4
	v_lshl_add_u32 v0, v0, 3, 0x1880
	s_and_b32 s9, s8, 0x7ffffffc
	s_mul_hi_i32 s14, s0, 24
	s_mul_i32 s15, s0, 24
	s_lshl_b64 s[4:5], s[0:1], 5
	s_lshl_b64 s[6:7], s[0:1], 4
	;; [unrolled: 1-line block ×3, first 2 shown]
	s_mov_b32 s18, 0
	.p2align	6
.LBB167_186:                            ; =>This Inner Loop Header: Depth=1
	ds_load_2addr_b64 v[4:7], v0 offset1:28
	ds_load_2addr_b64 v[8:11], v0 offset0:56 offset1:84
	v_add_co_u32 v12, vcc_lo, v1, s10
	v_add_co_ci_u32_e32 v13, vcc_lo, s11, v2, vcc_lo
	v_add_co_u32 v14, vcc_lo, v1, s6
	v_add_co_ci_u32_e32 v15, vcc_lo, s7, v2, vcc_lo
	v_add_co_u32 v16, vcc_lo, v1, s15
	v_add_co_ci_u32_e32 v17, vcc_lo, s14, v2, vcc_lo
	v_add_nc_u32_e32 v0, 0x380, v0
	s_add_i32 s18, s18, 4
	s_delay_alu instid0(SALU_CYCLE_1)
	s_cmp_lg_u32 s9, s18
	s_waitcnt lgkmcnt(1)
	global_store_b64 v[1:2], v[4:5], off
	v_add_co_u32 v1, vcc_lo, v1, s4
	v_add_co_ci_u32_e32 v2, vcc_lo, s5, v2, vcc_lo
	global_store_b64 v[12:13], v[6:7], off
	s_waitcnt lgkmcnt(0)
	s_clause 0x1
	global_store_b64 v[14:15], v[8:9], off
	global_store_b64 v[16:17], v[10:11], off
	s_cbranch_scc1 .LBB167_186
.LBB167_187:
	s_and_b32 s4, s8, 3
	s_delay_alu instid0(SALU_CYCLE_1)
	s_cmp_eq_u32 s4, 0
	s_cbranch_scc1 .LBB167_190
; %bb.188:
	s_mul_hi_i32 s7, s0, s9
	s_mul_i32 s6, s0, s9
	s_mul_i32 s5, s9, 0xe0
	s_lshl_b64 s[6:7], s[6:7], 3
	v_add3_u32 v2, s5, v3, 0x1880
	s_add_u32 s6, s6, s16
	s_addc_u32 s7, s7, s17
	s_add_u32 s6, s6, s12
	s_addc_u32 s7, s7, s13
	;; [unrolled: 2-line block ×3, first 2 shown]
	v_add_co_u32 v0, s2, s2, v3
	s_delay_alu instid0(VALU_DEP_1)
	v_add_co_ci_u32_e64 v1, null, s3, 0, s2
	s_lshl_b64 s[0:1], s[0:1], 3
.LBB167_189:                            ; =>This Inner Loop Header: Depth=1
	ds_load_b64 v[3:4], v2
	v_add_nc_u32_e32 v2, 0xe0, v2
	s_add_i32 s4, s4, -1
	s_delay_alu instid0(SALU_CYCLE_1)
	s_cmp_lg_u32 s4, 0
	s_waitcnt lgkmcnt(0)
	global_store_b64 v[0:1], v[3:4], off
	v_add_co_u32 v0, vcc_lo, v0, s0
	v_add_co_ci_u32_e32 v1, vcc_lo, s1, v1, vcc_lo
	s_cbranch_scc1 .LBB167_189
.LBB167_190:
	s_nop 0
	s_sendmsg sendmsg(MSG_DEALLOC_VGPRS)
	s_endpgm
	.section	.rodata,"a",@progbits
	.p2align	6, 0x0
	.amdhsa_kernel _ZL31rocblas_trsm_small_right_deviceI19rocblas_complex_numIfES1_PKPKS1_PKPS1_Li28EEv13rocblas_fill_18rocblas_operation_17rocblas_diagonal_iiT0_T1_lilT2_lili
		.amdhsa_group_segment_fixed_size 12544
		.amdhsa_private_segment_fixed_size 0
		.amdhsa_kernarg_size 360
		.amdhsa_user_sgpr_count 14
		.amdhsa_user_sgpr_dispatch_ptr 0
		.amdhsa_user_sgpr_queue_ptr 0
		.amdhsa_user_sgpr_kernarg_segment_ptr 1
		.amdhsa_user_sgpr_dispatch_id 0
		.amdhsa_user_sgpr_private_segment_size 0
		.amdhsa_wavefront_size32 1
		.amdhsa_uses_dynamic_stack 0
		.amdhsa_enable_private_segment 0
		.amdhsa_system_sgpr_workgroup_id_x 1
		.amdhsa_system_sgpr_workgroup_id_y 0
		.amdhsa_system_sgpr_workgroup_id_z 1
		.amdhsa_system_sgpr_workgroup_info 0
		.amdhsa_system_vgpr_workitem_id 0
		.amdhsa_next_free_vgpr 45
		.amdhsa_next_free_sgpr 36
		.amdhsa_reserve_vcc 1
		.amdhsa_float_round_mode_32 0
		.amdhsa_float_round_mode_16_64 0
		.amdhsa_float_denorm_mode_32 3
		.amdhsa_float_denorm_mode_16_64 3
		.amdhsa_dx10_clamp 1
		.amdhsa_ieee_mode 1
		.amdhsa_fp16_overflow 0
		.amdhsa_workgroup_processor_mode 1
		.amdhsa_memory_ordered 1
		.amdhsa_forward_progress 0
		.amdhsa_shared_vgpr_count 0
		.amdhsa_exception_fp_ieee_invalid_op 0
		.amdhsa_exception_fp_denorm_src 0
		.amdhsa_exception_fp_ieee_div_zero 0
		.amdhsa_exception_fp_ieee_overflow 0
		.amdhsa_exception_fp_ieee_underflow 0
		.amdhsa_exception_fp_ieee_inexact 0
		.amdhsa_exception_int_div_zero 0
	.end_amdhsa_kernel
	.section	.text._ZL31rocblas_trsm_small_right_deviceI19rocblas_complex_numIfES1_PKPKS1_PKPS1_Li28EEv13rocblas_fill_18rocblas_operation_17rocblas_diagonal_iiT0_T1_lilT2_lili,"axG",@progbits,_ZL31rocblas_trsm_small_right_deviceI19rocblas_complex_numIfES1_PKPKS1_PKPS1_Li28EEv13rocblas_fill_18rocblas_operation_17rocblas_diagonal_iiT0_T1_lilT2_lili,comdat
.Lfunc_end167:
	.size	_ZL31rocblas_trsm_small_right_deviceI19rocblas_complex_numIfES1_PKPKS1_PKPS1_Li28EEv13rocblas_fill_18rocblas_operation_17rocblas_diagonal_iiT0_T1_lilT2_lili, .Lfunc_end167-_ZL31rocblas_trsm_small_right_deviceI19rocblas_complex_numIfES1_PKPKS1_PKPS1_Li28EEv13rocblas_fill_18rocblas_operation_17rocblas_diagonal_iiT0_T1_lilT2_lili
                                        ; -- End function
	.section	.AMDGPU.csdata,"",@progbits
; Kernel info:
; codeLenInByte = 16952
; NumSgprs: 38
; NumVgprs: 45
; ScratchSize: 0
; MemoryBound: 0
; FloatMode: 240
; IeeeMode: 1
; LDSByteSize: 12544 bytes/workgroup (compile time only)
; SGPRBlocks: 4
; VGPRBlocks: 5
; NumSGPRsForWavesPerEU: 38
; NumVGPRsForWavesPerEU: 45
; Occupancy: 3
; WaveLimiterHint : 0
; COMPUTE_PGM_RSRC2:SCRATCH_EN: 0
; COMPUTE_PGM_RSRC2:USER_SGPR: 14
; COMPUTE_PGM_RSRC2:TRAP_HANDLER: 0
; COMPUTE_PGM_RSRC2:TGID_X_EN: 1
; COMPUTE_PGM_RSRC2:TGID_Y_EN: 0
; COMPUTE_PGM_RSRC2:TGID_Z_EN: 1
; COMPUTE_PGM_RSRC2:TIDIG_COMP_CNT: 0
	.section	.text._ZL38rocblas_trsm_small_left_device_sharedBILi32ELi32ELb0E19rocblas_complex_numIfES1_PKPKS1_PKPS1_Ev13rocblas_fill_18rocblas_operation_17rocblas_diagonal_iiT3_T4_lilT5_lili,"axG",@progbits,_ZL38rocblas_trsm_small_left_device_sharedBILi32ELi32ELb0E19rocblas_complex_numIfES1_PKPKS1_PKPS1_Ev13rocblas_fill_18rocblas_operation_17rocblas_diagonal_iiT3_T4_lilT5_lili,comdat
	.globl	_ZL38rocblas_trsm_small_left_device_sharedBILi32ELi32ELb0E19rocblas_complex_numIfES1_PKPKS1_PKPS1_Ev13rocblas_fill_18rocblas_operation_17rocblas_diagonal_iiT3_T4_lilT5_lili ; -- Begin function _ZL38rocblas_trsm_small_left_device_sharedBILi32ELi32ELb0E19rocblas_complex_numIfES1_PKPKS1_PKPS1_Ev13rocblas_fill_18rocblas_operation_17rocblas_diagonal_iiT3_T4_lilT5_lili
	.p2align	8
	.type	_ZL38rocblas_trsm_small_left_device_sharedBILi32ELi32ELb0E19rocblas_complex_numIfES1_PKPKS1_PKPS1_Ev13rocblas_fill_18rocblas_operation_17rocblas_diagonal_iiT3_T4_lilT5_lili,@function
_ZL38rocblas_trsm_small_left_device_sharedBILi32ELi32ELb0E19rocblas_complex_numIfES1_PKPKS1_PKPS1_Ev13rocblas_fill_18rocblas_operation_17rocblas_diagonal_iiT3_T4_lilT5_lili: ; @_ZL38rocblas_trsm_small_left_device_sharedBILi32ELi32ELb0E19rocblas_complex_numIfES1_PKPKS1_PKPS1_Ev13rocblas_fill_18rocblas_operation_17rocblas_diagonal_iiT3_T4_lilT5_lili
; %bb.0:
	s_clause 0x1
	s_load_b128 s[8:11], s[0:1], 0x40
	s_load_b128 s[4:7], s[0:1], 0x4
	s_mov_b32 s20, s15
	s_mov_b32 s21, 0
	s_load_b32 s15, s[0:1], 0x68
	s_lshl_b64 s[22:23], s[20:21], 3
	s_mov_b32 s29, exec_lo
	s_waitcnt lgkmcnt(0)
	s_add_u32 s2, s8, s22
	s_addc_u32 s3, s9, s23
	s_load_b64 s[12:13], s[0:1], 0x14
	s_load_b64 s[2:3], s[2:3], 0x0
	s_min_i32 s20, s6, 32
	s_delay_alu instid0(SALU_CYCLE_1)
	s_add_i32 s28, s20, -1
	v_cmpx_gt_i32_e64 s20, v0
	s_cbranch_execz .LBB168_35
; %bb.1:
	s_clause 0x1
	s_load_b32 s8, s[0:1], 0x30
	s_load_b128 s[16:19], s[0:1], 0x20
	s_waitcnt lgkmcnt(0)
	s_ashr_i32 s9, s8, 31
	s_cmpk_lg_i32 s4, 0x71
	s_cselect_b32 s30, -1, 0
	s_add_u32 s16, s16, s22
	s_addc_u32 s17, s17, s23
	v_cndmask_b32_e64 v7, 0, 1, s30
	s_load_b64 s[16:17], s[16:17], 0x0
	s_cmp_lt_u32 s28, 3
	s_cbranch_scc1 .LBB168_20
; %bb.2:
	v_lshlrev_b32_e32 v8, 3, v0
	s_lshl_b64 s[22:23], s[18:19], 3
	s_mul_hi_i32 s31, s8, 24
	s_waitcnt lgkmcnt(0)
	s_add_u32 s21, s16, s22
	s_addc_u32 s22, s17, s23
	v_add_co_u32 v1, s21, s21, v8
	s_delay_alu instid0(VALU_DEP_1)
	v_add_co_ci_u32_e64 v2, null, s22, 0, s21
	s_and_b32 s21, s20, -4
	s_mul_i32 s33, s8, 24
	s_lshl_b64 s[22:23], s[8:9], 5
	s_lshl_b64 s[24:25], s[8:9], 4
	s_lshl_b64 s[26:27], s[8:9], 3
	s_mov_b32 s34, 0
	s_branch .LBB168_4
.LBB168_3:                              ;   in Loop: Header=BB168_4 Depth=1
	global_load_b32 v3, v[5:6], off
	v_add_co_u32 v1, vcc_lo, v1, s22
	v_add_co_ci_u32_e32 v2, vcc_lo, s23, v2, vcc_lo
	s_add_i32 s34, s34, 4
	s_delay_alu instid0(SALU_CYCLE_1)
	s_cmp_eq_u32 s21, s34
	s_waitcnt vmcnt(0)
	ds_store_b64 v8, v[3:4] offset:768
	v_add_nc_u32_e32 v8, 0x400, v8
	s_cbranch_scc1 .LBB168_20
.LBB168_4:                              ; =>This Inner Loop Header: Depth=1
	s_and_b32 vcc_lo, exec_lo, s30
	s_cbranch_vccz .LBB168_6
; %bb.5:                                ;   in Loop: Header=BB168_4 Depth=1
	global_load_b32 v4, v[1:2], off offset:4
	s_cbranch_execz .LBB168_7
	s_branch .LBB168_8
.LBB168_6:                              ;   in Loop: Header=BB168_4 Depth=1
                                        ; implicit-def: $vgpr4
.LBB168_7:                              ;   in Loop: Header=BB168_4 Depth=1
	global_load_b32 v3, v[1:2], off offset:4
	s_waitcnt vmcnt(0)
	v_xor_b32_e32 v4, 0x80000000, v3
.LBB168_8:                              ;   in Loop: Header=BB168_4 Depth=1
	global_load_b32 v3, v[1:2], off
	v_add_co_u32 v5, vcc_lo, v1, s26
	v_add_co_ci_u32_e32 v6, vcc_lo, s27, v2, vcc_lo
	s_and_not1_b32 vcc_lo, exec_lo, s30
	s_waitcnt vmcnt(0)
	ds_store_b64 v8, v[3:4]
	s_cbranch_vccnz .LBB168_10
; %bb.9:                                ;   in Loop: Header=BB168_4 Depth=1
	global_load_b32 v4, v[5:6], off offset:4
	s_cbranch_execz .LBB168_11
	s_branch .LBB168_12
.LBB168_10:                             ;   in Loop: Header=BB168_4 Depth=1
                                        ; implicit-def: $vgpr4
.LBB168_11:                             ;   in Loop: Header=BB168_4 Depth=1
	global_load_b32 v3, v[5:6], off offset:4
	s_waitcnt vmcnt(0)
	v_xor_b32_e32 v4, 0x80000000, v3
.LBB168_12:                             ;   in Loop: Header=BB168_4 Depth=1
	global_load_b32 v3, v[5:6], off
	v_add_co_u32 v5, vcc_lo, v1, s24
	v_add_co_ci_u32_e32 v6, vcc_lo, s25, v2, vcc_lo
	s_and_not1_b32 vcc_lo, exec_lo, s30
	s_waitcnt vmcnt(0)
	ds_store_b64 v8, v[3:4] offset:256
	s_cbranch_vccnz .LBB168_14
; %bb.13:                               ;   in Loop: Header=BB168_4 Depth=1
	global_load_b32 v4, v[5:6], off offset:4
	s_cbranch_execz .LBB168_15
	s_branch .LBB168_16
.LBB168_14:                             ;   in Loop: Header=BB168_4 Depth=1
                                        ; implicit-def: $vgpr4
.LBB168_15:                             ;   in Loop: Header=BB168_4 Depth=1
	global_load_b32 v3, v[5:6], off offset:4
	s_waitcnt vmcnt(0)
	v_xor_b32_e32 v4, 0x80000000, v3
.LBB168_16:                             ;   in Loop: Header=BB168_4 Depth=1
	global_load_b32 v3, v[5:6], off
	v_add_co_u32 v5, vcc_lo, v1, s33
	v_add_co_ci_u32_e32 v6, vcc_lo, s31, v2, vcc_lo
	s_and_not1_b32 vcc_lo, exec_lo, s30
	s_waitcnt vmcnt(0)
	ds_store_b64 v8, v[3:4] offset:512
	s_cbranch_vccnz .LBB168_18
; %bb.17:                               ;   in Loop: Header=BB168_4 Depth=1
	global_load_b32 v4, v[5:6], off offset:4
	s_cbranch_execnz .LBB168_3
	s_branch .LBB168_19
.LBB168_18:                             ;   in Loop: Header=BB168_4 Depth=1
                                        ; implicit-def: $vgpr4
.LBB168_19:                             ;   in Loop: Header=BB168_4 Depth=1
	global_load_b32 v3, v[5:6], off offset:4
	s_waitcnt vmcnt(0)
	v_xor_b32_e32 v4, 0x80000000, v3
	s_branch .LBB168_3
.LBB168_20:
	s_and_b32 s22, s20, 3
	s_delay_alu instid0(SALU_CYCLE_1)
	s_cmp_eq_u32 s22, 0
	s_cbranch_scc1 .LBB168_27
; %bb.21:
	s_mul_i32 s23, s9, s21
	s_mul_hi_u32 s25, s8, s21
	s_mul_i32 s24, s8, s21
	s_add_i32 s25, s25, s23
	s_lshl_b64 s[18:19], s[18:19], 3
	s_lshl_b64 s[24:25], s[24:25], 3
	v_lshlrev_b32_e32 v1, 3, v0
	s_add_u32 s18, s24, s18
	s_addc_u32 s19, s25, s19
	s_waitcnt lgkmcnt(0)
	s_add_u32 s16, s16, s18
	s_addc_u32 s17, s17, s19
	v_add_co_u32 v2, s16, s16, v1
	s_delay_alu instid0(VALU_DEP_1) | instskip(SKIP_1) | instid1(VALU_DEP_3)
	v_add_co_ci_u32_e64 v3, null, s17, 0, s16
	v_lshl_or_b32 v5, s21, 8, v1
	v_add_co_u32 v1, vcc_lo, v2, 4
	s_delay_alu instid0(VALU_DEP_3)
	v_add_co_ci_u32_e32 v2, vcc_lo, 0, v3, vcc_lo
	s_lshl_b64 s[8:9], s[8:9], 3
	s_set_inst_prefetch_distance 0x1
	s_branch .LBB168_23
	.p2align	6
.LBB168_22:                             ;   in Loop: Header=BB168_23 Depth=1
	global_load_b32 v3, v[1:2], off offset:-4
	v_add_co_u32 v1, vcc_lo, v1, s8
	v_add_co_ci_u32_e32 v2, vcc_lo, s9, v2, vcc_lo
	s_add_i32 s22, s22, -1
	s_delay_alu instid0(SALU_CYCLE_1)
	s_cmp_lg_u32 s22, 0
	s_waitcnt vmcnt(0)
	ds_store_b64 v5, v[3:4]
	v_add_nc_u32_e32 v5, 0x100, v5
	s_cbranch_scc0 .LBB168_27
.LBB168_23:                             ; =>This Inner Loop Header: Depth=1
	v_cmp_ne_u32_e32 vcc_lo, 1, v7
	s_mov_b32 s16, -1
                                        ; implicit-def: $vgpr4
	s_cbranch_vccnz .LBB168_25
; %bb.24:                               ;   in Loop: Header=BB168_23 Depth=1
	global_load_b32 v4, v[1:2], off
	s_mov_b32 s16, 0
.LBB168_25:                             ;   in Loop: Header=BB168_23 Depth=1
	s_delay_alu instid0(SALU_CYCLE_1)
	s_and_not1_b32 vcc_lo, exec_lo, s16
	s_cbranch_vccnz .LBB168_22
; %bb.26:                               ;   in Loop: Header=BB168_23 Depth=1
	global_load_b32 v3, v[1:2], off
	s_waitcnt vmcnt(0)
	v_xor_b32_e32 v4, 0x80000000, v3
	s_branch .LBB168_22
.LBB168_27:
	s_set_inst_prefetch_distance 0x2
	v_mul_u32_u24_e32 v1, 33, v0
	s_cmpk_lg_i32 s5, 0x84
	s_mov_b32 s5, -1
	s_delay_alu instid0(VALU_DEP_1)
	v_lshlrev_b32_e32 v5, 3, v1
	s_cbranch_scc0 .LBB168_33
; %bb.28:
	ds_load_b64 v[1:2], v5
	s_waitcnt lgkmcnt(0)
	v_cmp_gt_f32_e32 vcc_lo, 0, v1
	v_cndmask_b32_e64 v3, v1, -v1, vcc_lo
	v_cmp_gt_f32_e32 vcc_lo, 0, v2
	v_cndmask_b32_e64 v4, v2, -v2, vcc_lo
	s_delay_alu instid0(VALU_DEP_1) | instskip(SKIP_1) | instid1(SALU_CYCLE_1)
	v_cmp_ngt_f32_e32 vcc_lo, v3, v4
                                        ; implicit-def: $vgpr3
	s_and_saveexec_b32 s5, vcc_lo
	s_xor_b32 s5, exec_lo, s5
	s_cbranch_execz .LBB168_30
; %bb.29:
	v_div_scale_f32 v3, null, v2, v2, v1
	v_div_scale_f32 v7, vcc_lo, v1, v2, v1
	s_delay_alu instid0(VALU_DEP_2) | instskip(SKIP_2) | instid1(VALU_DEP_1)
	v_rcp_f32_e32 v4, v3
	s_waitcnt_depctr 0xfff
	v_fma_f32 v6, -v3, v4, 1.0
	v_fmac_f32_e32 v4, v6, v4
	s_delay_alu instid0(VALU_DEP_1) | instskip(NEXT) | instid1(VALU_DEP_1)
	v_mul_f32_e32 v6, v7, v4
	v_fma_f32 v8, -v3, v6, v7
	s_delay_alu instid0(VALU_DEP_1) | instskip(NEXT) | instid1(VALU_DEP_1)
	v_fmac_f32_e32 v6, v8, v4
	v_fma_f32 v3, -v3, v6, v7
	s_delay_alu instid0(VALU_DEP_1) | instskip(NEXT) | instid1(VALU_DEP_1)
	v_div_fmas_f32 v3, v3, v4, v6
	v_div_fixup_f32 v3, v3, v2, v1
	s_delay_alu instid0(VALU_DEP_1) | instskip(NEXT) | instid1(VALU_DEP_1)
	v_fmac_f32_e32 v2, v1, v3
	v_div_scale_f32 v1, null, v2, v2, 1.0
	v_div_scale_f32 v7, vcc_lo, 1.0, v2, 1.0
	s_delay_alu instid0(VALU_DEP_2) | instskip(SKIP_2) | instid1(VALU_DEP_1)
	v_rcp_f32_e32 v4, v1
	s_waitcnt_depctr 0xfff
	v_fma_f32 v6, -v1, v4, 1.0
	v_fmac_f32_e32 v4, v6, v4
	s_delay_alu instid0(VALU_DEP_1) | instskip(NEXT) | instid1(VALU_DEP_1)
	v_mul_f32_e32 v6, v7, v4
	v_fma_f32 v8, -v1, v6, v7
	s_delay_alu instid0(VALU_DEP_1) | instskip(NEXT) | instid1(VALU_DEP_1)
	v_fmac_f32_e32 v6, v8, v4
	v_fma_f32 v1, -v1, v6, v7
	s_delay_alu instid0(VALU_DEP_1) | instskip(SKIP_1) | instid1(VALU_DEP_2)
	v_div_fmas_f32 v1, v1, v4, v6
	v_add_f32_e32 v4, 0, v3
	v_div_fixup_f32 v1, v1, v2, 1.0
	v_fma_f32 v2, v3, 0, -1.0
	s_delay_alu instid0(VALU_DEP_2) | instskip(NEXT) | instid1(VALU_DEP_2)
	v_mul_f32_e32 v3, v4, v1
	v_mul_f32_e32 v4, v2, v1
                                        ; implicit-def: $vgpr1_vgpr2
.LBB168_30:
	s_and_not1_saveexec_b32 s5, s5
	s_cbranch_execz .LBB168_32
; %bb.31:
	v_div_scale_f32 v3, null, v1, v1, v2
	v_div_scale_f32 v7, vcc_lo, v2, v1, v2
	s_delay_alu instid0(VALU_DEP_2) | instskip(SKIP_2) | instid1(VALU_DEP_1)
	v_rcp_f32_e32 v4, v3
	s_waitcnt_depctr 0xfff
	v_fma_f32 v6, -v3, v4, 1.0
	v_fmac_f32_e32 v4, v6, v4
	s_delay_alu instid0(VALU_DEP_1) | instskip(NEXT) | instid1(VALU_DEP_1)
	v_mul_f32_e32 v6, v7, v4
	v_fma_f32 v8, -v3, v6, v7
	s_delay_alu instid0(VALU_DEP_1) | instskip(NEXT) | instid1(VALU_DEP_1)
	v_fmac_f32_e32 v6, v8, v4
	v_fma_f32 v3, -v3, v6, v7
	s_delay_alu instid0(VALU_DEP_1) | instskip(NEXT) | instid1(VALU_DEP_1)
	v_div_fmas_f32 v3, v3, v4, v6
	v_div_fixup_f32 v4, v3, v1, v2
	s_delay_alu instid0(VALU_DEP_1) | instskip(NEXT) | instid1(VALU_DEP_1)
	v_fmac_f32_e32 v1, v2, v4
	v_div_scale_f32 v2, null, v1, v1, 1.0
	v_div_scale_f32 v7, vcc_lo, 1.0, v1, 1.0
	s_delay_alu instid0(VALU_DEP_2) | instskip(SKIP_2) | instid1(VALU_DEP_1)
	v_rcp_f32_e32 v3, v2
	s_waitcnt_depctr 0xfff
	v_fma_f32 v6, -v2, v3, 1.0
	v_fmac_f32_e32 v3, v6, v3
	s_delay_alu instid0(VALU_DEP_1) | instskip(NEXT) | instid1(VALU_DEP_1)
	v_mul_f32_e32 v6, v7, v3
	v_fma_f32 v8, -v2, v6, v7
	s_delay_alu instid0(VALU_DEP_1) | instskip(NEXT) | instid1(VALU_DEP_1)
	v_fmac_f32_e32 v6, v8, v3
	v_fma_f32 v2, -v2, v6, v7
	s_delay_alu instid0(VALU_DEP_1) | instskip(SKIP_1) | instid1(VALU_DEP_2)
	v_div_fmas_f32 v2, v2, v3, v6
	v_fma_f32 v3, v4, 0, 1.0
	v_div_fixup_f32 v1, v2, v1, 1.0
	s_delay_alu instid0(VALU_DEP_1)
	v_mul_f32_e32 v3, v3, v1
	v_mul_f32_e64 v4, -v4, v1
.LBB168_32:
	s_or_b32 exec_lo, exec_lo, s5
	s_mov_b32 s5, 0
	ds_store_b64 v5, v[3:4]
.LBB168_33:
	s_and_b32 vcc_lo, exec_lo, s5
	s_cbranch_vccz .LBB168_35
; %bb.34:
	v_dual_mov_b32 v1, 1.0 :: v_dual_mov_b32 v2, 0
	ds_store_b64 v5, v[1:2]
.LBB168_35:
	s_or_b32 exec_lo, exec_lo, s29
	s_waitcnt lgkmcnt(0)
	s_load_b32 s16, s[0:1], 0x50
	s_lshl_b64 s[0:1], s[10:11], 3
	s_waitcnt lgkmcnt(0)
	s_ashr_i32 s17, s16, 31
	s_add_u32 s5, s2, s0
	s_addc_u32 s18, s3, s1
	s_lshl_b32 s8, s14, 5
	s_add_i32 s15, s15, -1
	s_sub_i32 s7, s7, s8
	s_mul_hi_i32 s11, s16, s8
	s_cmp_ge_u32 s14, s15
	s_mul_i32 s10, s16, s8
	s_cselect_b32 s14, s7, 32
	s_lshl_b64 s[10:11], s[10:11], 3
	s_ashr_i32 s9, s8, 31
	s_add_u32 s7, s5, s10
	s_addc_u32 s18, s18, s11
	v_cmp_gt_i32_e32 vcc_lo, s14, v0
	s_cmp_gt_i32 s6, 0
	s_mov_b32 s10, 0
	s_cselect_b32 s5, -1, 0
	s_delay_alu instid0(SALU_CYCLE_1) | instskip(NEXT) | instid1(SALU_CYCLE_1)
	s_and_b32 s19, vcc_lo, s5
	s_and_saveexec_b32 s5, s19
	s_cbranch_execz .LBB168_42
; %bb.36:
	s_cmp_lt_i32 s6, 8
	s_cbranch_scc1 .LBB168_39
; %bb.37:
	v_mad_i64_i32 v[1:2], null, s16, v0, 0
	v_lshl_or_b32 v3, v0, 3, 0x2000
	s_lshl_b32 s10, s20, 3
	s_mov_b64 s[14:15], 0
	s_and_b32 s11, s10, 0x1c0
	s_mov_b32 s10, 0
	s_delay_alu instid0(VALU_DEP_2) | instskip(NEXT) | instid1(VALU_DEP_1)
	v_lshlrev_b64 v[1:2], 3, v[1:2]
	v_add_co_u32 v1, vcc_lo, s7, v1
	s_delay_alu instid0(VALU_DEP_2)
	v_add_co_ci_u32_e32 v2, vcc_lo, s18, v2, vcc_lo
.LBB168_38:                             ; =>This Inner Loop Header: Depth=1
	s_delay_alu instid0(VALU_DEP_2) | instskip(NEXT) | instid1(VALU_DEP_2)
	v_add_co_u32 v16, vcc_lo, v1, s14
	v_add_co_ci_u32_e32 v17, vcc_lo, s15, v2, vcc_lo
	s_add_i32 s10, s10, 8
	s_add_u32 s14, s14, 64
	s_addc_u32 s15, s15, 0
	s_clause 0x3
	global_load_b128 v[4:7], v[16:17], off
	global_load_b128 v[8:11], v[16:17], off offset:16
	global_load_b128 v[12:15], v[16:17], off offset:32
	;; [unrolled: 1-line block ×3, first 2 shown]
	s_cmp_lg_u32 s11, s14
	s_waitcnt vmcnt(3)
	v_dual_mul_f32 v21, s13, v5 :: v_dual_mul_f32 v22, s13, v7
	v_dual_mul_f32 v20, s12, v5 :: v_dual_mul_f32 v5, s12, v7
	s_waitcnt vmcnt(2)
	v_dual_mul_f32 v23, s13, v9 :: v_dual_mul_f32 v24, s13, v11
	s_waitcnt vmcnt(1)
	v_dual_mul_f32 v7, s12, v9 :: v_dual_mul_f32 v26, s13, v15
	v_dual_mul_f32 v9, s12, v11 :: v_dual_fmac_f32 v20, s13, v4
	s_waitcnt vmcnt(0)
	v_dual_mul_f32 v25, s13, v13 :: v_dual_mul_f32 v28, s13, v19
	v_mul_f32_e32 v11, s12, v13
	v_mul_f32_e32 v13, s12, v15
	;; [unrolled: 1-line block ×5, first 2 shown]
	v_fma_f32 v19, s12, v4, -v21
	v_fma_f32 v4, s12, v6, -v22
	v_fmac_f32_e32 v5, s13, v6
	v_fma_f32 v6, s12, v8, -v23
	v_fmac_f32_e32 v7, s13, v8
	;; [unrolled: 2-line block ×7, first 2 shown]
	ds_store_2addr_b64 v3, v[19:20], v[4:5] offset1:32
	ds_store_2addr_b64 v3, v[6:7], v[8:9] offset0:64 offset1:96
	ds_store_2addr_b64 v3, v[10:11], v[12:13] offset0:128 offset1:160
	;; [unrolled: 1-line block ×3, first 2 shown]
	v_add_nc_u32_e32 v3, 0x800, v3
	s_cbranch_scc1 .LBB168_38
.LBB168_39:
	s_and_b32 s14, s20, 7
	s_mov_b32 s11, 0
	s_cmp_eq_u32 s14, 0
	s_cbranch_scc1 .LBB168_42
; %bb.40:
	v_lshlrev_b32_e32 v3, 3, v0
	s_lshl_b64 s[22:23], s[8:9], 3
	s_lshl_b64 s[24:25], s[10:11], 3
	s_delay_alu instid0(VALU_DEP_1) | instskip(NEXT) | instid1(VALU_DEP_1)
	v_add_co_u32 v4, s11, s22, v3
	v_add_co_ci_u32_e64 v5, null, s23, 0, s11
	s_add_u32 s11, s2, s24
	s_addc_u32 s15, s3, s25
	s_add_u32 s22, s11, s0
	s_addc_u32 s23, s15, s1
	v_mul_lo_u32 v5, v5, s16
	v_mad_u64_u32 v[1:2], null, v4, s16, s[22:23]
	v_mul_lo_u32 v4, v4, s17
	v_lshl_or_b32 v3, s10, 8, v3
	s_delay_alu instid0(VALU_DEP_1) | instskip(NEXT) | instid1(VALU_DEP_4)
	v_add_nc_u32_e32 v3, 0x2000, v3
	v_add_co_u32 v1, vcc_lo, v1, 4
	s_delay_alu instid0(VALU_DEP_4) | instskip(NEXT) | instid1(VALU_DEP_1)
	v_add3_u32 v2, v5, v2, v4
	v_add_co_ci_u32_e32 v2, vcc_lo, 0, v2, vcc_lo
	.p2align	6
.LBB168_41:                             ; =>This Inner Loop Header: Depth=1
	global_load_b64 v[4:5], v[1:2], off offset:-4
	v_add_co_u32 v1, vcc_lo, v1, 8
	v_add_co_ci_u32_e32 v2, vcc_lo, 0, v2, vcc_lo
	s_add_i32 s14, s14, -1
	s_delay_alu instid0(SALU_CYCLE_1) | instskip(SKIP_2) | instid1(VALU_DEP_1)
	s_cmp_lg_u32 s14, 0
	s_waitcnt vmcnt(0)
	v_mul_f32_e32 v6, s12, v5
	v_dual_mul_f32 v7, s13, v5 :: v_dual_fmac_f32 v6, s13, v4
	s_delay_alu instid0(VALU_DEP_1)
	v_fma_f32 v5, s12, v4, -v7
	ds_store_b64 v3, v[5:6]
	v_add_nc_u32_e32 v3, 0x100, v3
	s_cbranch_scc1 .LBB168_41
.LBB168_42:
	s_or_b32 exec_lo, exec_lo, s5
	v_or_b32_e64 v3, 0, 4
	s_cmpk_eq_i32 s4, 0x6f
	s_mov_b32 s4, -1
	s_waitcnt vmcnt(0) lgkmcnt(0)
	s_waitcnt_vscnt null, 0x0
	; wave barrier
	s_waitcnt lgkmcnt(0)
	buffer_gl0_inv
	s_cbranch_scc1 .LBB168_64
; %bb.43:
	v_lshl_or_b32 v4, v0, 3, 0x2000
	v_lshlrev_b32_e32 v5, 3, v0
	s_mov_b32 s5, 0
	s_delay_alu instid0(SALU_CYCLE_1)
	s_mov_b32 s4, s5
	s_mov_b32 s10, s5
	s_branch .LBB168_45
.LBB168_44:                             ;   in Loop: Header=BB168_45 Depth=1
	s_cmp_ge_i32 s10, s20
	s_cselect_b32 s11, -1, 0
	s_add_i32 s4, s4, 1
	s_delay_alu instid0(SALU_CYCLE_1) | instskip(SKIP_1) | instid1(SALU_CYCLE_1)
	s_cmp_eq_u32 s4, 3
	s_cselect_b32 s12, -1, 0
	s_or_b32 s11, s11, s12
	s_delay_alu instid0(SALU_CYCLE_1)
	s_and_not1_b32 vcc_lo, exec_lo, s11
	s_cbranch_vccz .LBB168_63
.LBB168_45:                             ; =>This Loop Header: Depth=1
                                        ;     Child Loop BB168_48 Depth 2
                                        ;       Child Loop BB168_49 Depth 3
                                        ;       Child Loop BB168_52 Depth 3
                                        ;         Child Loop BB168_53 Depth 4
                                        ;       Child Loop BB168_57 Depth 3
                                        ;         Child Loop BB168_59 Depth 4
	s_getpc_b64 s[12:13]
	s_add_u32 s12, s12, __const._ZL38rocblas_trsm_small_left_device_sharedBILi32ELi32ELb0E19rocblas_complex_numIfES1_PKPKS1_PKPS1_Ev13rocblas_fill_18rocblas_operation_17rocblas_diagonal_iiT3_T4_lilT5_lili.step_sizes@rel32@lo+4
	s_addc_u32 s13, s13, __const._ZL38rocblas_trsm_small_left_device_sharedBILi32ELi32ELb0E19rocblas_complex_numIfES1_PKPKS1_PKPS1_Ev13rocblas_fill_18rocblas_operation_17rocblas_diagonal_iiT3_T4_lilT5_lili.step_sizes@rel32@hi+12
	s_lshl_b64 s[14:15], s[4:5], 2
	s_delay_alu instid0(SALU_CYCLE_1) | instskip(SKIP_4) | instid1(SALU_CYCLE_1)
	s_add_u32 s12, s14, s12
	s_addc_u32 s13, s15, s13
	s_load_b32 s11, s[12:13], 0x0
	s_waitcnt lgkmcnt(0)
	s_add_i32 s12, s11, -1
	s_add_i32 s13, s12, s10
	s_delay_alu instid0(SALU_CYCLE_1)
	s_cmp_ge_i32 s13, s20
	s_cbranch_scc1 .LBB168_44
; %bb.46:                               ;   in Loop: Header=BB168_45 Depth=1
	s_lshl_b32 s13, s10, 8
	s_max_i32 s14, s11, 1
	v_add_nc_u32_e32 v6, s13, v4
	s_lshl_b32 s15, s11, 8
	s_mul_i32 s21, s10, 0x108
	s_mul_i32 s22, s11, 0x108
	s_branch .LBB168_48
.LBB168_47:                             ;   in Loop: Header=BB168_48 Depth=2
	s_add_i32 s10, s10, s11
	v_add_nc_u32_e32 v6, s15, v6
	s_add_i32 s23, s12, s10
	s_add_i32 s13, s13, s15
	;; [unrolled: 1-line block ×3, first 2 shown]
	s_cmp_ge_i32 s23, s20
	s_cbranch_scc1 .LBB168_44
.LBB168_48:                             ;   Parent Loop BB168_45 Depth=1
                                        ; =>  This Loop Header: Depth=2
                                        ;       Child Loop BB168_49 Depth 3
                                        ;       Child Loop BB168_52 Depth 3
                                        ;         Child Loop BB168_53 Depth 4
                                        ;       Child Loop BB168_57 Depth 3
                                        ;         Child Loop BB168_59 Depth 4
	v_dual_mov_b32 v1, 0 :: v_dual_mov_b32 v2, v6
	s_mov_b32 s23, s14
.LBB168_49:                             ;   Parent Loop BB168_45 Depth=1
                                        ;     Parent Loop BB168_48 Depth=2
                                        ; =>    This Inner Loop Header: Depth=3
	ds_load_b64 v[7:8], v2
	v_add_nc_u32_e32 v2, 0x100, v2
	s_add_i32 s23, s23, -1
	s_delay_alu instid0(SALU_CYCLE_1)
	s_cmp_eq_u32 s23, 0
	s_waitcnt lgkmcnt(0)
	scratch_store_b64 v1, v[7:8], off
	v_add_nc_u32_e32 v1, 8, v1
	s_cbranch_scc0 .LBB168_49
; %bb.50:                               ;   in Loop: Header=BB168_48 Depth=2
	s_cmp_lt_i32 s10, 1
	s_cbranch_scc1 .LBB168_55
; %bb.51:                               ;   in Loop: Header=BB168_48 Depth=2
	s_mov_b32 s23, 0
	s_mov_b32 s24, s13
	.p2align	6
.LBB168_52:                             ;   Parent Loop BB168_45 Depth=1
                                        ;     Parent Loop BB168_48 Depth=2
                                        ; =>    This Loop Header: Depth=3
                                        ;         Child Loop BB168_53 Depth 4
	v_lshl_or_b32 v1, s23, 8, v5
	v_mov_b32_e32 v7, v3
	s_mov_b32 s25, s24
	s_mov_b32 s26, s14
	ds_load_b64 v[1:2], v1 offset:8192
	.p2align	6
.LBB168_53:                             ;   Parent Loop BB168_45 Depth=1
                                        ;     Parent Loop BB168_48 Depth=2
                                        ;       Parent Loop BB168_52 Depth=3
                                        ; =>      This Inner Loop Header: Depth=4
	scratch_load_b64 v[8:9], v7, off offset:-4
	v_mov_b32_e32 v10, s25
	s_add_i32 s26, s26, -1
	s_addk_i32 s25, 0x100
	s_cmp_eq_u32 s26, 0
	ds_load_b64 v[10:11], v10
	s_waitcnt lgkmcnt(0)
	v_mul_f32_e32 v12, v11, v2
	v_mul_f32_e32 v11, v11, v1
	s_delay_alu instid0(VALU_DEP_1) | instskip(SKIP_1) | instid1(VALU_DEP_1)
	v_fmac_f32_e32 v11, v10, v2
	s_waitcnt vmcnt(0)
	v_sub_f32_e32 v9, v9, v11
	v_fma_f32 v12, v10, v1, -v12
	s_delay_alu instid0(VALU_DEP_1)
	v_sub_f32_e32 v8, v8, v12
	scratch_store_b64 v7, v[8:9], off offset:-4
	v_add_nc_u32_e32 v7, 8, v7
	s_cbranch_scc0 .LBB168_53
; %bb.54:                               ;   in Loop: Header=BB168_52 Depth=3
	s_add_i32 s23, s23, 1
	s_add_i32 s24, s24, 8
	s_cmp_ge_i32 s23, s10
	s_cbranch_scc0 .LBB168_52
.LBB168_55:                             ;   in Loop: Header=BB168_48 Depth=2
	s_lshl_b32 s23, s10, 5
	s_mov_b32 s24, 0
	s_mov_b32 s25, s21
	s_branch .LBB168_57
.LBB168_56:                             ;   in Loop: Header=BB168_57 Depth=3
	s_mulk_i32 s27, 0x108
	s_addk_i32 s25, 0x100
	v_mov_b32_e32 v7, s27
	s_lshl_b32 s27, s24, 3
	s_add_i32 s24, s24, 1
	ds_load_b64 v[7:8], v7
	s_waitcnt vmcnt(0) lgkmcnt(0)
	v_mul_f32_e32 v9, v8, v2
	v_mul_f32_e32 v10, v7, v2
	v_add_lshl_u32 v2, s26, v0, 3
	s_add_i32 s26, s27, 0
	s_cmp_eq_u32 s24, s14
	v_fma_f32 v9, v7, v1, -v9
	v_fmac_f32_e32 v10, v8, v1
	scratch_store_b64 off, v[9:10], s26
	ds_store_b64 v2, v[9:10] offset:8192
	s_cbranch_scc1 .LBB168_47
.LBB168_57:                             ;   Parent Loop BB168_45 Depth=1
                                        ;     Parent Loop BB168_48 Depth=2
                                        ; =>    This Loop Header: Depth=3
                                        ;         Child Loop BB168_59 Depth 4
	s_cmp_lg_u32 s24, 0
	s_cbranch_scc0 .LBB168_61
; %bb.58:                               ;   in Loop: Header=BB168_57 Depth=3
	s_lshl_b32 s26, s24, 3
	v_mov_b32_e32 v8, 0
	s_add_i32 s27, s26, 0
	v_add_nc_u32_e64 v7, s26, 0
	scratch_load_b64 v[1:2], off, s27
	s_add_i32 s27, s24, s10
	s_mov_b32 s29, 0
	s_lshl_b32 s26, s27, 5
	s_mov_b32 s30, s25
	.p2align	6
.LBB168_59:                             ;   Parent Loop BB168_45 Depth=1
                                        ;     Parent Loop BB168_48 Depth=2
                                        ;       Parent Loop BB168_57 Depth=3
                                        ; =>      This Inner Loop Header: Depth=4
	scratch_load_b64 v[9:10], v8, off
	v_mov_b32_e32 v11, s30
	s_add_i32 s29, s29, 1
	s_add_i32 s30, s30, 8
	s_cmp_ge_u32 s29, s24
	v_add_nc_u32_e32 v8, 8, v8
	ds_load_b64 v[11:12], v11
	s_waitcnt vmcnt(0) lgkmcnt(0)
	v_mul_f32_e32 v13, v12, v10
	v_mul_f32_e32 v10, v11, v10
	s_delay_alu instid0(VALU_DEP_2) | instskip(NEXT) | instid1(VALU_DEP_1)
	v_fma_f32 v11, v11, v9, -v13
	v_dual_sub_f32 v1, v1, v11 :: v_dual_fmac_f32 v10, v12, v9
	s_delay_alu instid0(VALU_DEP_1)
	v_sub_f32_e32 v2, v2, v10
	scratch_store_b64 v7, v[1:2], off
	s_cbranch_scc0 .LBB168_59
; %bb.60:                               ;   in Loop: Header=BB168_57 Depth=3
	s_branch .LBB168_56
.LBB168_61:                             ;   in Loop: Header=BB168_57 Depth=3
                                        ; implicit-def: $vgpr1
                                        ; implicit-def: $sgpr27
                                        ; implicit-def: $sgpr26
	s_cbranch_execz .LBB168_56
; %bb.62:                               ;   in Loop: Header=BB168_57 Depth=3
	scratch_load_b64 v[1:2], off, off
	s_mov_b32 s26, s23
	s_mov_b32 s27, s10
	s_branch .LBB168_56
.LBB168_63:
	s_mov_b32 s4, 0
.LBB168_64:
	s_delay_alu instid0(SALU_CYCLE_1)
	s_and_b32 vcc_lo, exec_lo, s4
	s_cbranch_vccz .LBB168_84
; %bb.65:
	v_lshl_or_b32 v4, v0, 3, 0x2000
	v_lshlrev_b32_e32 v5, 3, v0
	s_lshl_b32 s10, s20, 8
	s_mov_b32 s5, 0
	s_addk_i32 s10, 0xff00
	s_mov_b32 s4, s5
	s_mov_b32 s11, s28
	s_branch .LBB168_67
.LBB168_66:                             ;   in Loop: Header=BB168_67 Depth=1
	s_cmp_lt_i32 s11, 0
	s_cselect_b32 s12, -1, 0
	s_add_i32 s4, s4, 1
	s_delay_alu instid0(SALU_CYCLE_1) | instskip(SKIP_1) | instid1(SALU_CYCLE_1)
	s_cmp_eq_u32 s4, 3
	s_cselect_b32 s13, -1, 0
	s_or_b32 s12, s12, s13
	s_delay_alu instid0(SALU_CYCLE_1)
	s_and_b32 vcc_lo, exec_lo, s12
	s_cbranch_vccnz .LBB168_84
.LBB168_67:                             ; =>This Loop Header: Depth=1
                                        ;     Child Loop BB168_70 Depth 2
                                        ;       Child Loop BB168_71 Depth 3
                                        ;       Child Loop BB168_73 Depth 3
                                        ;         Child Loop BB168_74 Depth 4
                                        ;       Child Loop BB168_78 Depth 3
                                        ;         Child Loop BB168_80 Depth 4
	s_getpc_b64 s[12:13]
	s_add_u32 s12, s12, __const._ZL38rocblas_trsm_small_left_device_sharedBILi32ELi32ELb0E19rocblas_complex_numIfES1_PKPKS1_PKPS1_Ev13rocblas_fill_18rocblas_operation_17rocblas_diagonal_iiT3_T4_lilT5_lili.step_sizes@rel32@lo+4
	s_addc_u32 s13, s13, __const._ZL38rocblas_trsm_small_left_device_sharedBILi32ELi32ELb0E19rocblas_complex_numIfES1_PKPKS1_PKPS1_Ev13rocblas_fill_18rocblas_operation_17rocblas_diagonal_iiT3_T4_lilT5_lili.step_sizes@rel32@hi+12
	s_lshl_b64 s[14:15], s[4:5], 2
	s_delay_alu instid0(SALU_CYCLE_1) | instskip(SKIP_4) | instid1(SALU_CYCLE_1)
	s_add_u32 s12, s14, s12
	s_addc_u32 s13, s15, s13
	s_load_b32 s12, s[12:13], 0x0
	s_waitcnt lgkmcnt(0)
	s_add_i32 s13, s12, -1
	s_cmp_lt_i32 s11, s13
	s_cbranch_scc1 .LBB168_66
; %bb.68:                               ;   in Loop: Header=BB168_67 Depth=1
	v_lshl_add_u32 v6, s11, 8, v4
	s_lshl_b32 s15, s12, 8
	s_lshl_b32 s21, s11, 3
	;; [unrolled: 1-line block ×3, first 2 shown]
	s_max_i32 s14, s12, 1
	s_sub_i32 s15, 0, s15
	s_add_i32 s21, s10, s21
	s_sub_i32 s22, 0, s22
	s_mul_i32 s23, s11, 0x108
	s_mul_i32 s24, s12, 0xfffffef8
	s_branch .LBB168_70
.LBB168_69:                             ;   in Loop: Header=BB168_70 Depth=2
	v_add_nc_u32_e32 v6, s15, v6
	s_sub_i32 s11, s11, s12
	s_add_i32 s21, s21, s22
	s_add_i32 s23, s23, s24
	s_cmp_lt_i32 s11, s13
	s_cbranch_scc1 .LBB168_66
.LBB168_70:                             ;   Parent Loop BB168_67 Depth=1
                                        ; =>  This Loop Header: Depth=2
                                        ;       Child Loop BB168_71 Depth 3
                                        ;       Child Loop BB168_73 Depth 3
                                        ;         Child Loop BB168_74 Depth 4
                                        ;       Child Loop BB168_78 Depth 3
                                        ;         Child Loop BB168_80 Depth 4
	v_dual_mov_b32 v1, 0 :: v_dual_mov_b32 v2, v6
	s_mov_b32 s25, s14
.LBB168_71:                             ;   Parent Loop BB168_67 Depth=1
                                        ;     Parent Loop BB168_70 Depth=2
                                        ; =>    This Inner Loop Header: Depth=3
	ds_load_b64 v[7:8], v2
	v_add_nc_u32_e32 v2, 0xffffff00, v2
	s_add_i32 s25, s25, -1
	s_delay_alu instid0(SALU_CYCLE_1)
	s_cmp_eq_u32 s25, 0
	s_waitcnt lgkmcnt(0)
	scratch_store_b64 v1, v[7:8], off
	v_add_nc_u32_e32 v1, 8, v1
	s_cbranch_scc0 .LBB168_71
; %bb.72:                               ;   in Loop: Header=BB168_70 Depth=2
	s_cmp_le_i32 s28, s11
	s_mov_b32 s25, s21
	s_mov_b32 s26, s28
	s_cbranch_scc1 .LBB168_76
	.p2align	6
.LBB168_73:                             ;   Parent Loop BB168_67 Depth=1
                                        ;     Parent Loop BB168_70 Depth=2
                                        ; =>    This Loop Header: Depth=3
                                        ;         Child Loop BB168_74 Depth 4
	v_lshl_or_b32 v1, s26, 8, v5
	v_mov_b32_e32 v7, v3
	s_mov_b32 s27, s14
	s_mov_b32 s29, s25
	ds_load_b64 v[1:2], v1 offset:8192
	.p2align	6
.LBB168_74:                             ;   Parent Loop BB168_67 Depth=1
                                        ;     Parent Loop BB168_70 Depth=2
                                        ;       Parent Loop BB168_73 Depth=3
                                        ; =>      This Inner Loop Header: Depth=4
	scratch_load_b64 v[8:9], v7, off offset:-4
	v_mov_b32_e32 v10, s29
	s_add_i32 s27, s27, -1
	s_add_i32 s29, s29, -8
	s_cmp_eq_u32 s27, 0
	ds_load_b64 v[10:11], v10
	s_waitcnt lgkmcnt(0)
	v_mul_f32_e32 v12, v11, v2
	v_mul_f32_e32 v11, v11, v1
	s_delay_alu instid0(VALU_DEP_1) | instskip(SKIP_1) | instid1(VALU_DEP_1)
	v_fmac_f32_e32 v11, v10, v2
	s_waitcnt vmcnt(0)
	v_sub_f32_e32 v9, v9, v11
	v_fma_f32 v12, v10, v1, -v12
	s_delay_alu instid0(VALU_DEP_1)
	v_sub_f32_e32 v8, v8, v12
	scratch_store_b64 v7, v[8:9], off offset:-4
	v_add_nc_u32_e32 v7, 8, v7
	s_cbranch_scc0 .LBB168_74
; %bb.75:                               ;   in Loop: Header=BB168_73 Depth=3
	s_add_i32 s26, s26, -1
	s_addk_i32 s25, 0xff00
	s_cmp_le_i32 s26, s11
	s_cbranch_scc0 .LBB168_73
.LBB168_76:                             ;   in Loop: Header=BB168_70 Depth=2
	s_mov_b32 s25, 0
	s_mov_b32 s26, s23
	s_branch .LBB168_78
.LBB168_77:                             ;   in Loop: Header=BB168_78 Depth=3
	s_mul_i32 s29, s27, 0x108
	s_add_i32 s26, s26, -8
	v_mov_b32_e32 v7, s29
	s_lshl_b32 s29, s25, 3
	s_add_i32 s25, s25, 1
	ds_load_b64 v[7:8], v7
	s_waitcnt vmcnt(0) lgkmcnt(0)
	v_mul_f32_e32 v9, v8, v2
	v_mul_f32_e32 v10, v7, v2
	v_lshl_or_b32 v2, s27, 8, v5
	s_add_i32 s27, s29, 0
	s_cmp_eq_u32 s25, s14
	v_fma_f32 v9, v7, v1, -v9
	v_fmac_f32_e32 v10, v8, v1
	scratch_store_b64 off, v[9:10], s27
	ds_store_b64 v2, v[9:10] offset:8192
	s_cbranch_scc1 .LBB168_69
.LBB168_78:                             ;   Parent Loop BB168_67 Depth=1
                                        ;     Parent Loop BB168_70 Depth=2
                                        ; =>    This Loop Header: Depth=3
                                        ;         Child Loop BB168_80 Depth 4
	s_cmp_lg_u32 s25, 0
	s_cbranch_scc0 .LBB168_82
; %bb.79:                               ;   in Loop: Header=BB168_78 Depth=3
	s_lshl_b32 s27, s25, 3
	v_mov_b32_e32 v8, 0
	s_add_i32 s29, s27, 0
	v_add_nc_u32_e64 v7, s27, 0
	scratch_load_b64 v[1:2], off, s29
	s_sub_i32 s27, s11, s25
	s_mov_b32 s29, 0
	s_mov_b32 s30, s26
	.p2align	6
.LBB168_80:                             ;   Parent Loop BB168_67 Depth=1
                                        ;     Parent Loop BB168_70 Depth=2
                                        ;       Parent Loop BB168_78 Depth=3
                                        ; =>      This Inner Loop Header: Depth=4
	scratch_load_b64 v[9:10], v8, off
	v_mov_b32_e32 v11, s30
	s_add_i32 s29, s29, 1
	s_addk_i32 s30, 0xff00
	s_cmp_ge_u32 s29, s25
	v_add_nc_u32_e32 v8, 8, v8
	ds_load_b64 v[11:12], v11
	s_waitcnt vmcnt(0) lgkmcnt(0)
	v_mul_f32_e32 v13, v12, v10
	v_mul_f32_e32 v10, v11, v10
	s_delay_alu instid0(VALU_DEP_2) | instskip(NEXT) | instid1(VALU_DEP_1)
	v_fma_f32 v11, v11, v9, -v13
	v_dual_sub_f32 v1, v1, v11 :: v_dual_fmac_f32 v10, v12, v9
	s_delay_alu instid0(VALU_DEP_1)
	v_sub_f32_e32 v2, v2, v10
	scratch_store_b64 v7, v[1:2], off
	s_cbranch_scc0 .LBB168_80
; %bb.81:                               ;   in Loop: Header=BB168_78 Depth=3
	s_branch .LBB168_77
.LBB168_82:                             ;   in Loop: Header=BB168_78 Depth=3
                                        ; implicit-def: $vgpr1
                                        ; implicit-def: $sgpr27
	s_cbranch_execz .LBB168_77
; %bb.83:                               ;   in Loop: Header=BB168_78 Depth=3
	scratch_load_b64 v[1:2], off, off
	s_mov_b32 s27, s11
	s_branch .LBB168_77
.LBB168_84:
	s_waitcnt vmcnt(0) lgkmcnt(0)
	s_waitcnt_vscnt null, 0x0
	; wave barrier
	s_waitcnt lgkmcnt(0)
	s_waitcnt_vscnt null, 0x0
	buffer_gl0_inv
	s_and_saveexec_b32 s4, s19
	s_cbranch_execz .LBB168_91
; %bb.85:
	s_cmp_lt_i32 s6, 8
	s_mov_b32 s4, 0
	s_cbranch_scc1 .LBB168_88
; %bb.86:
	v_mad_i64_i32 v[1:2], null, s16, v0, 0
	v_lshl_or_b32 v3, v0, 3, 0x2000
	s_lshl_b32 s4, s20, 3
	s_delay_alu instid0(SALU_CYCLE_1) | instskip(SKIP_1) | instid1(VALU_DEP_2)
	s_and_b32 s5, s4, 0x1c0
	s_mov_b32 s4, 0
	v_lshlrev_b64 v[1:2], 3, v[1:2]
	s_delay_alu instid0(VALU_DEP_1) | instskip(NEXT) | instid1(VALU_DEP_2)
	v_add_co_u32 v1, vcc_lo, s7, v1
	v_add_co_ci_u32_e32 v2, vcc_lo, s18, v2, vcc_lo
	s_mov_b64 s[6:7], 0
	.p2align	6
.LBB168_87:                             ; =>This Inner Loop Header: Depth=1
	ds_load_2addr_b64 v[4:7], v3 offset1:32
	ds_load_2addr_b64 v[8:11], v3 offset0:64 offset1:96
	ds_load_2addr_b64 v[12:15], v3 offset0:128 offset1:160
	;; [unrolled: 1-line block ×3, first 2 shown]
	v_add_co_u32 v20, vcc_lo, v1, s6
	v_add_co_ci_u32_e32 v21, vcc_lo, s7, v2, vcc_lo
	s_add_i32 s4, s4, 8
	v_add_nc_u32_e32 v3, 0x800, v3
	s_add_u32 s6, s6, 64
	s_addc_u32 s7, s7, 0
	s_cmp_lg_u32 s5, s6
	s_waitcnt lgkmcnt(3)
	global_store_b128 v[20:21], v[4:7], off
	s_waitcnt lgkmcnt(2)
	global_store_b128 v[20:21], v[8:11], off offset:16
	s_waitcnt lgkmcnt(1)
	global_store_b128 v[20:21], v[12:15], off offset:32
	;; [unrolled: 2-line block ×3, first 2 shown]
	s_cbranch_scc1 .LBB168_87
.LBB168_88:
	s_and_b32 s6, s20, 7
	s_mov_b32 s5, 0
	s_cmp_eq_u32 s6, 0
	s_cbranch_scc1 .LBB168_91
; %bb.89:
	v_lshlrev_b32_e32 v2, 3, v0
	s_lshl_b64 s[8:9], s[8:9], 3
	s_lshl_b64 s[10:11], s[4:5], 3
	s_delay_alu instid0(SALU_CYCLE_1) | instskip(NEXT) | instid1(VALU_DEP_1)
	s_add_u32 s2, s2, s10
	v_add_co_u32 v3, s5, s8, v2
	s_delay_alu instid0(VALU_DEP_1) | instskip(SKIP_3) | instid1(VALU_DEP_1)
	v_add_co_ci_u32_e64 v4, null, s9, 0, s5
	s_addc_u32 s3, s3, s11
	s_add_u32 s0, s2, s0
	s_addc_u32 s1, s3, s1
	v_mul_lo_u32 v4, v4, s16
	v_mad_u64_u32 v[0:1], null, v3, s16, s[0:1]
	v_mul_lo_u32 v3, v3, s17
	v_lshl_or_b32 v2, s4, 8, v2
	s_delay_alu instid0(VALU_DEP_1) | instskip(NEXT) | instid1(VALU_DEP_3)
	v_add_nc_u32_e32 v2, 0x2000, v2
	v_add3_u32 v1, v4, v1, v3
.LBB168_90:                             ; =>This Inner Loop Header: Depth=1
	ds_load_b64 v[3:4], v2
	v_add_nc_u32_e32 v2, 0x100, v2
	s_add_i32 s6, s6, -1
	s_delay_alu instid0(SALU_CYCLE_1)
	s_cmp_lg_u32 s6, 0
	s_waitcnt lgkmcnt(0)
	global_store_b64 v[0:1], v[3:4], off
	v_add_co_u32 v0, vcc_lo, v0, 8
	v_add_co_ci_u32_e32 v1, vcc_lo, 0, v1, vcc_lo
	s_cbranch_scc1 .LBB168_90
.LBB168_91:
	s_nop 0
	s_sendmsg sendmsg(MSG_DEALLOC_VGPRS)
	s_endpgm
	.section	.rodata,"a",@progbits
	.p2align	6, 0x0
	.amdhsa_kernel _ZL38rocblas_trsm_small_left_device_sharedBILi32ELi32ELb0E19rocblas_complex_numIfES1_PKPKS1_PKPS1_Ev13rocblas_fill_18rocblas_operation_17rocblas_diagonal_iiT3_T4_lilT5_lili
		.amdhsa_group_segment_fixed_size 16384
		.amdhsa_private_segment_fixed_size 272
		.amdhsa_kernarg_size 360
		.amdhsa_user_sgpr_count 14
		.amdhsa_user_sgpr_dispatch_ptr 0
		.amdhsa_user_sgpr_queue_ptr 0
		.amdhsa_user_sgpr_kernarg_segment_ptr 1
		.amdhsa_user_sgpr_dispatch_id 0
		.amdhsa_user_sgpr_private_segment_size 0
		.amdhsa_wavefront_size32 1
		.amdhsa_uses_dynamic_stack 0
		.amdhsa_enable_private_segment 1
		.amdhsa_system_sgpr_workgroup_id_x 1
		.amdhsa_system_sgpr_workgroup_id_y 0
		.amdhsa_system_sgpr_workgroup_id_z 1
		.amdhsa_system_sgpr_workgroup_info 0
		.amdhsa_system_vgpr_workitem_id 0
		.amdhsa_next_free_vgpr 29
		.amdhsa_next_free_sgpr 35
		.amdhsa_reserve_vcc 1
		.amdhsa_float_round_mode_32 0
		.amdhsa_float_round_mode_16_64 0
		.amdhsa_float_denorm_mode_32 3
		.amdhsa_float_denorm_mode_16_64 3
		.amdhsa_dx10_clamp 1
		.amdhsa_ieee_mode 1
		.amdhsa_fp16_overflow 0
		.amdhsa_workgroup_processor_mode 1
		.amdhsa_memory_ordered 1
		.amdhsa_forward_progress 0
		.amdhsa_shared_vgpr_count 0
		.amdhsa_exception_fp_ieee_invalid_op 0
		.amdhsa_exception_fp_denorm_src 0
		.amdhsa_exception_fp_ieee_div_zero 0
		.amdhsa_exception_fp_ieee_overflow 0
		.amdhsa_exception_fp_ieee_underflow 0
		.amdhsa_exception_fp_ieee_inexact 0
		.amdhsa_exception_int_div_zero 0
	.end_amdhsa_kernel
	.section	.text._ZL38rocblas_trsm_small_left_device_sharedBILi32ELi32ELb0E19rocblas_complex_numIfES1_PKPKS1_PKPS1_Ev13rocblas_fill_18rocblas_operation_17rocblas_diagonal_iiT3_T4_lilT5_lili,"axG",@progbits,_ZL38rocblas_trsm_small_left_device_sharedBILi32ELi32ELb0E19rocblas_complex_numIfES1_PKPKS1_PKPS1_Ev13rocblas_fill_18rocblas_operation_17rocblas_diagonal_iiT3_T4_lilT5_lili,comdat
.Lfunc_end168:
	.size	_ZL38rocblas_trsm_small_left_device_sharedBILi32ELi32ELb0E19rocblas_complex_numIfES1_PKPKS1_PKPS1_Ev13rocblas_fill_18rocblas_operation_17rocblas_diagonal_iiT3_T4_lilT5_lili, .Lfunc_end168-_ZL38rocblas_trsm_small_left_device_sharedBILi32ELi32ELb0E19rocblas_complex_numIfES1_PKPKS1_PKPS1_Ev13rocblas_fill_18rocblas_operation_17rocblas_diagonal_iiT3_T4_lilT5_lili
                                        ; -- End function
	.section	.AMDGPU.csdata,"",@progbits
; Kernel info:
; codeLenInByte = 3924
; NumSgprs: 37
; NumVgprs: 29
; ScratchSize: 272
; MemoryBound: 0
; FloatMode: 240
; IeeeMode: 1
; LDSByteSize: 16384 bytes/workgroup (compile time only)
; SGPRBlocks: 4
; VGPRBlocks: 3
; NumSGPRsForWavesPerEU: 37
; NumVGPRsForWavesPerEU: 29
; Occupancy: 2
; WaveLimiterHint : 1
; COMPUTE_PGM_RSRC2:SCRATCH_EN: 1
; COMPUTE_PGM_RSRC2:USER_SGPR: 14
; COMPUTE_PGM_RSRC2:TRAP_HANDLER: 0
; COMPUTE_PGM_RSRC2:TGID_X_EN: 1
; COMPUTE_PGM_RSRC2:TGID_Y_EN: 0
; COMPUTE_PGM_RSRC2:TGID_Z_EN: 1
; COMPUTE_PGM_RSRC2:TIDIG_COMP_CNT: 0
	.section	.text._ZL30rocblas_trsm_small_left_deviceILi32ELi32ELb0E19rocblas_complex_numIfES1_PKPKS1_PKPS1_Ev13rocblas_fill_18rocblas_operation_17rocblas_diagonal_iiT3_T4_lilT5_lili,"axG",@progbits,_ZL30rocblas_trsm_small_left_deviceILi32ELi32ELb0E19rocblas_complex_numIfES1_PKPKS1_PKPS1_Ev13rocblas_fill_18rocblas_operation_17rocblas_diagonal_iiT3_T4_lilT5_lili,comdat
	.globl	_ZL30rocblas_trsm_small_left_deviceILi32ELi32ELb0E19rocblas_complex_numIfES1_PKPKS1_PKPS1_Ev13rocblas_fill_18rocblas_operation_17rocblas_diagonal_iiT3_T4_lilT5_lili ; -- Begin function _ZL30rocblas_trsm_small_left_deviceILi32ELi32ELb0E19rocblas_complex_numIfES1_PKPKS1_PKPS1_Ev13rocblas_fill_18rocblas_operation_17rocblas_diagonal_iiT3_T4_lilT5_lili
	.p2align	8
	.type	_ZL30rocblas_trsm_small_left_deviceILi32ELi32ELb0E19rocblas_complex_numIfES1_PKPKS1_PKPS1_Ev13rocblas_fill_18rocblas_operation_17rocblas_diagonal_iiT3_T4_lilT5_lili,@function
_ZL30rocblas_trsm_small_left_deviceILi32ELi32ELb0E19rocblas_complex_numIfES1_PKPKS1_PKPS1_Ev13rocblas_fill_18rocblas_operation_17rocblas_diagonal_iiT3_T4_lilT5_lili: ; @_ZL30rocblas_trsm_small_left_deviceILi32ELi32ELb0E19rocblas_complex_numIfES1_PKPKS1_PKPS1_Ev13rocblas_fill_18rocblas_operation_17rocblas_diagonal_iiT3_T4_lilT5_lili
; %bb.0:
	s_clause 0x1
	s_load_b128 s[8:11], s[0:1], 0x40
	s_load_b128 s[4:7], s[0:1], 0x4
	s_mov_b32 s12, s15
	s_mov_b32 s13, 0
	s_load_b32 s15, s[0:1], 0x68
	s_lshl_b64 s[22:23], s[12:13], 3
	s_waitcnt lgkmcnt(0)
	s_add_u32 s8, s8, s22
	s_addc_u32 s9, s9, s23
	s_load_b64 s[2:3], s[0:1], 0x14
	s_load_b64 s[8:9], s[8:9], 0x0
	s_min_i32 s29, s6, 32
	s_mov_b32 s6, exec_lo
	s_add_i32 s28, s29, -1
	v_cmpx_gt_i32_e64 s29, v0
	s_cbranch_execz .LBB169_35
; %bb.1:
	s_clause 0x1
	s_load_b32 s20, s[0:1], 0x30
	s_load_b128 s[16:19], s[0:1], 0x20
	v_lshlrev_b32_e32 v8, 3, v0
	s_waitcnt lgkmcnt(0)
	s_ashr_i32 s21, s20, 31
	s_cmpk_lg_i32 s4, 0x71
	s_cselect_b32 s12, -1, 0
	s_add_u32 s16, s16, s22
	s_addc_u32 s17, s17, s23
	v_cndmask_b32_e64 v7, 0, 1, s12
	s_load_b64 s[16:17], s[16:17], 0x0
	s_cmp_lt_u32 s28, 3
	s_cbranch_scc1 .LBB169_20
; %bb.2:
	s_lshl_b64 s[22:23], s[18:19], 3
	v_mov_b32_e32 v9, v8
	s_waitcnt lgkmcnt(0)
	s_add_u32 s13, s16, s22
	s_addc_u32 s22, s17, s23
	v_add_co_u32 v1, s13, s13, v8
	s_delay_alu instid0(VALU_DEP_1)
	v_add_co_ci_u32_e64 v2, null, s22, 0, s13
	s_and_b32 s13, s29, -4
	s_mul_hi_i32 s30, s20, 24
	s_mul_i32 s31, s20, 24
	s_lshl_b64 s[22:23], s[20:21], 5
	s_lshl_b64 s[24:25], s[20:21], 4
	;; [unrolled: 1-line block ×3, first 2 shown]
	s_mov_b32 s33, 0
	s_branch .LBB169_4
.LBB169_3:                              ;   in Loop: Header=BB169_4 Depth=1
	global_load_b32 v3, v[5:6], off
	v_add_co_u32 v1, vcc_lo, v1, s22
	v_add_co_ci_u32_e32 v2, vcc_lo, s23, v2, vcc_lo
	s_add_i32 s33, s33, 4
	s_delay_alu instid0(SALU_CYCLE_1)
	s_cmp_eq_u32 s13, s33
	s_waitcnt vmcnt(0)
	ds_store_b64 v9, v[3:4] offset:768
	v_add_nc_u32_e32 v9, 0x400, v9
	s_cbranch_scc1 .LBB169_20
.LBB169_4:                              ; =>This Inner Loop Header: Depth=1
	s_and_b32 vcc_lo, exec_lo, s12
	s_cbranch_vccz .LBB169_6
; %bb.5:                                ;   in Loop: Header=BB169_4 Depth=1
	global_load_b32 v4, v[1:2], off offset:4
	s_cbranch_execz .LBB169_7
	s_branch .LBB169_8
.LBB169_6:                              ;   in Loop: Header=BB169_4 Depth=1
                                        ; implicit-def: $vgpr4
.LBB169_7:                              ;   in Loop: Header=BB169_4 Depth=1
	global_load_b32 v3, v[1:2], off offset:4
	s_waitcnt vmcnt(0)
	v_xor_b32_e32 v4, 0x80000000, v3
.LBB169_8:                              ;   in Loop: Header=BB169_4 Depth=1
	global_load_b32 v3, v[1:2], off
	v_add_co_u32 v5, vcc_lo, v1, s26
	v_add_co_ci_u32_e32 v6, vcc_lo, s27, v2, vcc_lo
	s_and_not1_b32 vcc_lo, exec_lo, s12
	s_waitcnt vmcnt(0)
	ds_store_b64 v9, v[3:4]
	s_cbranch_vccnz .LBB169_10
; %bb.9:                                ;   in Loop: Header=BB169_4 Depth=1
	global_load_b32 v4, v[5:6], off offset:4
	s_cbranch_execz .LBB169_11
	s_branch .LBB169_12
.LBB169_10:                             ;   in Loop: Header=BB169_4 Depth=1
                                        ; implicit-def: $vgpr4
.LBB169_11:                             ;   in Loop: Header=BB169_4 Depth=1
	global_load_b32 v3, v[5:6], off offset:4
	s_waitcnt vmcnt(0)
	v_xor_b32_e32 v4, 0x80000000, v3
.LBB169_12:                             ;   in Loop: Header=BB169_4 Depth=1
	global_load_b32 v3, v[5:6], off
	v_add_co_u32 v5, vcc_lo, v1, s24
	v_add_co_ci_u32_e32 v6, vcc_lo, s25, v2, vcc_lo
	s_and_not1_b32 vcc_lo, exec_lo, s12
	s_waitcnt vmcnt(0)
	ds_store_b64 v9, v[3:4] offset:256
	s_cbranch_vccnz .LBB169_14
; %bb.13:                               ;   in Loop: Header=BB169_4 Depth=1
	global_load_b32 v4, v[5:6], off offset:4
	s_cbranch_execz .LBB169_15
	s_branch .LBB169_16
.LBB169_14:                             ;   in Loop: Header=BB169_4 Depth=1
                                        ; implicit-def: $vgpr4
.LBB169_15:                             ;   in Loop: Header=BB169_4 Depth=1
	global_load_b32 v3, v[5:6], off offset:4
	s_waitcnt vmcnt(0)
	v_xor_b32_e32 v4, 0x80000000, v3
.LBB169_16:                             ;   in Loop: Header=BB169_4 Depth=1
	global_load_b32 v3, v[5:6], off
	v_add_co_u32 v5, vcc_lo, v1, s31
	v_add_co_ci_u32_e32 v6, vcc_lo, s30, v2, vcc_lo
	s_and_not1_b32 vcc_lo, exec_lo, s12
	s_waitcnt vmcnt(0)
	ds_store_b64 v9, v[3:4] offset:512
	s_cbranch_vccnz .LBB169_18
; %bb.17:                               ;   in Loop: Header=BB169_4 Depth=1
	global_load_b32 v4, v[5:6], off offset:4
	s_cbranch_execnz .LBB169_3
	s_branch .LBB169_19
.LBB169_18:                             ;   in Loop: Header=BB169_4 Depth=1
                                        ; implicit-def: $vgpr4
.LBB169_19:                             ;   in Loop: Header=BB169_4 Depth=1
	global_load_b32 v3, v[5:6], off offset:4
	s_waitcnt vmcnt(0)
	v_xor_b32_e32 v4, 0x80000000, v3
	s_branch .LBB169_3
.LBB169_20:
	s_and_b32 s22, s29, 3
	s_delay_alu instid0(SALU_CYCLE_1)
	s_cmp_eq_u32 s22, 0
	s_cbranch_scc1 .LBB169_27
; %bb.21:
	s_mul_i32 s12, s21, s13
	s_mul_hi_u32 s23, s20, s13
	s_mul_i32 s24, s20, s13
	s_add_i32 s25, s23, s12
	s_lshl_b64 s[18:19], s[18:19], 3
	s_lshl_b64 s[24:25], s[24:25], 3
	v_lshl_or_b32 v5, s13, 8, v8
	s_add_u32 s12, s24, s18
	s_addc_u32 s18, s25, s19
	s_waitcnt lgkmcnt(0)
	s_add_u32 s12, s16, s12
	s_addc_u32 s16, s17, s18
	v_add_co_u32 v1, s12, s12, v8
	s_delay_alu instid0(VALU_DEP_1) | instskip(SKIP_1) | instid1(VALU_DEP_2)
	v_add_co_ci_u32_e64 v2, null, s16, 0, s12
	s_lshl_b64 s[12:13], s[20:21], 3
	v_add_co_u32 v1, vcc_lo, v1, 4
	s_delay_alu instid0(VALU_DEP_2)
	v_add_co_ci_u32_e32 v2, vcc_lo, 0, v2, vcc_lo
	s_set_inst_prefetch_distance 0x1
	s_branch .LBB169_23
	.p2align	6
.LBB169_22:                             ;   in Loop: Header=BB169_23 Depth=1
	global_load_b32 v3, v[1:2], off offset:-4
	v_add_co_u32 v1, vcc_lo, v1, s12
	v_add_co_ci_u32_e32 v2, vcc_lo, s13, v2, vcc_lo
	s_add_i32 s22, s22, -1
	s_delay_alu instid0(SALU_CYCLE_1)
	s_cmp_lg_u32 s22, 0
	s_waitcnt vmcnt(0)
	ds_store_b64 v5, v[3:4]
	v_add_nc_u32_e32 v5, 0x100, v5
	s_cbranch_scc0 .LBB169_27
.LBB169_23:                             ; =>This Inner Loop Header: Depth=1
	v_cmp_ne_u32_e32 vcc_lo, 1, v7
	s_mov_b32 s16, -1
                                        ; implicit-def: $vgpr4
	s_cbranch_vccnz .LBB169_25
; %bb.24:                               ;   in Loop: Header=BB169_23 Depth=1
	global_load_b32 v4, v[1:2], off
	s_mov_b32 s16, 0
.LBB169_25:                             ;   in Loop: Header=BB169_23 Depth=1
	s_delay_alu instid0(SALU_CYCLE_1)
	s_and_not1_b32 vcc_lo, exec_lo, s16
	s_cbranch_vccnz .LBB169_22
; %bb.26:                               ;   in Loop: Header=BB169_23 Depth=1
	global_load_b32 v3, v[1:2], off
	s_waitcnt vmcnt(0)
	v_xor_b32_e32 v4, 0x80000000, v3
	s_branch .LBB169_22
.LBB169_27:
	s_set_inst_prefetch_distance 0x2
	v_mul_u32_u24_e32 v1, 33, v0
	s_cmpk_lg_i32 s5, 0x84
	s_mov_b32 s5, -1
	s_delay_alu instid0(VALU_DEP_1)
	v_lshlrev_b32_e32 v5, 3, v1
	s_cbranch_scc0 .LBB169_33
; %bb.28:
	ds_load_b64 v[1:2], v5
	s_waitcnt lgkmcnt(0)
	v_cmp_gt_f32_e32 vcc_lo, 0, v1
	v_cndmask_b32_e64 v3, v1, -v1, vcc_lo
	v_cmp_gt_f32_e32 vcc_lo, 0, v2
	v_cndmask_b32_e64 v4, v2, -v2, vcc_lo
	s_delay_alu instid0(VALU_DEP_1) | instskip(SKIP_1) | instid1(SALU_CYCLE_1)
	v_cmp_ngt_f32_e32 vcc_lo, v3, v4
                                        ; implicit-def: $vgpr3
	s_and_saveexec_b32 s5, vcc_lo
	s_xor_b32 s5, exec_lo, s5
	s_cbranch_execz .LBB169_30
; %bb.29:
	v_div_scale_f32 v3, null, v2, v2, v1
	v_div_scale_f32 v7, vcc_lo, v1, v2, v1
	s_delay_alu instid0(VALU_DEP_2) | instskip(SKIP_2) | instid1(VALU_DEP_1)
	v_rcp_f32_e32 v4, v3
	s_waitcnt_depctr 0xfff
	v_fma_f32 v6, -v3, v4, 1.0
	v_fmac_f32_e32 v4, v6, v4
	s_delay_alu instid0(VALU_DEP_1) | instskip(NEXT) | instid1(VALU_DEP_1)
	v_mul_f32_e32 v6, v7, v4
	v_fma_f32 v8, -v3, v6, v7
	s_delay_alu instid0(VALU_DEP_1) | instskip(NEXT) | instid1(VALU_DEP_1)
	v_fmac_f32_e32 v6, v8, v4
	v_fma_f32 v3, -v3, v6, v7
	s_delay_alu instid0(VALU_DEP_1) | instskip(NEXT) | instid1(VALU_DEP_1)
	v_div_fmas_f32 v3, v3, v4, v6
	v_div_fixup_f32 v3, v3, v2, v1
	s_delay_alu instid0(VALU_DEP_1) | instskip(NEXT) | instid1(VALU_DEP_1)
	v_fmac_f32_e32 v2, v1, v3
	v_div_scale_f32 v1, null, v2, v2, 1.0
	v_div_scale_f32 v7, vcc_lo, 1.0, v2, 1.0
	s_delay_alu instid0(VALU_DEP_2) | instskip(SKIP_2) | instid1(VALU_DEP_1)
	v_rcp_f32_e32 v4, v1
	s_waitcnt_depctr 0xfff
	v_fma_f32 v6, -v1, v4, 1.0
	v_fmac_f32_e32 v4, v6, v4
	s_delay_alu instid0(VALU_DEP_1) | instskip(NEXT) | instid1(VALU_DEP_1)
	v_mul_f32_e32 v6, v7, v4
	v_fma_f32 v8, -v1, v6, v7
	s_delay_alu instid0(VALU_DEP_1) | instskip(NEXT) | instid1(VALU_DEP_1)
	v_fmac_f32_e32 v6, v8, v4
	v_fma_f32 v1, -v1, v6, v7
	s_delay_alu instid0(VALU_DEP_1) | instskip(SKIP_1) | instid1(VALU_DEP_2)
	v_div_fmas_f32 v1, v1, v4, v6
	v_add_f32_e32 v4, 0, v3
	v_div_fixup_f32 v1, v1, v2, 1.0
	v_fma_f32 v2, v3, 0, -1.0
	s_delay_alu instid0(VALU_DEP_2) | instskip(NEXT) | instid1(VALU_DEP_2)
	v_mul_f32_e32 v3, v4, v1
	v_mul_f32_e32 v4, v2, v1
                                        ; implicit-def: $vgpr1_vgpr2
.LBB169_30:
	s_and_not1_saveexec_b32 s5, s5
	s_cbranch_execz .LBB169_32
; %bb.31:
	v_div_scale_f32 v3, null, v1, v1, v2
	v_div_scale_f32 v7, vcc_lo, v2, v1, v2
	s_delay_alu instid0(VALU_DEP_2) | instskip(SKIP_2) | instid1(VALU_DEP_1)
	v_rcp_f32_e32 v4, v3
	s_waitcnt_depctr 0xfff
	v_fma_f32 v6, -v3, v4, 1.0
	v_fmac_f32_e32 v4, v6, v4
	s_delay_alu instid0(VALU_DEP_1) | instskip(NEXT) | instid1(VALU_DEP_1)
	v_mul_f32_e32 v6, v7, v4
	v_fma_f32 v8, -v3, v6, v7
	s_delay_alu instid0(VALU_DEP_1) | instskip(NEXT) | instid1(VALU_DEP_1)
	v_fmac_f32_e32 v6, v8, v4
	v_fma_f32 v3, -v3, v6, v7
	s_delay_alu instid0(VALU_DEP_1) | instskip(NEXT) | instid1(VALU_DEP_1)
	v_div_fmas_f32 v3, v3, v4, v6
	v_div_fixup_f32 v4, v3, v1, v2
	s_delay_alu instid0(VALU_DEP_1) | instskip(NEXT) | instid1(VALU_DEP_1)
	v_fmac_f32_e32 v1, v2, v4
	v_div_scale_f32 v2, null, v1, v1, 1.0
	v_div_scale_f32 v7, vcc_lo, 1.0, v1, 1.0
	s_delay_alu instid0(VALU_DEP_2) | instskip(SKIP_2) | instid1(VALU_DEP_1)
	v_rcp_f32_e32 v3, v2
	s_waitcnt_depctr 0xfff
	v_fma_f32 v6, -v2, v3, 1.0
	v_fmac_f32_e32 v3, v6, v3
	s_delay_alu instid0(VALU_DEP_1) | instskip(NEXT) | instid1(VALU_DEP_1)
	v_mul_f32_e32 v6, v7, v3
	v_fma_f32 v8, -v2, v6, v7
	s_delay_alu instid0(VALU_DEP_1) | instskip(NEXT) | instid1(VALU_DEP_1)
	v_fmac_f32_e32 v6, v8, v3
	v_fma_f32 v2, -v2, v6, v7
	s_delay_alu instid0(VALU_DEP_1) | instskip(SKIP_1) | instid1(VALU_DEP_2)
	v_div_fmas_f32 v2, v2, v3, v6
	v_fma_f32 v3, v4, 0, 1.0
	v_div_fixup_f32 v1, v2, v1, 1.0
	s_delay_alu instid0(VALU_DEP_1)
	v_mul_f32_e32 v3, v3, v1
	v_mul_f32_e64 v4, -v4, v1
.LBB169_32:
	s_or_b32 exec_lo, exec_lo, s5
	s_mov_b32 s5, 0
	ds_store_b64 v5, v[3:4]
.LBB169_33:
	s_and_b32 vcc_lo, exec_lo, s5
	s_cbranch_vccz .LBB169_35
; %bb.34:
	v_dual_mov_b32 v1, 1.0 :: v_dual_mov_b32 v2, 0
	ds_store_b64 v5, v[1:2]
.LBB169_35:
	s_or_b32 exec_lo, exec_lo, s6
	s_lshl_b32 s6, s14, 5
	s_add_i32 s15, s15, -1
	s_sub_i32 s5, s7, s6
	s_cmp_ge_u32 s14, s15
	s_waitcnt lgkmcnt(0)
	s_cselect_b32 s5, s5, 32
	; wave barrier
	buffer_gl0_inv
	v_cmp_gt_i32_e32 vcc_lo, s5, v0
	s_mov_b32 s5, -1
	s_and_saveexec_b32 s7, vcc_lo
	s_cbranch_execz .LBB169_78
; %bb.36:
	s_load_b32 s0, s[0:1], 0x50
	v_add_nc_u32_e32 v2, s6, v0
	v_or_b32_e64 v8, 0, 4
	s_waitcnt lgkmcnt(0)
	s_delay_alu instid0(VALU_DEP_2) | instskip(SKIP_1) | instid1(SALU_CYCLE_1)
	v_mad_i64_i32 v[0:1], null, s0, v2, 0
	s_lshl_b64 s[0:1], s[10:11], 3
	s_add_u32 s6, s8, s0
	s_addc_u32 s7, s9, s1
	s_cmpk_eq_i32 s4, 0x6f
	s_delay_alu instid0(VALU_DEP_1) | instskip(NEXT) | instid1(VALU_DEP_1)
	v_lshlrev_b64 v[0:1], 3, v[0:1]
	v_add_co_u32 v6, vcc_lo, s6, v0
	s_delay_alu instid0(VALU_DEP_2)
	v_add_co_ci_u32_e32 v7, vcc_lo, s7, v1, vcc_lo
	s_cbranch_scc1 .LBB169_58
; %bb.37:
	s_add_u32 s4, s8, s0
	s_addc_u32 s5, s9, s1
	v_add_co_u32 v2, vcc_lo, s4, v0
	v_add_co_ci_u32_e32 v3, vcc_lo, s5, v1, vcc_lo
	s_mov_b32 s5, 0
	s_delay_alu instid0(VALU_DEP_2) | instskip(NEXT) | instid1(VALU_DEP_2)
	v_add_co_u32 v9, vcc_lo, v2, 4
	v_add_co_ci_u32_e32 v10, vcc_lo, 0, v3, vcc_lo
	s_mov_b32 s6, s5
	s_mov_b32 s10, s5
	s_branch .LBB169_39
.LBB169_38:                             ;   in Loop: Header=BB169_39 Depth=1
	s_cmp_ge_i32 s10, s29
	s_cselect_b32 s4, -1, 0
	s_add_i32 s6, s6, 1
	s_delay_alu instid0(SALU_CYCLE_1) | instskip(SKIP_1) | instid1(SALU_CYCLE_1)
	s_cmp_eq_u32 s6, 3
	s_cselect_b32 s7, -1, 0
	s_or_b32 s4, s4, s7
	s_delay_alu instid0(SALU_CYCLE_1)
	s_and_not1_b32 vcc_lo, exec_lo, s4
	s_cbranch_vccz .LBB169_57
.LBB169_39:                             ; =>This Loop Header: Depth=1
                                        ;     Child Loop BB169_42 Depth 2
                                        ;       Child Loop BB169_43 Depth 3
                                        ;       Child Loop BB169_46 Depth 3
                                        ;         Child Loop BB169_47 Depth 4
                                        ;       Child Loop BB169_51 Depth 3
                                        ;         Child Loop BB169_53 Depth 4
	s_mov_b32 s7, s5
	s_getpc_b64 s[12:13]
	s_add_u32 s12, s12, __const._ZL30rocblas_trsm_small_left_deviceILi32ELi32ELb0E19rocblas_complex_numIfES1_PKPKS1_PKPS1_Ev13rocblas_fill_18rocblas_operation_17rocblas_diagonal_iiT3_T4_lilT5_lili.step_sizes@rel32@lo+4
	s_addc_u32 s13, s13, __const._ZL30rocblas_trsm_small_left_deviceILi32ELi32ELb0E19rocblas_complex_numIfES1_PKPKS1_PKPS1_Ev13rocblas_fill_18rocblas_operation_17rocblas_diagonal_iiT3_T4_lilT5_lili.step_sizes@rel32@hi+12
	s_lshl_b64 s[14:15], s[6:7], 2
	s_delay_alu instid0(SALU_CYCLE_1) | instskip(SKIP_4) | instid1(SALU_CYCLE_1)
	s_add_u32 s12, s14, s12
	s_addc_u32 s13, s15, s13
	s_load_b32 s12, s[12:13], 0x0
	s_waitcnt lgkmcnt(0)
	s_add_i32 s7, s12, -1
	s_add_i32 s4, s7, s10
	s_delay_alu instid0(SALU_CYCLE_1)
	s_cmp_ge_i32 s4, s29
	s_cbranch_scc1 .LBB169_38
; %bb.40:                               ;   in Loop: Header=BB169_39 Depth=1
	s_ashr_i32 s11, s10, 31
	s_ashr_i32 s13, s12, 31
	s_lshl_b64 s[14:15], s[10:11], 3
	s_max_i32 s18, s12, 1
	v_add_co_u32 v2, vcc_lo, v9, s14
	v_add_co_ci_u32_e32 v3, vcc_lo, s15, v10, vcc_lo
	s_lshl_b64 s[14:15], s[12:13], 3
	s_lshl_b32 s11, s10, 8
	s_lshl_b32 s13, s12, 8
	s_mul_i32 s19, s10, 0x108
	s_mul_i32 s20, s12, 0x108
	s_branch .LBB169_42
.LBB169_41:                             ;   in Loop: Header=BB169_42 Depth=2
	v_add_co_u32 v2, vcc_lo, v2, s14
	s_add_i32 s10, s10, s12
	v_add_co_ci_u32_e32 v3, vcc_lo, s15, v3, vcc_lo
	s_add_i32 s4, s7, s10
	s_add_i32 s11, s11, s13
	s_add_i32 s19, s19, s20
	s_cmp_ge_i32 s4, s29
	s_cbranch_scc1 .LBB169_38
.LBB169_42:                             ;   Parent Loop BB169_39 Depth=1
                                        ; =>  This Loop Header: Depth=2
                                        ;       Child Loop BB169_43 Depth 3
                                        ;       Child Loop BB169_46 Depth 3
                                        ;         Child Loop BB169_47 Depth 4
                                        ;       Child Loop BB169_51 Depth 3
                                        ;         Child Loop BB169_53 Depth 4
	v_dual_mov_b32 v5, v3 :: v_dual_mov_b32 v4, v2
	s_mov_b32 s4, 4
	s_mov_b32 s16, s18
	.p2align	6
.LBB169_43:                             ;   Parent Loop BB169_39 Depth=1
                                        ;     Parent Loop BB169_42 Depth=2
                                        ; =>    This Inner Loop Header: Depth=3
	global_load_b64 v[11:12], v[4:5], off offset:-4
	v_add_co_u32 v4, vcc_lo, v4, 8
	v_add_co_ci_u32_e32 v5, vcc_lo, 0, v5, vcc_lo
	s_add_i32 s16, s16, -1
	s_add_i32 s17, s4, 0
	s_add_i32 s4, s4, 8
	s_cmp_eq_u32 s16, 0
	s_waitcnt vmcnt(0)
	v_mul_f32_e32 v13, s2, v12
	s_delay_alu instid0(VALU_DEP_1) | instskip(NEXT) | instid1(VALU_DEP_1)
	v_dual_mul_f32 v14, s3, v12 :: v_dual_fmac_f32 v13, s3, v11
	v_fma_f32 v12, v11, s2, -v14
	scratch_store_b64 off, v[12:13], s17 offset:-4
	s_cbranch_scc0 .LBB169_43
; %bb.44:                               ;   in Loop: Header=BB169_42 Depth=2
	s_cmp_lt_i32 s10, 1
	s_cbranch_scc1 .LBB169_49
; %bb.45:                               ;   in Loop: Header=BB169_42 Depth=2
	s_mov_b32 s4, 0
	s_mov_b32 s16, s11
	.p2align	6
.LBB169_46:                             ;   Parent Loop BB169_39 Depth=1
                                        ;     Parent Loop BB169_42 Depth=2
                                        ; =>    This Loop Header: Depth=3
                                        ;         Child Loop BB169_47 Depth 4
	s_lshl_b64 s[22:23], s[4:5], 3
	v_mov_b32_e32 v11, v8
	v_add_co_u32 v4, vcc_lo, v6, s22
	v_add_co_ci_u32_e32 v5, vcc_lo, s23, v7, vcc_lo
	s_mov_b32 s17, s16
	s_mov_b32 s21, s18
	global_load_b64 v[4:5], v[4:5], off
	.p2align	6
.LBB169_47:                             ;   Parent Loop BB169_39 Depth=1
                                        ;     Parent Loop BB169_42 Depth=2
                                        ;       Parent Loop BB169_46 Depth=3
                                        ; =>      This Inner Loop Header: Depth=4
	scratch_load_b64 v[12:13], v11, off offset:-4
	v_mov_b32_e32 v14, s17
	s_add_i32 s21, s21, -1
	s_addk_i32 s17, 0x100
	s_cmp_eq_u32 s21, 0
	ds_load_b64 v[14:15], v14
	s_waitcnt vmcnt(1) lgkmcnt(0)
	v_mul_f32_e32 v16, v15, v5
	v_mul_f32_e32 v15, v15, v4
	s_delay_alu instid0(VALU_DEP_1) | instskip(SKIP_1) | instid1(VALU_DEP_1)
	v_fmac_f32_e32 v15, v14, v5
	s_waitcnt vmcnt(0)
	v_sub_f32_e32 v13, v13, v15
	v_fma_f32 v16, v14, v4, -v16
	s_delay_alu instid0(VALU_DEP_1)
	v_sub_f32_e32 v12, v12, v16
	scratch_store_b64 v11, v[12:13], off offset:-4
	v_add_nc_u32_e32 v11, 8, v11
	s_cbranch_scc0 .LBB169_47
; %bb.48:                               ;   in Loop: Header=BB169_46 Depth=3
	s_add_i32 s4, s4, 1
	s_add_i32 s16, s16, 8
	s_cmp_ge_i32 s4, s10
	s_cbranch_scc0 .LBB169_46
.LBB169_49:                             ;   in Loop: Header=BB169_42 Depth=2
	s_mov_b32 s4, 0
	s_mov_b32 s21, s19
	s_branch .LBB169_51
.LBB169_50:                             ;   in Loop: Header=BB169_51 Depth=3
	s_mul_i32 s17, s16, 0x108
	s_lshl_b32 s22, s4, 3
	v_mov_b32_e32 v11, s17
	s_ashr_i32 s17, s16, 31
	s_add_i32 s4, s4, 1
	s_lshl_b64 s[16:17], s[16:17], 3
	s_addk_i32 s21, 0x100
	ds_load_b64 v[11:12], v11
	s_waitcnt vmcnt(0) lgkmcnt(0)
	v_mul_f32_e32 v13, v12, v5
	v_mul_f32_e32 v14, v11, v5
	s_delay_alu instid0(VALU_DEP_2) | instskip(NEXT) | instid1(VALU_DEP_2)
	v_fma_f32 v13, v11, v4, -v13
	v_fmac_f32_e32 v14, v12, v4
	v_add_co_u32 v4, vcc_lo, v6, s16
	v_add_co_ci_u32_e32 v5, vcc_lo, s17, v7, vcc_lo
	s_add_i32 s16, s22, 0
	s_cmp_eq_u32 s4, s18
	scratch_store_b64 off, v[13:14], s16
	global_store_b64 v[4:5], v[13:14], off
	s_cbranch_scc1 .LBB169_41
.LBB169_51:                             ;   Parent Loop BB169_39 Depth=1
                                        ;     Parent Loop BB169_42 Depth=2
                                        ; =>    This Loop Header: Depth=3
                                        ;         Child Loop BB169_53 Depth 4
	s_cmp_lg_u32 s4, 0
	s_cbranch_scc0 .LBB169_55
; %bb.52:                               ;   in Loop: Header=BB169_51 Depth=3
	s_lshl_b32 s16, s4, 3
	v_mov_b32_e32 v12, 0
	s_add_i32 s17, s16, 0
	v_add_nc_u32_e64 v11, s16, 0
	scratch_load_b64 v[4:5], off, s17
	s_add_i32 s16, s4, s10
	s_mov_b32 s17, 0
	s_mov_b32 s22, s21
	.p2align	6
.LBB169_53:                             ;   Parent Loop BB169_39 Depth=1
                                        ;     Parent Loop BB169_42 Depth=2
                                        ;       Parent Loop BB169_51 Depth=3
                                        ; =>      This Inner Loop Header: Depth=4
	scratch_load_b64 v[13:14], v12, off
	v_mov_b32_e32 v15, s22
	s_add_i32 s17, s17, 1
	s_add_i32 s22, s22, 8
	s_cmp_ge_u32 s17, s4
	v_add_nc_u32_e32 v12, 8, v12
	ds_load_b64 v[15:16], v15
	s_waitcnt vmcnt(0) lgkmcnt(0)
	v_mul_f32_e32 v17, v16, v14
	v_mul_f32_e32 v14, v15, v14
	s_delay_alu instid0(VALU_DEP_2) | instskip(NEXT) | instid1(VALU_DEP_2)
	v_fma_f32 v15, v15, v13, -v17
	v_fmac_f32_e32 v14, v16, v13
	s_delay_alu instid0(VALU_DEP_1)
	v_dual_sub_f32 v4, v4, v15 :: v_dual_sub_f32 v5, v5, v14
	scratch_store_b64 v11, v[4:5], off
	s_cbranch_scc0 .LBB169_53
; %bb.54:                               ;   in Loop: Header=BB169_51 Depth=3
	s_branch .LBB169_50
.LBB169_55:                             ;   in Loop: Header=BB169_51 Depth=3
                                        ; implicit-def: $vgpr4
                                        ; implicit-def: $sgpr16
	s_cbranch_execz .LBB169_50
; %bb.56:                               ;   in Loop: Header=BB169_51 Depth=3
	scratch_load_b64 v[4:5], off, off
	s_mov_b32 s16, s10
	s_branch .LBB169_50
.LBB169_57:
	s_mov_b32 s5, 0
.LBB169_58:
	s_delay_alu instid0(SALU_CYCLE_1)
	s_and_b32 vcc_lo, exec_lo, s5
	s_cbranch_vccz .LBB169_78
; %bb.59:
	s_add_u32 s0, s8, s0
	s_addc_u32 s1, s9, s1
	v_add_co_u32 v0, vcc_lo, s0, v0
	v_add_co_ci_u32_e32 v1, vcc_lo, s1, v1, vcc_lo
	s_lshl_b32 s10, s29, 8
	s_delay_alu instid0(VALU_DEP_2) | instskip(NEXT) | instid1(VALU_DEP_2)
	v_add_co_u32 v2, vcc_lo, v0, 4
	v_add_co_ci_u32_e32 v3, vcc_lo, 0, v1, vcc_lo
	s_mov_b32 s1, 0
	s_addk_i32 s10, 0xff00
	s_mov_b32 s4, s28
	s_mov_b32 s0, s1
	s_branch .LBB169_61
.LBB169_60:                             ;   in Loop: Header=BB169_61 Depth=1
	s_cmp_lt_i32 s4, 0
	s_cselect_b32 s5, -1, 0
	s_add_i32 s0, s0, 1
	s_delay_alu instid0(SALU_CYCLE_1) | instskip(SKIP_1) | instid1(SALU_CYCLE_1)
	s_cmp_eq_u32 s0, 3
	s_cselect_b32 s6, -1, 0
	s_or_b32 s5, s5, s6
	s_delay_alu instid0(SALU_CYCLE_1)
	s_and_b32 vcc_lo, exec_lo, s5
	s_cbranch_vccnz .LBB169_78
.LBB169_61:                             ; =>This Loop Header: Depth=1
                                        ;     Child Loop BB169_64 Depth 2
                                        ;       Child Loop BB169_65 Depth 3
                                        ;       Child Loop BB169_67 Depth 3
                                        ;         Child Loop BB169_68 Depth 4
                                        ;       Child Loop BB169_72 Depth 3
                                        ;         Child Loop BB169_74 Depth 4
	s_getpc_b64 s[6:7]
	s_add_u32 s6, s6, __const._ZL30rocblas_trsm_small_left_deviceILi32ELi32ELb0E19rocblas_complex_numIfES1_PKPKS1_PKPS1_Ev13rocblas_fill_18rocblas_operation_17rocblas_diagonal_iiT3_T4_lilT5_lili.step_sizes@rel32@lo+4
	s_addc_u32 s7, s7, __const._ZL30rocblas_trsm_small_left_deviceILi32ELi32ELb0E19rocblas_complex_numIfES1_PKPKS1_PKPS1_Ev13rocblas_fill_18rocblas_operation_17rocblas_diagonal_iiT3_T4_lilT5_lili.step_sizes@rel32@hi+12
	s_lshl_b64 s[8:9], s[0:1], 2
	s_delay_alu instid0(SALU_CYCLE_1) | instskip(SKIP_4) | instid1(SALU_CYCLE_1)
	s_add_u32 s6, s8, s6
	s_addc_u32 s7, s9, s7
	s_load_b32 s11, s[6:7], 0x0
	s_waitcnt lgkmcnt(0)
	s_add_i32 s12, s11, -1
	s_cmp_lt_i32 s4, s12
	s_cbranch_scc1 .LBB169_60
; %bb.62:                               ;   in Loop: Header=BB169_61 Depth=1
	s_lshl_b32 s5, s4, 3
	s_lshl_b32 s6, s11, 3
	s_max_i32 s13, s11, 1
	s_add_i32 s14, s10, s5
	s_sub_i32 s15, 0, s6
	s_mul_i32 s16, s4, 0x108
	s_mul_i32 s17, s11, 0xfffffef8
	s_branch .LBB169_64
.LBB169_63:                             ;   in Loop: Header=BB169_64 Depth=2
	s_sub_i32 s4, s4, s11
	s_add_i32 s14, s14, s15
	s_add_i32 s16, s16, s17
	s_cmp_lt_i32 s4, s12
	s_cbranch_scc1 .LBB169_60
.LBB169_64:                             ;   Parent Loop BB169_61 Depth=1
                                        ; =>  This Loop Header: Depth=2
                                        ;       Child Loop BB169_65 Depth 3
                                        ;       Child Loop BB169_67 Depth 3
                                        ;         Child Loop BB169_68 Depth 4
                                        ;       Child Loop BB169_72 Depth 3
                                        ;         Child Loop BB169_74 Depth 4
	s_ashr_i32 s5, s4, 31
	s_delay_alu instid0(SALU_CYCLE_1) | instskip(NEXT) | instid1(SALU_CYCLE_1)
	s_lshl_b64 s[6:7], s[4:5], 3
	v_add_co_u32 v0, vcc_lo, v2, s6
	v_add_co_ci_u32_e32 v1, vcc_lo, s7, v3, vcc_lo
	s_mov_b32 s6, 4
	s_mov_b32 s7, s13
	.p2align	6
.LBB169_65:                             ;   Parent Loop BB169_61 Depth=1
                                        ;     Parent Loop BB169_64 Depth=2
                                        ; =>    This Inner Loop Header: Depth=3
	global_load_b64 v[4:5], v[0:1], off offset:-4
	v_add_co_u32 v0, vcc_lo, v0, -8
	v_add_co_ci_u32_e32 v1, vcc_lo, -1, v1, vcc_lo
	s_add_i32 s7, s7, -1
	s_add_i32 s8, s6, 0
	s_add_i32 s6, s6, 8
	s_cmp_eq_u32 s7, 0
	s_waitcnt vmcnt(0)
	v_mul_f32_e32 v10, s2, v5
	s_delay_alu instid0(VALU_DEP_1) | instskip(NEXT) | instid1(VALU_DEP_1)
	v_dual_mul_f32 v9, s3, v5 :: v_dual_fmac_f32 v10, s3, v4
	v_fma_f32 v9, v4, s2, -v9
	scratch_store_b64 off, v[9:10], s8 offset:-4
	s_cbranch_scc0 .LBB169_65
; %bb.66:                               ;   in Loop: Header=BB169_64 Depth=2
	s_cmp_le_i32 s28, s4
	s_mov_b32 s8, s14
	s_mov_b32 s6, s28
	s_cbranch_scc1 .LBB169_70
	.p2align	6
.LBB169_67:                             ;   Parent Loop BB169_61 Depth=1
                                        ;     Parent Loop BB169_64 Depth=2
                                        ; =>    This Loop Header: Depth=3
                                        ;         Child Loop BB169_68 Depth 4
	s_ashr_i32 s7, s6, 31
	v_mov_b32_e32 v4, v8
	s_lshl_b64 s[18:19], s[6:7], 3
	s_mov_b32 s7, s13
	v_add_co_u32 v0, vcc_lo, v6, s18
	v_add_co_ci_u32_e32 v1, vcc_lo, s19, v7, vcc_lo
	s_mov_b32 s9, s8
	global_load_b64 v[0:1], v[0:1], off
	.p2align	6
.LBB169_68:                             ;   Parent Loop BB169_61 Depth=1
                                        ;     Parent Loop BB169_64 Depth=2
                                        ;       Parent Loop BB169_67 Depth=3
                                        ; =>      This Inner Loop Header: Depth=4
	scratch_load_b64 v[9:10], v4, off offset:-4
	v_mov_b32_e32 v5, s9
	s_add_i32 s7, s7, -1
	s_add_i32 s9, s9, -8
	s_cmp_eq_u32 s7, 0
	ds_load_b64 v[11:12], v5
	s_waitcnt vmcnt(1) lgkmcnt(0)
	v_mul_f32_e32 v5, v12, v1
	v_mul_f32_e32 v12, v12, v0
	s_delay_alu instid0(VALU_DEP_1) | instskip(SKIP_1) | instid1(VALU_DEP_1)
	v_fmac_f32_e32 v12, v11, v1
	s_waitcnt vmcnt(0)
	v_sub_f32_e32 v10, v10, v12
	v_fma_f32 v5, v11, v0, -v5
	s_delay_alu instid0(VALU_DEP_1)
	v_sub_f32_e32 v9, v9, v5
	scratch_store_b64 v4, v[9:10], off offset:-4
	v_add_nc_u32_e32 v4, 8, v4
	s_cbranch_scc0 .LBB169_68
; %bb.69:                               ;   in Loop: Header=BB169_67 Depth=3
	s_add_i32 s6, s6, -1
	s_addk_i32 s8, 0xff00
	s_cmp_le_i32 s6, s4
	s_cbranch_scc0 .LBB169_67
.LBB169_70:                             ;   in Loop: Header=BB169_64 Depth=2
	s_mov_b32 s18, 0
	s_mov_b32 s19, s16
	s_branch .LBB169_72
.LBB169_71:                             ;   in Loop: Header=BB169_72 Depth=3
	s_mulk_i32 s8, 0x108
	s_lshl_b64 s[6:7], s[6:7], 3
	v_mov_b32_e32 v4, s8
	s_lshl_b32 s8, s18, 3
	s_add_i32 s18, s18, 1
	s_add_i32 s19, s19, -8
	ds_load_b64 v[4:5], v4
	s_waitcnt vmcnt(0) lgkmcnt(0)
	v_mul_f32_e32 v9, v5, v1
	v_mul_f32_e32 v10, v4, v1
	s_delay_alu instid0(VALU_DEP_2) | instskip(NEXT) | instid1(VALU_DEP_2)
	v_fma_f32 v9, v4, v0, -v9
	v_fmac_f32_e32 v10, v5, v0
	v_add_co_u32 v0, vcc_lo, v6, s6
	v_add_co_ci_u32_e32 v1, vcc_lo, s7, v7, vcc_lo
	s_add_i32 s6, s8, 0
	s_cmp_eq_u32 s18, s13
	scratch_store_b64 off, v[9:10], s6
	global_store_b64 v[0:1], v[9:10], off
	s_cbranch_scc1 .LBB169_63
.LBB169_72:                             ;   Parent Loop BB169_61 Depth=1
                                        ;     Parent Loop BB169_64 Depth=2
                                        ; =>    This Loop Header: Depth=3
                                        ;         Child Loop BB169_74 Depth 4
	s_cmp_lg_u32 s18, 0
	s_cbranch_scc0 .LBB169_76
; %bb.73:                               ;   in Loop: Header=BB169_72 Depth=3
	s_lshl_b32 s6, s18, 3
	v_mov_b32_e32 v5, 0
	s_add_i32 s7, s6, 0
	v_add_nc_u32_e64 v4, s6, 0
	scratch_load_b64 v[0:1], off, s7
	s_mov_b32 s6, 0
	s_mov_b32 s7, s19
	.p2align	6
.LBB169_74:                             ;   Parent Loop BB169_61 Depth=1
                                        ;     Parent Loop BB169_64 Depth=2
                                        ;       Parent Loop BB169_72 Depth=3
                                        ; =>      This Inner Loop Header: Depth=4
	scratch_load_b64 v[9:10], v5, off
	v_mov_b32_e32 v11, s7
	s_add_i32 s6, s6, 1
	s_addk_i32 s7, 0xff00
	s_cmp_ge_u32 s6, s18
	v_add_nc_u32_e32 v5, 8, v5
	ds_load_b64 v[11:12], v11
	s_waitcnt vmcnt(0) lgkmcnt(0)
	v_mul_f32_e32 v13, v12, v10
	v_mul_f32_e32 v10, v11, v10
	s_delay_alu instid0(VALU_DEP_2) | instskip(NEXT) | instid1(VALU_DEP_2)
	v_fma_f32 v11, v11, v9, -v13
	v_fmac_f32_e32 v10, v12, v9
	s_delay_alu instid0(VALU_DEP_1)
	v_dual_sub_f32 v0, v0, v11 :: v_dual_sub_f32 v1, v1, v10
	scratch_store_b64 v4, v[0:1], off
	s_cbranch_scc0 .LBB169_74
; %bb.75:                               ;   in Loop: Header=BB169_72 Depth=3
	s_sub_i32 s8, s4, s18
	s_delay_alu instid0(SALU_CYCLE_1) | instskip(NEXT) | instid1(SALU_CYCLE_1)
	s_ashr_i32 s9, s8, 31
	s_mov_b64 s[6:7], s[8:9]
	s_branch .LBB169_71
.LBB169_76:                             ;   in Loop: Header=BB169_72 Depth=3
                                        ; implicit-def: $vgpr0
                                        ; implicit-def: $sgpr8
                                        ; implicit-def: $sgpr6_sgpr7
	s_cbranch_execz .LBB169_71
; %bb.77:                               ;   in Loop: Header=BB169_72 Depth=3
	scratch_load_b64 v[0:1], off, off
	s_mov_b64 s[6:7], s[4:5]
	s_mov_b32 s8, s4
	s_branch .LBB169_71
.LBB169_78:
	s_endpgm
	.section	.rodata,"a",@progbits
	.p2align	6, 0x0
	.amdhsa_kernel _ZL30rocblas_trsm_small_left_deviceILi32ELi32ELb0E19rocblas_complex_numIfES1_PKPKS1_PKPS1_Ev13rocblas_fill_18rocblas_operation_17rocblas_diagonal_iiT3_T4_lilT5_lili
		.amdhsa_group_segment_fixed_size 8192
		.amdhsa_private_segment_fixed_size 272
		.amdhsa_kernarg_size 360
		.amdhsa_user_sgpr_count 14
		.amdhsa_user_sgpr_dispatch_ptr 0
		.amdhsa_user_sgpr_queue_ptr 0
		.amdhsa_user_sgpr_kernarg_segment_ptr 1
		.amdhsa_user_sgpr_dispatch_id 0
		.amdhsa_user_sgpr_private_segment_size 0
		.amdhsa_wavefront_size32 1
		.amdhsa_uses_dynamic_stack 0
		.amdhsa_enable_private_segment 1
		.amdhsa_system_sgpr_workgroup_id_x 1
		.amdhsa_system_sgpr_workgroup_id_y 0
		.amdhsa_system_sgpr_workgroup_id_z 1
		.amdhsa_system_sgpr_workgroup_info 0
		.amdhsa_system_vgpr_workitem_id 0
		.amdhsa_next_free_vgpr 18
		.amdhsa_next_free_sgpr 34
		.amdhsa_reserve_vcc 1
		.amdhsa_float_round_mode_32 0
		.amdhsa_float_round_mode_16_64 0
		.amdhsa_float_denorm_mode_32 3
		.amdhsa_float_denorm_mode_16_64 3
		.amdhsa_dx10_clamp 1
		.amdhsa_ieee_mode 1
		.amdhsa_fp16_overflow 0
		.amdhsa_workgroup_processor_mode 1
		.amdhsa_memory_ordered 1
		.amdhsa_forward_progress 0
		.amdhsa_shared_vgpr_count 0
		.amdhsa_exception_fp_ieee_invalid_op 0
		.amdhsa_exception_fp_denorm_src 0
		.amdhsa_exception_fp_ieee_div_zero 0
		.amdhsa_exception_fp_ieee_overflow 0
		.amdhsa_exception_fp_ieee_underflow 0
		.amdhsa_exception_fp_ieee_inexact 0
		.amdhsa_exception_int_div_zero 0
	.end_amdhsa_kernel
	.section	.text._ZL30rocblas_trsm_small_left_deviceILi32ELi32ELb0E19rocblas_complex_numIfES1_PKPKS1_PKPS1_Ev13rocblas_fill_18rocblas_operation_17rocblas_diagonal_iiT3_T4_lilT5_lili,"axG",@progbits,_ZL30rocblas_trsm_small_left_deviceILi32ELi32ELb0E19rocblas_complex_numIfES1_PKPKS1_PKPS1_Ev13rocblas_fill_18rocblas_operation_17rocblas_diagonal_iiT3_T4_lilT5_lili,comdat
.Lfunc_end169:
	.size	_ZL30rocblas_trsm_small_left_deviceILi32ELi32ELb0E19rocblas_complex_numIfES1_PKPKS1_PKPS1_Ev13rocblas_fill_18rocblas_operation_17rocblas_diagonal_iiT3_T4_lilT5_lili, .Lfunc_end169-_ZL30rocblas_trsm_small_left_deviceILi32ELi32ELb0E19rocblas_complex_numIfES1_PKPKS1_PKPS1_Ev13rocblas_fill_18rocblas_operation_17rocblas_diagonal_iiT3_T4_lilT5_lili
                                        ; -- End function
	.section	.AMDGPU.csdata,"",@progbits
; Kernel info:
; codeLenInByte = 3092
; NumSgprs: 36
; NumVgprs: 18
; ScratchSize: 272
; MemoryBound: 0
; FloatMode: 240
; IeeeMode: 1
; LDSByteSize: 8192 bytes/workgroup (compile time only)
; SGPRBlocks: 4
; VGPRBlocks: 2
; NumSGPRsForWavesPerEU: 36
; NumVGPRsForWavesPerEU: 18
; Occupancy: 4
; WaveLimiterHint : 1
; COMPUTE_PGM_RSRC2:SCRATCH_EN: 1
; COMPUTE_PGM_RSRC2:USER_SGPR: 14
; COMPUTE_PGM_RSRC2:TRAP_HANDLER: 0
; COMPUTE_PGM_RSRC2:TGID_X_EN: 1
; COMPUTE_PGM_RSRC2:TGID_Y_EN: 0
; COMPUTE_PGM_RSRC2:TGID_Z_EN: 1
; COMPUTE_PGM_RSRC2:TIDIG_COMP_CNT: 0
	.section	.text._ZL38rocblas_trsm_small_left_device_sharedBILi32ELi32ELb1E19rocblas_complex_numIfES1_PKPKS1_PKPS1_Ev13rocblas_fill_18rocblas_operation_17rocblas_diagonal_iiT3_T4_lilT5_lili,"axG",@progbits,_ZL38rocblas_trsm_small_left_device_sharedBILi32ELi32ELb1E19rocblas_complex_numIfES1_PKPKS1_PKPS1_Ev13rocblas_fill_18rocblas_operation_17rocblas_diagonal_iiT3_T4_lilT5_lili,comdat
	.globl	_ZL38rocblas_trsm_small_left_device_sharedBILi32ELi32ELb1E19rocblas_complex_numIfES1_PKPKS1_PKPS1_Ev13rocblas_fill_18rocblas_operation_17rocblas_diagonal_iiT3_T4_lilT5_lili ; -- Begin function _ZL38rocblas_trsm_small_left_device_sharedBILi32ELi32ELb1E19rocblas_complex_numIfES1_PKPKS1_PKPS1_Ev13rocblas_fill_18rocblas_operation_17rocblas_diagonal_iiT3_T4_lilT5_lili
	.p2align	8
	.type	_ZL38rocblas_trsm_small_left_device_sharedBILi32ELi32ELb1E19rocblas_complex_numIfES1_PKPKS1_PKPS1_Ev13rocblas_fill_18rocblas_operation_17rocblas_diagonal_iiT3_T4_lilT5_lili,@function
_ZL38rocblas_trsm_small_left_device_sharedBILi32ELi32ELb1E19rocblas_complex_numIfES1_PKPKS1_PKPS1_Ev13rocblas_fill_18rocblas_operation_17rocblas_diagonal_iiT3_T4_lilT5_lili: ; @_ZL38rocblas_trsm_small_left_device_sharedBILi32ELi32ELb1E19rocblas_complex_numIfES1_PKPKS1_PKPS1_Ev13rocblas_fill_18rocblas_operation_17rocblas_diagonal_iiT3_T4_lilT5_lili
; %bb.0:
	s_clause 0x1
	s_load_b128 s[8:11], s[0:1], 0x40
	s_load_b128 s[4:7], s[0:1], 0x4
	s_mov_b32 s20, s15
	s_mov_b32 s21, 0
	s_load_b32 s15, s[0:1], 0x68
	s_lshl_b64 s[22:23], s[20:21], 3
	s_mov_b32 s29, exec_lo
	s_waitcnt lgkmcnt(0)
	s_add_u32 s2, s8, s22
	s_addc_u32 s3, s9, s23
	s_load_b64 s[12:13], s[0:1], 0x14
	s_load_b64 s[2:3], s[2:3], 0x0
	s_min_i32 s20, s6, 32
	s_delay_alu instid0(SALU_CYCLE_1)
	s_add_i32 s28, s20, -1
	v_cmpx_gt_i32_e64 s20, v0
	s_cbranch_execz .LBB170_35
; %bb.1:
	s_clause 0x1
	s_load_b32 s8, s[0:1], 0x30
	s_load_b128 s[16:19], s[0:1], 0x20
	s_waitcnt lgkmcnt(0)
	s_ashr_i32 s9, s8, 31
	s_cmpk_lg_i32 s4, 0x71
	s_cselect_b32 s30, -1, 0
	s_add_u32 s16, s16, s22
	s_addc_u32 s17, s17, s23
	v_cndmask_b32_e64 v7, 0, 1, s30
	s_load_b64 s[16:17], s[16:17], 0x0
	s_cmp_lt_u32 s28, 3
	s_cbranch_scc1 .LBB170_20
; %bb.2:
	v_lshlrev_b32_e32 v8, 3, v0
	s_lshl_b64 s[22:23], s[18:19], 3
	s_mul_hi_i32 s31, s8, 24
	s_waitcnt lgkmcnt(0)
	s_add_u32 s21, s16, s22
	s_addc_u32 s22, s17, s23
	v_add_co_u32 v1, s21, s21, v8
	s_delay_alu instid0(VALU_DEP_1)
	v_add_co_ci_u32_e64 v2, null, s22, 0, s21
	s_and_b32 s21, s20, -4
	s_mul_i32 s33, s8, 24
	s_lshl_b64 s[22:23], s[8:9], 5
	s_lshl_b64 s[24:25], s[8:9], 4
	;; [unrolled: 1-line block ×3, first 2 shown]
	s_mov_b32 s34, 0
	s_branch .LBB170_4
.LBB170_3:                              ;   in Loop: Header=BB170_4 Depth=1
	global_load_b32 v3, v[5:6], off
	v_add_co_u32 v1, vcc_lo, v1, s22
	v_add_co_ci_u32_e32 v2, vcc_lo, s23, v2, vcc_lo
	s_add_i32 s34, s34, 4
	s_delay_alu instid0(SALU_CYCLE_1)
	s_cmp_eq_u32 s21, s34
	s_waitcnt vmcnt(0)
	ds_store_b64 v8, v[3:4] offset:768
	v_add_nc_u32_e32 v8, 0x400, v8
	s_cbranch_scc1 .LBB170_20
.LBB170_4:                              ; =>This Inner Loop Header: Depth=1
	s_and_b32 vcc_lo, exec_lo, s30
	s_cbranch_vccz .LBB170_6
; %bb.5:                                ;   in Loop: Header=BB170_4 Depth=1
	global_load_b32 v4, v[1:2], off offset:4
	s_cbranch_execz .LBB170_7
	s_branch .LBB170_8
.LBB170_6:                              ;   in Loop: Header=BB170_4 Depth=1
                                        ; implicit-def: $vgpr4
.LBB170_7:                              ;   in Loop: Header=BB170_4 Depth=1
	global_load_b32 v3, v[1:2], off offset:4
	s_waitcnt vmcnt(0)
	v_xor_b32_e32 v4, 0x80000000, v3
.LBB170_8:                              ;   in Loop: Header=BB170_4 Depth=1
	global_load_b32 v3, v[1:2], off
	v_add_co_u32 v5, vcc_lo, v1, s26
	v_add_co_ci_u32_e32 v6, vcc_lo, s27, v2, vcc_lo
	s_and_not1_b32 vcc_lo, exec_lo, s30
	s_waitcnt vmcnt(0)
	ds_store_b64 v8, v[3:4]
	s_cbranch_vccnz .LBB170_10
; %bb.9:                                ;   in Loop: Header=BB170_4 Depth=1
	global_load_b32 v4, v[5:6], off offset:4
	s_cbranch_execz .LBB170_11
	s_branch .LBB170_12
.LBB170_10:                             ;   in Loop: Header=BB170_4 Depth=1
                                        ; implicit-def: $vgpr4
.LBB170_11:                             ;   in Loop: Header=BB170_4 Depth=1
	global_load_b32 v3, v[5:6], off offset:4
	s_waitcnt vmcnt(0)
	v_xor_b32_e32 v4, 0x80000000, v3
.LBB170_12:                             ;   in Loop: Header=BB170_4 Depth=1
	global_load_b32 v3, v[5:6], off
	v_add_co_u32 v5, vcc_lo, v1, s24
	v_add_co_ci_u32_e32 v6, vcc_lo, s25, v2, vcc_lo
	s_and_not1_b32 vcc_lo, exec_lo, s30
	s_waitcnt vmcnt(0)
	ds_store_b64 v8, v[3:4] offset:256
	s_cbranch_vccnz .LBB170_14
; %bb.13:                               ;   in Loop: Header=BB170_4 Depth=1
	global_load_b32 v4, v[5:6], off offset:4
	s_cbranch_execz .LBB170_15
	s_branch .LBB170_16
.LBB170_14:                             ;   in Loop: Header=BB170_4 Depth=1
                                        ; implicit-def: $vgpr4
.LBB170_15:                             ;   in Loop: Header=BB170_4 Depth=1
	global_load_b32 v3, v[5:6], off offset:4
	s_waitcnt vmcnt(0)
	v_xor_b32_e32 v4, 0x80000000, v3
.LBB170_16:                             ;   in Loop: Header=BB170_4 Depth=1
	global_load_b32 v3, v[5:6], off
	v_add_co_u32 v5, vcc_lo, v1, s33
	v_add_co_ci_u32_e32 v6, vcc_lo, s31, v2, vcc_lo
	s_and_not1_b32 vcc_lo, exec_lo, s30
	s_waitcnt vmcnt(0)
	ds_store_b64 v8, v[3:4] offset:512
	s_cbranch_vccnz .LBB170_18
; %bb.17:                               ;   in Loop: Header=BB170_4 Depth=1
	global_load_b32 v4, v[5:6], off offset:4
	s_cbranch_execnz .LBB170_3
	s_branch .LBB170_19
.LBB170_18:                             ;   in Loop: Header=BB170_4 Depth=1
                                        ; implicit-def: $vgpr4
.LBB170_19:                             ;   in Loop: Header=BB170_4 Depth=1
	global_load_b32 v3, v[5:6], off offset:4
	s_waitcnt vmcnt(0)
	v_xor_b32_e32 v4, 0x80000000, v3
	s_branch .LBB170_3
.LBB170_20:
	s_and_b32 s22, s20, 3
	s_delay_alu instid0(SALU_CYCLE_1)
	s_cmp_eq_u32 s22, 0
	s_cbranch_scc1 .LBB170_27
; %bb.21:
	s_mul_i32 s23, s9, s21
	s_mul_hi_u32 s25, s8, s21
	s_mul_i32 s24, s8, s21
	s_add_i32 s25, s25, s23
	s_lshl_b64 s[18:19], s[18:19], 3
	s_lshl_b64 s[24:25], s[24:25], 3
	v_lshlrev_b32_e32 v1, 3, v0
	s_add_u32 s18, s24, s18
	s_addc_u32 s19, s25, s19
	s_waitcnt lgkmcnt(0)
	s_add_u32 s16, s16, s18
	s_addc_u32 s17, s17, s19
	v_add_co_u32 v2, s16, s16, v1
	s_delay_alu instid0(VALU_DEP_1) | instskip(SKIP_1) | instid1(VALU_DEP_3)
	v_add_co_ci_u32_e64 v3, null, s17, 0, s16
	v_lshl_or_b32 v5, s21, 8, v1
	v_add_co_u32 v1, vcc_lo, v2, 4
	s_delay_alu instid0(VALU_DEP_3)
	v_add_co_ci_u32_e32 v2, vcc_lo, 0, v3, vcc_lo
	s_lshl_b64 s[8:9], s[8:9], 3
	s_set_inst_prefetch_distance 0x1
	s_branch .LBB170_23
	.p2align	6
.LBB170_22:                             ;   in Loop: Header=BB170_23 Depth=1
	global_load_b32 v3, v[1:2], off offset:-4
	v_add_co_u32 v1, vcc_lo, v1, s8
	v_add_co_ci_u32_e32 v2, vcc_lo, s9, v2, vcc_lo
	s_add_i32 s22, s22, -1
	s_delay_alu instid0(SALU_CYCLE_1)
	s_cmp_lg_u32 s22, 0
	s_waitcnt vmcnt(0)
	ds_store_b64 v5, v[3:4]
	v_add_nc_u32_e32 v5, 0x100, v5
	s_cbranch_scc0 .LBB170_27
.LBB170_23:                             ; =>This Inner Loop Header: Depth=1
	v_cmp_ne_u32_e32 vcc_lo, 1, v7
	s_mov_b32 s16, -1
                                        ; implicit-def: $vgpr4
	s_cbranch_vccnz .LBB170_25
; %bb.24:                               ;   in Loop: Header=BB170_23 Depth=1
	global_load_b32 v4, v[1:2], off
	s_mov_b32 s16, 0
.LBB170_25:                             ;   in Loop: Header=BB170_23 Depth=1
	s_delay_alu instid0(SALU_CYCLE_1)
	s_and_not1_b32 vcc_lo, exec_lo, s16
	s_cbranch_vccnz .LBB170_22
; %bb.26:                               ;   in Loop: Header=BB170_23 Depth=1
	global_load_b32 v3, v[1:2], off
	s_waitcnt vmcnt(0)
	v_xor_b32_e32 v4, 0x80000000, v3
	s_branch .LBB170_22
.LBB170_27:
	s_set_inst_prefetch_distance 0x2
	v_mul_u32_u24_e32 v1, 33, v0
	s_cmpk_lg_i32 s5, 0x84
	s_mov_b32 s5, -1
	s_delay_alu instid0(VALU_DEP_1)
	v_lshlrev_b32_e32 v5, 3, v1
	s_cbranch_scc0 .LBB170_33
; %bb.28:
	ds_load_b64 v[1:2], v5
	s_waitcnt lgkmcnt(0)
	v_cmp_gt_f32_e32 vcc_lo, 0, v1
	v_cndmask_b32_e64 v3, v1, -v1, vcc_lo
	v_cmp_gt_f32_e32 vcc_lo, 0, v2
	v_cndmask_b32_e64 v4, v2, -v2, vcc_lo
	s_delay_alu instid0(VALU_DEP_1) | instskip(SKIP_1) | instid1(SALU_CYCLE_1)
	v_cmp_ngt_f32_e32 vcc_lo, v3, v4
                                        ; implicit-def: $vgpr3
	s_and_saveexec_b32 s5, vcc_lo
	s_xor_b32 s5, exec_lo, s5
	s_cbranch_execz .LBB170_30
; %bb.29:
	v_div_scale_f32 v3, null, v2, v2, v1
	v_div_scale_f32 v7, vcc_lo, v1, v2, v1
	s_delay_alu instid0(VALU_DEP_2) | instskip(SKIP_2) | instid1(VALU_DEP_1)
	v_rcp_f32_e32 v4, v3
	s_waitcnt_depctr 0xfff
	v_fma_f32 v6, -v3, v4, 1.0
	v_fmac_f32_e32 v4, v6, v4
	s_delay_alu instid0(VALU_DEP_1) | instskip(NEXT) | instid1(VALU_DEP_1)
	v_mul_f32_e32 v6, v7, v4
	v_fma_f32 v8, -v3, v6, v7
	s_delay_alu instid0(VALU_DEP_1) | instskip(NEXT) | instid1(VALU_DEP_1)
	v_fmac_f32_e32 v6, v8, v4
	v_fma_f32 v3, -v3, v6, v7
	s_delay_alu instid0(VALU_DEP_1) | instskip(NEXT) | instid1(VALU_DEP_1)
	v_div_fmas_f32 v3, v3, v4, v6
	v_div_fixup_f32 v3, v3, v2, v1
	s_delay_alu instid0(VALU_DEP_1) | instskip(NEXT) | instid1(VALU_DEP_1)
	v_fmac_f32_e32 v2, v1, v3
	v_div_scale_f32 v1, null, v2, v2, 1.0
	v_div_scale_f32 v7, vcc_lo, 1.0, v2, 1.0
	s_delay_alu instid0(VALU_DEP_2) | instskip(SKIP_2) | instid1(VALU_DEP_1)
	v_rcp_f32_e32 v4, v1
	s_waitcnt_depctr 0xfff
	v_fma_f32 v6, -v1, v4, 1.0
	v_fmac_f32_e32 v4, v6, v4
	s_delay_alu instid0(VALU_DEP_1) | instskip(NEXT) | instid1(VALU_DEP_1)
	v_mul_f32_e32 v6, v7, v4
	v_fma_f32 v8, -v1, v6, v7
	s_delay_alu instid0(VALU_DEP_1) | instskip(NEXT) | instid1(VALU_DEP_1)
	v_fmac_f32_e32 v6, v8, v4
	v_fma_f32 v1, -v1, v6, v7
	s_delay_alu instid0(VALU_DEP_1) | instskip(SKIP_1) | instid1(VALU_DEP_2)
	v_div_fmas_f32 v1, v1, v4, v6
	v_add_f32_e32 v4, 0, v3
	v_div_fixup_f32 v1, v1, v2, 1.0
	v_fma_f32 v2, v3, 0, -1.0
	s_delay_alu instid0(VALU_DEP_2) | instskip(NEXT) | instid1(VALU_DEP_2)
	v_mul_f32_e32 v3, v4, v1
	v_mul_f32_e32 v4, v2, v1
                                        ; implicit-def: $vgpr1_vgpr2
.LBB170_30:
	s_and_not1_saveexec_b32 s5, s5
	s_cbranch_execz .LBB170_32
; %bb.31:
	v_div_scale_f32 v3, null, v1, v1, v2
	v_div_scale_f32 v7, vcc_lo, v2, v1, v2
	s_delay_alu instid0(VALU_DEP_2) | instskip(SKIP_2) | instid1(VALU_DEP_1)
	v_rcp_f32_e32 v4, v3
	s_waitcnt_depctr 0xfff
	v_fma_f32 v6, -v3, v4, 1.0
	v_fmac_f32_e32 v4, v6, v4
	s_delay_alu instid0(VALU_DEP_1) | instskip(NEXT) | instid1(VALU_DEP_1)
	v_mul_f32_e32 v6, v7, v4
	v_fma_f32 v8, -v3, v6, v7
	s_delay_alu instid0(VALU_DEP_1) | instskip(NEXT) | instid1(VALU_DEP_1)
	v_fmac_f32_e32 v6, v8, v4
	v_fma_f32 v3, -v3, v6, v7
	s_delay_alu instid0(VALU_DEP_1) | instskip(NEXT) | instid1(VALU_DEP_1)
	v_div_fmas_f32 v3, v3, v4, v6
	v_div_fixup_f32 v4, v3, v1, v2
	s_delay_alu instid0(VALU_DEP_1) | instskip(NEXT) | instid1(VALU_DEP_1)
	v_fmac_f32_e32 v1, v2, v4
	v_div_scale_f32 v2, null, v1, v1, 1.0
	v_div_scale_f32 v7, vcc_lo, 1.0, v1, 1.0
	s_delay_alu instid0(VALU_DEP_2) | instskip(SKIP_2) | instid1(VALU_DEP_1)
	v_rcp_f32_e32 v3, v2
	s_waitcnt_depctr 0xfff
	v_fma_f32 v6, -v2, v3, 1.0
	v_fmac_f32_e32 v3, v6, v3
	s_delay_alu instid0(VALU_DEP_1) | instskip(NEXT) | instid1(VALU_DEP_1)
	v_mul_f32_e32 v6, v7, v3
	v_fma_f32 v8, -v2, v6, v7
	s_delay_alu instid0(VALU_DEP_1) | instskip(NEXT) | instid1(VALU_DEP_1)
	v_fmac_f32_e32 v6, v8, v3
	v_fma_f32 v2, -v2, v6, v7
	s_delay_alu instid0(VALU_DEP_1) | instskip(SKIP_1) | instid1(VALU_DEP_2)
	v_div_fmas_f32 v2, v2, v3, v6
	v_fma_f32 v3, v4, 0, 1.0
	v_div_fixup_f32 v1, v2, v1, 1.0
	s_delay_alu instid0(VALU_DEP_1)
	v_mul_f32_e32 v3, v3, v1
	v_mul_f32_e64 v4, -v4, v1
.LBB170_32:
	s_or_b32 exec_lo, exec_lo, s5
	s_mov_b32 s5, 0
	ds_store_b64 v5, v[3:4]
.LBB170_33:
	s_and_b32 vcc_lo, exec_lo, s5
	s_cbranch_vccz .LBB170_35
; %bb.34:
	v_dual_mov_b32 v1, 1.0 :: v_dual_mov_b32 v2, 0
	ds_store_b64 v5, v[1:2]
.LBB170_35:
	s_or_b32 exec_lo, exec_lo, s29
	s_waitcnt lgkmcnt(0)
	s_load_b32 s16, s[0:1], 0x50
	s_lshl_b64 s[0:1], s[10:11], 3
	s_waitcnt lgkmcnt(0)
	s_ashr_i32 s17, s16, 31
	s_add_u32 s5, s2, s0
	s_addc_u32 s18, s3, s1
	s_lshl_b32 s8, s14, 5
	s_add_i32 s15, s15, -1
	s_sub_i32 s7, s7, s8
	s_mul_hi_i32 s11, s16, s8
	s_cmp_ge_u32 s14, s15
	s_mul_i32 s10, s16, s8
	s_cselect_b32 s14, s7, 32
	s_lshl_b64 s[10:11], s[10:11], 3
	s_ashr_i32 s9, s8, 31
	s_add_u32 s7, s5, s10
	s_addc_u32 s18, s18, s11
	v_cmp_gt_i32_e32 vcc_lo, s14, v0
	s_cmp_gt_i32 s6, 0
	s_mov_b32 s10, 0
	s_cselect_b32 s5, -1, 0
	s_delay_alu instid0(SALU_CYCLE_1) | instskip(NEXT) | instid1(SALU_CYCLE_1)
	s_and_b32 s19, vcc_lo, s5
	s_and_saveexec_b32 s5, s19
	s_cbranch_execz .LBB170_42
; %bb.36:
	s_cmp_lt_i32 s6, 8
	s_cbranch_scc1 .LBB170_39
; %bb.37:
	v_mad_i64_i32 v[1:2], null, s16, v0, 0
	v_lshl_or_b32 v3, v0, 3, 0x2000
	s_lshl_b32 s10, s20, 3
	s_mov_b64 s[14:15], 0
	s_and_b32 s11, s10, 0x1c0
	s_mov_b32 s10, 0
	s_delay_alu instid0(VALU_DEP_2) | instskip(NEXT) | instid1(VALU_DEP_1)
	v_lshlrev_b64 v[1:2], 3, v[1:2]
	v_add_co_u32 v1, vcc_lo, s7, v1
	s_delay_alu instid0(VALU_DEP_2)
	v_add_co_ci_u32_e32 v2, vcc_lo, s18, v2, vcc_lo
.LBB170_38:                             ; =>This Inner Loop Header: Depth=1
	s_delay_alu instid0(VALU_DEP_2) | instskip(NEXT) | instid1(VALU_DEP_2)
	v_add_co_u32 v16, vcc_lo, v1, s14
	v_add_co_ci_u32_e32 v17, vcc_lo, s15, v2, vcc_lo
	s_add_i32 s10, s10, 8
	s_add_u32 s14, s14, 64
	s_addc_u32 s15, s15, 0
	s_clause 0x3
	global_load_b128 v[4:7], v[16:17], off
	global_load_b128 v[8:11], v[16:17], off offset:16
	global_load_b128 v[12:15], v[16:17], off offset:32
	;; [unrolled: 1-line block ×3, first 2 shown]
	s_cmp_lg_u32 s11, s14
	s_waitcnt vmcnt(3)
	v_dual_mul_f32 v21, s13, v5 :: v_dual_mul_f32 v22, s13, v7
	v_dual_mul_f32 v20, s12, v5 :: v_dual_mul_f32 v5, s12, v7
	s_waitcnt vmcnt(2)
	v_dual_mul_f32 v23, s13, v9 :: v_dual_mul_f32 v24, s13, v11
	s_waitcnt vmcnt(1)
	v_dual_mul_f32 v7, s12, v9 :: v_dual_mul_f32 v26, s13, v15
	v_dual_mul_f32 v9, s12, v11 :: v_dual_fmac_f32 v20, s13, v4
	s_waitcnt vmcnt(0)
	v_dual_mul_f32 v25, s13, v13 :: v_dual_mul_f32 v28, s13, v19
	v_mul_f32_e32 v11, s12, v13
	v_mul_f32_e32 v13, s12, v15
	;; [unrolled: 1-line block ×5, first 2 shown]
	v_fma_f32 v19, s12, v4, -v21
	v_fma_f32 v4, s12, v6, -v22
	v_fmac_f32_e32 v5, s13, v6
	v_fma_f32 v6, s12, v8, -v23
	v_fmac_f32_e32 v7, s13, v8
	;; [unrolled: 2-line block ×7, first 2 shown]
	ds_store_2addr_b64 v3, v[19:20], v[4:5] offset1:32
	ds_store_2addr_b64 v3, v[6:7], v[8:9] offset0:64 offset1:96
	ds_store_2addr_b64 v3, v[10:11], v[12:13] offset0:128 offset1:160
	;; [unrolled: 1-line block ×3, first 2 shown]
	v_add_nc_u32_e32 v3, 0x800, v3
	s_cbranch_scc1 .LBB170_38
.LBB170_39:
	s_and_b32 s14, s20, 7
	s_mov_b32 s11, 0
	s_cmp_eq_u32 s14, 0
	s_cbranch_scc1 .LBB170_42
; %bb.40:
	v_lshlrev_b32_e32 v3, 3, v0
	s_lshl_b64 s[22:23], s[8:9], 3
	s_lshl_b64 s[24:25], s[10:11], 3
	s_delay_alu instid0(VALU_DEP_1) | instskip(NEXT) | instid1(VALU_DEP_1)
	v_add_co_u32 v4, s11, s22, v3
	v_add_co_ci_u32_e64 v5, null, s23, 0, s11
	s_add_u32 s11, s2, s24
	s_addc_u32 s15, s3, s25
	s_add_u32 s22, s11, s0
	s_addc_u32 s23, s15, s1
	v_mul_lo_u32 v5, v5, s16
	v_mad_u64_u32 v[1:2], null, v4, s16, s[22:23]
	v_mul_lo_u32 v4, v4, s17
	v_lshl_or_b32 v3, s10, 8, v3
	s_delay_alu instid0(VALU_DEP_1) | instskip(NEXT) | instid1(VALU_DEP_4)
	v_add_nc_u32_e32 v3, 0x2000, v3
	v_add_co_u32 v1, vcc_lo, v1, 4
	s_delay_alu instid0(VALU_DEP_4) | instskip(NEXT) | instid1(VALU_DEP_1)
	v_add3_u32 v2, v5, v2, v4
	v_add_co_ci_u32_e32 v2, vcc_lo, 0, v2, vcc_lo
	.p2align	6
.LBB170_41:                             ; =>This Inner Loop Header: Depth=1
	global_load_b64 v[4:5], v[1:2], off offset:-4
	v_add_co_u32 v1, vcc_lo, v1, 8
	v_add_co_ci_u32_e32 v2, vcc_lo, 0, v2, vcc_lo
	s_add_i32 s14, s14, -1
	s_delay_alu instid0(SALU_CYCLE_1) | instskip(SKIP_2) | instid1(VALU_DEP_1)
	s_cmp_lg_u32 s14, 0
	s_waitcnt vmcnt(0)
	v_mul_f32_e32 v6, s12, v5
	v_dual_mul_f32 v7, s13, v5 :: v_dual_fmac_f32 v6, s13, v4
	s_delay_alu instid0(VALU_DEP_1)
	v_fma_f32 v5, s12, v4, -v7
	ds_store_b64 v3, v[5:6]
	v_add_nc_u32_e32 v3, 0x100, v3
	s_cbranch_scc1 .LBB170_41
.LBB170_42:
	s_or_b32 exec_lo, exec_lo, s5
	v_or_b32_e64 v3, 0, 4
	s_cmpk_eq_i32 s4, 0x6f
	s_mov_b32 s4, -1
	s_waitcnt vmcnt(0) lgkmcnt(0)
	s_waitcnt_vscnt null, 0x0
	; wave barrier
	s_waitcnt lgkmcnt(0)
	buffer_gl0_inv
	s_cbranch_scc1 .LBB170_63
; %bb.43:
	v_lshl_or_b32 v4, v0, 3, 0x2000
	v_lshlrev_b32_e32 v5, 3, v0
	s_lshl_b32 s10, s20, 3
	s_mov_b32 s5, 0
	s_add_i32 s10, s10, -8
	s_mov_b32 s4, s5
	s_mov_b32 s11, s28
	s_branch .LBB170_45
.LBB170_44:                             ;   in Loop: Header=BB170_45 Depth=1
	s_cmp_lt_i32 s11, 0
	s_cselect_b32 s12, -1, 0
	s_add_i32 s4, s4, 1
	s_delay_alu instid0(SALU_CYCLE_1) | instskip(SKIP_1) | instid1(SALU_CYCLE_1)
	s_cmp_eq_u32 s4, 3
	s_cselect_b32 s13, -1, 0
	s_or_b32 s12, s12, s13
	s_delay_alu instid0(SALU_CYCLE_1)
	s_and_not1_b32 vcc_lo, exec_lo, s12
	s_cbranch_vccz .LBB170_62
.LBB170_45:                             ; =>This Loop Header: Depth=1
                                        ;     Child Loop BB170_48 Depth 2
                                        ;       Child Loop BB170_49 Depth 3
                                        ;       Child Loop BB170_51 Depth 3
                                        ;         Child Loop BB170_52 Depth 4
                                        ;       Child Loop BB170_56 Depth 3
                                        ;         Child Loop BB170_58 Depth 4
	s_getpc_b64 s[12:13]
	s_add_u32 s12, s12, __const._ZL38rocblas_trsm_small_left_device_sharedBILi32ELi32ELb1E19rocblas_complex_numIfES1_PKPKS1_PKPS1_Ev13rocblas_fill_18rocblas_operation_17rocblas_diagonal_iiT3_T4_lilT5_lili.step_sizes@rel32@lo+4
	s_addc_u32 s13, s13, __const._ZL38rocblas_trsm_small_left_device_sharedBILi32ELi32ELb1E19rocblas_complex_numIfES1_PKPKS1_PKPS1_Ev13rocblas_fill_18rocblas_operation_17rocblas_diagonal_iiT3_T4_lilT5_lili.step_sizes@rel32@hi+12
	s_lshl_b64 s[14:15], s[4:5], 2
	s_delay_alu instid0(SALU_CYCLE_1) | instskip(SKIP_4) | instid1(SALU_CYCLE_1)
	s_add_u32 s12, s14, s12
	s_addc_u32 s13, s15, s13
	s_load_b32 s12, s[12:13], 0x0
	s_waitcnt lgkmcnt(0)
	s_add_i32 s13, s12, -1
	s_cmp_lt_i32 s11, s13
	s_cbranch_scc1 .LBB170_44
; %bb.46:                               ;   in Loop: Header=BB170_45 Depth=1
	s_lshl_b32 s21, s11, 8
	s_lshl_b32 s15, s12, 8
	v_add_nc_u32_e32 v6, s21, v4
	s_max_i32 s14, s12, 1
	s_sub_i32 s15, 0, s15
	s_add_i32 s21, s10, s21
	s_mul_i32 s22, s11, 0x108
	s_mul_i32 s23, s12, 0xfffffef8
	s_branch .LBB170_48
.LBB170_47:                             ;   in Loop: Header=BB170_48 Depth=2
	v_add_nc_u32_e32 v6, s15, v6
	s_sub_i32 s11, s11, s12
	s_add_i32 s21, s21, s15
	s_add_i32 s22, s22, s23
	s_cmp_lt_i32 s11, s13
	s_cbranch_scc1 .LBB170_44
.LBB170_48:                             ;   Parent Loop BB170_45 Depth=1
                                        ; =>  This Loop Header: Depth=2
                                        ;       Child Loop BB170_49 Depth 3
                                        ;       Child Loop BB170_51 Depth 3
                                        ;         Child Loop BB170_52 Depth 4
                                        ;       Child Loop BB170_56 Depth 3
                                        ;         Child Loop BB170_58 Depth 4
	v_dual_mov_b32 v1, 0 :: v_dual_mov_b32 v2, v6
	s_mov_b32 s24, s14
.LBB170_49:                             ;   Parent Loop BB170_45 Depth=1
                                        ;     Parent Loop BB170_48 Depth=2
                                        ; =>    This Inner Loop Header: Depth=3
	ds_load_b64 v[7:8], v2
	v_add_nc_u32_e32 v2, 0xffffff00, v2
	s_add_i32 s24, s24, -1
	s_delay_alu instid0(SALU_CYCLE_1)
	s_cmp_eq_u32 s24, 0
	s_waitcnt lgkmcnt(0)
	scratch_store_b64 v1, v[7:8], off
	v_add_nc_u32_e32 v1, 8, v1
	s_cbranch_scc0 .LBB170_49
; %bb.50:                               ;   in Loop: Header=BB170_48 Depth=2
	s_cmp_le_i32 s28, s11
	s_mov_b32 s24, s21
	s_mov_b32 s25, s28
	s_cbranch_scc1 .LBB170_54
	.p2align	6
.LBB170_51:                             ;   Parent Loop BB170_45 Depth=1
                                        ;     Parent Loop BB170_48 Depth=2
                                        ; =>    This Loop Header: Depth=3
                                        ;         Child Loop BB170_52 Depth 4
	v_lshl_or_b32 v1, s25, 8, v5
	v_mov_b32_e32 v7, v3
	s_mov_b32 s26, s24
	s_mov_b32 s27, s14
	ds_load_b64 v[1:2], v1 offset:8192
	.p2align	6
.LBB170_52:                             ;   Parent Loop BB170_45 Depth=1
                                        ;     Parent Loop BB170_48 Depth=2
                                        ;       Parent Loop BB170_51 Depth=3
                                        ; =>      This Inner Loop Header: Depth=4
	scratch_load_b64 v[8:9], v7, off offset:-4
	v_mov_b32_e32 v10, s26
	s_add_i32 s27, s27, -1
	s_addk_i32 s26, 0xff00
	s_cmp_eq_u32 s27, 0
	ds_load_b64 v[10:11], v10
	s_waitcnt lgkmcnt(0)
	v_mul_f32_e32 v12, v11, v2
	v_mul_f32_e32 v11, v11, v1
	s_delay_alu instid0(VALU_DEP_1) | instskip(SKIP_1) | instid1(VALU_DEP_1)
	v_fmac_f32_e32 v11, v10, v2
	s_waitcnt vmcnt(0)
	v_sub_f32_e32 v9, v9, v11
	v_fma_f32 v12, v10, v1, -v12
	s_delay_alu instid0(VALU_DEP_1)
	v_sub_f32_e32 v8, v8, v12
	scratch_store_b64 v7, v[8:9], off offset:-4
	v_add_nc_u32_e32 v7, 8, v7
	s_cbranch_scc0 .LBB170_52
; %bb.53:                               ;   in Loop: Header=BB170_51 Depth=3
	s_add_i32 s25, s25, -1
	s_add_i32 s24, s24, -8
	s_cmp_le_i32 s25, s11
	s_cbranch_scc0 .LBB170_51
.LBB170_54:                             ;   in Loop: Header=BB170_48 Depth=2
	s_lshl_b32 s24, s11, 5
	s_mov_b32 s25, 0
	s_mov_b32 s26, s22
	s_branch .LBB170_56
.LBB170_55:                             ;   in Loop: Header=BB170_56 Depth=3
	s_mulk_i32 s29, 0x108
	s_addk_i32 s26, 0xff00
	v_mov_b32_e32 v7, s29
	s_lshl_b32 s29, s25, 3
	s_add_i32 s25, s25, 1
	ds_load_b64 v[7:8], v7
	s_waitcnt vmcnt(0) lgkmcnt(0)
	v_mul_f32_e32 v9, v8, v2
	v_mul_f32_e32 v10, v7, v2
	v_add_lshl_u32 v2, s27, v0, 3
	s_add_i32 s27, s29, 0
	s_cmp_eq_u32 s25, s14
	v_fma_f32 v9, v7, v1, -v9
	v_fmac_f32_e32 v10, v8, v1
	scratch_store_b64 off, v[9:10], s27
	ds_store_b64 v2, v[9:10] offset:8192
	s_cbranch_scc1 .LBB170_47
.LBB170_56:                             ;   Parent Loop BB170_45 Depth=1
                                        ;     Parent Loop BB170_48 Depth=2
                                        ; =>    This Loop Header: Depth=3
                                        ;         Child Loop BB170_58 Depth 4
	s_cmp_lg_u32 s25, 0
	s_cbranch_scc0 .LBB170_60
; %bb.57:                               ;   in Loop: Header=BB170_56 Depth=3
	s_lshl_b32 s27, s25, 3
	v_mov_b32_e32 v8, 0
	s_add_i32 s29, s27, 0
	v_add_nc_u32_e64 v7, s27, 0
	scratch_load_b64 v[1:2], off, s29
	s_sub_i32 s29, s11, s25
	s_mov_b32 s30, 0
	s_lshl_b32 s27, s29, 5
	s_mov_b32 s31, s26
	.p2align	6
.LBB170_58:                             ;   Parent Loop BB170_45 Depth=1
                                        ;     Parent Loop BB170_48 Depth=2
                                        ;       Parent Loop BB170_56 Depth=3
                                        ; =>      This Inner Loop Header: Depth=4
	scratch_load_b64 v[9:10], v8, off
	v_mov_b32_e32 v11, s31
	s_add_i32 s30, s30, 1
	s_add_i32 s31, s31, -8
	s_cmp_ge_u32 s30, s25
	v_add_nc_u32_e32 v8, 8, v8
	ds_load_b64 v[11:12], v11
	s_waitcnt vmcnt(0) lgkmcnt(0)
	v_mul_f32_e32 v13, v12, v10
	v_mul_f32_e32 v10, v11, v10
	s_delay_alu instid0(VALU_DEP_2) | instskip(NEXT) | instid1(VALU_DEP_1)
	v_fma_f32 v11, v11, v9, -v13
	v_dual_sub_f32 v1, v1, v11 :: v_dual_fmac_f32 v10, v12, v9
	s_delay_alu instid0(VALU_DEP_1)
	v_sub_f32_e32 v2, v2, v10
	scratch_store_b64 v7, v[1:2], off
	s_cbranch_scc0 .LBB170_58
; %bb.59:                               ;   in Loop: Header=BB170_56 Depth=3
	s_branch .LBB170_55
.LBB170_60:                             ;   in Loop: Header=BB170_56 Depth=3
                                        ; implicit-def: $vgpr1
                                        ; implicit-def: $sgpr29
                                        ; implicit-def: $sgpr27
	s_cbranch_execz .LBB170_55
; %bb.61:                               ;   in Loop: Header=BB170_56 Depth=3
	scratch_load_b64 v[1:2], off, off
	s_mov_b32 s27, s24
	s_mov_b32 s29, s11
	s_branch .LBB170_55
.LBB170_62:
	s_mov_b32 s4, 0
.LBB170_63:
	s_delay_alu instid0(SALU_CYCLE_1)
	s_and_b32 vcc_lo, exec_lo, s4
	s_cbranch_vccz .LBB170_84
; %bb.64:
	v_lshl_or_b32 v4, v0, 3, 0x2000
	v_lshlrev_b32_e32 v5, 3, v0
	s_mov_b32 s5, 0
	s_delay_alu instid0(SALU_CYCLE_1)
	s_mov_b32 s4, s5
	s_mov_b32 s10, s5
	s_branch .LBB170_66
.LBB170_65:                             ;   in Loop: Header=BB170_66 Depth=1
	s_cmp_ge_i32 s10, s20
	s_cselect_b32 s11, -1, 0
	s_add_i32 s4, s4, 1
	s_delay_alu instid0(SALU_CYCLE_1) | instskip(SKIP_1) | instid1(SALU_CYCLE_1)
	s_cmp_eq_u32 s4, 3
	s_cselect_b32 s12, -1, 0
	s_or_b32 s11, s11, s12
	s_delay_alu instid0(SALU_CYCLE_1)
	s_and_b32 vcc_lo, exec_lo, s11
	s_cbranch_vccnz .LBB170_84
.LBB170_66:                             ; =>This Loop Header: Depth=1
                                        ;     Child Loop BB170_69 Depth 2
                                        ;       Child Loop BB170_70 Depth 3
                                        ;       Child Loop BB170_73 Depth 3
                                        ;         Child Loop BB170_74 Depth 4
                                        ;       Child Loop BB170_78 Depth 3
                                        ;         Child Loop BB170_80 Depth 4
	s_getpc_b64 s[12:13]
	s_add_u32 s12, s12, __const._ZL38rocblas_trsm_small_left_device_sharedBILi32ELi32ELb1E19rocblas_complex_numIfES1_PKPKS1_PKPS1_Ev13rocblas_fill_18rocblas_operation_17rocblas_diagonal_iiT3_T4_lilT5_lili.step_sizes@rel32@lo+4
	s_addc_u32 s13, s13, __const._ZL38rocblas_trsm_small_left_device_sharedBILi32ELi32ELb1E19rocblas_complex_numIfES1_PKPKS1_PKPS1_Ev13rocblas_fill_18rocblas_operation_17rocblas_diagonal_iiT3_T4_lilT5_lili.step_sizes@rel32@hi+12
	s_lshl_b64 s[14:15], s[4:5], 2
	s_delay_alu instid0(SALU_CYCLE_1) | instskip(SKIP_4) | instid1(SALU_CYCLE_1)
	s_add_u32 s12, s14, s12
	s_addc_u32 s13, s15, s13
	s_load_b32 s11, s[12:13], 0x0
	s_waitcnt lgkmcnt(0)
	s_add_i32 s12, s11, -1
	s_add_i32 s13, s12, s10
	s_delay_alu instid0(SALU_CYCLE_1)
	s_cmp_ge_i32 s13, s20
	s_cbranch_scc1 .LBB170_65
; %bb.67:                               ;   in Loop: Header=BB170_66 Depth=1
	v_lshl_add_u32 v6, s10, 8, v4
	s_max_i32 s13, s11, 1
	s_lshl_b32 s14, s11, 8
	s_lshl_b32 s15, s10, 3
	;; [unrolled: 1-line block ×3, first 2 shown]
	s_mul_i32 s22, s10, 0x108
	s_mul_i32 s23, s11, 0x108
	s_branch .LBB170_69
.LBB170_68:                             ;   in Loop: Header=BB170_69 Depth=2
	s_add_i32 s10, s10, s11
	v_add_nc_u32_e32 v6, s14, v6
	s_add_i32 s24, s12, s10
	s_add_i32 s15, s15, s21
	;; [unrolled: 1-line block ×3, first 2 shown]
	s_cmp_ge_i32 s24, s20
	s_cbranch_scc1 .LBB170_65
.LBB170_69:                             ;   Parent Loop BB170_66 Depth=1
                                        ; =>  This Loop Header: Depth=2
                                        ;       Child Loop BB170_70 Depth 3
                                        ;       Child Loop BB170_73 Depth 3
                                        ;         Child Loop BB170_74 Depth 4
                                        ;       Child Loop BB170_78 Depth 3
                                        ;         Child Loop BB170_80 Depth 4
	v_dual_mov_b32 v1, 0 :: v_dual_mov_b32 v2, v6
	s_mov_b32 s24, s13
.LBB170_70:                             ;   Parent Loop BB170_66 Depth=1
                                        ;     Parent Loop BB170_69 Depth=2
                                        ; =>    This Inner Loop Header: Depth=3
	ds_load_b64 v[7:8], v2
	v_add_nc_u32_e32 v2, 0x100, v2
	s_add_i32 s24, s24, -1
	s_delay_alu instid0(SALU_CYCLE_1)
	s_cmp_eq_u32 s24, 0
	s_waitcnt lgkmcnt(0)
	scratch_store_b64 v1, v[7:8], off
	v_add_nc_u32_e32 v1, 8, v1
	s_cbranch_scc0 .LBB170_70
; %bb.71:                               ;   in Loop: Header=BB170_69 Depth=2
	s_cmp_lt_i32 s10, 1
	s_cbranch_scc1 .LBB170_76
; %bb.72:                               ;   in Loop: Header=BB170_69 Depth=2
	s_mov_b32 s24, 0
	s_mov_b32 s25, s15
	.p2align	6
.LBB170_73:                             ;   Parent Loop BB170_66 Depth=1
                                        ;     Parent Loop BB170_69 Depth=2
                                        ; =>    This Loop Header: Depth=3
                                        ;         Child Loop BB170_74 Depth 4
	v_lshl_or_b32 v1, s24, 8, v5
	v_mov_b32_e32 v7, v3
	s_mov_b32 s26, s25
	s_mov_b32 s27, s13
	ds_load_b64 v[1:2], v1 offset:8192
	.p2align	6
.LBB170_74:                             ;   Parent Loop BB170_66 Depth=1
                                        ;     Parent Loop BB170_69 Depth=2
                                        ;       Parent Loop BB170_73 Depth=3
                                        ; =>      This Inner Loop Header: Depth=4
	scratch_load_b64 v[8:9], v7, off offset:-4
	v_mov_b32_e32 v10, s26
	s_add_i32 s27, s27, -1
	s_add_i32 s26, s26, 8
	s_cmp_eq_u32 s27, 0
	ds_load_b64 v[10:11], v10
	s_waitcnt lgkmcnt(0)
	v_mul_f32_e32 v12, v11, v2
	v_mul_f32_e32 v11, v11, v1
	s_delay_alu instid0(VALU_DEP_1) | instskip(SKIP_1) | instid1(VALU_DEP_1)
	v_fmac_f32_e32 v11, v10, v2
	s_waitcnt vmcnt(0)
	v_sub_f32_e32 v9, v9, v11
	v_fma_f32 v12, v10, v1, -v12
	s_delay_alu instid0(VALU_DEP_1)
	v_sub_f32_e32 v8, v8, v12
	scratch_store_b64 v7, v[8:9], off offset:-4
	v_add_nc_u32_e32 v7, 8, v7
	s_cbranch_scc0 .LBB170_74
; %bb.75:                               ;   in Loop: Header=BB170_73 Depth=3
	s_add_i32 s24, s24, 1
	s_addk_i32 s25, 0x100
	s_cmp_ge_i32 s24, s10
	s_cbranch_scc0 .LBB170_73
.LBB170_76:                             ;   in Loop: Header=BB170_69 Depth=2
	s_mov_b32 s24, 0
	s_mov_b32 s25, s22
	s_branch .LBB170_78
.LBB170_77:                             ;   in Loop: Header=BB170_78 Depth=3
	s_mul_i32 s27, s26, 0x108
	s_add_i32 s25, s25, 8
	v_mov_b32_e32 v7, s27
	s_lshl_b32 s27, s24, 3
	s_add_i32 s24, s24, 1
	ds_load_b64 v[7:8], v7
	s_waitcnt vmcnt(0) lgkmcnt(0)
	v_mul_f32_e32 v9, v8, v2
	v_mul_f32_e32 v10, v7, v2
	v_lshl_or_b32 v2, s26, 8, v5
	s_add_i32 s26, s27, 0
	s_cmp_eq_u32 s24, s13
	v_fma_f32 v9, v7, v1, -v9
	v_fmac_f32_e32 v10, v8, v1
	scratch_store_b64 off, v[9:10], s26
	ds_store_b64 v2, v[9:10] offset:8192
	s_cbranch_scc1 .LBB170_68
.LBB170_78:                             ;   Parent Loop BB170_66 Depth=1
                                        ;     Parent Loop BB170_69 Depth=2
                                        ; =>    This Loop Header: Depth=3
                                        ;         Child Loop BB170_80 Depth 4
	s_cmp_lg_u32 s24, 0
	s_cbranch_scc0 .LBB170_82
; %bb.79:                               ;   in Loop: Header=BB170_78 Depth=3
	s_lshl_b32 s26, s24, 3
	v_mov_b32_e32 v8, 0
	s_add_i32 s27, s26, 0
	v_add_nc_u32_e64 v7, s26, 0
	scratch_load_b64 v[1:2], off, s27
	s_add_i32 s26, s24, s10
	s_mov_b32 s27, 0
	s_mov_b32 s28, s25
	.p2align	6
.LBB170_80:                             ;   Parent Loop BB170_66 Depth=1
                                        ;     Parent Loop BB170_69 Depth=2
                                        ;       Parent Loop BB170_78 Depth=3
                                        ; =>      This Inner Loop Header: Depth=4
	scratch_load_b64 v[9:10], v8, off
	v_mov_b32_e32 v11, s28
	s_add_i32 s27, s27, 1
	s_addk_i32 s28, 0x100
	s_cmp_ge_u32 s27, s24
	v_add_nc_u32_e32 v8, 8, v8
	ds_load_b64 v[11:12], v11
	s_waitcnt vmcnt(0) lgkmcnt(0)
	v_mul_f32_e32 v13, v12, v10
	v_mul_f32_e32 v10, v11, v10
	s_delay_alu instid0(VALU_DEP_2) | instskip(NEXT) | instid1(VALU_DEP_1)
	v_fma_f32 v11, v11, v9, -v13
	v_dual_sub_f32 v1, v1, v11 :: v_dual_fmac_f32 v10, v12, v9
	s_delay_alu instid0(VALU_DEP_1)
	v_sub_f32_e32 v2, v2, v10
	scratch_store_b64 v7, v[1:2], off
	s_cbranch_scc0 .LBB170_80
; %bb.81:                               ;   in Loop: Header=BB170_78 Depth=3
	s_branch .LBB170_77
.LBB170_82:                             ;   in Loop: Header=BB170_78 Depth=3
                                        ; implicit-def: $vgpr1
                                        ; implicit-def: $sgpr26
	s_cbranch_execz .LBB170_77
; %bb.83:                               ;   in Loop: Header=BB170_78 Depth=3
	scratch_load_b64 v[1:2], off, off
	s_mov_b32 s26, s10
	s_branch .LBB170_77
.LBB170_84:
	s_waitcnt vmcnt(0) lgkmcnt(0)
	s_waitcnt_vscnt null, 0x0
	; wave barrier
	s_waitcnt lgkmcnt(0)
	s_waitcnt_vscnt null, 0x0
	buffer_gl0_inv
	s_and_saveexec_b32 s4, s19
	s_cbranch_execz .LBB170_91
; %bb.85:
	s_cmp_lt_i32 s6, 8
	s_mov_b32 s4, 0
	s_cbranch_scc1 .LBB170_88
; %bb.86:
	v_mad_i64_i32 v[1:2], null, s16, v0, 0
	v_lshl_or_b32 v3, v0, 3, 0x2000
	s_lshl_b32 s4, s20, 3
	s_delay_alu instid0(SALU_CYCLE_1) | instskip(SKIP_1) | instid1(VALU_DEP_2)
	s_and_b32 s5, s4, 0x1c0
	s_mov_b32 s4, 0
	v_lshlrev_b64 v[1:2], 3, v[1:2]
	s_delay_alu instid0(VALU_DEP_1) | instskip(NEXT) | instid1(VALU_DEP_2)
	v_add_co_u32 v1, vcc_lo, s7, v1
	v_add_co_ci_u32_e32 v2, vcc_lo, s18, v2, vcc_lo
	s_mov_b64 s[6:7], 0
	.p2align	6
.LBB170_87:                             ; =>This Inner Loop Header: Depth=1
	ds_load_2addr_b64 v[4:7], v3 offset1:32
	ds_load_2addr_b64 v[8:11], v3 offset0:64 offset1:96
	ds_load_2addr_b64 v[12:15], v3 offset0:128 offset1:160
	;; [unrolled: 1-line block ×3, first 2 shown]
	v_add_co_u32 v20, vcc_lo, v1, s6
	v_add_co_ci_u32_e32 v21, vcc_lo, s7, v2, vcc_lo
	s_add_i32 s4, s4, 8
	v_add_nc_u32_e32 v3, 0x800, v3
	s_add_u32 s6, s6, 64
	s_addc_u32 s7, s7, 0
	s_cmp_lg_u32 s5, s6
	s_waitcnt lgkmcnt(3)
	global_store_b128 v[20:21], v[4:7], off
	s_waitcnt lgkmcnt(2)
	global_store_b128 v[20:21], v[8:11], off offset:16
	s_waitcnt lgkmcnt(1)
	global_store_b128 v[20:21], v[12:15], off offset:32
	;; [unrolled: 2-line block ×3, first 2 shown]
	s_cbranch_scc1 .LBB170_87
.LBB170_88:
	s_and_b32 s6, s20, 7
	s_mov_b32 s5, 0
	s_cmp_eq_u32 s6, 0
	s_cbranch_scc1 .LBB170_91
; %bb.89:
	v_lshlrev_b32_e32 v2, 3, v0
	s_lshl_b64 s[8:9], s[8:9], 3
	s_lshl_b64 s[10:11], s[4:5], 3
	s_delay_alu instid0(SALU_CYCLE_1) | instskip(NEXT) | instid1(VALU_DEP_1)
	s_add_u32 s2, s2, s10
	v_add_co_u32 v3, s5, s8, v2
	s_delay_alu instid0(VALU_DEP_1) | instskip(SKIP_3) | instid1(VALU_DEP_1)
	v_add_co_ci_u32_e64 v4, null, s9, 0, s5
	s_addc_u32 s3, s3, s11
	s_add_u32 s0, s2, s0
	s_addc_u32 s1, s3, s1
	v_mul_lo_u32 v4, v4, s16
	v_mad_u64_u32 v[0:1], null, v3, s16, s[0:1]
	v_mul_lo_u32 v3, v3, s17
	v_lshl_or_b32 v2, s4, 8, v2
	s_delay_alu instid0(VALU_DEP_1) | instskip(NEXT) | instid1(VALU_DEP_3)
	v_add_nc_u32_e32 v2, 0x2000, v2
	v_add3_u32 v1, v4, v1, v3
.LBB170_90:                             ; =>This Inner Loop Header: Depth=1
	ds_load_b64 v[3:4], v2
	v_add_nc_u32_e32 v2, 0x100, v2
	s_add_i32 s6, s6, -1
	s_delay_alu instid0(SALU_CYCLE_1)
	s_cmp_lg_u32 s6, 0
	s_waitcnt lgkmcnt(0)
	global_store_b64 v[0:1], v[3:4], off
	v_add_co_u32 v0, vcc_lo, v0, 8
	v_add_co_ci_u32_e32 v1, vcc_lo, 0, v1, vcc_lo
	s_cbranch_scc1 .LBB170_90
.LBB170_91:
	s_nop 0
	s_sendmsg sendmsg(MSG_DEALLOC_VGPRS)
	s_endpgm
	.section	.rodata,"a",@progbits
	.p2align	6, 0x0
	.amdhsa_kernel _ZL38rocblas_trsm_small_left_device_sharedBILi32ELi32ELb1E19rocblas_complex_numIfES1_PKPKS1_PKPS1_Ev13rocblas_fill_18rocblas_operation_17rocblas_diagonal_iiT3_T4_lilT5_lili
		.amdhsa_group_segment_fixed_size 16384
		.amdhsa_private_segment_fixed_size 272
		.amdhsa_kernarg_size 360
		.amdhsa_user_sgpr_count 14
		.amdhsa_user_sgpr_dispatch_ptr 0
		.amdhsa_user_sgpr_queue_ptr 0
		.amdhsa_user_sgpr_kernarg_segment_ptr 1
		.amdhsa_user_sgpr_dispatch_id 0
		.amdhsa_user_sgpr_private_segment_size 0
		.amdhsa_wavefront_size32 1
		.amdhsa_uses_dynamic_stack 0
		.amdhsa_enable_private_segment 1
		.amdhsa_system_sgpr_workgroup_id_x 1
		.amdhsa_system_sgpr_workgroup_id_y 0
		.amdhsa_system_sgpr_workgroup_id_z 1
		.amdhsa_system_sgpr_workgroup_info 0
		.amdhsa_system_vgpr_workitem_id 0
		.amdhsa_next_free_vgpr 29
		.amdhsa_next_free_sgpr 35
		.amdhsa_reserve_vcc 1
		.amdhsa_float_round_mode_32 0
		.amdhsa_float_round_mode_16_64 0
		.amdhsa_float_denorm_mode_32 3
		.amdhsa_float_denorm_mode_16_64 3
		.amdhsa_dx10_clamp 1
		.amdhsa_ieee_mode 1
		.amdhsa_fp16_overflow 0
		.amdhsa_workgroup_processor_mode 1
		.amdhsa_memory_ordered 1
		.amdhsa_forward_progress 0
		.amdhsa_shared_vgpr_count 0
		.amdhsa_exception_fp_ieee_invalid_op 0
		.amdhsa_exception_fp_denorm_src 0
		.amdhsa_exception_fp_ieee_div_zero 0
		.amdhsa_exception_fp_ieee_overflow 0
		.amdhsa_exception_fp_ieee_underflow 0
		.amdhsa_exception_fp_ieee_inexact 0
		.amdhsa_exception_int_div_zero 0
	.end_amdhsa_kernel
	.section	.text._ZL38rocblas_trsm_small_left_device_sharedBILi32ELi32ELb1E19rocblas_complex_numIfES1_PKPKS1_PKPS1_Ev13rocblas_fill_18rocblas_operation_17rocblas_diagonal_iiT3_T4_lilT5_lili,"axG",@progbits,_ZL38rocblas_trsm_small_left_device_sharedBILi32ELi32ELb1E19rocblas_complex_numIfES1_PKPKS1_PKPS1_Ev13rocblas_fill_18rocblas_operation_17rocblas_diagonal_iiT3_T4_lilT5_lili,comdat
.Lfunc_end170:
	.size	_ZL38rocblas_trsm_small_left_device_sharedBILi32ELi32ELb1E19rocblas_complex_numIfES1_PKPKS1_PKPS1_Ev13rocblas_fill_18rocblas_operation_17rocblas_diagonal_iiT3_T4_lilT5_lili, .Lfunc_end170-_ZL38rocblas_trsm_small_left_device_sharedBILi32ELi32ELb1E19rocblas_complex_numIfES1_PKPKS1_PKPS1_Ev13rocblas_fill_18rocblas_operation_17rocblas_diagonal_iiT3_T4_lilT5_lili
                                        ; -- End function
	.section	.AMDGPU.csdata,"",@progbits
; Kernel info:
; codeLenInByte = 3920
; NumSgprs: 37
; NumVgprs: 29
; ScratchSize: 272
; MemoryBound: 0
; FloatMode: 240
; IeeeMode: 1
; LDSByteSize: 16384 bytes/workgroup (compile time only)
; SGPRBlocks: 4
; VGPRBlocks: 3
; NumSGPRsForWavesPerEU: 37
; NumVGPRsForWavesPerEU: 29
; Occupancy: 2
; WaveLimiterHint : 1
; COMPUTE_PGM_RSRC2:SCRATCH_EN: 1
; COMPUTE_PGM_RSRC2:USER_SGPR: 14
; COMPUTE_PGM_RSRC2:TRAP_HANDLER: 0
; COMPUTE_PGM_RSRC2:TGID_X_EN: 1
; COMPUTE_PGM_RSRC2:TGID_Y_EN: 0
; COMPUTE_PGM_RSRC2:TGID_Z_EN: 1
; COMPUTE_PGM_RSRC2:TIDIG_COMP_CNT: 0
	.section	.text._ZL30rocblas_trsm_small_left_deviceILi32ELi32ELb1E19rocblas_complex_numIfES1_PKPKS1_PKPS1_Ev13rocblas_fill_18rocblas_operation_17rocblas_diagonal_iiT3_T4_lilT5_lili,"axG",@progbits,_ZL30rocblas_trsm_small_left_deviceILi32ELi32ELb1E19rocblas_complex_numIfES1_PKPKS1_PKPS1_Ev13rocblas_fill_18rocblas_operation_17rocblas_diagonal_iiT3_T4_lilT5_lili,comdat
	.globl	_ZL30rocblas_trsm_small_left_deviceILi32ELi32ELb1E19rocblas_complex_numIfES1_PKPKS1_PKPS1_Ev13rocblas_fill_18rocblas_operation_17rocblas_diagonal_iiT3_T4_lilT5_lili ; -- Begin function _ZL30rocblas_trsm_small_left_deviceILi32ELi32ELb1E19rocblas_complex_numIfES1_PKPKS1_PKPS1_Ev13rocblas_fill_18rocblas_operation_17rocblas_diagonal_iiT3_T4_lilT5_lili
	.p2align	8
	.type	_ZL30rocblas_trsm_small_left_deviceILi32ELi32ELb1E19rocblas_complex_numIfES1_PKPKS1_PKPS1_Ev13rocblas_fill_18rocblas_operation_17rocblas_diagonal_iiT3_T4_lilT5_lili,@function
_ZL30rocblas_trsm_small_left_deviceILi32ELi32ELb1E19rocblas_complex_numIfES1_PKPKS1_PKPS1_Ev13rocblas_fill_18rocblas_operation_17rocblas_diagonal_iiT3_T4_lilT5_lili: ; @_ZL30rocblas_trsm_small_left_deviceILi32ELi32ELb1E19rocblas_complex_numIfES1_PKPKS1_PKPS1_Ev13rocblas_fill_18rocblas_operation_17rocblas_diagonal_iiT3_T4_lilT5_lili
; %bb.0:
	s_clause 0x1
	s_load_b128 s[8:11], s[0:1], 0x40
	s_load_b128 s[4:7], s[0:1], 0x4
	s_mov_b32 s12, s15
	s_mov_b32 s13, 0
	s_load_b32 s29, s[0:1], 0x68
	s_lshl_b64 s[22:23], s[12:13], 3
	s_waitcnt lgkmcnt(0)
	s_add_u32 s8, s8, s22
	s_addc_u32 s9, s9, s23
	s_load_b64 s[2:3], s[0:1], 0x14
	s_load_b64 s[8:9], s[8:9], 0x0
	s_min_i32 s15, s6, 32
	s_mov_b32 s6, exec_lo
	s_add_i32 s28, s15, -1
	v_cmpx_gt_i32_e64 s15, v0
	s_cbranch_execz .LBB171_35
; %bb.1:
	s_clause 0x1
	s_load_b32 s20, s[0:1], 0x30
	s_load_b128 s[16:19], s[0:1], 0x20
	v_lshlrev_b32_e32 v8, 3, v0
	s_waitcnt lgkmcnt(0)
	s_ashr_i32 s21, s20, 31
	s_cmpk_lg_i32 s4, 0x71
	s_cselect_b32 s12, -1, 0
	s_add_u32 s16, s16, s22
	s_addc_u32 s17, s17, s23
	v_cndmask_b32_e64 v7, 0, 1, s12
	s_load_b64 s[16:17], s[16:17], 0x0
	s_cmp_lt_u32 s28, 3
	s_cbranch_scc1 .LBB171_20
; %bb.2:
	s_lshl_b64 s[22:23], s[18:19], 3
	v_mov_b32_e32 v9, v8
	s_waitcnt lgkmcnt(0)
	s_add_u32 s13, s16, s22
	s_addc_u32 s22, s17, s23
	v_add_co_u32 v1, s13, s13, v8
	s_delay_alu instid0(VALU_DEP_1)
	v_add_co_ci_u32_e64 v2, null, s22, 0, s13
	s_and_b32 s13, s15, -4
	s_mul_hi_i32 s30, s20, 24
	s_mul_i32 s31, s20, 24
	s_lshl_b64 s[22:23], s[20:21], 5
	s_lshl_b64 s[24:25], s[20:21], 4
	;; [unrolled: 1-line block ×3, first 2 shown]
	s_mov_b32 s33, 0
	s_branch .LBB171_4
.LBB171_3:                              ;   in Loop: Header=BB171_4 Depth=1
	global_load_b32 v3, v[5:6], off
	v_add_co_u32 v1, vcc_lo, v1, s22
	v_add_co_ci_u32_e32 v2, vcc_lo, s23, v2, vcc_lo
	s_add_i32 s33, s33, 4
	s_delay_alu instid0(SALU_CYCLE_1)
	s_cmp_eq_u32 s13, s33
	s_waitcnt vmcnt(0)
	ds_store_b64 v9, v[3:4] offset:768
	v_add_nc_u32_e32 v9, 0x400, v9
	s_cbranch_scc1 .LBB171_20
.LBB171_4:                              ; =>This Inner Loop Header: Depth=1
	s_and_b32 vcc_lo, exec_lo, s12
	s_cbranch_vccz .LBB171_6
; %bb.5:                                ;   in Loop: Header=BB171_4 Depth=1
	global_load_b32 v4, v[1:2], off offset:4
	s_cbranch_execz .LBB171_7
	s_branch .LBB171_8
.LBB171_6:                              ;   in Loop: Header=BB171_4 Depth=1
                                        ; implicit-def: $vgpr4
.LBB171_7:                              ;   in Loop: Header=BB171_4 Depth=1
	global_load_b32 v3, v[1:2], off offset:4
	s_waitcnt vmcnt(0)
	v_xor_b32_e32 v4, 0x80000000, v3
.LBB171_8:                              ;   in Loop: Header=BB171_4 Depth=1
	global_load_b32 v3, v[1:2], off
	v_add_co_u32 v5, vcc_lo, v1, s26
	v_add_co_ci_u32_e32 v6, vcc_lo, s27, v2, vcc_lo
	s_and_not1_b32 vcc_lo, exec_lo, s12
	s_waitcnt vmcnt(0)
	ds_store_b64 v9, v[3:4]
	s_cbranch_vccnz .LBB171_10
; %bb.9:                                ;   in Loop: Header=BB171_4 Depth=1
	global_load_b32 v4, v[5:6], off offset:4
	s_cbranch_execz .LBB171_11
	s_branch .LBB171_12
.LBB171_10:                             ;   in Loop: Header=BB171_4 Depth=1
                                        ; implicit-def: $vgpr4
.LBB171_11:                             ;   in Loop: Header=BB171_4 Depth=1
	global_load_b32 v3, v[5:6], off offset:4
	s_waitcnt vmcnt(0)
	v_xor_b32_e32 v4, 0x80000000, v3
.LBB171_12:                             ;   in Loop: Header=BB171_4 Depth=1
	global_load_b32 v3, v[5:6], off
	v_add_co_u32 v5, vcc_lo, v1, s24
	v_add_co_ci_u32_e32 v6, vcc_lo, s25, v2, vcc_lo
	s_and_not1_b32 vcc_lo, exec_lo, s12
	s_waitcnt vmcnt(0)
	ds_store_b64 v9, v[3:4] offset:256
	s_cbranch_vccnz .LBB171_14
; %bb.13:                               ;   in Loop: Header=BB171_4 Depth=1
	global_load_b32 v4, v[5:6], off offset:4
	s_cbranch_execz .LBB171_15
	s_branch .LBB171_16
.LBB171_14:                             ;   in Loop: Header=BB171_4 Depth=1
                                        ; implicit-def: $vgpr4
.LBB171_15:                             ;   in Loop: Header=BB171_4 Depth=1
	global_load_b32 v3, v[5:6], off offset:4
	s_waitcnt vmcnt(0)
	v_xor_b32_e32 v4, 0x80000000, v3
.LBB171_16:                             ;   in Loop: Header=BB171_4 Depth=1
	global_load_b32 v3, v[5:6], off
	v_add_co_u32 v5, vcc_lo, v1, s31
	v_add_co_ci_u32_e32 v6, vcc_lo, s30, v2, vcc_lo
	s_and_not1_b32 vcc_lo, exec_lo, s12
	s_waitcnt vmcnt(0)
	ds_store_b64 v9, v[3:4] offset:512
	s_cbranch_vccnz .LBB171_18
; %bb.17:                               ;   in Loop: Header=BB171_4 Depth=1
	global_load_b32 v4, v[5:6], off offset:4
	s_cbranch_execnz .LBB171_3
	s_branch .LBB171_19
.LBB171_18:                             ;   in Loop: Header=BB171_4 Depth=1
                                        ; implicit-def: $vgpr4
.LBB171_19:                             ;   in Loop: Header=BB171_4 Depth=1
	global_load_b32 v3, v[5:6], off offset:4
	s_waitcnt vmcnt(0)
	v_xor_b32_e32 v4, 0x80000000, v3
	s_branch .LBB171_3
.LBB171_20:
	s_and_b32 s22, s15, 3
	s_delay_alu instid0(SALU_CYCLE_1)
	s_cmp_eq_u32 s22, 0
	s_cbranch_scc1 .LBB171_27
; %bb.21:
	s_mul_i32 s12, s21, s13
	s_mul_hi_u32 s23, s20, s13
	s_mul_i32 s24, s20, s13
	s_add_i32 s25, s23, s12
	s_lshl_b64 s[18:19], s[18:19], 3
	s_lshl_b64 s[24:25], s[24:25], 3
	v_lshl_or_b32 v5, s13, 8, v8
	s_add_u32 s12, s24, s18
	s_addc_u32 s18, s25, s19
	s_waitcnt lgkmcnt(0)
	s_add_u32 s12, s16, s12
	s_addc_u32 s16, s17, s18
	v_add_co_u32 v1, s12, s12, v8
	s_delay_alu instid0(VALU_DEP_1) | instskip(SKIP_1) | instid1(VALU_DEP_2)
	v_add_co_ci_u32_e64 v2, null, s16, 0, s12
	s_lshl_b64 s[12:13], s[20:21], 3
	v_add_co_u32 v1, vcc_lo, v1, 4
	s_delay_alu instid0(VALU_DEP_2)
	v_add_co_ci_u32_e32 v2, vcc_lo, 0, v2, vcc_lo
	s_set_inst_prefetch_distance 0x1
	s_branch .LBB171_23
	.p2align	6
.LBB171_22:                             ;   in Loop: Header=BB171_23 Depth=1
	global_load_b32 v3, v[1:2], off offset:-4
	v_add_co_u32 v1, vcc_lo, v1, s12
	v_add_co_ci_u32_e32 v2, vcc_lo, s13, v2, vcc_lo
	s_add_i32 s22, s22, -1
	s_delay_alu instid0(SALU_CYCLE_1)
	s_cmp_lg_u32 s22, 0
	s_waitcnt vmcnt(0)
	ds_store_b64 v5, v[3:4]
	v_add_nc_u32_e32 v5, 0x100, v5
	s_cbranch_scc0 .LBB171_27
.LBB171_23:                             ; =>This Inner Loop Header: Depth=1
	v_cmp_ne_u32_e32 vcc_lo, 1, v7
	s_mov_b32 s16, -1
                                        ; implicit-def: $vgpr4
	s_cbranch_vccnz .LBB171_25
; %bb.24:                               ;   in Loop: Header=BB171_23 Depth=1
	global_load_b32 v4, v[1:2], off
	s_mov_b32 s16, 0
.LBB171_25:                             ;   in Loop: Header=BB171_23 Depth=1
	s_delay_alu instid0(SALU_CYCLE_1)
	s_and_not1_b32 vcc_lo, exec_lo, s16
	s_cbranch_vccnz .LBB171_22
; %bb.26:                               ;   in Loop: Header=BB171_23 Depth=1
	global_load_b32 v3, v[1:2], off
	s_waitcnt vmcnt(0)
	v_xor_b32_e32 v4, 0x80000000, v3
	s_branch .LBB171_22
.LBB171_27:
	s_set_inst_prefetch_distance 0x2
	v_mul_u32_u24_e32 v1, 33, v0
	s_cmpk_lg_i32 s5, 0x84
	s_mov_b32 s5, -1
	s_delay_alu instid0(VALU_DEP_1)
	v_lshlrev_b32_e32 v5, 3, v1
	s_cbranch_scc0 .LBB171_33
; %bb.28:
	ds_load_b64 v[1:2], v5
	s_waitcnt lgkmcnt(0)
	v_cmp_gt_f32_e32 vcc_lo, 0, v1
	v_cndmask_b32_e64 v3, v1, -v1, vcc_lo
	v_cmp_gt_f32_e32 vcc_lo, 0, v2
	v_cndmask_b32_e64 v4, v2, -v2, vcc_lo
	s_delay_alu instid0(VALU_DEP_1) | instskip(SKIP_1) | instid1(SALU_CYCLE_1)
	v_cmp_ngt_f32_e32 vcc_lo, v3, v4
                                        ; implicit-def: $vgpr3
	s_and_saveexec_b32 s5, vcc_lo
	s_xor_b32 s5, exec_lo, s5
	s_cbranch_execz .LBB171_30
; %bb.29:
	v_div_scale_f32 v3, null, v2, v2, v1
	v_div_scale_f32 v7, vcc_lo, v1, v2, v1
	s_delay_alu instid0(VALU_DEP_2) | instskip(SKIP_2) | instid1(VALU_DEP_1)
	v_rcp_f32_e32 v4, v3
	s_waitcnt_depctr 0xfff
	v_fma_f32 v6, -v3, v4, 1.0
	v_fmac_f32_e32 v4, v6, v4
	s_delay_alu instid0(VALU_DEP_1) | instskip(NEXT) | instid1(VALU_DEP_1)
	v_mul_f32_e32 v6, v7, v4
	v_fma_f32 v8, -v3, v6, v7
	s_delay_alu instid0(VALU_DEP_1) | instskip(NEXT) | instid1(VALU_DEP_1)
	v_fmac_f32_e32 v6, v8, v4
	v_fma_f32 v3, -v3, v6, v7
	s_delay_alu instid0(VALU_DEP_1) | instskip(NEXT) | instid1(VALU_DEP_1)
	v_div_fmas_f32 v3, v3, v4, v6
	v_div_fixup_f32 v3, v3, v2, v1
	s_delay_alu instid0(VALU_DEP_1) | instskip(NEXT) | instid1(VALU_DEP_1)
	v_fmac_f32_e32 v2, v1, v3
	v_div_scale_f32 v1, null, v2, v2, 1.0
	v_div_scale_f32 v7, vcc_lo, 1.0, v2, 1.0
	s_delay_alu instid0(VALU_DEP_2) | instskip(SKIP_2) | instid1(VALU_DEP_1)
	v_rcp_f32_e32 v4, v1
	s_waitcnt_depctr 0xfff
	v_fma_f32 v6, -v1, v4, 1.0
	v_fmac_f32_e32 v4, v6, v4
	s_delay_alu instid0(VALU_DEP_1) | instskip(NEXT) | instid1(VALU_DEP_1)
	v_mul_f32_e32 v6, v7, v4
	v_fma_f32 v8, -v1, v6, v7
	s_delay_alu instid0(VALU_DEP_1) | instskip(NEXT) | instid1(VALU_DEP_1)
	v_fmac_f32_e32 v6, v8, v4
	v_fma_f32 v1, -v1, v6, v7
	s_delay_alu instid0(VALU_DEP_1) | instskip(SKIP_1) | instid1(VALU_DEP_2)
	v_div_fmas_f32 v1, v1, v4, v6
	v_add_f32_e32 v4, 0, v3
	v_div_fixup_f32 v1, v1, v2, 1.0
	v_fma_f32 v2, v3, 0, -1.0
	s_delay_alu instid0(VALU_DEP_2) | instskip(NEXT) | instid1(VALU_DEP_2)
	v_mul_f32_e32 v3, v4, v1
	v_mul_f32_e32 v4, v2, v1
                                        ; implicit-def: $vgpr1_vgpr2
.LBB171_30:
	s_and_not1_saveexec_b32 s5, s5
	s_cbranch_execz .LBB171_32
; %bb.31:
	v_div_scale_f32 v3, null, v1, v1, v2
	v_div_scale_f32 v7, vcc_lo, v2, v1, v2
	s_delay_alu instid0(VALU_DEP_2) | instskip(SKIP_2) | instid1(VALU_DEP_1)
	v_rcp_f32_e32 v4, v3
	s_waitcnt_depctr 0xfff
	v_fma_f32 v6, -v3, v4, 1.0
	v_fmac_f32_e32 v4, v6, v4
	s_delay_alu instid0(VALU_DEP_1) | instskip(NEXT) | instid1(VALU_DEP_1)
	v_mul_f32_e32 v6, v7, v4
	v_fma_f32 v8, -v3, v6, v7
	s_delay_alu instid0(VALU_DEP_1) | instskip(NEXT) | instid1(VALU_DEP_1)
	v_fmac_f32_e32 v6, v8, v4
	v_fma_f32 v3, -v3, v6, v7
	s_delay_alu instid0(VALU_DEP_1) | instskip(NEXT) | instid1(VALU_DEP_1)
	v_div_fmas_f32 v3, v3, v4, v6
	v_div_fixup_f32 v4, v3, v1, v2
	s_delay_alu instid0(VALU_DEP_1) | instskip(NEXT) | instid1(VALU_DEP_1)
	v_fmac_f32_e32 v1, v2, v4
	v_div_scale_f32 v2, null, v1, v1, 1.0
	v_div_scale_f32 v7, vcc_lo, 1.0, v1, 1.0
	s_delay_alu instid0(VALU_DEP_2) | instskip(SKIP_2) | instid1(VALU_DEP_1)
	v_rcp_f32_e32 v3, v2
	s_waitcnt_depctr 0xfff
	v_fma_f32 v6, -v2, v3, 1.0
	v_fmac_f32_e32 v3, v6, v3
	s_delay_alu instid0(VALU_DEP_1) | instskip(NEXT) | instid1(VALU_DEP_1)
	v_mul_f32_e32 v6, v7, v3
	v_fma_f32 v8, -v2, v6, v7
	s_delay_alu instid0(VALU_DEP_1) | instskip(NEXT) | instid1(VALU_DEP_1)
	v_fmac_f32_e32 v6, v8, v3
	v_fma_f32 v2, -v2, v6, v7
	s_delay_alu instid0(VALU_DEP_1) | instskip(SKIP_1) | instid1(VALU_DEP_2)
	v_div_fmas_f32 v2, v2, v3, v6
	v_fma_f32 v3, v4, 0, 1.0
	v_div_fixup_f32 v1, v2, v1, 1.0
	s_delay_alu instid0(VALU_DEP_1)
	v_mul_f32_e32 v3, v3, v1
	v_mul_f32_e64 v4, -v4, v1
.LBB171_32:
	s_or_b32 exec_lo, exec_lo, s5
	s_mov_b32 s5, 0
	ds_store_b64 v5, v[3:4]
.LBB171_33:
	s_and_b32 vcc_lo, exec_lo, s5
	s_cbranch_vccz .LBB171_35
; %bb.34:
	v_dual_mov_b32 v1, 1.0 :: v_dual_mov_b32 v2, 0
	ds_store_b64 v5, v[1:2]
.LBB171_35:
	s_or_b32 exec_lo, exec_lo, s6
	s_lshl_b32 s6, s14, 5
	s_add_i32 s29, s29, -1
	s_sub_i32 s5, s7, s6
	s_cmp_ge_u32 s14, s29
	s_waitcnt lgkmcnt(0)
	s_cselect_b32 s5, s5, 32
	; wave barrier
	buffer_gl0_inv
	v_cmp_gt_i32_e32 vcc_lo, s5, v0
	s_mov_b32 s5, -1
	s_and_saveexec_b32 s7, vcc_lo
	s_cbranch_execz .LBB171_78
; %bb.36:
	s_load_b32 s0, s[0:1], 0x50
	v_add_nc_u32_e32 v2, s6, v0
	v_or_b32_e64 v6, 0, 4
	s_waitcnt lgkmcnt(0)
	s_delay_alu instid0(VALU_DEP_2) | instskip(SKIP_1) | instid1(SALU_CYCLE_1)
	v_mad_i64_i32 v[0:1], null, s0, v2, 0
	s_lshl_b64 s[0:1], s[10:11], 3
	s_add_u32 s6, s8, s0
	s_addc_u32 s7, s9, s1
	s_cmpk_eq_i32 s4, 0x6f
	s_delay_alu instid0(VALU_DEP_1) | instskip(NEXT) | instid1(VALU_DEP_1)
	v_lshlrev_b64 v[0:1], 3, v[0:1]
	v_add_co_u32 v4, vcc_lo, s6, v0
	s_delay_alu instid0(VALU_DEP_2)
	v_add_co_ci_u32_e32 v5, vcc_lo, s7, v1, vcc_lo
	s_cbranch_scc1 .LBB171_57
; %bb.37:
	s_add_u32 s4, s8, s0
	s_addc_u32 s5, s9, s1
	v_add_co_u32 v2, vcc_lo, s4, v0
	v_add_co_ci_u32_e32 v3, vcc_lo, s5, v1, vcc_lo
	s_lshl_b32 s14, s15, 3
	s_delay_alu instid0(VALU_DEP_2) | instskip(NEXT) | instid1(VALU_DEP_2)
	v_add_co_u32 v7, vcc_lo, v2, 4
	v_add_co_ci_u32_e32 v8, vcc_lo, 0, v3, vcc_lo
	s_mov_b32 s5, 0
	s_add_i32 s14, s14, -8
	s_mov_b32 s4, s5
	s_mov_b32 s6, s28
	s_branch .LBB171_39
.LBB171_38:                             ;   in Loop: Header=BB171_39 Depth=1
	s_cmp_lt_i32 s6, 0
	s_cselect_b32 s7, -1, 0
	s_add_i32 s4, s4, 1
	s_delay_alu instid0(SALU_CYCLE_1) | instskip(SKIP_1) | instid1(SALU_CYCLE_1)
	s_cmp_eq_u32 s4, 3
	s_cselect_b32 s10, -1, 0
	s_or_b32 s7, s7, s10
	s_delay_alu instid0(SALU_CYCLE_1)
	s_and_not1_b32 vcc_lo, exec_lo, s7
	s_cbranch_vccz .LBB171_56
.LBB171_39:                             ; =>This Loop Header: Depth=1
                                        ;     Child Loop BB171_42 Depth 2
                                        ;       Child Loop BB171_43 Depth 3
                                        ;       Child Loop BB171_45 Depth 3
                                        ;         Child Loop BB171_46 Depth 4
                                        ;       Child Loop BB171_50 Depth 3
                                        ;         Child Loop BB171_52 Depth 4
	s_getpc_b64 s[10:11]
	s_add_u32 s10, s10, __const._ZL30rocblas_trsm_small_left_deviceILi32ELi32ELb1E19rocblas_complex_numIfES1_PKPKS1_PKPS1_Ev13rocblas_fill_18rocblas_operation_17rocblas_diagonal_iiT3_T4_lilT5_lili.step_sizes@rel32@lo+4
	s_addc_u32 s11, s11, __const._ZL30rocblas_trsm_small_left_deviceILi32ELi32ELb1E19rocblas_complex_numIfES1_PKPKS1_PKPS1_Ev13rocblas_fill_18rocblas_operation_17rocblas_diagonal_iiT3_T4_lilT5_lili.step_sizes@rel32@hi+12
	s_lshl_b64 s[12:13], s[4:5], 2
	s_delay_alu instid0(SALU_CYCLE_1) | instskip(SKIP_4) | instid1(SALU_CYCLE_1)
	s_add_u32 s10, s12, s10
	s_addc_u32 s11, s13, s11
	s_load_b32 s16, s[10:11], 0x0
	s_waitcnt lgkmcnt(0)
	s_add_i32 s17, s16, -1
	s_cmp_lt_i32 s6, s17
	s_cbranch_scc1 .LBB171_38
; %bb.40:                               ;   in Loop: Header=BB171_39 Depth=1
	s_lshl_b32 s7, s6, 8
	s_lshl_b32 s10, s16, 8
	s_max_i32 s18, s16, 1
	s_add_i32 s19, s14, s7
	s_sub_i32 s20, 0, s10
	s_mul_i32 s21, s6, 0x108
	s_mul_i32 s22, s16, 0xfffffef8
	s_branch .LBB171_42
.LBB171_41:                             ;   in Loop: Header=BB171_42 Depth=2
	s_sub_i32 s6, s6, s16
	s_add_i32 s19, s19, s20
	s_add_i32 s21, s21, s22
	s_cmp_lt_i32 s6, s17
	s_cbranch_scc1 .LBB171_38
.LBB171_42:                             ;   Parent Loop BB171_39 Depth=1
                                        ; =>  This Loop Header: Depth=2
                                        ;       Child Loop BB171_43 Depth 3
                                        ;       Child Loop BB171_45 Depth 3
                                        ;         Child Loop BB171_46 Depth 4
                                        ;       Child Loop BB171_50 Depth 3
                                        ;         Child Loop BB171_52 Depth 4
	s_ashr_i32 s7, s6, 31
	s_delay_alu instid0(SALU_CYCLE_1) | instskip(NEXT) | instid1(SALU_CYCLE_1)
	s_lshl_b64 s[10:11], s[6:7], 3
	v_add_co_u32 v2, vcc_lo, v7, s10
	v_add_co_ci_u32_e32 v3, vcc_lo, s11, v8, vcc_lo
	s_mov_b32 s10, 4
	s_mov_b32 s11, s18
	.p2align	6
.LBB171_43:                             ;   Parent Loop BB171_39 Depth=1
                                        ;     Parent Loop BB171_42 Depth=2
                                        ; =>    This Inner Loop Header: Depth=3
	global_load_b64 v[9:10], v[2:3], off offset:-4
	v_add_co_u32 v2, vcc_lo, v2, -8
	v_add_co_ci_u32_e32 v3, vcc_lo, -1, v3, vcc_lo
	s_add_i32 s11, s11, -1
	s_add_i32 s12, s10, 0
	s_add_i32 s10, s10, 8
	s_cmp_eq_u32 s11, 0
	s_waitcnt vmcnt(0)
	v_mul_f32_e32 v11, s2, v10
	s_delay_alu instid0(VALU_DEP_1) | instskip(NEXT) | instid1(VALU_DEP_1)
	v_dual_mul_f32 v12, s3, v10 :: v_dual_fmac_f32 v11, s3, v9
	v_fma_f32 v10, v9, s2, -v12
	scratch_store_b64 off, v[10:11], s12 offset:-4
	s_cbranch_scc0 .LBB171_43
; %bb.44:                               ;   in Loop: Header=BB171_42 Depth=2
	s_cmp_le_i32 s28, s6
	s_mov_b32 s12, s19
	s_mov_b32 s10, s28
	s_cbranch_scc1 .LBB171_48
	.p2align	6
.LBB171_45:                             ;   Parent Loop BB171_39 Depth=1
                                        ;     Parent Loop BB171_42 Depth=2
                                        ; =>    This Loop Header: Depth=3
                                        ;         Child Loop BB171_46 Depth 4
	s_ashr_i32 s11, s10, 31
	v_mov_b32_e32 v9, v6
	s_lshl_b64 s[24:25], s[10:11], 3
	s_mov_b32 s11, s12
	v_add_co_u32 v2, vcc_lo, v4, s24
	v_add_co_ci_u32_e32 v3, vcc_lo, s25, v5, vcc_lo
	s_mov_b32 s13, s18
	global_load_b64 v[2:3], v[2:3], off
	.p2align	6
.LBB171_46:                             ;   Parent Loop BB171_39 Depth=1
                                        ;     Parent Loop BB171_42 Depth=2
                                        ;       Parent Loop BB171_45 Depth=3
                                        ; =>      This Inner Loop Header: Depth=4
	scratch_load_b64 v[10:11], v9, off offset:-4
	v_mov_b32_e32 v12, s11
	s_add_i32 s13, s13, -1
	s_addk_i32 s11, 0xff00
	s_cmp_eq_u32 s13, 0
	ds_load_b64 v[12:13], v12
	s_waitcnt vmcnt(1) lgkmcnt(0)
	v_mul_f32_e32 v14, v13, v3
	v_mul_f32_e32 v13, v13, v2
	s_delay_alu instid0(VALU_DEP_1) | instskip(SKIP_1) | instid1(VALU_DEP_1)
	v_fmac_f32_e32 v13, v12, v3
	s_waitcnt vmcnt(0)
	v_sub_f32_e32 v11, v11, v13
	v_fma_f32 v14, v12, v2, -v14
	s_delay_alu instid0(VALU_DEP_1)
	v_sub_f32_e32 v10, v10, v14
	scratch_store_b64 v9, v[10:11], off offset:-4
	v_add_nc_u32_e32 v9, 8, v9
	s_cbranch_scc0 .LBB171_46
; %bb.47:                               ;   in Loop: Header=BB171_45 Depth=3
	s_add_i32 s10, s10, -1
	s_add_i32 s12, s12, -8
	s_cmp_le_i32 s10, s6
	s_cbranch_scc0 .LBB171_45
.LBB171_48:                             ;   in Loop: Header=BB171_42 Depth=2
	s_mov_b32 s23, 0
	s_mov_b32 s24, s21
	s_branch .LBB171_50
.LBB171_49:                             ;   in Loop: Header=BB171_50 Depth=3
	s_mulk_i32 s12, 0x108
	s_lshl_b64 s[10:11], s[10:11], 3
	v_mov_b32_e32 v9, s12
	s_lshl_b32 s12, s23, 3
	s_add_i32 s23, s23, 1
	s_addk_i32 s24, 0xff00
	ds_load_b64 v[9:10], v9
	s_waitcnt vmcnt(0) lgkmcnt(0)
	v_mul_f32_e32 v11, v10, v3
	v_mul_f32_e32 v12, v9, v3
	s_delay_alu instid0(VALU_DEP_2) | instskip(NEXT) | instid1(VALU_DEP_2)
	v_fma_f32 v11, v9, v2, -v11
	v_fmac_f32_e32 v12, v10, v2
	v_add_co_u32 v2, vcc_lo, v4, s10
	v_add_co_ci_u32_e32 v3, vcc_lo, s11, v5, vcc_lo
	s_add_i32 s10, s12, 0
	s_cmp_eq_u32 s23, s18
	scratch_store_b64 off, v[11:12], s10
	global_store_b64 v[2:3], v[11:12], off
	s_cbranch_scc1 .LBB171_41
.LBB171_50:                             ;   Parent Loop BB171_39 Depth=1
                                        ;     Parent Loop BB171_42 Depth=2
                                        ; =>    This Loop Header: Depth=3
                                        ;         Child Loop BB171_52 Depth 4
	s_cmp_lg_u32 s23, 0
	s_cbranch_scc0 .LBB171_54
; %bb.51:                               ;   in Loop: Header=BB171_50 Depth=3
	s_lshl_b32 s10, s23, 3
	v_mov_b32_e32 v10, 0
	s_add_i32 s11, s10, 0
	v_add_nc_u32_e64 v9, s10, 0
	scratch_load_b64 v[2:3], off, s11
	s_mov_b32 s10, 0
	s_mov_b32 s11, s24
	.p2align	6
.LBB171_52:                             ;   Parent Loop BB171_39 Depth=1
                                        ;     Parent Loop BB171_42 Depth=2
                                        ;       Parent Loop BB171_50 Depth=3
                                        ; =>      This Inner Loop Header: Depth=4
	scratch_load_b64 v[11:12], v10, off
	v_mov_b32_e32 v13, s11
	s_add_i32 s10, s10, 1
	s_add_i32 s11, s11, -8
	s_cmp_ge_u32 s10, s23
	v_add_nc_u32_e32 v10, 8, v10
	ds_load_b64 v[13:14], v13
	s_waitcnt vmcnt(0) lgkmcnt(0)
	v_mul_f32_e32 v15, v14, v12
	v_mul_f32_e32 v12, v13, v12
	s_delay_alu instid0(VALU_DEP_2) | instskip(NEXT) | instid1(VALU_DEP_2)
	v_fma_f32 v13, v13, v11, -v15
	v_fmac_f32_e32 v12, v14, v11
	s_delay_alu instid0(VALU_DEP_1)
	v_dual_sub_f32 v2, v2, v13 :: v_dual_sub_f32 v3, v3, v12
	scratch_store_b64 v9, v[2:3], off
	s_cbranch_scc0 .LBB171_52
; %bb.53:                               ;   in Loop: Header=BB171_50 Depth=3
	s_sub_i32 s12, s6, s23
	s_delay_alu instid0(SALU_CYCLE_1) | instskip(NEXT) | instid1(SALU_CYCLE_1)
	s_ashr_i32 s13, s12, 31
	s_mov_b64 s[10:11], s[12:13]
	s_branch .LBB171_49
.LBB171_54:                             ;   in Loop: Header=BB171_50 Depth=3
                                        ; implicit-def: $vgpr2
                                        ; implicit-def: $sgpr12
                                        ; implicit-def: $sgpr10_sgpr11
	s_cbranch_execz .LBB171_49
; %bb.55:                               ;   in Loop: Header=BB171_50 Depth=3
	scratch_load_b64 v[2:3], off, off
	s_mov_b64 s[10:11], s[6:7]
	s_mov_b32 s12, s6
	s_branch .LBB171_49
.LBB171_56:
	s_mov_b32 s5, 0
.LBB171_57:
	s_delay_alu instid0(SALU_CYCLE_1)
	s_and_b32 vcc_lo, exec_lo, s5
	s_cbranch_vccz .LBB171_78
; %bb.58:
	s_add_u32 s0, s8, s0
	s_addc_u32 s1, s9, s1
	v_add_co_u32 v0, vcc_lo, s0, v0
	v_add_co_ci_u32_e32 v1, vcc_lo, s1, v1, vcc_lo
	s_mov_b32 s1, 0
	s_delay_alu instid0(VALU_DEP_2) | instskip(NEXT) | instid1(VALU_DEP_2)
	v_add_co_u32 v7, vcc_lo, v0, 4
	v_add_co_ci_u32_e32 v8, vcc_lo, 0, v1, vcc_lo
	s_mov_b32 s4, s1
	s_mov_b32 s6, s1
	s_branch .LBB171_60
.LBB171_59:                             ;   in Loop: Header=BB171_60 Depth=1
	s_cmp_ge_i32 s4, s15
	s_cselect_b32 s0, -1, 0
	s_add_i32 s6, s6, 1
	s_delay_alu instid0(SALU_CYCLE_1) | instskip(SKIP_1) | instid1(SALU_CYCLE_1)
	s_cmp_eq_u32 s6, 3
	s_cselect_b32 s5, -1, 0
	s_or_b32 s0, s0, s5
	s_delay_alu instid0(SALU_CYCLE_1)
	s_and_b32 vcc_lo, exec_lo, s0
	s_cbranch_vccnz .LBB171_78
.LBB171_60:                             ; =>This Loop Header: Depth=1
                                        ;     Child Loop BB171_63 Depth 2
                                        ;       Child Loop BB171_64 Depth 3
                                        ;       Child Loop BB171_67 Depth 3
                                        ;         Child Loop BB171_68 Depth 4
                                        ;       Child Loop BB171_72 Depth 3
                                        ;         Child Loop BB171_74 Depth 4
	s_mov_b32 s7, s1
	s_getpc_b64 s[8:9]
	s_add_u32 s8, s8, __const._ZL30rocblas_trsm_small_left_deviceILi32ELi32ELb1E19rocblas_complex_numIfES1_PKPKS1_PKPS1_Ev13rocblas_fill_18rocblas_operation_17rocblas_diagonal_iiT3_T4_lilT5_lili.step_sizes@rel32@lo+4
	s_addc_u32 s9, s9, __const._ZL30rocblas_trsm_small_left_deviceILi32ELi32ELb1E19rocblas_complex_numIfES1_PKPKS1_PKPS1_Ev13rocblas_fill_18rocblas_operation_17rocblas_diagonal_iiT3_T4_lilT5_lili.step_sizes@rel32@hi+12
	s_lshl_b64 s[10:11], s[6:7], 2
	s_delay_alu instid0(SALU_CYCLE_1) | instskip(SKIP_4) | instid1(SALU_CYCLE_1)
	s_add_u32 s8, s10, s8
	s_addc_u32 s9, s11, s9
	s_load_b32 s8, s[8:9], 0x0
	s_waitcnt lgkmcnt(0)
	s_add_i32 s7, s8, -1
	s_add_i32 s0, s7, s4
	s_delay_alu instid0(SALU_CYCLE_1)
	s_cmp_ge_i32 s0, s15
	s_cbranch_scc1 .LBB171_59
; %bb.61:                               ;   in Loop: Header=BB171_60 Depth=1
	s_ashr_i32 s5, s4, 31
	s_ashr_i32 s9, s8, 31
	s_lshl_b64 s[10:11], s[4:5], 3
	s_max_i32 s14, s8, 1
	v_add_co_u32 v0, vcc_lo, v7, s10
	v_add_co_ci_u32_e32 v1, vcc_lo, s11, v8, vcc_lo
	s_lshl_b64 s[10:11], s[8:9], 3
	s_lshl_b32 s5, s4, 3
	s_lshl_b32 s9, s8, 3
	s_mul_i32 s16, s4, 0x108
	s_mul_i32 s17, s8, 0x108
	s_branch .LBB171_63
.LBB171_62:                             ;   in Loop: Header=BB171_63 Depth=2
	v_add_co_u32 v0, vcc_lo, v0, s10
	s_add_i32 s4, s4, s8
	v_add_co_ci_u32_e32 v1, vcc_lo, s11, v1, vcc_lo
	s_add_i32 s0, s7, s4
	s_add_i32 s5, s5, s9
	;; [unrolled: 1-line block ×3, first 2 shown]
	s_cmp_ge_i32 s0, s15
	s_cbranch_scc1 .LBB171_59
.LBB171_63:                             ;   Parent Loop BB171_60 Depth=1
                                        ; =>  This Loop Header: Depth=2
                                        ;       Child Loop BB171_64 Depth 3
                                        ;       Child Loop BB171_67 Depth 3
                                        ;         Child Loop BB171_68 Depth 4
                                        ;       Child Loop BB171_72 Depth 3
                                        ;         Child Loop BB171_74 Depth 4
	v_dual_mov_b32 v3, v1 :: v_dual_mov_b32 v2, v0
	s_mov_b32 s0, 4
	s_mov_b32 s12, s14
	.p2align	6
.LBB171_64:                             ;   Parent Loop BB171_60 Depth=1
                                        ;     Parent Loop BB171_63 Depth=2
                                        ; =>    This Inner Loop Header: Depth=3
	global_load_b64 v[9:10], v[2:3], off offset:-4
	v_add_co_u32 v2, vcc_lo, v2, 8
	v_add_co_ci_u32_e32 v3, vcc_lo, 0, v3, vcc_lo
	s_add_i32 s12, s12, -1
	s_add_i32 s13, s0, 0
	s_add_i32 s0, s0, 8
	s_cmp_eq_u32 s12, 0
	s_waitcnt vmcnt(0)
	v_mul_f32_e32 v11, s2, v10
	s_delay_alu instid0(VALU_DEP_1) | instskip(NEXT) | instid1(VALU_DEP_1)
	v_dual_mul_f32 v12, s3, v10 :: v_dual_fmac_f32 v11, s3, v9
	v_fma_f32 v10, v9, s2, -v12
	scratch_store_b64 off, v[10:11], s13 offset:-4
	s_cbranch_scc0 .LBB171_64
; %bb.65:                               ;   in Loop: Header=BB171_63 Depth=2
	s_cmp_lt_i32 s4, 1
	s_cbranch_scc1 .LBB171_70
; %bb.66:                               ;   in Loop: Header=BB171_63 Depth=2
	s_mov_b32 s0, 0
	s_mov_b32 s12, s5
	.p2align	6
.LBB171_67:                             ;   Parent Loop BB171_60 Depth=1
                                        ;     Parent Loop BB171_63 Depth=2
                                        ; =>    This Loop Header: Depth=3
                                        ;         Child Loop BB171_68 Depth 4
	s_lshl_b64 s[18:19], s[0:1], 3
	v_mov_b32_e32 v9, v6
	v_add_co_u32 v2, vcc_lo, v4, s18
	v_add_co_ci_u32_e32 v3, vcc_lo, s19, v5, vcc_lo
	s_mov_b32 s13, s12
	s_mov_b32 s18, s14
	global_load_b64 v[2:3], v[2:3], off
	.p2align	6
.LBB171_68:                             ;   Parent Loop BB171_60 Depth=1
                                        ;     Parent Loop BB171_63 Depth=2
                                        ;       Parent Loop BB171_67 Depth=3
                                        ; =>      This Inner Loop Header: Depth=4
	scratch_load_b64 v[10:11], v9, off offset:-4
	v_mov_b32_e32 v12, s13
	s_add_i32 s18, s18, -1
	s_add_i32 s13, s13, 8
	s_cmp_eq_u32 s18, 0
	ds_load_b64 v[12:13], v12
	s_waitcnt vmcnt(1) lgkmcnt(0)
	v_mul_f32_e32 v14, v13, v3
	v_mul_f32_e32 v13, v13, v2
	s_delay_alu instid0(VALU_DEP_1) | instskip(SKIP_1) | instid1(VALU_DEP_1)
	v_fmac_f32_e32 v13, v12, v3
	s_waitcnt vmcnt(0)
	v_sub_f32_e32 v11, v11, v13
	v_fma_f32 v14, v12, v2, -v14
	s_delay_alu instid0(VALU_DEP_1)
	v_sub_f32_e32 v10, v10, v14
	scratch_store_b64 v9, v[10:11], off offset:-4
	v_add_nc_u32_e32 v9, 8, v9
	s_cbranch_scc0 .LBB171_68
; %bb.69:                               ;   in Loop: Header=BB171_67 Depth=3
	s_add_i32 s0, s0, 1
	s_addk_i32 s12, 0x100
	s_cmp_ge_i32 s0, s4
	s_cbranch_scc0 .LBB171_67
.LBB171_70:                             ;   in Loop: Header=BB171_63 Depth=2
	s_mov_b32 s0, 0
	s_mov_b32 s18, s16
	s_branch .LBB171_72
.LBB171_71:                             ;   in Loop: Header=BB171_72 Depth=3
	s_mul_i32 s13, s12, 0x108
	s_lshl_b32 s19, s0, 3
	v_mov_b32_e32 v9, s13
	s_ashr_i32 s13, s12, 31
	s_add_i32 s0, s0, 1
	s_lshl_b64 s[12:13], s[12:13], 3
	s_add_i32 s18, s18, 8
	ds_load_b64 v[9:10], v9
	s_waitcnt vmcnt(0) lgkmcnt(0)
	v_mul_f32_e32 v11, v10, v3
	v_mul_f32_e32 v12, v9, v3
	s_delay_alu instid0(VALU_DEP_2) | instskip(NEXT) | instid1(VALU_DEP_2)
	v_fma_f32 v11, v9, v2, -v11
	v_fmac_f32_e32 v12, v10, v2
	v_add_co_u32 v2, vcc_lo, v4, s12
	v_add_co_ci_u32_e32 v3, vcc_lo, s13, v5, vcc_lo
	s_add_i32 s12, s19, 0
	s_cmp_eq_u32 s0, s14
	scratch_store_b64 off, v[11:12], s12
	global_store_b64 v[2:3], v[11:12], off
	s_cbranch_scc1 .LBB171_62
.LBB171_72:                             ;   Parent Loop BB171_60 Depth=1
                                        ;     Parent Loop BB171_63 Depth=2
                                        ; =>    This Loop Header: Depth=3
                                        ;         Child Loop BB171_74 Depth 4
	s_cmp_lg_u32 s0, 0
	s_cbranch_scc0 .LBB171_76
; %bb.73:                               ;   in Loop: Header=BB171_72 Depth=3
	s_lshl_b32 s12, s0, 3
	v_mov_b32_e32 v10, 0
	s_add_i32 s13, s12, 0
	v_add_nc_u32_e64 v9, s12, 0
	scratch_load_b64 v[2:3], off, s13
	s_add_i32 s12, s0, s4
	s_mov_b32 s13, 0
	s_mov_b32 s19, s18
	.p2align	6
.LBB171_74:                             ;   Parent Loop BB171_60 Depth=1
                                        ;     Parent Loop BB171_63 Depth=2
                                        ;       Parent Loop BB171_72 Depth=3
                                        ; =>      This Inner Loop Header: Depth=4
	scratch_load_b64 v[11:12], v10, off
	v_mov_b32_e32 v13, s19
	s_add_i32 s13, s13, 1
	s_addk_i32 s19, 0x100
	s_cmp_ge_u32 s13, s0
	v_add_nc_u32_e32 v10, 8, v10
	ds_load_b64 v[13:14], v13
	s_waitcnt vmcnt(0) lgkmcnt(0)
	v_mul_f32_e32 v15, v14, v12
	v_mul_f32_e32 v12, v13, v12
	s_delay_alu instid0(VALU_DEP_2) | instskip(NEXT) | instid1(VALU_DEP_2)
	v_fma_f32 v13, v13, v11, -v15
	v_fmac_f32_e32 v12, v14, v11
	s_delay_alu instid0(VALU_DEP_1)
	v_dual_sub_f32 v2, v2, v13 :: v_dual_sub_f32 v3, v3, v12
	scratch_store_b64 v9, v[2:3], off
	s_cbranch_scc0 .LBB171_74
; %bb.75:                               ;   in Loop: Header=BB171_72 Depth=3
	s_branch .LBB171_71
.LBB171_76:                             ;   in Loop: Header=BB171_72 Depth=3
                                        ; implicit-def: $vgpr2
                                        ; implicit-def: $sgpr12
	s_cbranch_execz .LBB171_71
; %bb.77:                               ;   in Loop: Header=BB171_72 Depth=3
	scratch_load_b64 v[2:3], off, off
	s_mov_b32 s12, s4
	s_branch .LBB171_71
.LBB171_78:
	s_endpgm
	.section	.rodata,"a",@progbits
	.p2align	6, 0x0
	.amdhsa_kernel _ZL30rocblas_trsm_small_left_deviceILi32ELi32ELb1E19rocblas_complex_numIfES1_PKPKS1_PKPS1_Ev13rocblas_fill_18rocblas_operation_17rocblas_diagonal_iiT3_T4_lilT5_lili
		.amdhsa_group_segment_fixed_size 8192
		.amdhsa_private_segment_fixed_size 272
		.amdhsa_kernarg_size 360
		.amdhsa_user_sgpr_count 14
		.amdhsa_user_sgpr_dispatch_ptr 0
		.amdhsa_user_sgpr_queue_ptr 0
		.amdhsa_user_sgpr_kernarg_segment_ptr 1
		.amdhsa_user_sgpr_dispatch_id 0
		.amdhsa_user_sgpr_private_segment_size 0
		.amdhsa_wavefront_size32 1
		.amdhsa_uses_dynamic_stack 0
		.amdhsa_enable_private_segment 1
		.amdhsa_system_sgpr_workgroup_id_x 1
		.amdhsa_system_sgpr_workgroup_id_y 0
		.amdhsa_system_sgpr_workgroup_id_z 1
		.amdhsa_system_sgpr_workgroup_info 0
		.amdhsa_system_vgpr_workitem_id 0
		.amdhsa_next_free_vgpr 16
		.amdhsa_next_free_sgpr 34
		.amdhsa_reserve_vcc 1
		.amdhsa_float_round_mode_32 0
		.amdhsa_float_round_mode_16_64 0
		.amdhsa_float_denorm_mode_32 3
		.amdhsa_float_denorm_mode_16_64 3
		.amdhsa_dx10_clamp 1
		.amdhsa_ieee_mode 1
		.amdhsa_fp16_overflow 0
		.amdhsa_workgroup_processor_mode 1
		.amdhsa_memory_ordered 1
		.amdhsa_forward_progress 0
		.amdhsa_shared_vgpr_count 0
		.amdhsa_exception_fp_ieee_invalid_op 0
		.amdhsa_exception_fp_denorm_src 0
		.amdhsa_exception_fp_ieee_div_zero 0
		.amdhsa_exception_fp_ieee_overflow 0
		.amdhsa_exception_fp_ieee_underflow 0
		.amdhsa_exception_fp_ieee_inexact 0
		.amdhsa_exception_int_div_zero 0
	.end_amdhsa_kernel
	.section	.text._ZL30rocblas_trsm_small_left_deviceILi32ELi32ELb1E19rocblas_complex_numIfES1_PKPKS1_PKPS1_Ev13rocblas_fill_18rocblas_operation_17rocblas_diagonal_iiT3_T4_lilT5_lili,"axG",@progbits,_ZL30rocblas_trsm_small_left_deviceILi32ELi32ELb1E19rocblas_complex_numIfES1_PKPKS1_PKPS1_Ev13rocblas_fill_18rocblas_operation_17rocblas_diagonal_iiT3_T4_lilT5_lili,comdat
.Lfunc_end171:
	.size	_ZL30rocblas_trsm_small_left_deviceILi32ELi32ELb1E19rocblas_complex_numIfES1_PKPKS1_PKPS1_Ev13rocblas_fill_18rocblas_operation_17rocblas_diagonal_iiT3_T4_lilT5_lili, .Lfunc_end171-_ZL30rocblas_trsm_small_left_deviceILi32ELi32ELb1E19rocblas_complex_numIfES1_PKPKS1_PKPS1_Ev13rocblas_fill_18rocblas_operation_17rocblas_diagonal_iiT3_T4_lilT5_lili
                                        ; -- End function
	.section	.AMDGPU.csdata,"",@progbits
; Kernel info:
; codeLenInByte = 3092
; NumSgprs: 36
; NumVgprs: 16
; ScratchSize: 272
; MemoryBound: 0
; FloatMode: 240
; IeeeMode: 1
; LDSByteSize: 8192 bytes/workgroup (compile time only)
; SGPRBlocks: 4
; VGPRBlocks: 1
; NumSGPRsForWavesPerEU: 36
; NumVGPRsForWavesPerEU: 16
; Occupancy: 4
; WaveLimiterHint : 1
; COMPUTE_PGM_RSRC2:SCRATCH_EN: 1
; COMPUTE_PGM_RSRC2:USER_SGPR: 14
; COMPUTE_PGM_RSRC2:TRAP_HANDLER: 0
; COMPUTE_PGM_RSRC2:TGID_X_EN: 1
; COMPUTE_PGM_RSRC2:TGID_Y_EN: 0
; COMPUTE_PGM_RSRC2:TGID_Z_EN: 1
; COMPUTE_PGM_RSRC2:TIDIG_COMP_CNT: 0
	.section	.text._ZL31rocblas_trsm_small_right_deviceI19rocblas_complex_numIfES1_PKPKS1_PKPS1_Li32EEv13rocblas_fill_18rocblas_operation_17rocblas_diagonal_iiT0_T1_lilT2_lili,"axG",@progbits,_ZL31rocblas_trsm_small_right_deviceI19rocblas_complex_numIfES1_PKPKS1_PKPS1_Li32EEv13rocblas_fill_18rocblas_operation_17rocblas_diagonal_iiT0_T1_lilT2_lili,comdat
	.globl	_ZL31rocblas_trsm_small_right_deviceI19rocblas_complex_numIfES1_PKPKS1_PKPS1_Li32EEv13rocblas_fill_18rocblas_operation_17rocblas_diagonal_iiT0_T1_lilT2_lili ; -- Begin function _ZL31rocblas_trsm_small_right_deviceI19rocblas_complex_numIfES1_PKPKS1_PKPS1_Li32EEv13rocblas_fill_18rocblas_operation_17rocblas_diagonal_iiT0_T1_lilT2_lili
	.p2align	8
	.type	_ZL31rocblas_trsm_small_right_deviceI19rocblas_complex_numIfES1_PKPKS1_PKPS1_Li32EEv13rocblas_fill_18rocblas_operation_17rocblas_diagonal_iiT0_T1_lilT2_lili,@function
_ZL31rocblas_trsm_small_right_deviceI19rocblas_complex_numIfES1_PKPKS1_PKPS1_Li32EEv13rocblas_fill_18rocblas_operation_17rocblas_diagonal_iiT0_T1_lilT2_lili: ; @_ZL31rocblas_trsm_small_right_deviceI19rocblas_complex_numIfES1_PKPKS1_PKPS1_Li32EEv13rocblas_fill_18rocblas_operation_17rocblas_diagonal_iiT0_T1_lilT2_lili
; %bb.0:
	s_clause 0x1
	s_load_b128 s[16:19], s[0:1], 0x40
	s_load_b256 s[4:11], s[0:1], 0x0
	s_mov_b32 s12, s15
	s_mov_b32 s13, 0
	s_load_b32 s15, s[0:1], 0x68
	s_lshl_b64 s[24:25], s[12:13], 3
	s_mov_b32 s31, exec_lo
	s_waitcnt lgkmcnt(0)
	s_add_u32 s2, s16, s24
	s_addc_u32 s3, s17, s25
	s_min_i32 s11, s8, 32
	s_load_b64 s[2:3], s[2:3], 0x0
	s_add_i32 s30, s11, -1
	v_cmpx_gt_i32_e64 s11, v0
	s_cbranch_execz .LBB172_29
; %bb.1:
	s_clause 0x1
	s_load_b32 s16, s[0:1], 0x30
	s_load_b128 s[20:23], s[0:1], 0x20
	s_waitcnt lgkmcnt(0)
	s_ashr_i32 s17, s16, 31
	s_cmpk_lg_i32 s5, 0x71
	s_cselect_b32 s12, -1, 0
	s_add_u32 s20, s20, s24
	s_addc_u32 s21, s21, s25
	v_cndmask_b32_e64 v7, 0, 1, s12
	s_load_b64 s[20:21], s[20:21], 0x0
	s_cmp_lt_u32 s30, 3
	s_cbranch_scc1 .LBB172_20
; %bb.2:
	v_lshlrev_b32_e32 v8, 3, v0
	s_lshl_b64 s[24:25], s[22:23], 3
	s_mul_hi_i32 s33, s16, 24
	s_waitcnt lgkmcnt(0)
	s_add_u32 s13, s20, s24
	s_addc_u32 s24, s21, s25
	v_add_co_u32 v1, s13, s13, v8
	s_delay_alu instid0(VALU_DEP_1)
	v_add_co_ci_u32_e64 v2, null, s24, 0, s13
	s_and_b32 s13, s11, -4
	s_mul_i32 s34, s16, 24
	s_lshl_b64 s[24:25], s[16:17], 5
	s_lshl_b64 s[26:27], s[16:17], 4
	;; [unrolled: 1-line block ×3, first 2 shown]
	s_mov_b32 s35, 0
	s_branch .LBB172_4
.LBB172_3:                              ;   in Loop: Header=BB172_4 Depth=1
	global_load_b32 v3, v[5:6], off
	v_add_co_u32 v1, vcc_lo, v1, s24
	v_add_co_ci_u32_e32 v2, vcc_lo, s25, v2, vcc_lo
	s_add_i32 s35, s35, 4
	s_delay_alu instid0(SALU_CYCLE_1)
	s_cmp_eq_u32 s13, s35
	s_waitcnt vmcnt(0)
	ds_store_b64 v8, v[3:4] offset:768
	v_add_nc_u32_e32 v8, 0x400, v8
	s_cbranch_scc1 .LBB172_20
.LBB172_4:                              ; =>This Inner Loop Header: Depth=1
	s_and_b32 vcc_lo, exec_lo, s12
	s_cbranch_vccz .LBB172_6
; %bb.5:                                ;   in Loop: Header=BB172_4 Depth=1
	global_load_b32 v4, v[1:2], off offset:4
	s_cbranch_execz .LBB172_7
	s_branch .LBB172_8
.LBB172_6:                              ;   in Loop: Header=BB172_4 Depth=1
                                        ; implicit-def: $vgpr4
.LBB172_7:                              ;   in Loop: Header=BB172_4 Depth=1
	global_load_b32 v3, v[1:2], off offset:4
	s_waitcnt vmcnt(0)
	v_xor_b32_e32 v4, 0x80000000, v3
.LBB172_8:                              ;   in Loop: Header=BB172_4 Depth=1
	global_load_b32 v3, v[1:2], off
	v_add_co_u32 v5, vcc_lo, v1, s28
	v_add_co_ci_u32_e32 v6, vcc_lo, s29, v2, vcc_lo
	s_and_not1_b32 vcc_lo, exec_lo, s12
	s_waitcnt vmcnt(0)
	ds_store_b64 v8, v[3:4]
	s_cbranch_vccnz .LBB172_10
; %bb.9:                                ;   in Loop: Header=BB172_4 Depth=1
	global_load_b32 v4, v[5:6], off offset:4
	s_cbranch_execz .LBB172_11
	s_branch .LBB172_12
.LBB172_10:                             ;   in Loop: Header=BB172_4 Depth=1
                                        ; implicit-def: $vgpr4
.LBB172_11:                             ;   in Loop: Header=BB172_4 Depth=1
	global_load_b32 v3, v[5:6], off offset:4
	s_waitcnt vmcnt(0)
	v_xor_b32_e32 v4, 0x80000000, v3
.LBB172_12:                             ;   in Loop: Header=BB172_4 Depth=1
	global_load_b32 v3, v[5:6], off
	v_add_co_u32 v5, vcc_lo, v1, s26
	v_add_co_ci_u32_e32 v6, vcc_lo, s27, v2, vcc_lo
	s_and_not1_b32 vcc_lo, exec_lo, s12
	s_waitcnt vmcnt(0)
	ds_store_b64 v8, v[3:4] offset:256
	s_cbranch_vccnz .LBB172_14
; %bb.13:                               ;   in Loop: Header=BB172_4 Depth=1
	global_load_b32 v4, v[5:6], off offset:4
	s_cbranch_execz .LBB172_15
	s_branch .LBB172_16
.LBB172_14:                             ;   in Loop: Header=BB172_4 Depth=1
                                        ; implicit-def: $vgpr4
.LBB172_15:                             ;   in Loop: Header=BB172_4 Depth=1
	global_load_b32 v3, v[5:6], off offset:4
	s_waitcnt vmcnt(0)
	v_xor_b32_e32 v4, 0x80000000, v3
.LBB172_16:                             ;   in Loop: Header=BB172_4 Depth=1
	global_load_b32 v3, v[5:6], off
	v_add_co_u32 v5, vcc_lo, v1, s34
	v_add_co_ci_u32_e32 v6, vcc_lo, s33, v2, vcc_lo
	s_and_not1_b32 vcc_lo, exec_lo, s12
	s_waitcnt vmcnt(0)
	ds_store_b64 v8, v[3:4] offset:512
	s_cbranch_vccnz .LBB172_18
; %bb.17:                               ;   in Loop: Header=BB172_4 Depth=1
	global_load_b32 v4, v[5:6], off offset:4
	s_cbranch_execnz .LBB172_3
	s_branch .LBB172_19
.LBB172_18:                             ;   in Loop: Header=BB172_4 Depth=1
                                        ; implicit-def: $vgpr4
.LBB172_19:                             ;   in Loop: Header=BB172_4 Depth=1
	global_load_b32 v3, v[5:6], off offset:4
	s_waitcnt vmcnt(0)
	v_xor_b32_e32 v4, 0x80000000, v3
	s_branch .LBB172_3
.LBB172_20:
	s_and_b32 s24, s11, 3
	s_delay_alu instid0(SALU_CYCLE_1)
	s_cmp_eq_u32 s24, 0
	s_cbranch_scc1 .LBB172_27
; %bb.21:
	s_mul_i32 s12, s17, s13
	s_mul_hi_u32 s25, s16, s13
	s_mul_i32 s26, s16, s13
	s_add_i32 s27, s25, s12
	s_lshl_b64 s[22:23], s[22:23], 3
	s_lshl_b64 s[26:27], s[26:27], 3
	v_lshlrev_b32_e32 v1, 3, v0
	s_add_u32 s12, s26, s22
	s_addc_u32 s22, s27, s23
	s_waitcnt lgkmcnt(0)
	s_add_u32 s12, s20, s12
	s_addc_u32 s20, s21, s22
	v_add_co_u32 v2, s12, s12, v1
	s_delay_alu instid0(VALU_DEP_1) | instskip(SKIP_1) | instid1(VALU_DEP_3)
	v_add_co_ci_u32_e64 v3, null, s20, 0, s12
	v_lshl_or_b32 v5, s13, 8, v1
	v_add_co_u32 v1, vcc_lo, v2, 4
	s_delay_alu instid0(VALU_DEP_3)
	v_add_co_ci_u32_e32 v2, vcc_lo, 0, v3, vcc_lo
	s_lshl_b64 s[12:13], s[16:17], 3
	s_set_inst_prefetch_distance 0x1
	s_branch .LBB172_23
	.p2align	6
.LBB172_22:                             ;   in Loop: Header=BB172_23 Depth=1
	global_load_b32 v3, v[1:2], off offset:-4
	v_add_co_u32 v1, vcc_lo, v1, s12
	v_add_co_ci_u32_e32 v2, vcc_lo, s13, v2, vcc_lo
	s_add_i32 s24, s24, -1
	s_delay_alu instid0(SALU_CYCLE_1)
	s_cmp_lg_u32 s24, 0
	s_waitcnt vmcnt(0)
	ds_store_b64 v5, v[3:4]
	v_add_nc_u32_e32 v5, 0x100, v5
	s_cbranch_scc0 .LBB172_27
.LBB172_23:                             ; =>This Inner Loop Header: Depth=1
	v_cmp_ne_u32_e32 vcc_lo, 1, v7
	s_mov_b32 s16, -1
                                        ; implicit-def: $vgpr4
	s_cbranch_vccnz .LBB172_25
; %bb.24:                               ;   in Loop: Header=BB172_23 Depth=1
	global_load_b32 v4, v[1:2], off
	s_mov_b32 s16, 0
.LBB172_25:                             ;   in Loop: Header=BB172_23 Depth=1
	s_delay_alu instid0(SALU_CYCLE_1)
	s_and_not1_b32 vcc_lo, exec_lo, s16
	s_cbranch_vccnz .LBB172_22
; %bb.26:                               ;   in Loop: Header=BB172_23 Depth=1
	global_load_b32 v3, v[1:2], off
	s_waitcnt vmcnt(0)
	v_xor_b32_e32 v4, 0x80000000, v3
	s_branch .LBB172_22
.LBB172_27:
	s_set_inst_prefetch_distance 0x2
	s_cmpk_eq_i32 s6, 0x84
	s_cbranch_scc0 .LBB172_29
; %bb.28:
	v_mul_u32_u24_e32 v2, 33, v0
	v_mov_b32_e32 v1, 1.0
	s_delay_alu instid0(VALU_DEP_2)
	v_dual_mov_b32 v2, 0 :: v_dual_lshlrev_b32 v3, 3, v2
	ds_store_b64 v3, v[1:2]
.LBB172_29:
	s_or_b32 exec_lo, exec_lo, s31
	s_lshl_b64 s[12:13], s[18:19], 3
	s_load_b32 s0, s[0:1], 0x50
	s_waitcnt lgkmcnt(0)
	s_add_u32 s1, s2, s12
	s_addc_u32 s16, s3, s13
	s_lshl_b32 s6, s14, 5
	s_add_i32 s15, s15, -1
	s_sub_i32 s6, s7, s6
	s_cmp_ge_u32 s14, s15
	s_mov_b32 s22, 0
	s_cselect_b32 s17, s6, 32
	s_ashr_i32 s15, s14, 31
	v_cmp_gt_i32_e32 vcc_lo, s17, v0
	s_lshl_b64 s[6:7], s[14:15], 8
	s_delay_alu instid0(SALU_CYCLE_1) | instskip(SKIP_3) | instid1(SALU_CYCLE_1)
	s_add_u32 s18, s1, s6
	s_addc_u32 s19, s16, s7
	s_cmp_gt_i32 s8, 0
	s_cselect_b32 s1, -1, 0
	s_and_b32 s20, vcc_lo, s1
	s_delay_alu instid0(SALU_CYCLE_1)
	s_and_saveexec_b32 s21, s20
	s_cbranch_execz .LBB172_36
; %bb.30:
	s_ashr_i32 s1, s0, 31
	s_cmp_lt_u32 s8, 4
	s_cbranch_scc1 .LBB172_33
; %bb.31:
	v_lshlrev_b32_e32 v1, 3, v0
	v_lshl_or_b32 v3, v0, 3, 0x2000
	s_and_b32 s22, s8, 0x7ffffffc
	s_lshl_b64 s[16:17], s[0:1], 3
	s_mov_b32 s23, 0
	v_add_co_u32 v1, s14, s18, v1
	s_delay_alu instid0(VALU_DEP_1)
	v_add_co_ci_u32_e64 v2, null, s19, 0, s14
	s_lshl_b64 s[14:15], s[0:1], 5
.LBB172_32:                             ; =>This Inner Loop Header: Depth=1
	s_delay_alu instid0(VALU_DEP_2) | instskip(NEXT) | instid1(VALU_DEP_2)
	v_add_co_u32 v4, vcc_lo, v1, s16
	v_add_co_ci_u32_e32 v5, vcc_lo, s17, v2, vcc_lo
	global_load_b64 v[6:7], v[1:2], off
	v_add_co_u32 v8, vcc_lo, v4, s16
	v_add_co_ci_u32_e32 v9, vcc_lo, s17, v5, vcc_lo
	global_load_b64 v[4:5], v[4:5], off
	v_add_co_u32 v10, vcc_lo, v8, s16
	v_add_co_ci_u32_e32 v11, vcc_lo, s17, v9, vcc_lo
	v_add_co_u32 v1, vcc_lo, v1, s14
	s_clause 0x1
	global_load_b64 v[8:9], v[8:9], off
	global_load_b64 v[10:11], v[10:11], off
	v_add_co_ci_u32_e32 v2, vcc_lo, s15, v2, vcc_lo
	s_add_i32 s23, s23, 4
	s_delay_alu instid0(SALU_CYCLE_1)
	s_cmp_lg_u32 s22, s23
	s_waitcnt vmcnt(3)
	v_mul_f32_e32 v12, s10, v7
	s_waitcnt vmcnt(2)
	v_dual_mul_f32 v13, s9, v7 :: v_dual_mul_f32 v14, s10, v5
	v_mul_f32_e32 v7, s9, v5
	s_delay_alu instid0(VALU_DEP_3) | instskip(NEXT) | instid1(VALU_DEP_3)
	v_fma_f32 v12, s9, v6, -v12
	v_fmac_f32_e32 v13, s10, v6
	s_delay_alu instid0(VALU_DEP_4)
	v_fma_f32 v6, s9, v4, -v14
	s_waitcnt vmcnt(0)
	v_dual_fmac_f32 v7, s10, v4 :: v_dual_mul_f32 v14, s10, v11
	v_mul_f32_e32 v4, s10, v9
	v_mul_f32_e32 v5, s9, v9
	;; [unrolled: 1-line block ×3, first 2 shown]
	s_delay_alu instid0(VALU_DEP_3) | instskip(NEXT) | instid1(VALU_DEP_3)
	v_fma_f32 v4, s9, v8, -v4
	v_fmac_f32_e32 v5, s10, v8
	v_fma_f32 v8, s9, v10, -v14
	s_delay_alu instid0(VALU_DEP_4)
	v_fmac_f32_e32 v9, s10, v10
	ds_store_2addr_b64 v3, v[12:13], v[6:7] offset1:32
	ds_store_2addr_b64 v3, v[4:5], v[8:9] offset0:64 offset1:96
	v_add_nc_u32_e32 v3, 0x400, v3
	s_cbranch_scc1 .LBB172_32
.LBB172_33:
	s_and_b32 s16, s8, 3
	s_delay_alu instid0(SALU_CYCLE_1)
	s_cmp_eq_u32 s16, 0
	s_cbranch_scc1 .LBB172_36
; %bb.34:
	s_mul_hi_i32 s15, s0, s22
	s_mul_i32 s14, s0, s22
	v_lshlrev_b32_e32 v1, 3, v0
	s_lshl_b64 s[14:15], s[14:15], 3
	s_delay_alu instid0(SALU_CYCLE_1)
	s_add_u32 s14, s14, s6
	s_addc_u32 s15, s15, s7
	s_add_u32 s14, s14, s12
	s_addc_u32 s15, s15, s13
	s_add_u32 s14, s2, s14
	v_lshl_or_b32 v2, s22, 8, v1
	s_addc_u32 s15, s3, s15
	v_add_co_u32 v1, s14, s14, v1
	s_delay_alu instid0(VALU_DEP_1) | instskip(NEXT) | instid1(VALU_DEP_3)
	v_add_co_ci_u32_e64 v4, null, s15, 0, s14
	v_add_nc_u32_e32 v3, 0x2000, v2
	s_delay_alu instid0(VALU_DEP_3) | instskip(NEXT) | instid1(VALU_DEP_3)
	v_add_co_u32 v1, vcc_lo, v1, 4
	v_add_co_ci_u32_e32 v2, vcc_lo, 0, v4, vcc_lo
	s_lshl_b64 s[14:15], s[0:1], 3
	.p2align	6
.LBB172_35:                             ; =>This Inner Loop Header: Depth=1
	global_load_b64 v[4:5], v[1:2], off offset:-4
	v_add_co_u32 v1, vcc_lo, v1, s14
	v_add_co_ci_u32_e32 v2, vcc_lo, s15, v2, vcc_lo
	s_add_i32 s16, s16, -1
	s_delay_alu instid0(SALU_CYCLE_1) | instskip(SKIP_2) | instid1(VALU_DEP_1)
	s_cmp_lg_u32 s16, 0
	s_waitcnt vmcnt(0)
	v_mul_f32_e32 v6, s9, v5
	v_dual_mul_f32 v7, s10, v5 :: v_dual_fmac_f32 v6, s10, v4
	s_delay_alu instid0(VALU_DEP_1)
	v_fma_f32 v5, s9, v4, -v7
	ds_store_b64 v3, v[5:6]
	v_add_nc_u32_e32 v3, 0x100, v3
	s_cbranch_scc1 .LBB172_35
.LBB172_36:
	s_or_b32 exec_lo, exec_lo, s21
	s_cmpk_eq_i32 s5, 0x6f
	s_waitcnt lgkmcnt(0)
	s_cselect_b32 s1, -1, 0
	s_cmpk_eq_i32 s4, 0x79
	; wave barrier
	buffer_gl0_inv
	s_cselect_b32 s9, -1, 0
	s_cmpk_lg_i32 s4, 0x79
	s_cselect_b32 s5, -1, 0
	s_and_b32 s9, s9, s1
	s_delay_alu instid0(SALU_CYCLE_1)
	s_and_not1_b32 vcc_lo, exec_lo, s9
	s_mov_b32 s9, -1
	s_cbranch_vccz .LBB172_144
; %bb.37:
	s_cmpk_lg_i32 s4, 0x7a
	s_cselect_b32 s4, -1, 0
	s_xor_b32 s1, s1, -1
	s_delay_alu instid0(SALU_CYCLE_1)
	s_or_b32 s4, s4, s1
	s_cmp_gt_i32 s8, 3
	s_cselect_b32 s1, -1, 0
	s_and_b32 vcc_lo, exec_lo, s4
	s_mov_b32 s4, -1
	s_cbranch_vccz .LBB172_111
; %bb.38:
	s_and_not1_b32 vcc_lo, exec_lo, s5
	s_cbranch_vccnz .LBB172_78
; %bb.39:
	s_and_not1_b32 vcc_lo, exec_lo, s1
	s_mov_b32 s9, 0
	s_cbranch_vccnz .LBB172_62
; %bb.40:
	v_lshl_or_b32 v13, v0, 3, 0x2000
	s_mov_b32 s4, 0
	s_mov_b32 s5, 0
.LBB172_41:                             ; =>This Loop Header: Depth=1
                                        ;     Child Loop BB172_43 Depth 2
	s_delay_alu instid0(SALU_CYCLE_1)
	s_lshl_b32 s9, s5, 5
	s_lshl_b32 s14, s5, 8
	s_or_b32 s10, s9, 32
	v_or_b32_e32 v1, s9, v0
	s_or_b32 s9, s9, 64
	v_or_b32_e32 v2, s10, v0
	v_or_b32_e32 v5, s9, v0
	v_lshl_or_b32 v10, v0, 3, s14
	v_lshlrev_b32_e32 v3, 3, v1
	s_cmp_eq_u32 s5, 0
	v_lshlrev_b32_e32 v4, 3, v2
	v_lshlrev_b32_e32 v9, 3, v5
	ds_load_b64 v[1:2], v3 offset:8192
	ds_load_b64 v[11:12], v4 offset:8192
	;; [unrolled: 1-line block ×4, first 2 shown]
	s_cbranch_scc1 .LBB172_44
; %bb.42:                               ;   in Loop: Header=BB172_41 Depth=1
	v_mov_b32_e32 v14, v13
	s_mov_b32 s14, 0
	s_mov_b32 s15, s4
.LBB172_43:                             ;   Parent Loop BB172_41 Depth=1
                                        ; =>  This Inner Loop Header: Depth=2
	s_delay_alu instid0(SALU_CYCLE_1)
	v_mov_b32_e32 v31, s15
	ds_load_2addr_b64 v[15:18], v14 offset1:32
	v_add_nc_u32_e32 v14, 0x200, v14
	s_add_i32 s14, s14, 2
	s_addk_i32 s15, 0x200
	ds_load_b128 v[19:22], v31
	ds_load_b128 v[23:26], v31 offset:16
	ds_load_b128 v[27:30], v31 offset:256
	;; [unrolled: 1-line block ×3, first 2 shown]
	s_cmp_ge_u32 s14, s5
	s_waitcnt lgkmcnt(3)
	v_mul_f32_e32 v36, v19, v16
	v_mul_f32_e32 v37, v22, v16
	v_dual_mul_f32 v35, v20, v16 :: v_dual_mul_f32 v22, v22, v15
	s_waitcnt lgkmcnt(1)
	v_dual_mul_f32 v38, v24, v16 :: v_dual_mul_f32 v41, v27, v18
	v_dual_mul_f32 v24, v24, v15 :: v_dual_mul_f32 v39, v26, v16
	v_mul_f32_e32 v40, v28, v18
	s_waitcnt lgkmcnt(0)
	v_mul_f32_e32 v43, v32, v18
	v_fmac_f32_e32 v36, v20, v15
	v_fma_f32 v20, v21, v15, -v37
	v_dual_mul_f32 v26, v26, v15 :: v_dual_fmac_f32 v41, v28, v17
	v_fma_f32 v19, v19, v15, -v35
	v_mul_f32_e32 v42, v30, v18
	s_delay_alu instid0(VALU_DEP_4)
	v_dual_mul_f32 v30, v30, v17 :: v_dual_sub_f32 v11, v11, v20
	v_fmac_f32_e32 v22, v21, v16
	v_fma_f32 v21, v23, v15, -v38
	v_mul_f32_e32 v44, v34, v18
	v_fma_f32 v15, v25, v15, -v39
	v_mul_f32_e32 v32, v32, v17
	v_fmac_f32_e32 v26, v25, v16
	v_fma_f32 v25, v31, v17, -v43
	v_sub_f32_e32 v1, v1, v19
	v_dual_sub_f32 v5, v5, v15 :: v_dual_fmac_f32 v24, v23, v16
	v_fma_f32 v16, v27, v17, -v40
	v_mul_f32_e32 v34, v34, v17
	v_fma_f32 v23, v29, v17, -v42
	v_sub_f32_e32 v7, v7, v21
	v_fma_f32 v17, v33, v17, -v44
	v_sub_f32_e32 v1, v1, v16
	v_fmac_f32_e32 v30, v29, v18
	v_fmac_f32_e32 v32, v31, v18
	;; [unrolled: 1-line block ×3, first 2 shown]
	v_dual_sub_f32 v6, v6, v26 :: v_dual_sub_f32 v11, v11, v23
	v_dual_sub_f32 v12, v12, v22 :: v_dual_sub_f32 v7, v7, v25
	;; [unrolled: 1-line block ×3, first 2 shown]
	v_sub_f32_e32 v8, v8, v24
	s_delay_alu instid0(VALU_DEP_3) | instskip(SKIP_1) | instid1(VALU_DEP_4)
	v_sub_f32_e32 v12, v12, v30
	v_sub_f32_e32 v6, v6, v34
	;; [unrolled: 1-line block ×3, first 2 shown]
	s_delay_alu instid0(VALU_DEP_4)
	v_sub_f32_e32 v8, v8, v32
	s_cbranch_scc0 .LBB172_43
.LBB172_44:                             ;   in Loop: Header=BB172_41 Depth=1
	s_mul_i32 s14, s5, 0x108
	v_add_nc_u32_e32 v17, 0x2000, v3
	v_dual_mov_b32 v3, s14 :: v_dual_add_nc_u32 v16, 0x2000, v4
	v_add_nc_u32_e32 v15, 0x2000, v9
	v_add_nc_u32_e32 v14, 0x2300, v10
	ds_load_b64 v[3:4], v3
	s_waitcnt lgkmcnt(0)
	v_cmp_gt_f32_e32 vcc_lo, 0, v3
	v_cndmask_b32_e64 v9, v3, -v3, vcc_lo
	v_cmp_gt_f32_e32 vcc_lo, 0, v4
	v_cndmask_b32_e64 v10, v4, -v4, vcc_lo
	s_delay_alu instid0(VALU_DEP_1)
	v_cmp_ngt_f32_e32 vcc_lo, v9, v10
	s_cbranch_vccz .LBB172_46
; %bb.45:                               ;   in Loop: Header=BB172_41 Depth=1
	v_div_scale_f32 v9, null, v4, v4, v3
	v_div_scale_f32 v19, vcc_lo, v3, v4, v3
	s_delay_alu instid0(VALU_DEP_2) | instskip(SKIP_2) | instid1(VALU_DEP_1)
	v_rcp_f32_e32 v10, v9
	s_waitcnt_depctr 0xfff
	v_fma_f32 v18, -v9, v10, 1.0
	v_fmac_f32_e32 v10, v18, v10
	s_delay_alu instid0(VALU_DEP_1) | instskip(NEXT) | instid1(VALU_DEP_1)
	v_mul_f32_e32 v18, v19, v10
	v_fma_f32 v20, -v9, v18, v19
	s_delay_alu instid0(VALU_DEP_1) | instskip(NEXT) | instid1(VALU_DEP_1)
	v_fmac_f32_e32 v18, v20, v10
	v_fma_f32 v9, -v9, v18, v19
	s_delay_alu instid0(VALU_DEP_1) | instskip(NEXT) | instid1(VALU_DEP_1)
	v_div_fmas_f32 v9, v9, v10, v18
	v_div_fixup_f32 v9, v9, v4, v3
	s_delay_alu instid0(VALU_DEP_1) | instskip(NEXT) | instid1(VALU_DEP_1)
	v_fma_f32 v10, v3, v9, v4
	v_div_scale_f32 v18, null, v10, v10, 1.0
	v_div_scale_f32 v21, vcc_lo, 1.0, v10, 1.0
	s_delay_alu instid0(VALU_DEP_2) | instskip(SKIP_2) | instid1(VALU_DEP_1)
	v_rcp_f32_e32 v19, v18
	s_waitcnt_depctr 0xfff
	v_fma_f32 v20, -v18, v19, 1.0
	v_fmac_f32_e32 v19, v20, v19
	s_delay_alu instid0(VALU_DEP_1) | instskip(NEXT) | instid1(VALU_DEP_1)
	v_mul_f32_e32 v20, v21, v19
	v_fma_f32 v22, -v18, v20, v21
	s_delay_alu instid0(VALU_DEP_1) | instskip(NEXT) | instid1(VALU_DEP_1)
	v_fmac_f32_e32 v20, v22, v19
	v_fma_f32 v18, -v18, v20, v21
	s_delay_alu instid0(VALU_DEP_1) | instskip(SKIP_1) | instid1(VALU_DEP_2)
	v_div_fmas_f32 v18, v18, v19, v20
	v_fma_f32 v19, v1, v9, v2
	v_div_fixup_f32 v10, v18, v10, 1.0
	v_fma_f32 v18, v2, v9, -v1
	s_delay_alu instid0(VALU_DEP_2) | instskip(NEXT) | instid1(VALU_DEP_2)
	v_mul_f32_e32 v9, v19, v10
	v_mul_f32_e32 v10, v18, v10
	s_cbranch_execz .LBB172_47
	s_branch .LBB172_48
.LBB172_46:                             ;   in Loop: Header=BB172_41 Depth=1
                                        ; implicit-def: $vgpr10
.LBB172_47:                             ;   in Loop: Header=BB172_41 Depth=1
	v_div_scale_f32 v9, null, v3, v3, v4
	v_div_scale_f32 v19, vcc_lo, v4, v3, v4
	s_delay_alu instid0(VALU_DEP_2) | instskip(SKIP_2) | instid1(VALU_DEP_1)
	v_rcp_f32_e32 v10, v9
	s_waitcnt_depctr 0xfff
	v_fma_f32 v18, -v9, v10, 1.0
	v_fmac_f32_e32 v10, v18, v10
	s_delay_alu instid0(VALU_DEP_1) | instskip(NEXT) | instid1(VALU_DEP_1)
	v_mul_f32_e32 v18, v19, v10
	v_fma_f32 v20, -v9, v18, v19
	s_delay_alu instid0(VALU_DEP_1) | instskip(NEXT) | instid1(VALU_DEP_1)
	v_fmac_f32_e32 v18, v20, v10
	v_fma_f32 v9, -v9, v18, v19
	s_delay_alu instid0(VALU_DEP_1) | instskip(NEXT) | instid1(VALU_DEP_1)
	v_div_fmas_f32 v9, v9, v10, v18
	v_div_fixup_f32 v9, v9, v3, v4
	s_delay_alu instid0(VALU_DEP_1) | instskip(NEXT) | instid1(VALU_DEP_1)
	v_fmac_f32_e32 v3, v4, v9
	v_div_scale_f32 v4, null, v3, v3, 1.0
	v_div_scale_f32 v19, vcc_lo, 1.0, v3, 1.0
	s_delay_alu instid0(VALU_DEP_2) | instskip(SKIP_2) | instid1(VALU_DEP_1)
	v_rcp_f32_e32 v10, v4
	s_waitcnt_depctr 0xfff
	v_fma_f32 v18, -v4, v10, 1.0
	v_fmac_f32_e32 v10, v18, v10
	s_delay_alu instid0(VALU_DEP_1) | instskip(NEXT) | instid1(VALU_DEP_1)
	v_mul_f32_e32 v18, v19, v10
	v_fma_f32 v20, -v4, v18, v19
	s_delay_alu instid0(VALU_DEP_1) | instskip(NEXT) | instid1(VALU_DEP_1)
	v_fmac_f32_e32 v18, v20, v10
	v_fma_f32 v4, -v4, v18, v19
	s_delay_alu instid0(VALU_DEP_1) | instskip(SKIP_2) | instid1(VALU_DEP_3)
	v_div_fmas_f32 v4, v4, v10, v18
	v_fma_f32 v10, v2, v9, v1
	v_fma_f32 v1, -v1, v9, v2
	v_div_fixup_f32 v3, v4, v3, 1.0
	s_delay_alu instid0(VALU_DEP_1) | instskip(NEXT) | instid1(VALU_DEP_3)
	v_mul_f32_e32 v9, v10, v3
	v_mul_f32_e32 v10, v1, v3
.LBB172_48:                             ;   in Loop: Header=BB172_41 Depth=1
	v_mov_b32_e32 v1, s14
	ds_store_b64 v17, v[9:10]
	ds_load_2addr_b64 v[1:4], v1 offset0:1 offset1:33
	s_waitcnt lgkmcnt(0)
	v_mul_f32_e32 v18, v10, v2
	v_cmp_gt_f32_e32 vcc_lo, 0, v3
	v_mul_f32_e32 v2, v9, v2
	s_delay_alu instid0(VALU_DEP_3) | instskip(SKIP_2) | instid1(VALU_DEP_3)
	v_fma_f32 v18, v9, v1, -v18
	v_cndmask_b32_e64 v19, v3, -v3, vcc_lo
	v_cmp_gt_f32_e32 vcc_lo, 0, v4
	v_dual_fmac_f32 v2, v10, v1 :: v_dual_sub_f32 v1, v11, v18
	v_cndmask_b32_e64 v20, v4, -v4, vcc_lo
	s_delay_alu instid0(VALU_DEP_2) | instskip(NEXT) | instid1(VALU_DEP_2)
	v_sub_f32_e32 v2, v12, v2
	v_cmp_ngt_f32_e32 vcc_lo, v19, v20
	s_cbranch_vccz .LBB172_50
; %bb.49:                               ;   in Loop: Header=BB172_41 Depth=1
	v_div_scale_f32 v11, null, v4, v4, v3
	v_div_scale_f32 v18, vcc_lo, v3, v4, v3
	s_delay_alu instid0(VALU_DEP_2) | instskip(SKIP_2) | instid1(VALU_DEP_1)
	v_rcp_f32_e32 v12, v11
	s_waitcnt_depctr 0xfff
	v_fma_f32 v17, -v11, v12, 1.0
	v_fmac_f32_e32 v12, v17, v12
	s_delay_alu instid0(VALU_DEP_1) | instskip(NEXT) | instid1(VALU_DEP_1)
	v_mul_f32_e32 v17, v18, v12
	v_fma_f32 v19, -v11, v17, v18
	s_delay_alu instid0(VALU_DEP_1) | instskip(NEXT) | instid1(VALU_DEP_1)
	v_fmac_f32_e32 v17, v19, v12
	v_fma_f32 v11, -v11, v17, v18
	s_delay_alu instid0(VALU_DEP_1) | instskip(NEXT) | instid1(VALU_DEP_1)
	v_div_fmas_f32 v11, v11, v12, v17
	v_div_fixup_f32 v11, v11, v4, v3
	s_delay_alu instid0(VALU_DEP_1) | instskip(NEXT) | instid1(VALU_DEP_1)
	v_fma_f32 v12, v3, v11, v4
	v_div_scale_f32 v17, null, v12, v12, 1.0
	v_div_scale_f32 v20, vcc_lo, 1.0, v12, 1.0
	s_delay_alu instid0(VALU_DEP_2) | instskip(SKIP_2) | instid1(VALU_DEP_1)
	v_rcp_f32_e32 v18, v17
	s_waitcnt_depctr 0xfff
	v_fma_f32 v19, -v17, v18, 1.0
	v_fmac_f32_e32 v18, v19, v18
	s_delay_alu instid0(VALU_DEP_1) | instskip(NEXT) | instid1(VALU_DEP_1)
	v_mul_f32_e32 v19, v20, v18
	v_fma_f32 v21, -v17, v19, v20
	s_delay_alu instid0(VALU_DEP_1) | instskip(NEXT) | instid1(VALU_DEP_1)
	v_fmac_f32_e32 v19, v21, v18
	v_fma_f32 v17, -v17, v19, v20
	s_delay_alu instid0(VALU_DEP_1) | instskip(SKIP_1) | instid1(VALU_DEP_2)
	v_div_fmas_f32 v17, v17, v18, v19
	v_fma_f32 v18, v11, v1, v2
	v_div_fixup_f32 v12, v17, v12, 1.0
	v_fma_f32 v17, v11, v2, -v1
	s_delay_alu instid0(VALU_DEP_2) | instskip(NEXT) | instid1(VALU_DEP_2)
	v_mul_f32_e32 v11, v18, v12
	v_mul_f32_e32 v12, v17, v12
	s_cbranch_execz .LBB172_51
	s_branch .LBB172_52
.LBB172_50:                             ;   in Loop: Header=BB172_41 Depth=1
                                        ; implicit-def: $vgpr12
.LBB172_51:                             ;   in Loop: Header=BB172_41 Depth=1
	v_div_scale_f32 v11, null, v3, v3, v4
	v_div_scale_f32 v18, vcc_lo, v4, v3, v4
	s_delay_alu instid0(VALU_DEP_2) | instskip(SKIP_2) | instid1(VALU_DEP_1)
	v_rcp_f32_e32 v12, v11
	s_waitcnt_depctr 0xfff
	v_fma_f32 v17, -v11, v12, 1.0
	v_fmac_f32_e32 v12, v17, v12
	s_delay_alu instid0(VALU_DEP_1) | instskip(NEXT) | instid1(VALU_DEP_1)
	v_mul_f32_e32 v17, v18, v12
	v_fma_f32 v19, -v11, v17, v18
	s_delay_alu instid0(VALU_DEP_1) | instskip(NEXT) | instid1(VALU_DEP_1)
	v_fmac_f32_e32 v17, v19, v12
	v_fma_f32 v11, -v11, v17, v18
	s_delay_alu instid0(VALU_DEP_1) | instskip(NEXT) | instid1(VALU_DEP_1)
	v_div_fmas_f32 v11, v11, v12, v17
	v_div_fixup_f32 v11, v11, v3, v4
	s_delay_alu instid0(VALU_DEP_1) | instskip(NEXT) | instid1(VALU_DEP_1)
	v_fmac_f32_e32 v3, v4, v11
	v_div_scale_f32 v4, null, v3, v3, 1.0
	v_div_scale_f32 v18, vcc_lo, 1.0, v3, 1.0
	s_delay_alu instid0(VALU_DEP_2) | instskip(SKIP_2) | instid1(VALU_DEP_1)
	v_rcp_f32_e32 v12, v4
	s_waitcnt_depctr 0xfff
	v_fma_f32 v17, -v4, v12, 1.0
	v_fmac_f32_e32 v12, v17, v12
	s_delay_alu instid0(VALU_DEP_1) | instskip(NEXT) | instid1(VALU_DEP_1)
	v_mul_f32_e32 v17, v18, v12
	v_fma_f32 v19, -v4, v17, v18
	s_delay_alu instid0(VALU_DEP_1) | instskip(NEXT) | instid1(VALU_DEP_1)
	v_fmac_f32_e32 v17, v19, v12
	v_fma_f32 v4, -v4, v17, v18
	s_delay_alu instid0(VALU_DEP_1) | instskip(SKIP_2) | instid1(VALU_DEP_3)
	v_div_fmas_f32 v4, v4, v12, v17
	v_fma_f32 v12, v11, v2, v1
	v_fma_f32 v1, -v11, v1, v2
	v_div_fixup_f32 v3, v4, v3, 1.0
	s_delay_alu instid0(VALU_DEP_1) | instskip(NEXT) | instid1(VALU_DEP_3)
	v_mul_f32_e32 v11, v12, v3
	v_mul_f32_e32 v12, v1, v3
.LBB172_52:                             ;   in Loop: Header=BB172_41 Depth=1
	s_add_i32 s10, s10, s5
	v_mov_b32_e32 v1, s14
	s_lshl_b32 s10, s10, 3
	s_delay_alu instid0(SALU_CYCLE_1)
	v_mov_b32_e32 v17, s10
	ds_load_2addr_b64 v[1:4], v1 offset0:2 offset1:66
	ds_load_b64 v[17:18], v17 offset:16
	ds_store_b64 v16, v[11:12]
	s_waitcnt lgkmcnt(2)
	v_cmp_gt_f32_e32 vcc_lo, 0, v3
	s_waitcnt lgkmcnt(1)
	v_mul_f32_e32 v21, v12, v18
	v_mul_f32_e32 v18, v11, v18
	;; [unrolled: 1-line block ×4, first 2 shown]
	v_cndmask_b32_e64 v20, v3, -v3, vcc_lo
	v_cmp_gt_f32_e32 vcc_lo, 0, v4
	v_fmac_f32_e32 v18, v12, v17
	v_fma_f32 v19, v9, v1, -v19
	v_fmac_f32_e32 v2, v10, v1
	v_fma_f32 v21, v11, v17, -v21
	v_cndmask_b32_e64 v1, v4, -v4, vcc_lo
	s_delay_alu instid0(VALU_DEP_3) | instskip(NEXT) | instid1(VALU_DEP_2)
	v_dual_sub_f32 v7, v7, v19 :: v_dual_sub_f32 v2, v8, v2
	v_cmp_ngt_f32_e32 vcc_lo, v20, v1
	s_delay_alu instid0(VALU_DEP_2)
	v_dual_sub_f32 v1, v7, v21 :: v_dual_sub_f32 v2, v2, v18
	s_cbranch_vccz .LBB172_54
; %bb.53:                               ;   in Loop: Header=BB172_41 Depth=1
	v_div_scale_f32 v7, null, v4, v4, v3
	v_div_scale_f32 v17, vcc_lo, v3, v4, v3
	s_delay_alu instid0(VALU_DEP_2) | instskip(SKIP_2) | instid1(VALU_DEP_1)
	v_rcp_f32_e32 v8, v7
	s_waitcnt_depctr 0xfff
	v_fma_f32 v16, -v7, v8, 1.0
	v_fmac_f32_e32 v8, v16, v8
	s_delay_alu instid0(VALU_DEP_1) | instskip(NEXT) | instid1(VALU_DEP_1)
	v_mul_f32_e32 v16, v17, v8
	v_fma_f32 v18, -v7, v16, v17
	s_delay_alu instid0(VALU_DEP_1) | instskip(NEXT) | instid1(VALU_DEP_1)
	v_fmac_f32_e32 v16, v18, v8
	v_fma_f32 v7, -v7, v16, v17
	s_delay_alu instid0(VALU_DEP_1) | instskip(NEXT) | instid1(VALU_DEP_1)
	v_div_fmas_f32 v7, v7, v8, v16
	v_div_fixup_f32 v7, v7, v4, v3
	s_delay_alu instid0(VALU_DEP_1) | instskip(NEXT) | instid1(VALU_DEP_1)
	v_fma_f32 v8, v3, v7, v4
	v_div_scale_f32 v16, null, v8, v8, 1.0
	v_div_scale_f32 v19, vcc_lo, 1.0, v8, 1.0
	s_delay_alu instid0(VALU_DEP_2) | instskip(SKIP_2) | instid1(VALU_DEP_1)
	v_rcp_f32_e32 v17, v16
	s_waitcnt_depctr 0xfff
	v_fma_f32 v18, -v16, v17, 1.0
	v_fmac_f32_e32 v17, v18, v17
	s_delay_alu instid0(VALU_DEP_1) | instskip(NEXT) | instid1(VALU_DEP_1)
	v_mul_f32_e32 v18, v19, v17
	v_fma_f32 v20, -v16, v18, v19
	s_delay_alu instid0(VALU_DEP_1) | instskip(NEXT) | instid1(VALU_DEP_1)
	v_fmac_f32_e32 v18, v20, v17
	v_fma_f32 v16, -v16, v18, v19
	s_delay_alu instid0(VALU_DEP_1) | instskip(SKIP_1) | instid1(VALU_DEP_2)
	v_div_fmas_f32 v16, v16, v17, v18
	v_fma_f32 v17, v7, v1, v2
	v_div_fixup_f32 v8, v16, v8, 1.0
	v_fma_f32 v16, v7, v2, -v1
	s_delay_alu instid0(VALU_DEP_2) | instskip(NEXT) | instid1(VALU_DEP_2)
	v_mul_f32_e32 v7, v17, v8
	v_mul_f32_e32 v8, v16, v8
	s_cbranch_execz .LBB172_55
	s_branch .LBB172_56
.LBB172_54:                             ;   in Loop: Header=BB172_41 Depth=1
                                        ; implicit-def: $vgpr8
.LBB172_55:                             ;   in Loop: Header=BB172_41 Depth=1
	v_div_scale_f32 v7, null, v3, v3, v4
	v_div_scale_f32 v17, vcc_lo, v4, v3, v4
	s_delay_alu instid0(VALU_DEP_2) | instskip(SKIP_2) | instid1(VALU_DEP_1)
	v_rcp_f32_e32 v8, v7
	s_waitcnt_depctr 0xfff
	v_fma_f32 v16, -v7, v8, 1.0
	v_fmac_f32_e32 v8, v16, v8
	s_delay_alu instid0(VALU_DEP_1) | instskip(NEXT) | instid1(VALU_DEP_1)
	v_mul_f32_e32 v16, v17, v8
	v_fma_f32 v18, -v7, v16, v17
	s_delay_alu instid0(VALU_DEP_1) | instskip(NEXT) | instid1(VALU_DEP_1)
	v_fmac_f32_e32 v16, v18, v8
	v_fma_f32 v7, -v7, v16, v17
	s_delay_alu instid0(VALU_DEP_1) | instskip(NEXT) | instid1(VALU_DEP_1)
	v_div_fmas_f32 v7, v7, v8, v16
	v_div_fixup_f32 v7, v7, v3, v4
	s_delay_alu instid0(VALU_DEP_1) | instskip(NEXT) | instid1(VALU_DEP_1)
	v_fmac_f32_e32 v3, v4, v7
	v_div_scale_f32 v4, null, v3, v3, 1.0
	v_div_scale_f32 v17, vcc_lo, 1.0, v3, 1.0
	s_delay_alu instid0(VALU_DEP_2) | instskip(SKIP_2) | instid1(VALU_DEP_1)
	v_rcp_f32_e32 v8, v4
	s_waitcnt_depctr 0xfff
	v_fma_f32 v16, -v4, v8, 1.0
	v_fmac_f32_e32 v8, v16, v8
	s_delay_alu instid0(VALU_DEP_1) | instskip(NEXT) | instid1(VALU_DEP_1)
	v_mul_f32_e32 v16, v17, v8
	v_fma_f32 v18, -v4, v16, v17
	s_delay_alu instid0(VALU_DEP_1) | instskip(NEXT) | instid1(VALU_DEP_1)
	v_fmac_f32_e32 v16, v18, v8
	v_fma_f32 v4, -v4, v16, v17
	s_delay_alu instid0(VALU_DEP_1) | instskip(SKIP_2) | instid1(VALU_DEP_3)
	v_div_fmas_f32 v4, v4, v8, v16
	v_fma_f32 v8, v7, v2, v1
	v_fma_f32 v1, -v7, v1, v2
	v_div_fixup_f32 v3, v4, v3, 1.0
	s_delay_alu instid0(VALU_DEP_1) | instskip(NEXT) | instid1(VALU_DEP_3)
	v_mul_f32_e32 v7, v8, v3
	v_mul_f32_e32 v8, v1, v3
.LBB172_56:                             ;   in Loop: Header=BB172_41 Depth=1
	v_dual_mov_b32 v1, s14 :: v_dual_mov_b32 v16, s10
	s_add_i32 s9, s9, s5
	s_delay_alu instid0(SALU_CYCLE_1)
	s_lshl_b32 s9, s9, 3
	ds_load_2addr_b64 v[1:4], v1 offset0:3 offset1:99
	v_mov_b32_e32 v18, s9
	ds_load_b64 v[16:17], v16 offset:24
	ds_load_b64 v[18:19], v18 offset:24
	ds_store_b64 v15, v[7:8]
	s_waitcnt lgkmcnt(3)
	v_mul_f32_e32 v20, v10, v2
	v_mul_f32_e32 v2, v9, v2
	v_cmp_gt_f32_e32 vcc_lo, 0, v3
	s_waitcnt lgkmcnt(2)
	v_mul_f32_e32 v21, v12, v17
	s_waitcnt lgkmcnt(1)
	v_mul_f32_e32 v23, v8, v19
	v_mul_f32_e32 v17, v11, v17
	v_fma_f32 v9, v9, v1, -v20
	v_dual_fmac_f32 v2, v10, v1 :: v_dual_mul_f32 v1, v7, v19
	v_cndmask_b32_e64 v22, v3, -v3, vcc_lo
	v_cmp_gt_f32_e32 vcc_lo, 0, v4
	v_fma_f32 v10, v11, v16, -v21
	s_delay_alu instid0(VALU_DEP_4) | instskip(SKIP_3) | instid1(VALU_DEP_4)
	v_dual_fmac_f32 v17, v12, v16 :: v_dual_sub_f32 v2, v6, v2
	v_sub_f32_e32 v5, v5, v9
	v_cndmask_b32_e64 v6, v4, -v4, vcc_lo
	v_fma_f32 v9, v7, v18, -v23
	v_dual_fmac_f32 v1, v8, v18 :: v_dual_sub_f32 v2, v2, v17
	s_delay_alu instid0(VALU_DEP_4) | instskip(NEXT) | instid1(VALU_DEP_4)
	v_sub_f32_e32 v5, v5, v10
	v_cmp_ngt_f32_e32 vcc_lo, v22, v6
	s_delay_alu instid0(VALU_DEP_3) | instskip(NEXT) | instid1(VALU_DEP_3)
	v_sub_f32_e32 v6, v2, v1
	v_sub_f32_e32 v5, v5, v9
	s_cbranch_vccz .LBB172_58
; %bb.57:                               ;   in Loop: Header=BB172_41 Depth=1
	v_div_scale_f32 v1, null, v4, v4, v3
	v_div_scale_f32 v8, vcc_lo, v3, v4, v3
	s_delay_alu instid0(VALU_DEP_2) | instskip(SKIP_2) | instid1(VALU_DEP_1)
	v_rcp_f32_e32 v2, v1
	s_waitcnt_depctr 0xfff
	v_fma_f32 v7, -v1, v2, 1.0
	v_fmac_f32_e32 v2, v7, v2
	s_delay_alu instid0(VALU_DEP_1) | instskip(NEXT) | instid1(VALU_DEP_1)
	v_mul_f32_e32 v7, v8, v2
	v_fma_f32 v9, -v1, v7, v8
	s_delay_alu instid0(VALU_DEP_1) | instskip(NEXT) | instid1(VALU_DEP_1)
	v_fmac_f32_e32 v7, v9, v2
	v_fma_f32 v1, -v1, v7, v8
	s_delay_alu instid0(VALU_DEP_1) | instskip(NEXT) | instid1(VALU_DEP_1)
	v_div_fmas_f32 v1, v1, v2, v7
	v_div_fixup_f32 v1, v1, v4, v3
	s_delay_alu instid0(VALU_DEP_1) | instskip(NEXT) | instid1(VALU_DEP_1)
	v_fma_f32 v2, v3, v1, v4
	v_div_scale_f32 v7, null, v2, v2, 1.0
	v_div_scale_f32 v10, vcc_lo, 1.0, v2, 1.0
	s_delay_alu instid0(VALU_DEP_2) | instskip(SKIP_2) | instid1(VALU_DEP_1)
	v_rcp_f32_e32 v8, v7
	s_waitcnt_depctr 0xfff
	v_fma_f32 v9, -v7, v8, 1.0
	v_fmac_f32_e32 v8, v9, v8
	s_delay_alu instid0(VALU_DEP_1) | instskip(NEXT) | instid1(VALU_DEP_1)
	v_mul_f32_e32 v9, v10, v8
	v_fma_f32 v11, -v7, v9, v10
	s_delay_alu instid0(VALU_DEP_1) | instskip(NEXT) | instid1(VALU_DEP_1)
	v_fmac_f32_e32 v9, v11, v8
	v_fma_f32 v7, -v7, v9, v10
	s_delay_alu instid0(VALU_DEP_1) | instskip(SKIP_1) | instid1(VALU_DEP_2)
	v_div_fmas_f32 v7, v7, v8, v9
	v_fma_f32 v8, v1, v5, v6
	v_div_fixup_f32 v2, v7, v2, 1.0
	v_fma_f32 v7, v1, v6, -v5
	s_delay_alu instid0(VALU_DEP_2) | instskip(NEXT) | instid1(VALU_DEP_2)
	v_mul_f32_e32 v1, v8, v2
	v_mul_f32_e32 v2, v7, v2
	s_cbranch_execz .LBB172_59
	s_branch .LBB172_60
.LBB172_58:                             ;   in Loop: Header=BB172_41 Depth=1
                                        ; implicit-def: $vgpr2
.LBB172_59:                             ;   in Loop: Header=BB172_41 Depth=1
	v_div_scale_f32 v1, null, v3, v3, v4
	v_div_scale_f32 v8, vcc_lo, v4, v3, v4
	s_delay_alu instid0(VALU_DEP_2) | instskip(SKIP_2) | instid1(VALU_DEP_1)
	v_rcp_f32_e32 v2, v1
	s_waitcnt_depctr 0xfff
	v_fma_f32 v7, -v1, v2, 1.0
	v_fmac_f32_e32 v2, v7, v2
	s_delay_alu instid0(VALU_DEP_1) | instskip(NEXT) | instid1(VALU_DEP_1)
	v_mul_f32_e32 v7, v8, v2
	v_fma_f32 v9, -v1, v7, v8
	s_delay_alu instid0(VALU_DEP_1) | instskip(NEXT) | instid1(VALU_DEP_1)
	v_fmac_f32_e32 v7, v9, v2
	v_fma_f32 v1, -v1, v7, v8
	s_delay_alu instid0(VALU_DEP_1) | instskip(NEXT) | instid1(VALU_DEP_1)
	v_div_fmas_f32 v1, v1, v2, v7
	v_div_fixup_f32 v1, v1, v3, v4
	s_delay_alu instid0(VALU_DEP_1) | instskip(NEXT) | instid1(VALU_DEP_1)
	v_fmac_f32_e32 v3, v4, v1
	v_div_scale_f32 v2, null, v3, v3, 1.0
	v_div_scale_f32 v8, vcc_lo, 1.0, v3, 1.0
	s_delay_alu instid0(VALU_DEP_2) | instskip(SKIP_2) | instid1(VALU_DEP_1)
	v_rcp_f32_e32 v4, v2
	s_waitcnt_depctr 0xfff
	v_fma_f32 v7, -v2, v4, 1.0
	v_fmac_f32_e32 v4, v7, v4
	s_delay_alu instid0(VALU_DEP_1) | instskip(NEXT) | instid1(VALU_DEP_1)
	v_mul_f32_e32 v7, v8, v4
	v_fma_f32 v9, -v2, v7, v8
	s_delay_alu instid0(VALU_DEP_1) | instskip(NEXT) | instid1(VALU_DEP_1)
	v_fmac_f32_e32 v7, v9, v4
	v_fma_f32 v2, -v2, v7, v8
	s_delay_alu instid0(VALU_DEP_1) | instskip(SKIP_1) | instid1(VALU_DEP_2)
	v_div_fmas_f32 v2, v2, v4, v7
	v_fma_f32 v4, v1, v6, v5
	v_div_fixup_f32 v2, v2, v3, 1.0
	v_fma_f32 v3, -v1, v5, v6
	s_delay_alu instid0(VALU_DEP_2) | instskip(NEXT) | instid1(VALU_DEP_2)
	v_mul_f32_e32 v1, v4, v2
	v_mul_f32_e32 v2, v3, v2
.LBB172_60:                             ;   in Loop: Header=BB172_41 Depth=1
	s_add_i32 s9, s5, 4
	s_add_i32 s5, s5, 7
	s_add_i32 s4, s4, 32
	s_cmp_ge_i32 s5, s11
	ds_store_b64 v14, v[1:2]
	s_cbranch_scc1 .LBB172_62
; %bb.61:                               ;   in Loop: Header=BB172_41 Depth=1
	s_mov_b32 s5, s9
	s_branch .LBB172_41
.LBB172_62:
	s_cmp_ge_i32 s9, s11
	s_cbranch_scc1 .LBB172_77
; %bb.63:
	v_lshl_or_b32 v7, v0, 3, 0x2000
	v_lshlrev_b32_e32 v8, 3, v0
	s_add_i32 s4, s9, -1
	s_lshl_b32 s5, s9, 3
	s_mov_b32 s10, 0
	s_mov_b32 s14, s9
	s_branch .LBB172_65
.LBB172_64:                             ;   in Loop: Header=BB172_65 Depth=1
	v_add_nc_u16 v1, s14, 1
	s_add_i32 s9, s9, 1
	s_add_i32 s10, s10, 1
	;; [unrolled: 1-line block ×3, first 2 shown]
	s_cmp_ge_i32 s9, s11
	v_readfirstlane_b32 s14, v1
	ds_store_b64 v9, v[5:6]
	s_cbranch_scc1 .LBB172_77
.LBB172_65:                             ; =>This Loop Header: Depth=1
                                        ;     Child Loop BB172_68 Depth 2
                                        ;     Child Loop BB172_72 Depth 2
	v_lshl_or_b32 v3, s9, 8, v8
	s_cmp_eq_u32 s9, 0
	ds_load_b64 v[1:2], v3 offset:8192
	s_cbranch_scc1 .LBB172_73
; %bb.66:                               ;   in Loop: Header=BB172_65 Depth=1
	s_add_i32 s15, s4, s10
	s_delay_alu instid0(SALU_CYCLE_1)
	s_cmp_lt_u32 s15, 7
	s_cbranch_scc1 .LBB172_70
; %bb.67:                               ;   in Loop: Header=BB172_65 Depth=1
	v_mov_b32_e32 v4, v7
	s_and_b32 s15, s9, -8
	s_mov_b32 s16, 0
	s_mov_b32 s17, s5
.LBB172_68:                             ;   Parent Loop BB172_65 Depth=1
                                        ; =>  This Inner Loop Header: Depth=2
	s_delay_alu instid0(SALU_CYCLE_1)
	v_mov_b32_e32 v5, s17
	ds_load_2addr_b64 v[9:12], v4 offset1:32
	ds_load_2addr_b64 v[13:16], v4 offset0:64 offset1:96
	ds_load_2addr_b64 v[17:20], v4 offset0:128 offset1:160
	;; [unrolled: 1-line block ×3, first 2 shown]
	ds_load_2addr_b64 v[25:28], v5 offset1:32
	ds_load_2addr_b64 v[29:32], v5 offset0:64 offset1:96
	ds_load_2addr_b64 v[33:36], v5 offset0:128 offset1:160
	ds_load_2addr_b64 v[37:40], v5 offset0:192 offset1:224
	v_add_nc_u32_e32 v4, 0x800, v4
	s_add_i32 s16, s16, 8
	s_addk_i32 s17, 0x800
	s_cmp_eq_u32 s15, s16
	s_waitcnt lgkmcnt(3)
	v_mul_f32_e32 v6, v25, v10
	v_dual_mul_f32 v5, v26, v10 :: v_dual_mul_f32 v10, v28, v12
	s_waitcnt lgkmcnt(2)
	v_dual_mul_f32 v12, v27, v12 :: v_dual_mul_f32 v41, v30, v14
	s_waitcnt lgkmcnt(1)
	v_dual_mul_f32 v42, v32, v16 :: v_dual_mul_f32 v43, v34, v18
	v_fma_f32 v5, v25, v9, -v5
	v_mul_f32_e32 v16, v31, v16
	v_fma_f32 v10, v27, v11, -v10
	v_mul_f32_e32 v14, v29, v14
	v_mul_f32_e32 v18, v33, v18
	v_sub_f32_e32 v1, v1, v5
	v_dual_mul_f32 v5, v35, v20 :: v_dual_fmac_f32 v6, v26, v9
	s_delay_alu instid0(VALU_DEP_4) | instskip(NEXT) | instid1(VALU_DEP_3)
	v_dual_mul_f32 v9, v36, v20 :: v_dual_fmac_f32 v14, v30, v13
	v_sub_f32_e32 v1, v1, v10
	s_delay_alu instid0(VALU_DEP_3) | instskip(SKIP_4) | instid1(VALU_DEP_4)
	v_dual_fmac_f32 v5, v36, v19 :: v_dual_sub_f32 v2, v2, v6
	v_fma_f32 v6, v29, v13, -v41
	v_fmac_f32_e32 v12, v28, v11
	v_fma_f32 v11, v31, v15, -v42
	v_fma_f32 v9, v35, v19, -v9
	v_sub_f32_e32 v1, v1, v6
	s_waitcnt lgkmcnt(0)
	v_mul_f32_e32 v6, v37, v22
	s_delay_alu instid0(VALU_DEP_2) | instskip(SKIP_2) | instid1(VALU_DEP_2)
	v_dual_sub_f32 v1, v1, v11 :: v_dual_sub_f32 v2, v2, v12
	v_fma_f32 v12, v33, v17, -v43
	v_dual_mul_f32 v10, v38, v22 :: v_dual_mul_f32 v11, v40, v24
	v_dual_fmac_f32 v6, v38, v21 :: v_dual_sub_f32 v1, v1, v12
	v_fmac_f32_e32 v16, v32, v15
	s_delay_alu instid0(VALU_DEP_3) | instskip(NEXT) | instid1(VALU_DEP_3)
	v_fma_f32 v10, v37, v21, -v10
	v_dual_mul_f32 v12, v39, v24 :: v_dual_sub_f32 v1, v1, v9
	v_fmac_f32_e32 v18, v34, v17
	s_delay_alu instid0(VALU_DEP_2) | instskip(SKIP_1) | instid1(VALU_DEP_1)
	v_dual_fmac_f32 v12, v40, v23 :: v_dual_sub_f32 v1, v1, v10
	v_sub_f32_e32 v2, v2, v14
	v_sub_f32_e32 v2, v2, v16
	s_delay_alu instid0(VALU_DEP_1) | instskip(NEXT) | instid1(VALU_DEP_1)
	v_sub_f32_e32 v2, v2, v18
	v_sub_f32_e32 v2, v2, v5
	v_fma_f32 v5, v39, v23, -v11
	s_delay_alu instid0(VALU_DEP_1) | instskip(NEXT) | instid1(VALU_DEP_1)
	v_dual_sub_f32 v2, v2, v6 :: v_dual_sub_f32 v1, v1, v5
	v_sub_f32_e32 v2, v2, v12
	s_cbranch_scc0 .LBB172_68
; %bb.69:                               ;   in Loop: Header=BB172_65 Depth=1
	s_and_b32 s16, s9, 7
	s_delay_alu instid0(SALU_CYCLE_1)
	s_cmp_eq_u32 s16, 0
	s_cbranch_scc0 .LBB172_71
	s_branch .LBB172_73
.LBB172_70:                             ;   in Loop: Header=BB172_65 Depth=1
	s_mov_b32 s15, 0
	s_and_b32 s16, s9, 7
	s_delay_alu instid0(SALU_CYCLE_1)
	s_cmp_eq_u32 s16, 0
	s_cbranch_scc1 .LBB172_73
.LBB172_71:                             ;   in Loop: Header=BB172_65 Depth=1
	s_and_b32 s16, s14, 7
	s_lshl_b32 s15, s15, 8
	.p2align	6
.LBB172_72:                             ;   Parent Loop BB172_65 Depth=1
                                        ; =>  This Inner Loop Header: Depth=2
	s_delay_alu instid0(SALU_CYCLE_1)
	s_add_i32 s17, s5, s15
	v_add_nc_u32_e32 v4, s15, v7
	v_mov_b32_e32 v6, s17
	s_add_i32 s16, s16, -1
	s_addk_i32 s15, 0x100
	s_cmp_lg_u32 s16, 0
	ds_load_b64 v[4:5], v4
	ds_load_b64 v[9:10], v6
	s_waitcnt lgkmcnt(0)
	v_mul_f32_e32 v6, v10, v5
	v_mul_f32_e32 v5, v9, v5
	s_delay_alu instid0(VALU_DEP_2) | instskip(NEXT) | instid1(VALU_DEP_2)
	v_fma_f32 v6, v9, v4, -v6
	v_fmac_f32_e32 v5, v10, v4
	s_delay_alu instid0(VALU_DEP_1)
	v_dual_sub_f32 v1, v1, v6 :: v_dual_sub_f32 v2, v2, v5
	s_cbranch_scc1 .LBB172_72
.LBB172_73:                             ;   in Loop: Header=BB172_65 Depth=1
	s_mul_i32 s15, s9, 0x108
	v_add_nc_u32_e32 v9, 0x2000, v3
	v_mov_b32_e32 v3, s15
	ds_load_b64 v[3:4], v3
	s_waitcnt lgkmcnt(0)
	v_cmp_gt_f32_e32 vcc_lo, 0, v3
	v_cndmask_b32_e64 v5, v3, -v3, vcc_lo
	v_cmp_gt_f32_e32 vcc_lo, 0, v4
	v_cndmask_b32_e64 v6, v4, -v4, vcc_lo
	s_delay_alu instid0(VALU_DEP_1)
	v_cmp_ngt_f32_e32 vcc_lo, v5, v6
	s_cbranch_vccz .LBB172_75
; %bb.74:                               ;   in Loop: Header=BB172_65 Depth=1
	v_div_scale_f32 v5, null, v4, v4, v3
	v_div_scale_f32 v11, vcc_lo, v3, v4, v3
	s_delay_alu instid0(VALU_DEP_2) | instskip(SKIP_2) | instid1(VALU_DEP_1)
	v_rcp_f32_e32 v6, v5
	s_waitcnt_depctr 0xfff
	v_fma_f32 v10, -v5, v6, 1.0
	v_fmac_f32_e32 v6, v10, v6
	s_delay_alu instid0(VALU_DEP_1) | instskip(NEXT) | instid1(VALU_DEP_1)
	v_mul_f32_e32 v10, v11, v6
	v_fma_f32 v12, -v5, v10, v11
	s_delay_alu instid0(VALU_DEP_1) | instskip(NEXT) | instid1(VALU_DEP_1)
	v_fmac_f32_e32 v10, v12, v6
	v_fma_f32 v5, -v5, v10, v11
	s_delay_alu instid0(VALU_DEP_1) | instskip(NEXT) | instid1(VALU_DEP_1)
	v_div_fmas_f32 v5, v5, v6, v10
	v_div_fixup_f32 v5, v5, v4, v3
	s_delay_alu instid0(VALU_DEP_1) | instskip(NEXT) | instid1(VALU_DEP_1)
	v_fma_f32 v6, v3, v5, v4
	v_div_scale_f32 v10, null, v6, v6, 1.0
	v_div_scale_f32 v13, vcc_lo, 1.0, v6, 1.0
	s_delay_alu instid0(VALU_DEP_2) | instskip(SKIP_2) | instid1(VALU_DEP_1)
	v_rcp_f32_e32 v11, v10
	s_waitcnt_depctr 0xfff
	v_fma_f32 v12, -v10, v11, 1.0
	v_fmac_f32_e32 v11, v12, v11
	s_delay_alu instid0(VALU_DEP_1) | instskip(NEXT) | instid1(VALU_DEP_1)
	v_mul_f32_e32 v12, v13, v11
	v_fma_f32 v14, -v10, v12, v13
	s_delay_alu instid0(VALU_DEP_1) | instskip(NEXT) | instid1(VALU_DEP_1)
	v_fmac_f32_e32 v12, v14, v11
	v_fma_f32 v10, -v10, v12, v13
	s_delay_alu instid0(VALU_DEP_1) | instskip(SKIP_1) | instid1(VALU_DEP_2)
	v_div_fmas_f32 v10, v10, v11, v12
	v_fma_f32 v11, v1, v5, v2
	v_div_fixup_f32 v6, v10, v6, 1.0
	v_fma_f32 v10, v2, v5, -v1
	s_delay_alu instid0(VALU_DEP_2) | instskip(NEXT) | instid1(VALU_DEP_2)
	v_mul_f32_e32 v5, v11, v6
	v_mul_f32_e32 v6, v10, v6
	s_cbranch_execnz .LBB172_64
	s_branch .LBB172_76
.LBB172_75:                             ;   in Loop: Header=BB172_65 Depth=1
                                        ; implicit-def: $vgpr5
.LBB172_76:                             ;   in Loop: Header=BB172_65 Depth=1
	v_div_scale_f32 v5, null, v3, v3, v4
	v_div_scale_f32 v11, vcc_lo, v4, v3, v4
	s_delay_alu instid0(VALU_DEP_2) | instskip(SKIP_2) | instid1(VALU_DEP_1)
	v_rcp_f32_e32 v6, v5
	s_waitcnt_depctr 0xfff
	v_fma_f32 v10, -v5, v6, 1.0
	v_fmac_f32_e32 v6, v10, v6
	s_delay_alu instid0(VALU_DEP_1) | instskip(NEXT) | instid1(VALU_DEP_1)
	v_mul_f32_e32 v10, v11, v6
	v_fma_f32 v12, -v5, v10, v11
	s_delay_alu instid0(VALU_DEP_1) | instskip(NEXT) | instid1(VALU_DEP_1)
	v_fmac_f32_e32 v10, v12, v6
	v_fma_f32 v5, -v5, v10, v11
	s_delay_alu instid0(VALU_DEP_1) | instskip(NEXT) | instid1(VALU_DEP_1)
	v_div_fmas_f32 v5, v5, v6, v10
	v_div_fixup_f32 v5, v5, v3, v4
	s_delay_alu instid0(VALU_DEP_1) | instskip(NEXT) | instid1(VALU_DEP_1)
	v_fmac_f32_e32 v3, v4, v5
	v_div_scale_f32 v4, null, v3, v3, 1.0
	v_div_scale_f32 v11, vcc_lo, 1.0, v3, 1.0
	s_delay_alu instid0(VALU_DEP_2) | instskip(SKIP_2) | instid1(VALU_DEP_1)
	v_rcp_f32_e32 v6, v4
	s_waitcnt_depctr 0xfff
	v_fma_f32 v10, -v4, v6, 1.0
	v_fmac_f32_e32 v6, v10, v6
	s_delay_alu instid0(VALU_DEP_1) | instskip(NEXT) | instid1(VALU_DEP_1)
	v_mul_f32_e32 v10, v11, v6
	v_fma_f32 v12, -v4, v10, v11
	s_delay_alu instid0(VALU_DEP_1) | instskip(NEXT) | instid1(VALU_DEP_1)
	v_fmac_f32_e32 v10, v12, v6
	v_fma_f32 v4, -v4, v10, v11
	s_delay_alu instid0(VALU_DEP_1) | instskip(SKIP_2) | instid1(VALU_DEP_3)
	v_div_fmas_f32 v4, v4, v6, v10
	v_fma_f32 v6, v2, v5, v1
	v_fma_f32 v1, -v1, v5, v2
	v_div_fixup_f32 v3, v4, v3, 1.0
	s_delay_alu instid0(VALU_DEP_1) | instskip(NEXT) | instid1(VALU_DEP_3)
	v_mul_f32_e32 v5, v6, v3
	v_mul_f32_e32 v6, v1, v3
	s_branch .LBB172_64
.LBB172_77:
	s_mov_b32 s4, 0
.LBB172_78:
	s_delay_alu instid0(SALU_CYCLE_1)
	s_and_b32 vcc_lo, exec_lo, s4
	s_cbranch_vccz .LBB172_110
; %bb.79:
	s_and_not1_b32 vcc_lo, exec_lo, s1
	s_mov_b32 s9, s30
	s_cbranch_vccnz .LBB172_101
; %bb.80:
	v_lshlrev_b32_e32 v13, 3, v0
	s_mul_i32 s4, s11, 0x108
	s_mov_b32 s5, s30
	s_addk_i32 s4, 0xfde0
	s_delay_alu instid0(VALU_DEP_1) | instskip(NEXT) | instid1(VALU_DEP_1)
	v_lshl_or_b32 v1, s11, 8, v13
	v_add_nc_u32_e32 v14, 0x1e00, v1
.LBB172_81:                             ; =>This Loop Header: Depth=1
                                        ;     Child Loop BB172_82 Depth 2
	s_add_i32 s17, s5, -1
	s_lshl_b32 s14, s5, 5
	s_add_i32 s16, s5, -2
	s_lshl_b32 s10, s17, 5
	v_or_b32_e32 v1, s14, v0
	s_lshl_b32 s9, s16, 5
	v_or_b32_e32 v2, s10, v0
	v_or_b32_e32 v3, s9, v0
	s_add_i32 s15, s5, -3
	v_lshlrev_b32_e32 v5, 3, v1
	v_lshl_or_b32 v12, s15, 8, v13
	v_dual_mov_b32 v15, v14 :: v_dual_lshlrev_b32 v6, 3, v2
	v_lshlrev_b32_e32 v11, 3, v3
	ds_load_b64 v[9:10], v5 offset:8192
	ds_load_b64 v[7:8], v6 offset:8192
	;; [unrolled: 1-line block ×4, first 2 shown]
	s_cmp_le_i32 s30, s5
	s_mov_b32 s21, s4
	s_mov_b32 s22, s30
	s_cbranch_scc1 .LBB172_83
.LBB172_82:                             ;   Parent Loop BB172_81 Depth=1
                                        ; =>  This Inner Loop Header: Depth=2
	v_mov_b32_e32 v32, s21
	ds_load_2addr_b64 v[16:19], v15 offset1:32
	v_add_nc_u32_e32 v15, 0xfffffe00, v15
	s_add_i32 s22, s22, -2
	s_addk_i32 s21, 0xfe00
	ds_load_2addr_b64 v[20:23], v32 offset0:34 offset1:35
	ds_load_2addr_b64 v[24:27], v32 offset0:32 offset1:33
	;; [unrolled: 1-line block ×3, first 2 shown]
	ds_load_2addr_b64 v[32:35], v32 offset1:1
	s_cmp_le_i32 s22, s5
	s_waitcnt lgkmcnt(3)
	v_mul_f32_e32 v36, v23, v19
	v_mul_f32_e32 v38, v21, v19
	;; [unrolled: 1-line block ×3, first 2 shown]
	s_waitcnt lgkmcnt(0)
	v_dual_mul_f32 v37, v22, v19 :: v_dual_mul_f32 v44, v35, v17
	v_dual_mul_f32 v39, v27, v19 :: v_dual_mul_f32 v42, v30, v17
	s_delay_alu instid0(VALU_DEP_3) | instskip(SKIP_2) | instid1(VALU_DEP_4)
	v_fmac_f32_e32 v21, v20, v19
	v_dual_mul_f32 v27, v27, v18 :: v_dual_mul_f32 v40, v25, v19
	v_mul_f32_e32 v41, v31, v17
	v_dual_mul_f32 v25, v25, v18 :: v_dual_fmac_f32 v42, v31, v16
	s_delay_alu instid0(VALU_DEP_4)
	v_dual_mul_f32 v35, v35, v16 :: v_dual_sub_f32 v8, v8, v21
	v_fmac_f32_e32 v37, v23, v18
	v_fma_f32 v22, v22, v18, -v36
	v_fma_f32 v23, v20, v18, -v38
	;; [unrolled: 1-line block ×3, first 2 shown]
	v_fmac_f32_e32 v27, v26, v19
	v_mul_f32_e32 v43, v29, v17
	v_dual_mul_f32 v29, v29, v16 :: v_dual_sub_f32 v10, v10, v37
	v_mul_f32_e32 v45, v33, v17
	v_fma_f32 v18, v24, v18, -v40
	v_fmac_f32_e32 v25, v24, v19
	v_mul_f32_e32 v33, v33, v16
	v_fma_f32 v19, v30, v16, -v41
	v_fmac_f32_e32 v29, v28, v17
	v_fma_f32 v26, v34, v16, -v44
	v_sub_f32_e32 v2, v2, v25
	v_fmac_f32_e32 v35, v34, v17
	v_fmac_f32_e32 v33, v32, v17
	v_sub_f32_e32 v7, v7, v23
	v_dual_sub_f32 v3, v3, v20 :: v_dual_sub_f32 v4, v4, v27
	v_fma_f32 v24, v28, v16, -v43
	v_sub_f32_e32 v9, v9, v22
	v_sub_f32_e32 v1, v1, v18
	;; [unrolled: 1-line block ×4, first 2 shown]
	v_fma_f32 v16, v32, v16, -v45
	v_sub_f32_e32 v9, v9, v19
	v_dual_sub_f32 v7, v7, v24 :: v_dual_sub_f32 v8, v8, v29
	v_sub_f32_e32 v3, v3, v26
	s_delay_alu instid0(VALU_DEP_4)
	v_dual_sub_f32 v1, v1, v16 :: v_dual_sub_f32 v2, v2, v33
	s_cbranch_scc0 .LBB172_82
.LBB172_83:                             ;   in Loop: Header=BB172_81 Depth=1
	s_mul_i32 s21, s5, 0x108
	s_delay_alu instid0(SALU_CYCLE_1)
	v_dual_mov_b32 v5, s21 :: v_dual_add_nc_u32 v18, 0x2000, v5
	v_add_nc_u32_e32 v16, 0x2000, v11
	v_add_nc_u32_e32 v15, 0x2000, v12
	;; [unrolled: 1-line block ×3, first 2 shown]
	ds_load_b64 v[11:12], v5
	s_waitcnt lgkmcnt(0)
	v_cmp_gt_f32_e32 vcc_lo, 0, v11
	v_cndmask_b32_e64 v5, v11, -v11, vcc_lo
	v_cmp_gt_f32_e32 vcc_lo, 0, v12
	v_cndmask_b32_e64 v6, v12, -v12, vcc_lo
	s_delay_alu instid0(VALU_DEP_1)
	v_cmp_ngt_f32_e32 vcc_lo, v5, v6
	s_cbranch_vccz .LBB172_85
; %bb.84:                               ;   in Loop: Header=BB172_81 Depth=1
	v_div_scale_f32 v5, null, v12, v12, v11
	v_div_scale_f32 v20, vcc_lo, v11, v12, v11
	s_delay_alu instid0(VALU_DEP_2) | instskip(SKIP_2) | instid1(VALU_DEP_1)
	v_rcp_f32_e32 v6, v5
	s_waitcnt_depctr 0xfff
	v_fma_f32 v19, -v5, v6, 1.0
	v_fmac_f32_e32 v6, v19, v6
	s_delay_alu instid0(VALU_DEP_1) | instskip(NEXT) | instid1(VALU_DEP_1)
	v_mul_f32_e32 v19, v20, v6
	v_fma_f32 v21, -v5, v19, v20
	s_delay_alu instid0(VALU_DEP_1) | instskip(NEXT) | instid1(VALU_DEP_1)
	v_fmac_f32_e32 v19, v21, v6
	v_fma_f32 v5, -v5, v19, v20
	s_delay_alu instid0(VALU_DEP_1) | instskip(NEXT) | instid1(VALU_DEP_1)
	v_div_fmas_f32 v5, v5, v6, v19
	v_div_fixup_f32 v5, v5, v12, v11
	s_delay_alu instid0(VALU_DEP_1) | instskip(NEXT) | instid1(VALU_DEP_1)
	v_fma_f32 v6, v11, v5, v12
	v_div_scale_f32 v19, null, v6, v6, 1.0
	v_div_scale_f32 v22, vcc_lo, 1.0, v6, 1.0
	s_delay_alu instid0(VALU_DEP_2) | instskip(SKIP_2) | instid1(VALU_DEP_1)
	v_rcp_f32_e32 v20, v19
	s_waitcnt_depctr 0xfff
	v_fma_f32 v21, -v19, v20, 1.0
	v_fmac_f32_e32 v20, v21, v20
	s_delay_alu instid0(VALU_DEP_1) | instskip(NEXT) | instid1(VALU_DEP_1)
	v_mul_f32_e32 v21, v22, v20
	v_fma_f32 v23, -v19, v21, v22
	s_delay_alu instid0(VALU_DEP_1) | instskip(NEXT) | instid1(VALU_DEP_1)
	v_fmac_f32_e32 v21, v23, v20
	v_fma_f32 v19, -v19, v21, v22
	s_delay_alu instid0(VALU_DEP_1) | instskip(SKIP_1) | instid1(VALU_DEP_2)
	v_div_fmas_f32 v19, v19, v20, v21
	v_fma_f32 v20, v9, v5, v10
	v_div_fixup_f32 v6, v19, v6, 1.0
	v_fma_f32 v19, v10, v5, -v9
	s_delay_alu instid0(VALU_DEP_2) | instskip(NEXT) | instid1(VALU_DEP_2)
	v_mul_f32_e32 v5, v20, v6
	v_mul_f32_e32 v6, v19, v6
	s_cbranch_execz .LBB172_86
	s_branch .LBB172_87
.LBB172_85:                             ;   in Loop: Header=BB172_81 Depth=1
                                        ; implicit-def: $vgpr6
.LBB172_86:                             ;   in Loop: Header=BB172_81 Depth=1
	v_div_scale_f32 v5, null, v11, v11, v12
	v_div_scale_f32 v20, vcc_lo, v12, v11, v12
	s_delay_alu instid0(VALU_DEP_2) | instskip(SKIP_2) | instid1(VALU_DEP_1)
	v_rcp_f32_e32 v6, v5
	s_waitcnt_depctr 0xfff
	v_fma_f32 v19, -v5, v6, 1.0
	v_fmac_f32_e32 v6, v19, v6
	s_delay_alu instid0(VALU_DEP_1) | instskip(NEXT) | instid1(VALU_DEP_1)
	v_mul_f32_e32 v19, v20, v6
	v_fma_f32 v21, -v5, v19, v20
	s_delay_alu instid0(VALU_DEP_1) | instskip(NEXT) | instid1(VALU_DEP_1)
	v_fmac_f32_e32 v19, v21, v6
	v_fma_f32 v5, -v5, v19, v20
	s_delay_alu instid0(VALU_DEP_1) | instskip(NEXT) | instid1(VALU_DEP_1)
	v_div_fmas_f32 v5, v5, v6, v19
	v_div_fixup_f32 v5, v5, v11, v12
	s_delay_alu instid0(VALU_DEP_1) | instskip(NEXT) | instid1(VALU_DEP_1)
	v_fmac_f32_e32 v11, v12, v5
	v_div_scale_f32 v6, null, v11, v11, 1.0
	v_div_scale_f32 v20, vcc_lo, 1.0, v11, 1.0
	s_delay_alu instid0(VALU_DEP_2) | instskip(SKIP_2) | instid1(VALU_DEP_1)
	v_rcp_f32_e32 v12, v6
	s_waitcnt_depctr 0xfff
	v_fma_f32 v19, -v6, v12, 1.0
	v_fmac_f32_e32 v12, v19, v12
	s_delay_alu instid0(VALU_DEP_1) | instskip(NEXT) | instid1(VALU_DEP_1)
	v_mul_f32_e32 v19, v20, v12
	v_fma_f32 v21, -v6, v19, v20
	s_delay_alu instid0(VALU_DEP_1) | instskip(NEXT) | instid1(VALU_DEP_1)
	v_fmac_f32_e32 v19, v21, v12
	v_fma_f32 v6, -v6, v19, v20
	s_delay_alu instid0(VALU_DEP_1) | instskip(SKIP_2) | instid1(VALU_DEP_3)
	v_div_fmas_f32 v6, v6, v12, v19
	v_fma_f32 v12, v10, v5, v9
	v_fma_f32 v9, -v9, v5, v10
	v_div_fixup_f32 v6, v6, v11, 1.0
	s_delay_alu instid0(VALU_DEP_1) | instskip(NEXT) | instid1(VALU_DEP_3)
	v_mul_f32_e32 v5, v12, v6
	v_mul_f32_e32 v6, v9, v6
.LBB172_87:                             ;   in Loop: Header=BB172_81 Depth=1
	s_add_i32 s17, s14, s17
	s_delay_alu instid0(SALU_CYCLE_1) | instskip(SKIP_1) | instid1(SALU_CYCLE_1)
	s_lshl_b32 s22, s17, 3
	s_add_i32 s17, s21, 0xfffffef8
	v_dual_mov_b32 v9, s22 :: v_dual_mov_b32 v10, s17
	ds_load_b64 v[11:12], v9
	ds_load_b64 v[9:10], v10
	ds_store_b64 v18, v[5:6]
	s_waitcnt lgkmcnt(2)
	v_mul_f32_e32 v19, v6, v12
	s_waitcnt lgkmcnt(1)
	v_cmp_gt_f32_e32 vcc_lo, 0, v9
	s_delay_alu instid0(VALU_DEP_2) | instskip(SKIP_4) | instid1(VALU_DEP_2)
	v_fma_f32 v19, v5, v11, -v19
	v_cndmask_b32_e64 v20, v9, -v9, vcc_lo
	v_cmp_gt_f32_e32 vcc_lo, 0, v10
	v_mul_f32_e32 v12, v5, v12
	v_cndmask_b32_e64 v21, v10, -v10, vcc_lo
	v_fmac_f32_e32 v12, v6, v11
	v_sub_f32_e32 v11, v7, v19
	s_delay_alu instid0(VALU_DEP_3) | instskip(NEXT) | instid1(VALU_DEP_3)
	v_cmp_ngt_f32_e32 vcc_lo, v20, v21
	v_sub_f32_e32 v12, v8, v12
	s_cbranch_vccz .LBB172_89
; %bb.88:                               ;   in Loop: Header=BB172_81 Depth=1
	v_div_scale_f32 v7, null, v10, v10, v9
	v_div_scale_f32 v19, vcc_lo, v9, v10, v9
	s_delay_alu instid0(VALU_DEP_2) | instskip(SKIP_2) | instid1(VALU_DEP_1)
	v_rcp_f32_e32 v8, v7
	s_waitcnt_depctr 0xfff
	v_fma_f32 v18, -v7, v8, 1.0
	v_fmac_f32_e32 v8, v18, v8
	s_delay_alu instid0(VALU_DEP_1) | instskip(NEXT) | instid1(VALU_DEP_1)
	v_mul_f32_e32 v18, v19, v8
	v_fma_f32 v20, -v7, v18, v19
	s_delay_alu instid0(VALU_DEP_1) | instskip(NEXT) | instid1(VALU_DEP_1)
	v_fmac_f32_e32 v18, v20, v8
	v_fma_f32 v7, -v7, v18, v19
	s_delay_alu instid0(VALU_DEP_1) | instskip(NEXT) | instid1(VALU_DEP_1)
	v_div_fmas_f32 v7, v7, v8, v18
	v_div_fixup_f32 v7, v7, v10, v9
	s_delay_alu instid0(VALU_DEP_1) | instskip(NEXT) | instid1(VALU_DEP_1)
	v_fma_f32 v8, v9, v7, v10
	v_div_scale_f32 v18, null, v8, v8, 1.0
	v_div_scale_f32 v21, vcc_lo, 1.0, v8, 1.0
	s_delay_alu instid0(VALU_DEP_2) | instskip(SKIP_2) | instid1(VALU_DEP_1)
	v_rcp_f32_e32 v19, v18
	s_waitcnt_depctr 0xfff
	v_fma_f32 v20, -v18, v19, 1.0
	v_fmac_f32_e32 v19, v20, v19
	s_delay_alu instid0(VALU_DEP_1) | instskip(NEXT) | instid1(VALU_DEP_1)
	v_mul_f32_e32 v20, v21, v19
	v_fma_f32 v22, -v18, v20, v21
	s_delay_alu instid0(VALU_DEP_1) | instskip(NEXT) | instid1(VALU_DEP_1)
	v_fmac_f32_e32 v20, v22, v19
	v_fma_f32 v18, -v18, v20, v21
	s_delay_alu instid0(VALU_DEP_1) | instskip(SKIP_1) | instid1(VALU_DEP_2)
	v_div_fmas_f32 v18, v18, v19, v20
	v_fma_f32 v19, v7, v11, v12
	v_div_fixup_f32 v8, v18, v8, 1.0
	v_fma_f32 v18, v7, v12, -v11
	s_delay_alu instid0(VALU_DEP_2) | instskip(NEXT) | instid1(VALU_DEP_2)
	v_mul_f32_e32 v7, v19, v8
	v_mul_f32_e32 v8, v18, v8
	s_cbranch_execz .LBB172_90
	s_branch .LBB172_91
.LBB172_89:                             ;   in Loop: Header=BB172_81 Depth=1
                                        ; implicit-def: $vgpr8
.LBB172_90:                             ;   in Loop: Header=BB172_81 Depth=1
	v_div_scale_f32 v7, null, v9, v9, v10
	v_div_scale_f32 v19, vcc_lo, v10, v9, v10
	s_delay_alu instid0(VALU_DEP_2) | instskip(SKIP_2) | instid1(VALU_DEP_1)
	v_rcp_f32_e32 v8, v7
	s_waitcnt_depctr 0xfff
	v_fma_f32 v18, -v7, v8, 1.0
	v_fmac_f32_e32 v8, v18, v8
	s_delay_alu instid0(VALU_DEP_1) | instskip(NEXT) | instid1(VALU_DEP_1)
	v_mul_f32_e32 v18, v19, v8
	v_fma_f32 v20, -v7, v18, v19
	s_delay_alu instid0(VALU_DEP_1) | instskip(NEXT) | instid1(VALU_DEP_1)
	v_fmac_f32_e32 v18, v20, v8
	v_fma_f32 v7, -v7, v18, v19
	s_delay_alu instid0(VALU_DEP_1) | instskip(NEXT) | instid1(VALU_DEP_1)
	v_div_fmas_f32 v7, v7, v8, v18
	v_div_fixup_f32 v7, v7, v9, v10
	s_delay_alu instid0(VALU_DEP_1) | instskip(NEXT) | instid1(VALU_DEP_1)
	v_fmac_f32_e32 v9, v10, v7
	v_div_scale_f32 v8, null, v9, v9, 1.0
	v_div_scale_f32 v19, vcc_lo, 1.0, v9, 1.0
	s_delay_alu instid0(VALU_DEP_2) | instskip(SKIP_2) | instid1(VALU_DEP_1)
	v_rcp_f32_e32 v10, v8
	s_waitcnt_depctr 0xfff
	v_fma_f32 v18, -v8, v10, 1.0
	v_fmac_f32_e32 v10, v18, v10
	s_delay_alu instid0(VALU_DEP_1) | instskip(NEXT) | instid1(VALU_DEP_1)
	v_mul_f32_e32 v18, v19, v10
	v_fma_f32 v20, -v8, v18, v19
	s_delay_alu instid0(VALU_DEP_1) | instskip(NEXT) | instid1(VALU_DEP_1)
	v_fmac_f32_e32 v18, v20, v10
	v_fma_f32 v8, -v8, v18, v19
	s_delay_alu instid0(VALU_DEP_1) | instskip(SKIP_1) | instid1(VALU_DEP_2)
	v_div_fmas_f32 v8, v8, v10, v18
	v_fma_f32 v10, v7, v12, v11
	v_div_fixup_f32 v8, v8, v9, 1.0
	v_fma_f32 v9, -v7, v11, v12
	s_delay_alu instid0(VALU_DEP_2) | instskip(NEXT) | instid1(VALU_DEP_2)
	v_mul_f32_e32 v7, v10, v8
	v_mul_f32_e32 v8, v9, v8
.LBB172_91:                             ;   in Loop: Header=BB172_81 Depth=1
	s_add_i32 s21, s14, s16
	s_add_i32 s16, s10, s16
	s_lshl_b32 s21, s21, 3
	s_lshl_b32 s22, s16, 3
	s_delay_alu instid0(SALU_CYCLE_1) | instskip(SKIP_1) | instid1(SALU_CYCLE_1)
	v_dual_mov_b32 v9, s21 :: v_dual_mov_b32 v10, s22
	s_add_i32 s16, s17, 0xfffffef8
	v_mov_b32_e32 v20, s16
	ds_load_b64 v[11:12], v9
	ds_load_b64 v[18:19], v10
	;; [unrolled: 1-line block ×3, first 2 shown]
	ds_store_b64 v17, v[7:8]
	s_waitcnt lgkmcnt(2)
	v_dual_mul_f32 v20, v6, v12 :: v_dual_mul_f32 v21, v8, v19
	v_mul_f32_e32 v19, v7, v19
	s_waitcnt lgkmcnt(1)
	v_cmp_gt_f32_e32 vcc_lo, 0, v9
	v_mul_f32_e32 v12, v5, v12
	v_fma_f32 v20, v5, v11, -v20
	v_fma_f32 v21, v7, v18, -v21
	v_fmac_f32_e32 v19, v8, v18
	v_cndmask_b32_e64 v22, v9, -v9, vcc_lo
	v_cmp_gt_f32_e32 vcc_lo, 0, v10
	v_dual_fmac_f32 v12, v6, v11 :: v_dual_sub_f32 v3, v3, v20
	v_cndmask_b32_e64 v11, v10, -v10, vcc_lo
	s_delay_alu instid0(VALU_DEP_2) | instskip(NEXT) | instid1(VALU_DEP_2)
	v_dual_sub_f32 v4, v4, v12 :: v_dual_sub_f32 v3, v3, v21
	v_cmp_ngt_f32_e32 vcc_lo, v22, v11
	s_delay_alu instid0(VALU_DEP_2)
	v_sub_f32_e32 v4, v4, v19
	s_cbranch_vccz .LBB172_93
; %bb.92:                               ;   in Loop: Header=BB172_81 Depth=1
	v_div_scale_f32 v11, null, v10, v10, v9
	v_div_scale_f32 v18, vcc_lo, v9, v10, v9
	s_delay_alu instid0(VALU_DEP_2) | instskip(SKIP_2) | instid1(VALU_DEP_1)
	v_rcp_f32_e32 v12, v11
	s_waitcnt_depctr 0xfff
	v_fma_f32 v17, -v11, v12, 1.0
	v_fmac_f32_e32 v12, v17, v12
	s_delay_alu instid0(VALU_DEP_1) | instskip(NEXT) | instid1(VALU_DEP_1)
	v_mul_f32_e32 v17, v18, v12
	v_fma_f32 v19, -v11, v17, v18
	s_delay_alu instid0(VALU_DEP_1) | instskip(NEXT) | instid1(VALU_DEP_1)
	v_fmac_f32_e32 v17, v19, v12
	v_fma_f32 v11, -v11, v17, v18
	s_delay_alu instid0(VALU_DEP_1) | instskip(NEXT) | instid1(VALU_DEP_1)
	v_div_fmas_f32 v11, v11, v12, v17
	v_div_fixup_f32 v11, v11, v10, v9
	s_delay_alu instid0(VALU_DEP_1) | instskip(NEXT) | instid1(VALU_DEP_1)
	v_fma_f32 v12, v9, v11, v10
	v_div_scale_f32 v17, null, v12, v12, 1.0
	v_div_scale_f32 v20, vcc_lo, 1.0, v12, 1.0
	s_delay_alu instid0(VALU_DEP_2) | instskip(SKIP_2) | instid1(VALU_DEP_1)
	v_rcp_f32_e32 v18, v17
	s_waitcnt_depctr 0xfff
	v_fma_f32 v19, -v17, v18, 1.0
	v_fmac_f32_e32 v18, v19, v18
	s_delay_alu instid0(VALU_DEP_1) | instskip(NEXT) | instid1(VALU_DEP_1)
	v_mul_f32_e32 v19, v20, v18
	v_fma_f32 v21, -v17, v19, v20
	s_delay_alu instid0(VALU_DEP_1) | instskip(NEXT) | instid1(VALU_DEP_1)
	v_fmac_f32_e32 v19, v21, v18
	v_fma_f32 v17, -v17, v19, v20
	s_delay_alu instid0(VALU_DEP_1) | instskip(SKIP_1) | instid1(VALU_DEP_2)
	v_div_fmas_f32 v17, v17, v18, v19
	v_fma_f32 v18, v11, v3, v4
	v_div_fixup_f32 v12, v17, v12, 1.0
	v_fma_f32 v17, v11, v4, -v3
	s_delay_alu instid0(VALU_DEP_2) | instskip(NEXT) | instid1(VALU_DEP_2)
	v_mul_f32_e32 v11, v18, v12
	v_mul_f32_e32 v12, v17, v12
	s_cbranch_execz .LBB172_94
	s_branch .LBB172_95
.LBB172_93:                             ;   in Loop: Header=BB172_81 Depth=1
                                        ; implicit-def: $vgpr12
.LBB172_94:                             ;   in Loop: Header=BB172_81 Depth=1
	v_div_scale_f32 v11, null, v9, v9, v10
	v_div_scale_f32 v18, vcc_lo, v10, v9, v10
	s_delay_alu instid0(VALU_DEP_2) | instskip(SKIP_2) | instid1(VALU_DEP_1)
	v_rcp_f32_e32 v12, v11
	s_waitcnt_depctr 0xfff
	v_fma_f32 v17, -v11, v12, 1.0
	v_fmac_f32_e32 v12, v17, v12
	s_delay_alu instid0(VALU_DEP_1) | instskip(NEXT) | instid1(VALU_DEP_1)
	v_mul_f32_e32 v17, v18, v12
	v_fma_f32 v19, -v11, v17, v18
	s_delay_alu instid0(VALU_DEP_1) | instskip(NEXT) | instid1(VALU_DEP_1)
	v_fmac_f32_e32 v17, v19, v12
	v_fma_f32 v11, -v11, v17, v18
	s_delay_alu instid0(VALU_DEP_1) | instskip(NEXT) | instid1(VALU_DEP_1)
	v_div_fmas_f32 v11, v11, v12, v17
	v_div_fixup_f32 v11, v11, v9, v10
	s_delay_alu instid0(VALU_DEP_1) | instskip(NEXT) | instid1(VALU_DEP_1)
	v_fmac_f32_e32 v9, v10, v11
	v_div_scale_f32 v10, null, v9, v9, 1.0
	v_div_scale_f32 v18, vcc_lo, 1.0, v9, 1.0
	s_delay_alu instid0(VALU_DEP_2) | instskip(SKIP_2) | instid1(VALU_DEP_1)
	v_rcp_f32_e32 v12, v10
	s_waitcnt_depctr 0xfff
	v_fma_f32 v17, -v10, v12, 1.0
	v_fmac_f32_e32 v12, v17, v12
	s_delay_alu instid0(VALU_DEP_1) | instskip(NEXT) | instid1(VALU_DEP_1)
	v_mul_f32_e32 v17, v18, v12
	v_fma_f32 v19, -v10, v17, v18
	s_delay_alu instid0(VALU_DEP_1) | instskip(NEXT) | instid1(VALU_DEP_1)
	v_fmac_f32_e32 v17, v19, v12
	v_fma_f32 v10, -v10, v17, v18
	s_delay_alu instid0(VALU_DEP_1) | instskip(SKIP_2) | instid1(VALU_DEP_3)
	v_div_fmas_f32 v10, v10, v12, v17
	v_fma_f32 v12, v11, v4, v3
	v_fma_f32 v3, -v11, v3, v4
	v_div_fixup_f32 v9, v10, v9, 1.0
	s_delay_alu instid0(VALU_DEP_1) | instskip(NEXT) | instid1(VALU_DEP_3)
	v_mul_f32_e32 v11, v12, v9
	v_mul_f32_e32 v12, v3, v9
.LBB172_95:                             ;   in Loop: Header=BB172_81 Depth=1
	s_add_i32 s14, s14, s15
	s_add_i32 s10, s10, s15
	s_lshl_b32 s14, s14, 3
	s_lshl_b32 s10, s10, 3
	s_delay_alu instid0(SALU_CYCLE_1) | instskip(SKIP_1) | instid1(SALU_CYCLE_1)
	v_dual_mov_b32 v3, s14 :: v_dual_mov_b32 v4, s10
	s_add_i32 s9, s9, s15
	s_lshl_b32 s9, s9, 3
	ds_load_b64 v[9:10], v3
	ds_load_b64 v[17:18], v4
	v_mov_b32_e32 v19, s9
	s_add_i32 s9, s16, 0xfffffef8
	s_delay_alu instid0(SALU_CYCLE_1)
	v_mov_b32_e32 v3, s9
	s_waitcnt lgkmcnt(1)
	v_mul_f32_e32 v21, v6, v10
	v_mul_f32_e32 v10, v5, v10
	s_waitcnt lgkmcnt(0)
	v_mul_f32_e32 v22, v8, v18
	ds_load_b64 v[19:20], v19
	ds_load_b64 v[3:4], v3
	v_mul_f32_e32 v18, v7, v18
	ds_store_b64 v16, v[11:12]
	v_fma_f32 v7, v7, v17, -v22
	s_waitcnt lgkmcnt(2)
	v_mul_f32_e32 v23, v12, v20
	v_mul_f32_e32 v20, v11, v20
	v_fma_f32 v5, v5, v9, -v21
	s_waitcnt lgkmcnt(1)
	v_cmp_gt_f32_e32 vcc_lo, 0, v3
	s_delay_alu instid0(VALU_DEP_2) | instskip(SKIP_3) | instid1(VALU_DEP_4)
	v_dual_fmac_f32 v20, v12, v19 :: v_dual_sub_f32 v1, v1, v5
	v_fmac_f32_e32 v10, v6, v9
	v_cndmask_b32_e64 v6, v3, -v3, vcc_lo
	v_cmp_gt_f32_e32 vcc_lo, 0, v4
	v_dual_sub_f32 v1, v1, v7 :: v_dual_fmac_f32 v18, v8, v17
	s_delay_alu instid0(VALU_DEP_4) | instskip(SKIP_2) | instid1(VALU_DEP_2)
	v_sub_f32_e32 v2, v2, v10
	v_cndmask_b32_e64 v5, v4, -v4, vcc_lo
	v_fma_f32 v8, v11, v19, -v23
	v_cmp_ngt_f32_e32 vcc_lo, v6, v5
	s_delay_alu instid0(VALU_DEP_2) | instskip(NEXT) | instid1(VALU_DEP_1)
	v_dual_sub_f32 v5, v1, v8 :: v_dual_sub_f32 v2, v2, v18
	v_sub_f32_e32 v6, v2, v20
	s_cbranch_vccz .LBB172_97
; %bb.96:                               ;   in Loop: Header=BB172_81 Depth=1
	v_div_scale_f32 v1, null, v4, v4, v3
	v_div_scale_f32 v8, vcc_lo, v3, v4, v3
	s_delay_alu instid0(VALU_DEP_2) | instskip(SKIP_2) | instid1(VALU_DEP_1)
	v_rcp_f32_e32 v2, v1
	s_waitcnt_depctr 0xfff
	v_fma_f32 v7, -v1, v2, 1.0
	v_fmac_f32_e32 v2, v7, v2
	s_delay_alu instid0(VALU_DEP_1) | instskip(NEXT) | instid1(VALU_DEP_1)
	v_mul_f32_e32 v7, v8, v2
	v_fma_f32 v9, -v1, v7, v8
	s_delay_alu instid0(VALU_DEP_1) | instskip(NEXT) | instid1(VALU_DEP_1)
	v_fmac_f32_e32 v7, v9, v2
	v_fma_f32 v1, -v1, v7, v8
	s_delay_alu instid0(VALU_DEP_1) | instskip(NEXT) | instid1(VALU_DEP_1)
	v_div_fmas_f32 v1, v1, v2, v7
	v_div_fixup_f32 v1, v1, v4, v3
	s_delay_alu instid0(VALU_DEP_1) | instskip(NEXT) | instid1(VALU_DEP_1)
	v_fma_f32 v2, v3, v1, v4
	v_div_scale_f32 v7, null, v2, v2, 1.0
	v_div_scale_f32 v10, vcc_lo, 1.0, v2, 1.0
	s_delay_alu instid0(VALU_DEP_2) | instskip(SKIP_2) | instid1(VALU_DEP_1)
	v_rcp_f32_e32 v8, v7
	s_waitcnt_depctr 0xfff
	v_fma_f32 v9, -v7, v8, 1.0
	v_fmac_f32_e32 v8, v9, v8
	s_delay_alu instid0(VALU_DEP_1) | instskip(NEXT) | instid1(VALU_DEP_1)
	v_mul_f32_e32 v9, v10, v8
	v_fma_f32 v11, -v7, v9, v10
	s_delay_alu instid0(VALU_DEP_1) | instskip(NEXT) | instid1(VALU_DEP_1)
	v_fmac_f32_e32 v9, v11, v8
	v_fma_f32 v7, -v7, v9, v10
	s_delay_alu instid0(VALU_DEP_1) | instskip(SKIP_1) | instid1(VALU_DEP_2)
	v_div_fmas_f32 v7, v7, v8, v9
	v_fma_f32 v8, v1, v5, v6
	v_div_fixup_f32 v2, v7, v2, 1.0
	v_fma_f32 v7, v1, v6, -v5
	s_delay_alu instid0(VALU_DEP_2) | instskip(NEXT) | instid1(VALU_DEP_2)
	v_mul_f32_e32 v1, v8, v2
	v_mul_f32_e32 v2, v7, v2
	s_cbranch_execz .LBB172_98
	s_branch .LBB172_99
.LBB172_97:                             ;   in Loop: Header=BB172_81 Depth=1
                                        ; implicit-def: $vgpr2
.LBB172_98:                             ;   in Loop: Header=BB172_81 Depth=1
	v_div_scale_f32 v1, null, v3, v3, v4
	v_div_scale_f32 v8, vcc_lo, v4, v3, v4
	s_delay_alu instid0(VALU_DEP_2) | instskip(SKIP_2) | instid1(VALU_DEP_1)
	v_rcp_f32_e32 v2, v1
	s_waitcnt_depctr 0xfff
	v_fma_f32 v7, -v1, v2, 1.0
	v_fmac_f32_e32 v2, v7, v2
	s_delay_alu instid0(VALU_DEP_1) | instskip(NEXT) | instid1(VALU_DEP_1)
	v_mul_f32_e32 v7, v8, v2
	v_fma_f32 v9, -v1, v7, v8
	s_delay_alu instid0(VALU_DEP_1) | instskip(NEXT) | instid1(VALU_DEP_1)
	v_fmac_f32_e32 v7, v9, v2
	v_fma_f32 v1, -v1, v7, v8
	s_delay_alu instid0(VALU_DEP_1) | instskip(NEXT) | instid1(VALU_DEP_1)
	v_div_fmas_f32 v1, v1, v2, v7
	v_div_fixup_f32 v1, v1, v3, v4
	s_delay_alu instid0(VALU_DEP_1) | instskip(NEXT) | instid1(VALU_DEP_1)
	v_fmac_f32_e32 v3, v4, v1
	v_div_scale_f32 v2, null, v3, v3, 1.0
	v_div_scale_f32 v8, vcc_lo, 1.0, v3, 1.0
	s_delay_alu instid0(VALU_DEP_2) | instskip(SKIP_2) | instid1(VALU_DEP_1)
	v_rcp_f32_e32 v4, v2
	s_waitcnt_depctr 0xfff
	v_fma_f32 v7, -v2, v4, 1.0
	v_fmac_f32_e32 v4, v7, v4
	s_delay_alu instid0(VALU_DEP_1) | instskip(NEXT) | instid1(VALU_DEP_1)
	v_mul_f32_e32 v7, v8, v4
	v_fma_f32 v9, -v2, v7, v8
	s_delay_alu instid0(VALU_DEP_1) | instskip(NEXT) | instid1(VALU_DEP_1)
	v_fmac_f32_e32 v7, v9, v4
	v_fma_f32 v2, -v2, v7, v8
	s_delay_alu instid0(VALU_DEP_1) | instskip(SKIP_1) | instid1(VALU_DEP_2)
	v_div_fmas_f32 v2, v2, v4, v7
	v_fma_f32 v4, v1, v6, v5
	v_div_fixup_f32 v2, v2, v3, 1.0
	v_fma_f32 v3, -v1, v5, v6
	s_delay_alu instid0(VALU_DEP_2) | instskip(NEXT) | instid1(VALU_DEP_2)
	v_mul_f32_e32 v1, v4, v2
	v_mul_f32_e32 v2, v3, v2
.LBB172_99:                             ;   in Loop: Header=BB172_81 Depth=1
	s_add_i32 s9, s5, -4
	s_sub_i32 s4, s4, 32
	s_cmp_lt_i32 s5, 7
	ds_store_b64 v15, v[1:2]
	s_cbranch_scc1 .LBB172_101
; %bb.100:                              ;   in Loop: Header=BB172_81 Depth=1
	s_mov_b32 s5, s9
	s_branch .LBB172_81
.LBB172_101:
	s_cmp_lt_i32 s9, 0
	s_cbranch_scc1 .LBB172_110
; %bb.102:
	s_lshl_b32 s4, s11, 8
	s_lshl_b32 s5, s9, 3
	v_lshl_or_b32 v1, v0, 3, s4
	v_lshlrev_b32_e32 v8, 3, v0
	s_add_i32 s4, s4, s5
	s_delay_alu instid0(SALU_CYCLE_1) | instskip(NEXT) | instid1(VALU_DEP_2)
	s_addk_i32 s4, 0xff00
	v_add_nc_u32_e32 v7, 0x1f00, v1
	s_branch .LBB172_104
.LBB172_103:                            ;   in Loop: Header=BB172_104 Depth=1
	s_add_i32 s5, s9, -1
	s_add_i32 s4, s4, -8
	s_cmp_lt_i32 s9, 1
	s_mov_b32 s9, s5
	ds_store_b64 v9, v[5:6]
	s_cbranch_scc1 .LBB172_110
.LBB172_104:                            ; =>This Loop Header: Depth=1
                                        ;     Child Loop BB172_105 Depth 2
	v_lshl_or_b32 v3, s9, 8, v8
	s_delay_alu instid0(VALU_DEP_2)
	v_mov_b32_e32 v4, v7
	s_cmp_le_i32 s30, s9
	s_mov_b32 s5, s4
	s_mov_b32 s10, s30
	ds_load_b64 v[1:2], v3 offset:8192
	s_cbranch_scc1 .LBB172_106
	.p2align	6
.LBB172_105:                            ;   Parent Loop BB172_104 Depth=1
                                        ; =>  This Inner Loop Header: Depth=2
	v_mov_b32_e32 v9, s5
	s_add_i32 s10, s10, -1
	s_addk_i32 s5, 0xff00
	s_cmp_le_i32 s10, s9
	ds_load_b64 v[5:6], v4
	ds_load_b64 v[9:10], v9
	s_waitcnt lgkmcnt(0)
	v_dual_mul_f32 v11, v10, v6 :: v_dual_add_nc_u32 v4, 0xffffff00, v4
	v_mul_f32_e32 v6, v9, v6
	s_delay_alu instid0(VALU_DEP_2) | instskip(NEXT) | instid1(VALU_DEP_2)
	v_fma_f32 v9, v9, v5, -v11
	v_fmac_f32_e32 v6, v10, v5
	s_delay_alu instid0(VALU_DEP_1)
	v_dual_sub_f32 v1, v1, v9 :: v_dual_sub_f32 v2, v2, v6
	s_cbranch_scc0 .LBB172_105
.LBB172_106:                            ;   in Loop: Header=BB172_104 Depth=1
	s_mul_i32 s5, s9, 0x108
	v_add_nc_u32_e32 v9, 0x2000, v3
	v_mov_b32_e32 v3, s5
	ds_load_b64 v[3:4], v3
	s_waitcnt lgkmcnt(0)
	v_cmp_gt_f32_e32 vcc_lo, 0, v3
	v_cndmask_b32_e64 v5, v3, -v3, vcc_lo
	v_cmp_gt_f32_e32 vcc_lo, 0, v4
	v_cndmask_b32_e64 v6, v4, -v4, vcc_lo
	s_delay_alu instid0(VALU_DEP_1)
	v_cmp_ngt_f32_e32 vcc_lo, v5, v6
	s_cbranch_vccz .LBB172_108
; %bb.107:                              ;   in Loop: Header=BB172_104 Depth=1
	v_div_scale_f32 v5, null, v4, v4, v3
	v_div_scale_f32 v11, vcc_lo, v3, v4, v3
	s_delay_alu instid0(VALU_DEP_2) | instskip(SKIP_2) | instid1(VALU_DEP_1)
	v_rcp_f32_e32 v6, v5
	s_waitcnt_depctr 0xfff
	v_fma_f32 v10, -v5, v6, 1.0
	v_fmac_f32_e32 v6, v10, v6
	s_delay_alu instid0(VALU_DEP_1) | instskip(NEXT) | instid1(VALU_DEP_1)
	v_mul_f32_e32 v10, v11, v6
	v_fma_f32 v12, -v5, v10, v11
	s_delay_alu instid0(VALU_DEP_1) | instskip(NEXT) | instid1(VALU_DEP_1)
	v_fmac_f32_e32 v10, v12, v6
	v_fma_f32 v5, -v5, v10, v11
	s_delay_alu instid0(VALU_DEP_1) | instskip(NEXT) | instid1(VALU_DEP_1)
	v_div_fmas_f32 v5, v5, v6, v10
	v_div_fixup_f32 v5, v5, v4, v3
	s_delay_alu instid0(VALU_DEP_1) | instskip(NEXT) | instid1(VALU_DEP_1)
	v_fma_f32 v6, v3, v5, v4
	v_div_scale_f32 v10, null, v6, v6, 1.0
	v_div_scale_f32 v13, vcc_lo, 1.0, v6, 1.0
	s_delay_alu instid0(VALU_DEP_2) | instskip(SKIP_2) | instid1(VALU_DEP_1)
	v_rcp_f32_e32 v11, v10
	s_waitcnt_depctr 0xfff
	v_fma_f32 v12, -v10, v11, 1.0
	v_fmac_f32_e32 v11, v12, v11
	s_delay_alu instid0(VALU_DEP_1) | instskip(NEXT) | instid1(VALU_DEP_1)
	v_mul_f32_e32 v12, v13, v11
	v_fma_f32 v14, -v10, v12, v13
	s_delay_alu instid0(VALU_DEP_1) | instskip(NEXT) | instid1(VALU_DEP_1)
	v_fmac_f32_e32 v12, v14, v11
	v_fma_f32 v10, -v10, v12, v13
	s_delay_alu instid0(VALU_DEP_1) | instskip(SKIP_1) | instid1(VALU_DEP_2)
	v_div_fmas_f32 v10, v10, v11, v12
	v_fma_f32 v11, v1, v5, v2
	v_div_fixup_f32 v6, v10, v6, 1.0
	v_fma_f32 v10, v2, v5, -v1
	s_delay_alu instid0(VALU_DEP_2) | instskip(NEXT) | instid1(VALU_DEP_2)
	v_mul_f32_e32 v5, v11, v6
	v_mul_f32_e32 v6, v10, v6
	s_cbranch_execnz .LBB172_103
	s_branch .LBB172_109
.LBB172_108:                            ;   in Loop: Header=BB172_104 Depth=1
                                        ; implicit-def: $vgpr5
.LBB172_109:                            ;   in Loop: Header=BB172_104 Depth=1
	v_div_scale_f32 v5, null, v3, v3, v4
	v_div_scale_f32 v11, vcc_lo, v4, v3, v4
	s_delay_alu instid0(VALU_DEP_2) | instskip(SKIP_2) | instid1(VALU_DEP_1)
	v_rcp_f32_e32 v6, v5
	s_waitcnt_depctr 0xfff
	v_fma_f32 v10, -v5, v6, 1.0
	v_fmac_f32_e32 v6, v10, v6
	s_delay_alu instid0(VALU_DEP_1) | instskip(NEXT) | instid1(VALU_DEP_1)
	v_mul_f32_e32 v10, v11, v6
	v_fma_f32 v12, -v5, v10, v11
	s_delay_alu instid0(VALU_DEP_1) | instskip(NEXT) | instid1(VALU_DEP_1)
	v_fmac_f32_e32 v10, v12, v6
	v_fma_f32 v5, -v5, v10, v11
	s_delay_alu instid0(VALU_DEP_1) | instskip(NEXT) | instid1(VALU_DEP_1)
	v_div_fmas_f32 v5, v5, v6, v10
	v_div_fixup_f32 v5, v5, v3, v4
	s_delay_alu instid0(VALU_DEP_1) | instskip(NEXT) | instid1(VALU_DEP_1)
	v_fmac_f32_e32 v3, v4, v5
	v_div_scale_f32 v4, null, v3, v3, 1.0
	v_div_scale_f32 v11, vcc_lo, 1.0, v3, 1.0
	s_delay_alu instid0(VALU_DEP_2) | instskip(SKIP_2) | instid1(VALU_DEP_1)
	v_rcp_f32_e32 v6, v4
	s_waitcnt_depctr 0xfff
	v_fma_f32 v10, -v4, v6, 1.0
	v_fmac_f32_e32 v6, v10, v6
	s_delay_alu instid0(VALU_DEP_1) | instskip(NEXT) | instid1(VALU_DEP_1)
	v_mul_f32_e32 v10, v11, v6
	v_fma_f32 v12, -v4, v10, v11
	s_delay_alu instid0(VALU_DEP_1) | instskip(NEXT) | instid1(VALU_DEP_1)
	v_fmac_f32_e32 v10, v12, v6
	v_fma_f32 v4, -v4, v10, v11
	s_delay_alu instid0(VALU_DEP_1) | instskip(SKIP_2) | instid1(VALU_DEP_3)
	v_div_fmas_f32 v4, v4, v6, v10
	v_fma_f32 v6, v2, v5, v1
	v_fma_f32 v1, -v1, v5, v2
	v_div_fixup_f32 v3, v4, v3, 1.0
	s_delay_alu instid0(VALU_DEP_1) | instskip(NEXT) | instid1(VALU_DEP_3)
	v_mul_f32_e32 v5, v6, v3
	v_mul_f32_e32 v6, v1, v3
	s_branch .LBB172_103
.LBB172_110:
	s_mov_b32 s4, 0
.LBB172_111:
	s_delay_alu instid0(SALU_CYCLE_1)
	s_and_not1_b32 vcc_lo, exec_lo, s4
	s_cbranch_vccnz .LBB172_143
; %bb.112:
	s_and_not1_b32 vcc_lo, exec_lo, s1
	s_mov_b32 s5, s30
	s_cbranch_vccnz .LBB172_134
; %bb.113:
	v_lshlrev_b32_e32 v13, 3, v0
	s_mul_i32 s1, s11, 0x108
	s_mov_b32 s4, s30
	s_addk_i32 s1, 0xfbf0
	s_delay_alu instid0(VALU_DEP_1) | instskip(NEXT) | instid1(VALU_DEP_1)
	v_lshl_or_b32 v1, s11, 8, v13
	v_add_nc_u32_e32 v14, 0x1e00, v1
.LBB172_114:                            ; =>This Loop Header: Depth=1
                                        ;     Child Loop BB172_115 Depth 2
	s_lshl_b32 s5, s4, 5
	s_add_i32 s9, s4, -1
	v_or_b32_e32 v1, s5, v0
	s_sub_i32 s10, s5, 64
	s_addk_i32 s5, 0xffa0
	v_or_b32_e32 v2, s10, v0
	v_or_b32_e32 v5, s5, v0
	v_lshlrev_b32_e32 v3, 3, v1
	v_lshl_or_b32 v4, s9, 8, v13
	v_mov_b32_e32 v15, v14
	v_lshlrev_b32_e32 v9, 3, v2
	v_lshlrev_b32_e32 v10, 3, v5
	ds_load_b64 v[1:2], v3 offset:8192
	ds_load_b64 v[11:12], v4 offset:8192
	;; [unrolled: 1-line block ×4, first 2 shown]
	s_cmp_le_i32 s30, s4
	s_mov_b32 s14, s1
	s_mov_b32 s15, s30
	s_cbranch_scc1 .LBB172_116
.LBB172_115:                            ;   Parent Loop BB172_114 Depth=1
                                        ; =>  This Inner Loop Header: Depth=2
	v_mov_b32_e32 v32, s14
	ds_load_2addr_b64 v[16:19], v15 offset1:32
	v_add_nc_u32_e32 v15, 0xfffffe00, v15
	s_add_i32 s15, s15, -2
	s_add_i32 s14, s14, -16
	ds_load_2addr_b64 v[20:23], v32 offset0:96 offset1:97
	ds_load_2addr_b64 v[24:27], v32 offset0:64 offset1:65
	;; [unrolled: 1-line block ×3, first 2 shown]
	ds_load_2addr_b64 v[32:35], v32 offset1:1
	s_cmp_le_i32 s15, s4
	s_waitcnt lgkmcnt(3)
	v_dual_mul_f32 v37, v22, v19 :: v_dual_mul_f32 v42, v20, v17
	s_waitcnt lgkmcnt(2)
	v_dual_mul_f32 v38, v27, v19 :: v_dual_mul_f32 v43, v25, v17
	;; [unrolled: 2-line block ×4, first 2 shown]
	v_dual_mul_f32 v36, v23, v19 :: v_dual_mul_f32 v41, v21, v17
	s_delay_alu instid0(VALU_DEP_3) | instskip(SKIP_1) | instid1(VALU_DEP_4)
	v_fmac_f32_e32 v27, v26, v19
	v_mul_f32_e32 v35, v35, v18
	v_fmac_f32_e32 v25, v24, v17
	v_dual_mul_f32 v39, v31, v19 :: v_dual_fmac_f32 v42, v21, v16
	s_delay_alu instid0(VALU_DEP_4) | instskip(SKIP_2) | instid1(VALU_DEP_4)
	v_dual_sub_f32 v12, v12, v27 :: v_dual_fmac_f32 v37, v23, v18
	v_fma_f32 v22, v22, v18, -v36
	v_fma_f32 v23, v26, v18, -v38
	;; [unrolled: 1-line block ×3, first 2 shown]
	s_delay_alu instid0(VALU_DEP_4) | instskip(SKIP_4) | instid1(VALU_DEP_4)
	v_dual_sub_f32 v12, v12, v25 :: v_dual_mul_f32 v31, v31, v18
	v_sub_f32_e32 v2, v2, v37
	v_fma_f32 v18, v34, v18, -v40
	v_fmac_f32_e32 v35, v34, v19
	v_mul_f32_e32 v45, v33, v17
	v_dual_mul_f32 v33, v33, v16 :: v_dual_sub_f32 v2, v2, v42
	v_fmac_f32_e32 v31, v30, v19
	v_mul_f32_e32 v29, v29, v16
	v_fma_f32 v19, v20, v16, -v41
	v_fma_f32 v20, v24, v16, -v43
	;; [unrolled: 1-line block ×3, first 2 shown]
	v_sub_f32_e32 v8, v8, v31
	v_fmac_f32_e32 v29, v28, v17
	v_fmac_f32_e32 v33, v32, v17
	v_sub_f32_e32 v11, v11, v23
	v_sub_f32_e32 v7, v7, v26
	v_dual_sub_f32 v5, v5, v18 :: v_dual_sub_f32 v6, v6, v35
	v_fma_f32 v16, v32, v16, -v45
	v_sub_f32_e32 v1, v1, v22
	v_sub_f32_e32 v11, v11, v20
	;; [unrolled: 1-line block ×4, first 2 shown]
	s_delay_alu instid0(VALU_DEP_4)
	v_dual_sub_f32 v8, v8, v29 :: v_dual_sub_f32 v1, v1, v19
	v_sub_f32_e32 v5, v5, v16
	s_cbranch_scc0 .LBB172_115
.LBB172_116:                            ;   in Loop: Header=BB172_114 Depth=1
	s_mul_i32 s14, s4, 0x108
	s_delay_alu instid0(SALU_CYCLE_1)
	v_dual_mov_b32 v3, s14 :: v_dual_add_nc_u32 v18, 0x2000, v3
	v_add_nc_u32_e32 v17, 0x2000, v4
	v_add_nc_u32_e32 v16, 0x2000, v9
	;; [unrolled: 1-line block ×3, first 2 shown]
	ds_load_b64 v[3:4], v3
	s_waitcnt lgkmcnt(0)
	v_cmp_gt_f32_e32 vcc_lo, 0, v3
	v_cndmask_b32_e64 v9, v3, -v3, vcc_lo
	v_cmp_gt_f32_e32 vcc_lo, 0, v4
	v_cndmask_b32_e64 v10, v4, -v4, vcc_lo
	s_delay_alu instid0(VALU_DEP_1)
	v_cmp_ngt_f32_e32 vcc_lo, v9, v10
	s_cbranch_vccz .LBB172_118
; %bb.117:                              ;   in Loop: Header=BB172_114 Depth=1
	v_div_scale_f32 v9, null, v4, v4, v3
	v_div_scale_f32 v20, vcc_lo, v3, v4, v3
	s_delay_alu instid0(VALU_DEP_2) | instskip(SKIP_2) | instid1(VALU_DEP_1)
	v_rcp_f32_e32 v10, v9
	s_waitcnt_depctr 0xfff
	v_fma_f32 v19, -v9, v10, 1.0
	v_fmac_f32_e32 v10, v19, v10
	s_delay_alu instid0(VALU_DEP_1) | instskip(NEXT) | instid1(VALU_DEP_1)
	v_mul_f32_e32 v19, v20, v10
	v_fma_f32 v21, -v9, v19, v20
	s_delay_alu instid0(VALU_DEP_1) | instskip(NEXT) | instid1(VALU_DEP_1)
	v_fmac_f32_e32 v19, v21, v10
	v_fma_f32 v9, -v9, v19, v20
	s_delay_alu instid0(VALU_DEP_1) | instskip(NEXT) | instid1(VALU_DEP_1)
	v_div_fmas_f32 v9, v9, v10, v19
	v_div_fixup_f32 v9, v9, v4, v3
	s_delay_alu instid0(VALU_DEP_1) | instskip(NEXT) | instid1(VALU_DEP_1)
	v_fma_f32 v10, v3, v9, v4
	v_div_scale_f32 v19, null, v10, v10, 1.0
	v_div_scale_f32 v22, vcc_lo, 1.0, v10, 1.0
	s_delay_alu instid0(VALU_DEP_2) | instskip(SKIP_2) | instid1(VALU_DEP_1)
	v_rcp_f32_e32 v20, v19
	s_waitcnt_depctr 0xfff
	v_fma_f32 v21, -v19, v20, 1.0
	v_fmac_f32_e32 v20, v21, v20
	s_delay_alu instid0(VALU_DEP_1) | instskip(NEXT) | instid1(VALU_DEP_1)
	v_mul_f32_e32 v21, v22, v20
	v_fma_f32 v23, -v19, v21, v22
	s_delay_alu instid0(VALU_DEP_1) | instskip(NEXT) | instid1(VALU_DEP_1)
	v_fmac_f32_e32 v21, v23, v20
	v_fma_f32 v19, -v19, v21, v22
	s_delay_alu instid0(VALU_DEP_1) | instskip(SKIP_1) | instid1(VALU_DEP_2)
	v_div_fmas_f32 v19, v19, v20, v21
	v_fma_f32 v20, v1, v9, v2
	v_div_fixup_f32 v10, v19, v10, 1.0
	v_fma_f32 v19, v2, v9, -v1
	s_delay_alu instid0(VALU_DEP_2) | instskip(NEXT) | instid1(VALU_DEP_2)
	v_mul_f32_e32 v9, v20, v10
	v_mul_f32_e32 v10, v19, v10
	s_cbranch_execz .LBB172_119
	s_branch .LBB172_120
.LBB172_118:                            ;   in Loop: Header=BB172_114 Depth=1
                                        ; implicit-def: $vgpr10
.LBB172_119:                            ;   in Loop: Header=BB172_114 Depth=1
	v_div_scale_f32 v9, null, v3, v3, v4
	v_div_scale_f32 v20, vcc_lo, v4, v3, v4
	s_delay_alu instid0(VALU_DEP_2) | instskip(SKIP_2) | instid1(VALU_DEP_1)
	v_rcp_f32_e32 v10, v9
	s_waitcnt_depctr 0xfff
	v_fma_f32 v19, -v9, v10, 1.0
	v_fmac_f32_e32 v10, v19, v10
	s_delay_alu instid0(VALU_DEP_1) | instskip(NEXT) | instid1(VALU_DEP_1)
	v_mul_f32_e32 v19, v20, v10
	v_fma_f32 v21, -v9, v19, v20
	s_delay_alu instid0(VALU_DEP_1) | instskip(NEXT) | instid1(VALU_DEP_1)
	v_fmac_f32_e32 v19, v21, v10
	v_fma_f32 v9, -v9, v19, v20
	s_delay_alu instid0(VALU_DEP_1) | instskip(NEXT) | instid1(VALU_DEP_1)
	v_div_fmas_f32 v9, v9, v10, v19
	v_div_fixup_f32 v9, v9, v3, v4
	s_delay_alu instid0(VALU_DEP_1) | instskip(NEXT) | instid1(VALU_DEP_1)
	v_fmac_f32_e32 v3, v4, v9
	v_div_scale_f32 v4, null, v3, v3, 1.0
	v_div_scale_f32 v20, vcc_lo, 1.0, v3, 1.0
	s_delay_alu instid0(VALU_DEP_2) | instskip(SKIP_2) | instid1(VALU_DEP_1)
	v_rcp_f32_e32 v10, v4
	s_waitcnt_depctr 0xfff
	v_fma_f32 v19, -v4, v10, 1.0
	v_fmac_f32_e32 v10, v19, v10
	s_delay_alu instid0(VALU_DEP_1) | instskip(NEXT) | instid1(VALU_DEP_1)
	v_mul_f32_e32 v19, v20, v10
	v_fma_f32 v21, -v4, v19, v20
	s_delay_alu instid0(VALU_DEP_1) | instskip(NEXT) | instid1(VALU_DEP_1)
	v_fmac_f32_e32 v19, v21, v10
	v_fma_f32 v4, -v4, v19, v20
	s_delay_alu instid0(VALU_DEP_1) | instskip(SKIP_2) | instid1(VALU_DEP_3)
	v_div_fmas_f32 v4, v4, v10, v19
	v_fma_f32 v10, v2, v9, v1
	v_fma_f32 v1, -v1, v9, v2
	v_div_fixup_f32 v3, v4, v3, 1.0
	s_delay_alu instid0(VALU_DEP_1) | instskip(NEXT) | instid1(VALU_DEP_3)
	v_mul_f32_e32 v9, v10, v3
	v_mul_f32_e32 v10, v1, v3
.LBB172_120:                            ;   in Loop: Header=BB172_114 Depth=1
	s_addk_i32 s14, 0xfef8
	ds_store_b64 v18, v[9:10]
	v_mov_b32_e32 v1, s14
	ds_load_2addr_b64 v[1:4], v1 offset1:1
	s_waitcnt lgkmcnt(0)
	v_cmp_gt_f32_e32 vcc_lo, 0, v1
	v_mul_f32_e32 v19, v10, v4
	v_mul_f32_e32 v4, v9, v4
	v_cndmask_b32_e64 v20, v1, -v1, vcc_lo
	v_cmp_gt_f32_e32 vcc_lo, 0, v2
	s_delay_alu instid0(VALU_DEP_4) | instskip(NEXT) | instid1(VALU_DEP_4)
	v_fma_f32 v19, v9, v3, -v19
	v_fmac_f32_e32 v4, v10, v3
	v_cndmask_b32_e64 v21, v2, -v2, vcc_lo
	s_delay_alu instid0(VALU_DEP_2) | instskip(NEXT) | instid1(VALU_DEP_2)
	v_dual_sub_f32 v3, v11, v19 :: v_dual_sub_f32 v4, v12, v4
	v_cmp_ngt_f32_e32 vcc_lo, v20, v21
	s_cbranch_vccz .LBB172_122
; %bb.121:                              ;   in Loop: Header=BB172_114 Depth=1
	v_div_scale_f32 v11, null, v2, v2, v1
	v_div_scale_f32 v19, vcc_lo, v1, v2, v1
	s_delay_alu instid0(VALU_DEP_2) | instskip(SKIP_2) | instid1(VALU_DEP_1)
	v_rcp_f32_e32 v12, v11
	s_waitcnt_depctr 0xfff
	v_fma_f32 v18, -v11, v12, 1.0
	v_fmac_f32_e32 v12, v18, v12
	s_delay_alu instid0(VALU_DEP_1) | instskip(NEXT) | instid1(VALU_DEP_1)
	v_mul_f32_e32 v18, v19, v12
	v_fma_f32 v20, -v11, v18, v19
	s_delay_alu instid0(VALU_DEP_1) | instskip(NEXT) | instid1(VALU_DEP_1)
	v_fmac_f32_e32 v18, v20, v12
	v_fma_f32 v11, -v11, v18, v19
	s_delay_alu instid0(VALU_DEP_1) | instskip(NEXT) | instid1(VALU_DEP_1)
	v_div_fmas_f32 v11, v11, v12, v18
	v_div_fixup_f32 v11, v11, v2, v1
	s_delay_alu instid0(VALU_DEP_1) | instskip(NEXT) | instid1(VALU_DEP_1)
	v_fma_f32 v12, v1, v11, v2
	v_div_scale_f32 v18, null, v12, v12, 1.0
	v_div_scale_f32 v21, vcc_lo, 1.0, v12, 1.0
	s_delay_alu instid0(VALU_DEP_2) | instskip(SKIP_2) | instid1(VALU_DEP_1)
	v_rcp_f32_e32 v19, v18
	s_waitcnt_depctr 0xfff
	v_fma_f32 v20, -v18, v19, 1.0
	v_fmac_f32_e32 v19, v20, v19
	s_delay_alu instid0(VALU_DEP_1) | instskip(NEXT) | instid1(VALU_DEP_1)
	v_mul_f32_e32 v20, v21, v19
	v_fma_f32 v22, -v18, v20, v21
	s_delay_alu instid0(VALU_DEP_1) | instskip(NEXT) | instid1(VALU_DEP_1)
	v_fmac_f32_e32 v20, v22, v19
	v_fma_f32 v18, -v18, v20, v21
	s_delay_alu instid0(VALU_DEP_1) | instskip(SKIP_1) | instid1(VALU_DEP_2)
	v_div_fmas_f32 v18, v18, v19, v20
	v_fma_f32 v19, v11, v3, v4
	v_div_fixup_f32 v12, v18, v12, 1.0
	v_fma_f32 v18, v11, v4, -v3
	s_delay_alu instid0(VALU_DEP_2) | instskip(NEXT) | instid1(VALU_DEP_2)
	v_mul_f32_e32 v11, v19, v12
	v_mul_f32_e32 v12, v18, v12
	s_cbranch_execz .LBB172_123
	s_branch .LBB172_124
.LBB172_122:                            ;   in Loop: Header=BB172_114 Depth=1
                                        ; implicit-def: $vgpr12
.LBB172_123:                            ;   in Loop: Header=BB172_114 Depth=1
	v_div_scale_f32 v11, null, v1, v1, v2
	v_div_scale_f32 v19, vcc_lo, v2, v1, v2
	s_delay_alu instid0(VALU_DEP_2) | instskip(SKIP_2) | instid1(VALU_DEP_1)
	v_rcp_f32_e32 v12, v11
	s_waitcnt_depctr 0xfff
	v_fma_f32 v18, -v11, v12, 1.0
	v_fmac_f32_e32 v12, v18, v12
	s_delay_alu instid0(VALU_DEP_1) | instskip(NEXT) | instid1(VALU_DEP_1)
	v_mul_f32_e32 v18, v19, v12
	v_fma_f32 v20, -v11, v18, v19
	s_delay_alu instid0(VALU_DEP_1) | instskip(NEXT) | instid1(VALU_DEP_1)
	v_fmac_f32_e32 v18, v20, v12
	v_fma_f32 v11, -v11, v18, v19
	s_delay_alu instid0(VALU_DEP_1) | instskip(NEXT) | instid1(VALU_DEP_1)
	v_div_fmas_f32 v11, v11, v12, v18
	v_div_fixup_f32 v11, v11, v1, v2
	s_delay_alu instid0(VALU_DEP_1) | instskip(NEXT) | instid1(VALU_DEP_1)
	v_fmac_f32_e32 v1, v2, v11
	v_div_scale_f32 v2, null, v1, v1, 1.0
	v_div_scale_f32 v19, vcc_lo, 1.0, v1, 1.0
	s_delay_alu instid0(VALU_DEP_2) | instskip(SKIP_2) | instid1(VALU_DEP_1)
	v_rcp_f32_e32 v12, v2
	s_waitcnt_depctr 0xfff
	v_fma_f32 v18, -v2, v12, 1.0
	v_fmac_f32_e32 v12, v18, v12
	s_delay_alu instid0(VALU_DEP_1) | instskip(NEXT) | instid1(VALU_DEP_1)
	v_mul_f32_e32 v18, v19, v12
	v_fma_f32 v20, -v2, v18, v19
	s_delay_alu instid0(VALU_DEP_1) | instskip(NEXT) | instid1(VALU_DEP_1)
	v_fmac_f32_e32 v18, v20, v12
	v_fma_f32 v2, -v2, v18, v19
	s_delay_alu instid0(VALU_DEP_1) | instskip(SKIP_1) | instid1(VALU_DEP_2)
	v_div_fmas_f32 v2, v2, v12, v18
	v_fma_f32 v12, v11, v4, v3
	v_div_fixup_f32 v1, v2, v1, 1.0
	v_fma_f32 v2, -v11, v3, v4
	s_delay_alu instid0(VALU_DEP_2) | instskip(NEXT) | instid1(VALU_DEP_2)
	v_mul_f32_e32 v11, v12, v1
	v_mul_f32_e32 v12, v2, v1
.LBB172_124:                            ;   in Loop: Header=BB172_114 Depth=1
	s_add_i32 s10, s10, s4
	s_delay_alu instid0(SALU_CYCLE_1) | instskip(SKIP_1) | instid1(SALU_CYCLE_1)
	s_lshl_b32 s15, s10, 3
	s_add_i32 s10, s14, 0xfffffef8
	v_dual_mov_b32 v1, s15 :: v_dual_mov_b32 v2, s10
	ds_load_b64 v[18:19], v1
	ds_load_2addr_b64 v[1:4], v2 offset1:1
	ds_store_b64 v17, v[11:12]
	s_waitcnt lgkmcnt(1)
	v_dual_mul_f32 v20, v10, v19 :: v_dual_mul_f32 v21, v12, v4
	v_cmp_gt_f32_e32 vcc_lo, 0, v1
	v_dual_mul_f32 v19, v9, v19 :: v_dual_mul_f32 v4, v11, v4
	s_delay_alu instid0(VALU_DEP_3) | instskip(NEXT) | instid1(VALU_DEP_4)
	v_fma_f32 v20, v9, v18, -v20
	v_fma_f32 v21, v11, v3, -v21
	v_cndmask_b32_e64 v22, v1, -v1, vcc_lo
	v_cmp_gt_f32_e32 vcc_lo, 0, v2
	v_dual_fmac_f32 v19, v10, v18 :: v_dual_fmac_f32 v4, v12, v3
	v_sub_f32_e32 v3, v7, v20
	v_cndmask_b32_e64 v18, v2, -v2, vcc_lo
	s_delay_alu instid0(VALU_DEP_3) | instskip(NEXT) | instid1(VALU_DEP_3)
	v_sub_f32_e32 v7, v8, v19
	v_sub_f32_e32 v3, v3, v21
	s_delay_alu instid0(VALU_DEP_3) | instskip(NEXT) | instid1(VALU_DEP_3)
	v_cmp_ngt_f32_e32 vcc_lo, v22, v18
	v_sub_f32_e32 v4, v7, v4
	s_cbranch_vccz .LBB172_126
; %bb.125:                              ;   in Loop: Header=BB172_114 Depth=1
	v_div_scale_f32 v7, null, v2, v2, v1
	v_div_scale_f32 v18, vcc_lo, v1, v2, v1
	s_delay_alu instid0(VALU_DEP_2) | instskip(SKIP_2) | instid1(VALU_DEP_1)
	v_rcp_f32_e32 v8, v7
	s_waitcnt_depctr 0xfff
	v_fma_f32 v17, -v7, v8, 1.0
	v_fmac_f32_e32 v8, v17, v8
	s_delay_alu instid0(VALU_DEP_1) | instskip(NEXT) | instid1(VALU_DEP_1)
	v_mul_f32_e32 v17, v18, v8
	v_fma_f32 v19, -v7, v17, v18
	s_delay_alu instid0(VALU_DEP_1) | instskip(NEXT) | instid1(VALU_DEP_1)
	v_fmac_f32_e32 v17, v19, v8
	v_fma_f32 v7, -v7, v17, v18
	s_delay_alu instid0(VALU_DEP_1) | instskip(NEXT) | instid1(VALU_DEP_1)
	v_div_fmas_f32 v7, v7, v8, v17
	v_div_fixup_f32 v7, v7, v2, v1
	s_delay_alu instid0(VALU_DEP_1) | instskip(NEXT) | instid1(VALU_DEP_1)
	v_fma_f32 v8, v1, v7, v2
	v_div_scale_f32 v17, null, v8, v8, 1.0
	v_div_scale_f32 v20, vcc_lo, 1.0, v8, 1.0
	s_delay_alu instid0(VALU_DEP_2) | instskip(SKIP_2) | instid1(VALU_DEP_1)
	v_rcp_f32_e32 v18, v17
	s_waitcnt_depctr 0xfff
	v_fma_f32 v19, -v17, v18, 1.0
	v_fmac_f32_e32 v18, v19, v18
	s_delay_alu instid0(VALU_DEP_1) | instskip(NEXT) | instid1(VALU_DEP_1)
	v_mul_f32_e32 v19, v20, v18
	v_fma_f32 v21, -v17, v19, v20
	s_delay_alu instid0(VALU_DEP_1) | instskip(NEXT) | instid1(VALU_DEP_1)
	v_fmac_f32_e32 v19, v21, v18
	v_fma_f32 v17, -v17, v19, v20
	s_delay_alu instid0(VALU_DEP_1) | instskip(SKIP_1) | instid1(VALU_DEP_2)
	v_div_fmas_f32 v17, v17, v18, v19
	v_fma_f32 v18, v7, v3, v4
	v_div_fixup_f32 v8, v17, v8, 1.0
	v_fma_f32 v17, v7, v4, -v3
	s_delay_alu instid0(VALU_DEP_2) | instskip(NEXT) | instid1(VALU_DEP_2)
	v_mul_f32_e32 v7, v18, v8
	v_mul_f32_e32 v8, v17, v8
	s_cbranch_execz .LBB172_127
	s_branch .LBB172_128
.LBB172_126:                            ;   in Loop: Header=BB172_114 Depth=1
                                        ; implicit-def: $vgpr8
.LBB172_127:                            ;   in Loop: Header=BB172_114 Depth=1
	v_div_scale_f32 v7, null, v1, v1, v2
	v_div_scale_f32 v18, vcc_lo, v2, v1, v2
	s_delay_alu instid0(VALU_DEP_2) | instskip(SKIP_2) | instid1(VALU_DEP_1)
	v_rcp_f32_e32 v8, v7
	s_waitcnt_depctr 0xfff
	v_fma_f32 v17, -v7, v8, 1.0
	v_fmac_f32_e32 v8, v17, v8
	s_delay_alu instid0(VALU_DEP_1) | instskip(NEXT) | instid1(VALU_DEP_1)
	v_mul_f32_e32 v17, v18, v8
	v_fma_f32 v19, -v7, v17, v18
	s_delay_alu instid0(VALU_DEP_1) | instskip(NEXT) | instid1(VALU_DEP_1)
	v_fmac_f32_e32 v17, v19, v8
	v_fma_f32 v7, -v7, v17, v18
	s_delay_alu instid0(VALU_DEP_1) | instskip(NEXT) | instid1(VALU_DEP_1)
	v_div_fmas_f32 v7, v7, v8, v17
	v_div_fixup_f32 v7, v7, v1, v2
	s_delay_alu instid0(VALU_DEP_1) | instskip(NEXT) | instid1(VALU_DEP_1)
	v_fmac_f32_e32 v1, v2, v7
	v_div_scale_f32 v2, null, v1, v1, 1.0
	v_div_scale_f32 v18, vcc_lo, 1.0, v1, 1.0
	s_delay_alu instid0(VALU_DEP_2) | instskip(SKIP_2) | instid1(VALU_DEP_1)
	v_rcp_f32_e32 v8, v2
	s_waitcnt_depctr 0xfff
	v_fma_f32 v17, -v2, v8, 1.0
	v_fmac_f32_e32 v8, v17, v8
	s_delay_alu instid0(VALU_DEP_1) | instskip(NEXT) | instid1(VALU_DEP_1)
	v_mul_f32_e32 v17, v18, v8
	v_fma_f32 v19, -v2, v17, v18
	s_delay_alu instid0(VALU_DEP_1) | instskip(NEXT) | instid1(VALU_DEP_1)
	v_fmac_f32_e32 v17, v19, v8
	v_fma_f32 v2, -v2, v17, v18
	s_delay_alu instid0(VALU_DEP_1) | instskip(SKIP_1) | instid1(VALU_DEP_2)
	v_div_fmas_f32 v2, v2, v8, v17
	v_fma_f32 v8, v7, v4, v3
	v_div_fixup_f32 v1, v2, v1, 1.0
	v_fma_f32 v2, -v7, v3, v4
	s_delay_alu instid0(VALU_DEP_2) | instskip(NEXT) | instid1(VALU_DEP_2)
	v_mul_f32_e32 v7, v8, v1
	v_mul_f32_e32 v8, v2, v1
.LBB172_128:                            ;   in Loop: Header=BB172_114 Depth=1
	s_add_i32 s5, s5, s9
	s_delay_alu instid0(SALU_CYCLE_1) | instskip(NEXT) | instid1(SALU_CYCLE_1)
	s_lshl_b32 s5, s5, 3
	v_mov_b32_e32 v1, s5
	s_add_i32 s5, s10, 0xfffffef8
	s_delay_alu instid0(SALU_CYCLE_1)
	v_mov_b32_e32 v2, s5
	ds_load_2addr_b64 v[17:20], v1 offset1:1
	ds_load_2addr_b64 v[1:4], v2 offset1:1
	ds_store_b64 v16, v[7:8]
	s_waitcnt lgkmcnt(2)
	v_dual_mul_f32 v21, v10, v20 :: v_dual_mul_f32 v22, v12, v18
	v_mul_f32_e32 v20, v9, v20
	s_waitcnt lgkmcnt(1)
	v_dual_mul_f32 v18, v11, v18 :: v_dual_mul_f32 v23, v8, v4
	s_delay_alu instid0(VALU_DEP_3) | instskip(SKIP_3) | instid1(VALU_DEP_4)
	v_fma_f32 v9, v9, v19, -v21
	v_mul_f32_e32 v4, v7, v4
	v_fma_f32 v11, v11, v17, -v22
	v_cmp_gt_f32_e32 vcc_lo, 0, v1
	v_sub_f32_e32 v5, v5, v9
	v_fmac_f32_e32 v18, v12, v17
	v_fma_f32 v12, v7, v3, -v23
	v_fmac_f32_e32 v4, v8, v3
	s_delay_alu instid0(VALU_DEP_4) | instskip(SKIP_3) | instid1(VALU_DEP_4)
	v_sub_f32_e32 v3, v5, v11
	v_fmac_f32_e32 v20, v10, v19
	v_cndmask_b32_e64 v10, v1, -v1, vcc_lo
	v_cmp_gt_f32_e32 vcc_lo, 0, v2
	v_sub_f32_e32 v5, v3, v12
	s_delay_alu instid0(VALU_DEP_4) | instskip(SKIP_1) | instid1(VALU_DEP_2)
	v_sub_f32_e32 v6, v6, v20
	v_cndmask_b32_e64 v9, v2, -v2, vcc_lo
	v_sub_f32_e32 v6, v6, v18
	s_delay_alu instid0(VALU_DEP_2) | instskip(NEXT) | instid1(VALU_DEP_2)
	v_cmp_ngt_f32_e32 vcc_lo, v10, v9
	v_sub_f32_e32 v6, v6, v4
	s_cbranch_vccz .LBB172_130
; %bb.129:                              ;   in Loop: Header=BB172_114 Depth=1
	v_div_scale_f32 v3, null, v2, v2, v1
	v_div_scale_f32 v8, vcc_lo, v1, v2, v1
	s_delay_alu instid0(VALU_DEP_2) | instskip(SKIP_2) | instid1(VALU_DEP_1)
	v_rcp_f32_e32 v4, v3
	s_waitcnt_depctr 0xfff
	v_fma_f32 v7, -v3, v4, 1.0
	v_fmac_f32_e32 v4, v7, v4
	s_delay_alu instid0(VALU_DEP_1) | instskip(NEXT) | instid1(VALU_DEP_1)
	v_mul_f32_e32 v7, v8, v4
	v_fma_f32 v9, -v3, v7, v8
	s_delay_alu instid0(VALU_DEP_1) | instskip(NEXT) | instid1(VALU_DEP_1)
	v_fmac_f32_e32 v7, v9, v4
	v_fma_f32 v3, -v3, v7, v8
	s_delay_alu instid0(VALU_DEP_1) | instskip(NEXT) | instid1(VALU_DEP_1)
	v_div_fmas_f32 v3, v3, v4, v7
	v_div_fixup_f32 v3, v3, v2, v1
	s_delay_alu instid0(VALU_DEP_1) | instskip(NEXT) | instid1(VALU_DEP_1)
	v_fma_f32 v4, v1, v3, v2
	v_div_scale_f32 v7, null, v4, v4, 1.0
	v_div_scale_f32 v10, vcc_lo, 1.0, v4, 1.0
	s_delay_alu instid0(VALU_DEP_2) | instskip(SKIP_2) | instid1(VALU_DEP_1)
	v_rcp_f32_e32 v8, v7
	s_waitcnt_depctr 0xfff
	v_fma_f32 v9, -v7, v8, 1.0
	v_fmac_f32_e32 v8, v9, v8
	s_delay_alu instid0(VALU_DEP_1) | instskip(NEXT) | instid1(VALU_DEP_1)
	v_mul_f32_e32 v9, v10, v8
	v_fma_f32 v11, -v7, v9, v10
	s_delay_alu instid0(VALU_DEP_1) | instskip(NEXT) | instid1(VALU_DEP_1)
	v_fmac_f32_e32 v9, v11, v8
	v_fma_f32 v7, -v7, v9, v10
	s_delay_alu instid0(VALU_DEP_1) | instskip(SKIP_1) | instid1(VALU_DEP_2)
	v_div_fmas_f32 v7, v7, v8, v9
	v_fma_f32 v8, v3, v5, v6
	v_div_fixup_f32 v4, v7, v4, 1.0
	v_fma_f32 v7, v3, v6, -v5
	s_delay_alu instid0(VALU_DEP_2) | instskip(NEXT) | instid1(VALU_DEP_2)
	v_mul_f32_e32 v3, v8, v4
	v_mul_f32_e32 v4, v7, v4
	s_cbranch_execz .LBB172_131
	s_branch .LBB172_132
.LBB172_130:                            ;   in Loop: Header=BB172_114 Depth=1
                                        ; implicit-def: $vgpr4
.LBB172_131:                            ;   in Loop: Header=BB172_114 Depth=1
	v_div_scale_f32 v3, null, v1, v1, v2
	v_div_scale_f32 v8, vcc_lo, v2, v1, v2
	s_delay_alu instid0(VALU_DEP_2) | instskip(SKIP_2) | instid1(VALU_DEP_1)
	v_rcp_f32_e32 v4, v3
	s_waitcnt_depctr 0xfff
	v_fma_f32 v7, -v3, v4, 1.0
	v_fmac_f32_e32 v4, v7, v4
	s_delay_alu instid0(VALU_DEP_1) | instskip(NEXT) | instid1(VALU_DEP_1)
	v_mul_f32_e32 v7, v8, v4
	v_fma_f32 v9, -v3, v7, v8
	s_delay_alu instid0(VALU_DEP_1) | instskip(NEXT) | instid1(VALU_DEP_1)
	v_fmac_f32_e32 v7, v9, v4
	v_fma_f32 v3, -v3, v7, v8
	s_delay_alu instid0(VALU_DEP_1) | instskip(NEXT) | instid1(VALU_DEP_1)
	v_div_fmas_f32 v3, v3, v4, v7
	v_div_fixup_f32 v3, v3, v1, v2
	s_delay_alu instid0(VALU_DEP_1) | instskip(NEXT) | instid1(VALU_DEP_1)
	v_fmac_f32_e32 v1, v2, v3
	v_div_scale_f32 v2, null, v1, v1, 1.0
	v_div_scale_f32 v8, vcc_lo, 1.0, v1, 1.0
	s_delay_alu instid0(VALU_DEP_2) | instskip(SKIP_2) | instid1(VALU_DEP_1)
	v_rcp_f32_e32 v4, v2
	s_waitcnt_depctr 0xfff
	v_fma_f32 v7, -v2, v4, 1.0
	v_fmac_f32_e32 v4, v7, v4
	s_delay_alu instid0(VALU_DEP_1) | instskip(NEXT) | instid1(VALU_DEP_1)
	v_mul_f32_e32 v7, v8, v4
	v_fma_f32 v9, -v2, v7, v8
	s_delay_alu instid0(VALU_DEP_1) | instskip(NEXT) | instid1(VALU_DEP_1)
	v_fmac_f32_e32 v7, v9, v4
	v_fma_f32 v2, -v2, v7, v8
	s_delay_alu instid0(VALU_DEP_1) | instskip(SKIP_1) | instid1(VALU_DEP_2)
	v_div_fmas_f32 v2, v2, v4, v7
	v_fma_f32 v4, v3, v6, v5
	v_div_fixup_f32 v1, v2, v1, 1.0
	v_fma_f32 v2, -v3, v5, v6
	s_delay_alu instid0(VALU_DEP_2) | instskip(NEXT) | instid1(VALU_DEP_2)
	v_mul_f32_e32 v3, v4, v1
	v_mul_f32_e32 v4, v2, v1
.LBB172_132:                            ;   in Loop: Header=BB172_114 Depth=1
	s_add_i32 s5, s4, -4
	s_addk_i32 s1, 0xfc00
	s_cmp_lt_i32 s4, 7
	ds_store_b64 v15, v[3:4]
	s_cbranch_scc1 .LBB172_134
; %bb.133:                              ;   in Loop: Header=BB172_114 Depth=1
	s_mov_b32 s4, s5
	s_branch .LBB172_114
.LBB172_134:
	s_cmp_lt_i32 s5, 0
	s_cbranch_scc1 .LBB172_143
; %bb.135:
	v_lshlrev_b32_e32 v7, 3, v0
	s_lshl_b32 s1, s5, 8
	s_lshl_b32 s4, s11, 3
	s_delay_alu instid0(SALU_CYCLE_1) | instskip(NEXT) | instid1(VALU_DEP_1)
	s_add_i32 s1, s1, s4
	v_lshl_or_b32 v1, s11, 8, v7
	s_add_i32 s1, s1, -8
	s_delay_alu instid0(VALU_DEP_1)
	v_add_nc_u32_e32 v8, 0x1f00, v1
	s_branch .LBB172_137
.LBB172_136:                            ;   in Loop: Header=BB172_137 Depth=1
	s_add_i32 s4, s5, -1
	s_addk_i32 s1, 0xff00
	s_cmp_lt_i32 s5, 1
	s_mov_b32 s5, s4
	ds_store_b64 v9, v[5:6]
	s_cbranch_scc1 .LBB172_143
.LBB172_137:                            ; =>This Loop Header: Depth=1
                                        ;     Child Loop BB172_138 Depth 2
	v_lshl_or_b32 v3, s5, 8, v7
	s_delay_alu instid0(VALU_DEP_2)
	v_mov_b32_e32 v4, v8
	s_cmp_le_i32 s30, s5
	s_mov_b32 s4, s1
	s_mov_b32 s9, s30
	ds_load_b64 v[1:2], v3 offset:8192
	s_cbranch_scc1 .LBB172_139
	.p2align	6
.LBB172_138:                            ;   Parent Loop BB172_137 Depth=1
                                        ; =>  This Inner Loop Header: Depth=2
	v_mov_b32_e32 v9, s4
	s_add_i32 s9, s9, -1
	s_add_i32 s4, s4, -8
	s_cmp_le_i32 s9, s5
	ds_load_b64 v[5:6], v4
	ds_load_b64 v[9:10], v9
	s_waitcnt lgkmcnt(0)
	v_dual_mul_f32 v11, v10, v6 :: v_dual_add_nc_u32 v4, 0xffffff00, v4
	v_mul_f32_e32 v6, v9, v6
	s_delay_alu instid0(VALU_DEP_2) | instskip(NEXT) | instid1(VALU_DEP_2)
	v_fma_f32 v9, v9, v5, -v11
	v_fmac_f32_e32 v6, v10, v5
	s_delay_alu instid0(VALU_DEP_1)
	v_dual_sub_f32 v1, v1, v9 :: v_dual_sub_f32 v2, v2, v6
	s_cbranch_scc0 .LBB172_138
.LBB172_139:                            ;   in Loop: Header=BB172_137 Depth=1
	s_mul_i32 s4, s5, 0x108
	v_add_nc_u32_e32 v9, 0x2000, v3
	v_mov_b32_e32 v3, s4
	ds_load_b64 v[3:4], v3
	s_waitcnt lgkmcnt(0)
	v_cmp_gt_f32_e32 vcc_lo, 0, v3
	v_cndmask_b32_e64 v5, v3, -v3, vcc_lo
	v_cmp_gt_f32_e32 vcc_lo, 0, v4
	v_cndmask_b32_e64 v6, v4, -v4, vcc_lo
	s_delay_alu instid0(VALU_DEP_1)
	v_cmp_ngt_f32_e32 vcc_lo, v5, v6
	s_cbranch_vccz .LBB172_141
; %bb.140:                              ;   in Loop: Header=BB172_137 Depth=1
	v_div_scale_f32 v5, null, v4, v4, v3
	v_div_scale_f32 v11, vcc_lo, v3, v4, v3
	s_delay_alu instid0(VALU_DEP_2) | instskip(SKIP_2) | instid1(VALU_DEP_1)
	v_rcp_f32_e32 v6, v5
	s_waitcnt_depctr 0xfff
	v_fma_f32 v10, -v5, v6, 1.0
	v_fmac_f32_e32 v6, v10, v6
	s_delay_alu instid0(VALU_DEP_1) | instskip(NEXT) | instid1(VALU_DEP_1)
	v_mul_f32_e32 v10, v11, v6
	v_fma_f32 v12, -v5, v10, v11
	s_delay_alu instid0(VALU_DEP_1) | instskip(NEXT) | instid1(VALU_DEP_1)
	v_fmac_f32_e32 v10, v12, v6
	v_fma_f32 v5, -v5, v10, v11
	s_delay_alu instid0(VALU_DEP_1) | instskip(NEXT) | instid1(VALU_DEP_1)
	v_div_fmas_f32 v5, v5, v6, v10
	v_div_fixup_f32 v5, v5, v4, v3
	s_delay_alu instid0(VALU_DEP_1) | instskip(NEXT) | instid1(VALU_DEP_1)
	v_fma_f32 v6, v3, v5, v4
	v_div_scale_f32 v10, null, v6, v6, 1.0
	v_div_scale_f32 v13, vcc_lo, 1.0, v6, 1.0
	s_delay_alu instid0(VALU_DEP_2) | instskip(SKIP_2) | instid1(VALU_DEP_1)
	v_rcp_f32_e32 v11, v10
	s_waitcnt_depctr 0xfff
	v_fma_f32 v12, -v10, v11, 1.0
	v_fmac_f32_e32 v11, v12, v11
	s_delay_alu instid0(VALU_DEP_1) | instskip(NEXT) | instid1(VALU_DEP_1)
	v_mul_f32_e32 v12, v13, v11
	v_fma_f32 v14, -v10, v12, v13
	s_delay_alu instid0(VALU_DEP_1) | instskip(NEXT) | instid1(VALU_DEP_1)
	v_fmac_f32_e32 v12, v14, v11
	v_fma_f32 v10, -v10, v12, v13
	s_delay_alu instid0(VALU_DEP_1) | instskip(SKIP_1) | instid1(VALU_DEP_2)
	v_div_fmas_f32 v10, v10, v11, v12
	v_fma_f32 v11, v1, v5, v2
	v_div_fixup_f32 v6, v10, v6, 1.0
	v_fma_f32 v10, v2, v5, -v1
	s_delay_alu instid0(VALU_DEP_2) | instskip(NEXT) | instid1(VALU_DEP_2)
	v_mul_f32_e32 v5, v11, v6
	v_mul_f32_e32 v6, v10, v6
	s_cbranch_execnz .LBB172_136
	s_branch .LBB172_142
.LBB172_141:                            ;   in Loop: Header=BB172_137 Depth=1
                                        ; implicit-def: $vgpr5
.LBB172_142:                            ;   in Loop: Header=BB172_137 Depth=1
	v_div_scale_f32 v5, null, v3, v3, v4
	v_div_scale_f32 v11, vcc_lo, v4, v3, v4
	s_delay_alu instid0(VALU_DEP_2) | instskip(SKIP_2) | instid1(VALU_DEP_1)
	v_rcp_f32_e32 v6, v5
	s_waitcnt_depctr 0xfff
	v_fma_f32 v10, -v5, v6, 1.0
	v_fmac_f32_e32 v6, v10, v6
	s_delay_alu instid0(VALU_DEP_1) | instskip(NEXT) | instid1(VALU_DEP_1)
	v_mul_f32_e32 v10, v11, v6
	v_fma_f32 v12, -v5, v10, v11
	s_delay_alu instid0(VALU_DEP_1) | instskip(NEXT) | instid1(VALU_DEP_1)
	v_fmac_f32_e32 v10, v12, v6
	v_fma_f32 v5, -v5, v10, v11
	s_delay_alu instid0(VALU_DEP_1) | instskip(NEXT) | instid1(VALU_DEP_1)
	v_div_fmas_f32 v5, v5, v6, v10
	v_div_fixup_f32 v5, v5, v3, v4
	s_delay_alu instid0(VALU_DEP_1) | instskip(NEXT) | instid1(VALU_DEP_1)
	v_fmac_f32_e32 v3, v4, v5
	v_div_scale_f32 v4, null, v3, v3, 1.0
	v_div_scale_f32 v11, vcc_lo, 1.0, v3, 1.0
	s_delay_alu instid0(VALU_DEP_2) | instskip(SKIP_2) | instid1(VALU_DEP_1)
	v_rcp_f32_e32 v6, v4
	s_waitcnt_depctr 0xfff
	v_fma_f32 v10, -v4, v6, 1.0
	v_fmac_f32_e32 v6, v10, v6
	s_delay_alu instid0(VALU_DEP_1) | instskip(NEXT) | instid1(VALU_DEP_1)
	v_mul_f32_e32 v10, v11, v6
	v_fma_f32 v12, -v4, v10, v11
	s_delay_alu instid0(VALU_DEP_1) | instskip(NEXT) | instid1(VALU_DEP_1)
	v_fmac_f32_e32 v10, v12, v6
	v_fma_f32 v4, -v4, v10, v11
	s_delay_alu instid0(VALU_DEP_1) | instskip(SKIP_2) | instid1(VALU_DEP_3)
	v_div_fmas_f32 v4, v4, v6, v10
	v_fma_f32 v6, v2, v5, v1
	v_fma_f32 v1, -v1, v5, v2
	v_div_fixup_f32 v3, v4, v3, 1.0
	s_delay_alu instid0(VALU_DEP_1) | instskip(NEXT) | instid1(VALU_DEP_3)
	v_mul_f32_e32 v5, v6, v3
	v_mul_f32_e32 v6, v1, v3
	s_branch .LBB172_136
.LBB172_143:
	s_mov_b32 s9, 0
.LBB172_144:
	s_delay_alu instid0(SALU_CYCLE_1)
	s_and_not1_b32 vcc_lo, exec_lo, s9
	s_cbranch_vccnz .LBB172_183
; %bb.145:
	s_cmp_lt_i32 s8, 4
	s_mov_b32 s5, 0
	s_cbranch_scc1 .LBB172_168
; %bb.146:
	v_lshl_or_b32 v13, v0, 3, 0x2000
	s_mov_b32 s1, 0
	s_mov_b32 s4, 0
.LBB172_147:                            ; =>This Loop Header: Depth=1
                                        ;     Child Loop BB172_149 Depth 2
	s_delay_alu instid0(SALU_CYCLE_1) | instskip(NEXT) | instid1(SALU_CYCLE_1)
	s_lshl_b32 s5, s4, 5
	s_or_b32 s10, s5, 32
	v_or_b32_e32 v1, s5, v0
	s_or_b32 s9, s5, 64
	v_or_b32_e32 v2, s10, v0
	s_or_b32 s5, s5, 0x60
	v_or_b32_e32 v5, s9, v0
	v_or_b32_e32 v6, s5, v0
	v_lshlrev_b32_e32 v3, 3, v1
	v_lshlrev_b32_e32 v4, 3, v2
	s_cmp_eq_u32 s4, 0
	v_lshlrev_b32_e32 v9, 3, v5
	v_lshlrev_b32_e32 v10, 3, v6
	ds_load_b64 v[1:2], v3 offset:8192
	ds_load_b64 v[11:12], v4 offset:8192
	;; [unrolled: 1-line block ×4, first 2 shown]
	s_cbranch_scc1 .LBB172_150
; %bb.148:                              ;   in Loop: Header=BB172_147 Depth=1
	v_mov_b32_e32 v14, v13
	s_mov_b32 s14, 0
	s_mov_b32 s15, s1
.LBB172_149:                            ;   Parent Loop BB172_147 Depth=1
                                        ; =>  This Inner Loop Header: Depth=2
	s_delay_alu instid0(SALU_CYCLE_1)
	v_mov_b32_e32 v31, s15
	ds_load_2addr_b64 v[15:18], v14 offset1:32
	v_add_nc_u32_e32 v14, 0x200, v14
	s_add_i32 s14, s14, 2
	s_add_i32 s15, s15, 16
	ds_load_b128 v[19:22], v31
	ds_load_b128 v[23:26], v31 offset:256
	ds_load_b128 v[27:30], v31 offset:512
	;; [unrolled: 1-line block ×3, first 2 shown]
	s_cmp_ge_u32 s14, s4
	s_waitcnt lgkmcnt(3)
	v_dual_mul_f32 v35, v20, v16 :: v_dual_mul_f32 v40, v22, v18
	v_dual_mul_f32 v36, v19, v16 :: v_dual_mul_f32 v41, v21, v18
	s_waitcnt lgkmcnt(2)
	v_dual_mul_f32 v37, v24, v16 :: v_dual_mul_f32 v42, v26, v18
	s_waitcnt lgkmcnt(1)
	v_dual_mul_f32 v24, v24, v15 :: v_dual_mul_f32 v43, v30, v18
	v_dual_mul_f32 v38, v28, v16 :: v_dual_fmac_f32 v41, v22, v17
	s_waitcnt lgkmcnt(0)
	v_dual_mul_f32 v39, v32, v16 :: v_dual_mul_f32 v26, v26, v17
	v_fma_f32 v19, v19, v15, -v35
	v_mul_f32_e32 v30, v30, v17
	v_fmac_f32_e32 v36, v20, v15
	v_fma_f32 v20, v23, v15, -v37
	v_mul_f32_e32 v28, v28, v15
	v_fmac_f32_e32 v24, v23, v16
	v_fma_f32 v23, v27, v15, -v38
	v_dual_mul_f32 v44, v34, v18 :: v_dual_sub_f32 v1, v1, v19
	v_mul_f32_e32 v32, v32, v15
	v_fma_f32 v15, v31, v15, -v39
	v_mul_f32_e32 v34, v34, v17
	v_fma_f32 v22, v29, v17, -v43
	v_sub_f32_e32 v11, v11, v20
	s_delay_alu instid0(VALU_DEP_4)
	v_dual_fmac_f32 v28, v27, v16 :: v_dual_sub_f32 v5, v5, v15
	v_fmac_f32_e32 v32, v31, v16
	v_fma_f32 v16, v21, v17, -v40
	v_fma_f32 v21, v25, v17, -v42
	v_sub_f32_e32 v7, v7, v23
	v_fma_f32 v17, v33, v17, -v44
	v_fmac_f32_e32 v26, v25, v18
	v_fmac_f32_e32 v30, v29, v18
	;; [unrolled: 1-line block ×3, first 2 shown]
	v_sub_f32_e32 v8, v8, v28
	v_dual_sub_f32 v6, v6, v32 :: v_dual_sub_f32 v11, v11, v21
	v_dual_sub_f32 v2, v2, v36 :: v_dual_sub_f32 v7, v7, v22
	;; [unrolled: 1-line block ×3, first 2 shown]
	s_delay_alu instid0(VALU_DEP_2) | instskip(SKIP_2) | instid1(VALU_DEP_4)
	v_dual_sub_f32 v1, v1, v16 :: v_dual_sub_f32 v2, v2, v41
	v_sub_f32_e32 v8, v8, v30
	v_sub_f32_e32 v6, v6, v34
	;; [unrolled: 1-line block ×3, first 2 shown]
	s_cbranch_scc0 .LBB172_149
.LBB172_150:                            ;   in Loop: Header=BB172_147 Depth=1
	s_mul_i32 s14, s4, 0x108
	v_add_nc_u32_e32 v17, 0x2000, v3
	v_dual_mov_b32 v3, s14 :: v_dual_add_nc_u32 v16, 0x2000, v4
	v_add_nc_u32_e32 v15, 0x2000, v9
	v_add_nc_u32_e32 v14, 0x2000, v10
	ds_load_b64 v[3:4], v3
	s_waitcnt lgkmcnt(0)
	v_cmp_gt_f32_e32 vcc_lo, 0, v3
	v_cndmask_b32_e64 v9, v3, -v3, vcc_lo
	v_cmp_gt_f32_e32 vcc_lo, 0, v4
	v_cndmask_b32_e64 v10, v4, -v4, vcc_lo
	s_delay_alu instid0(VALU_DEP_1)
	v_cmp_ngt_f32_e32 vcc_lo, v9, v10
	s_cbranch_vccz .LBB172_152
; %bb.151:                              ;   in Loop: Header=BB172_147 Depth=1
	v_div_scale_f32 v9, null, v4, v4, v3
	v_div_scale_f32 v19, vcc_lo, v3, v4, v3
	s_delay_alu instid0(VALU_DEP_2) | instskip(SKIP_2) | instid1(VALU_DEP_1)
	v_rcp_f32_e32 v10, v9
	s_waitcnt_depctr 0xfff
	v_fma_f32 v18, -v9, v10, 1.0
	v_fmac_f32_e32 v10, v18, v10
	s_delay_alu instid0(VALU_DEP_1) | instskip(NEXT) | instid1(VALU_DEP_1)
	v_mul_f32_e32 v18, v19, v10
	v_fma_f32 v20, -v9, v18, v19
	s_delay_alu instid0(VALU_DEP_1) | instskip(NEXT) | instid1(VALU_DEP_1)
	v_fmac_f32_e32 v18, v20, v10
	v_fma_f32 v9, -v9, v18, v19
	s_delay_alu instid0(VALU_DEP_1) | instskip(NEXT) | instid1(VALU_DEP_1)
	v_div_fmas_f32 v9, v9, v10, v18
	v_div_fixup_f32 v9, v9, v4, v3
	s_delay_alu instid0(VALU_DEP_1) | instskip(NEXT) | instid1(VALU_DEP_1)
	v_fma_f32 v10, v3, v9, v4
	v_div_scale_f32 v18, null, v10, v10, 1.0
	v_div_scale_f32 v21, vcc_lo, 1.0, v10, 1.0
	s_delay_alu instid0(VALU_DEP_2) | instskip(SKIP_2) | instid1(VALU_DEP_1)
	v_rcp_f32_e32 v19, v18
	s_waitcnt_depctr 0xfff
	v_fma_f32 v20, -v18, v19, 1.0
	v_fmac_f32_e32 v19, v20, v19
	s_delay_alu instid0(VALU_DEP_1) | instskip(NEXT) | instid1(VALU_DEP_1)
	v_mul_f32_e32 v20, v21, v19
	v_fma_f32 v22, -v18, v20, v21
	s_delay_alu instid0(VALU_DEP_1) | instskip(NEXT) | instid1(VALU_DEP_1)
	v_fmac_f32_e32 v20, v22, v19
	v_fma_f32 v18, -v18, v20, v21
	s_delay_alu instid0(VALU_DEP_1) | instskip(SKIP_1) | instid1(VALU_DEP_2)
	v_div_fmas_f32 v18, v18, v19, v20
	v_fma_f32 v19, v1, v9, v2
	v_div_fixup_f32 v10, v18, v10, 1.0
	v_fma_f32 v18, v2, v9, -v1
	s_delay_alu instid0(VALU_DEP_2) | instskip(NEXT) | instid1(VALU_DEP_2)
	v_mul_f32_e32 v9, v19, v10
	v_mul_f32_e32 v10, v18, v10
	s_cbranch_execz .LBB172_153
	s_branch .LBB172_154
.LBB172_152:                            ;   in Loop: Header=BB172_147 Depth=1
                                        ; implicit-def: $vgpr10
.LBB172_153:                            ;   in Loop: Header=BB172_147 Depth=1
	v_div_scale_f32 v9, null, v3, v3, v4
	v_div_scale_f32 v19, vcc_lo, v4, v3, v4
	s_delay_alu instid0(VALU_DEP_2) | instskip(SKIP_2) | instid1(VALU_DEP_1)
	v_rcp_f32_e32 v10, v9
	s_waitcnt_depctr 0xfff
	v_fma_f32 v18, -v9, v10, 1.0
	v_fmac_f32_e32 v10, v18, v10
	s_delay_alu instid0(VALU_DEP_1) | instskip(NEXT) | instid1(VALU_DEP_1)
	v_mul_f32_e32 v18, v19, v10
	v_fma_f32 v20, -v9, v18, v19
	s_delay_alu instid0(VALU_DEP_1) | instskip(NEXT) | instid1(VALU_DEP_1)
	v_fmac_f32_e32 v18, v20, v10
	v_fma_f32 v9, -v9, v18, v19
	s_delay_alu instid0(VALU_DEP_1) | instskip(NEXT) | instid1(VALU_DEP_1)
	v_div_fmas_f32 v9, v9, v10, v18
	v_div_fixup_f32 v9, v9, v3, v4
	s_delay_alu instid0(VALU_DEP_1) | instskip(NEXT) | instid1(VALU_DEP_1)
	v_fmac_f32_e32 v3, v4, v9
	v_div_scale_f32 v4, null, v3, v3, 1.0
	v_div_scale_f32 v19, vcc_lo, 1.0, v3, 1.0
	s_delay_alu instid0(VALU_DEP_2) | instskip(SKIP_2) | instid1(VALU_DEP_1)
	v_rcp_f32_e32 v10, v4
	s_waitcnt_depctr 0xfff
	v_fma_f32 v18, -v4, v10, 1.0
	v_fmac_f32_e32 v10, v18, v10
	s_delay_alu instid0(VALU_DEP_1) | instskip(NEXT) | instid1(VALU_DEP_1)
	v_mul_f32_e32 v18, v19, v10
	v_fma_f32 v20, -v4, v18, v19
	s_delay_alu instid0(VALU_DEP_1) | instskip(NEXT) | instid1(VALU_DEP_1)
	v_fmac_f32_e32 v18, v20, v10
	v_fma_f32 v4, -v4, v18, v19
	s_delay_alu instid0(VALU_DEP_1) | instskip(SKIP_2) | instid1(VALU_DEP_3)
	v_div_fmas_f32 v4, v4, v10, v18
	v_fma_f32 v10, v2, v9, v1
	v_fma_f32 v1, -v1, v9, v2
	v_div_fixup_f32 v3, v4, v3, 1.0
	s_delay_alu instid0(VALU_DEP_1) | instskip(NEXT) | instid1(VALU_DEP_3)
	v_mul_f32_e32 v9, v10, v3
	v_mul_f32_e32 v10, v1, v3
.LBB172_154:                            ;   in Loop: Header=BB172_147 Depth=1
	s_add_i32 s10, s10, s4
	ds_store_b64 v17, v[9:10]
	s_lshl_b32 s10, s10, 3
	s_delay_alu instid0(SALU_CYCLE_1)
	v_mov_b32_e32 v1, s10
	ds_load_b128 v[1:4], v1
	s_waitcnt lgkmcnt(0)
	v_mul_f32_e32 v18, v10, v2
	v_cmp_gt_f32_e32 vcc_lo, 0, v3
	v_mul_f32_e32 v2, v9, v2
	s_delay_alu instid0(VALU_DEP_3) | instskip(SKIP_2) | instid1(VALU_DEP_3)
	v_fma_f32 v18, v9, v1, -v18
	v_cndmask_b32_e64 v19, v3, -v3, vcc_lo
	v_cmp_gt_f32_e32 vcc_lo, 0, v4
	v_dual_fmac_f32 v2, v10, v1 :: v_dual_sub_f32 v1, v11, v18
	v_cndmask_b32_e64 v20, v4, -v4, vcc_lo
	s_delay_alu instid0(VALU_DEP_2) | instskip(NEXT) | instid1(VALU_DEP_2)
	v_sub_f32_e32 v2, v12, v2
	v_cmp_ngt_f32_e32 vcc_lo, v19, v20
	s_cbranch_vccz .LBB172_156
; %bb.155:                              ;   in Loop: Header=BB172_147 Depth=1
	v_div_scale_f32 v11, null, v4, v4, v3
	v_div_scale_f32 v18, vcc_lo, v3, v4, v3
	s_delay_alu instid0(VALU_DEP_2) | instskip(SKIP_2) | instid1(VALU_DEP_1)
	v_rcp_f32_e32 v12, v11
	s_waitcnt_depctr 0xfff
	v_fma_f32 v17, -v11, v12, 1.0
	v_fmac_f32_e32 v12, v17, v12
	s_delay_alu instid0(VALU_DEP_1) | instskip(NEXT) | instid1(VALU_DEP_1)
	v_mul_f32_e32 v17, v18, v12
	v_fma_f32 v19, -v11, v17, v18
	s_delay_alu instid0(VALU_DEP_1) | instskip(NEXT) | instid1(VALU_DEP_1)
	v_fmac_f32_e32 v17, v19, v12
	v_fma_f32 v11, -v11, v17, v18
	s_delay_alu instid0(VALU_DEP_1) | instskip(NEXT) | instid1(VALU_DEP_1)
	v_div_fmas_f32 v11, v11, v12, v17
	v_div_fixup_f32 v11, v11, v4, v3
	s_delay_alu instid0(VALU_DEP_1) | instskip(NEXT) | instid1(VALU_DEP_1)
	v_fma_f32 v12, v3, v11, v4
	v_div_scale_f32 v17, null, v12, v12, 1.0
	v_div_scale_f32 v20, vcc_lo, 1.0, v12, 1.0
	s_delay_alu instid0(VALU_DEP_2) | instskip(SKIP_2) | instid1(VALU_DEP_1)
	v_rcp_f32_e32 v18, v17
	s_waitcnt_depctr 0xfff
	v_fma_f32 v19, -v17, v18, 1.0
	v_fmac_f32_e32 v18, v19, v18
	s_delay_alu instid0(VALU_DEP_1) | instskip(NEXT) | instid1(VALU_DEP_1)
	v_mul_f32_e32 v19, v20, v18
	v_fma_f32 v21, -v17, v19, v20
	s_delay_alu instid0(VALU_DEP_1) | instskip(NEXT) | instid1(VALU_DEP_1)
	v_fmac_f32_e32 v19, v21, v18
	v_fma_f32 v17, -v17, v19, v20
	s_delay_alu instid0(VALU_DEP_1) | instskip(SKIP_1) | instid1(VALU_DEP_2)
	v_div_fmas_f32 v17, v17, v18, v19
	v_fma_f32 v18, v11, v1, v2
	v_div_fixup_f32 v12, v17, v12, 1.0
	v_fma_f32 v17, v11, v2, -v1
	s_delay_alu instid0(VALU_DEP_2) | instskip(NEXT) | instid1(VALU_DEP_2)
	v_mul_f32_e32 v11, v18, v12
	v_mul_f32_e32 v12, v17, v12
	s_cbranch_execz .LBB172_157
	s_branch .LBB172_158
.LBB172_156:                            ;   in Loop: Header=BB172_147 Depth=1
                                        ; implicit-def: $vgpr12
.LBB172_157:                            ;   in Loop: Header=BB172_147 Depth=1
	v_div_scale_f32 v11, null, v3, v3, v4
	v_div_scale_f32 v18, vcc_lo, v4, v3, v4
	s_delay_alu instid0(VALU_DEP_2) | instskip(SKIP_2) | instid1(VALU_DEP_1)
	v_rcp_f32_e32 v12, v11
	s_waitcnt_depctr 0xfff
	v_fma_f32 v17, -v11, v12, 1.0
	v_fmac_f32_e32 v12, v17, v12
	s_delay_alu instid0(VALU_DEP_1) | instskip(NEXT) | instid1(VALU_DEP_1)
	v_mul_f32_e32 v17, v18, v12
	v_fma_f32 v19, -v11, v17, v18
	s_delay_alu instid0(VALU_DEP_1) | instskip(NEXT) | instid1(VALU_DEP_1)
	v_fmac_f32_e32 v17, v19, v12
	v_fma_f32 v11, -v11, v17, v18
	s_delay_alu instid0(VALU_DEP_1) | instskip(NEXT) | instid1(VALU_DEP_1)
	v_div_fmas_f32 v11, v11, v12, v17
	v_div_fixup_f32 v11, v11, v3, v4
	s_delay_alu instid0(VALU_DEP_1) | instskip(NEXT) | instid1(VALU_DEP_1)
	v_fmac_f32_e32 v3, v4, v11
	v_div_scale_f32 v4, null, v3, v3, 1.0
	v_div_scale_f32 v18, vcc_lo, 1.0, v3, 1.0
	s_delay_alu instid0(VALU_DEP_2) | instskip(SKIP_2) | instid1(VALU_DEP_1)
	v_rcp_f32_e32 v12, v4
	s_waitcnt_depctr 0xfff
	v_fma_f32 v17, -v4, v12, 1.0
	v_fmac_f32_e32 v12, v17, v12
	s_delay_alu instid0(VALU_DEP_1) | instskip(NEXT) | instid1(VALU_DEP_1)
	v_mul_f32_e32 v17, v18, v12
	v_fma_f32 v19, -v4, v17, v18
	s_delay_alu instid0(VALU_DEP_1) | instskip(NEXT) | instid1(VALU_DEP_1)
	v_fmac_f32_e32 v17, v19, v12
	v_fma_f32 v4, -v4, v17, v18
	s_delay_alu instid0(VALU_DEP_1) | instskip(SKIP_2) | instid1(VALU_DEP_3)
	v_div_fmas_f32 v4, v4, v12, v17
	v_fma_f32 v12, v11, v2, v1
	v_fma_f32 v1, -v11, v1, v2
	v_div_fixup_f32 v3, v4, v3, 1.0
	s_delay_alu instid0(VALU_DEP_1) | instskip(NEXT) | instid1(VALU_DEP_3)
	v_mul_f32_e32 v11, v12, v3
	v_mul_f32_e32 v12, v1, v3
.LBB172_158:                            ;   in Loop: Header=BB172_147 Depth=1
	s_add_i32 s9, s9, s4
	v_mov_b32_e32 v2, s14
	s_lshl_b32 s9, s9, 3
	s_delay_alu instid0(SALU_CYCLE_1)
	v_mov_b32_e32 v1, s9
	ds_load_b128 v[17:20], v1
	ds_load_b64 v[1:2], v2 offset:528
	ds_store_b64 v16, v[11:12]
	s_waitcnt lgkmcnt(2)
	v_mul_f32_e32 v3, v10, v18
	s_waitcnt lgkmcnt(1)
	v_cmp_gt_f32_e32 vcc_lo, 0, v1
	v_mul_f32_e32 v4, v9, v18
	v_mul_f32_e32 v18, v12, v20
	;; [unrolled: 1-line block ×3, first 2 shown]
	v_fma_f32 v3, v9, v17, -v3
	v_cndmask_b32_e64 v21, v1, -v1, vcc_lo
	v_cmp_gt_f32_e32 vcc_lo, 0, v2
	v_fma_f32 v18, v11, v19, -v18
	v_fmac_f32_e32 v20, v12, v19
	v_dual_sub_f32 v3, v7, v3 :: v_dual_fmac_f32 v4, v10, v17
	v_cndmask_b32_e64 v17, v2, -v2, vcc_lo
	s_delay_alu instid0(VALU_DEP_2) | instskip(NEXT) | instid1(VALU_DEP_2)
	v_dual_sub_f32 v3, v3, v18 :: v_dual_sub_f32 v4, v8, v4
	v_cmp_ngt_f32_e32 vcc_lo, v21, v17
	s_delay_alu instid0(VALU_DEP_2)
	v_sub_f32_e32 v4, v4, v20
	s_cbranch_vccz .LBB172_160
; %bb.159:                              ;   in Loop: Header=BB172_147 Depth=1
	v_div_scale_f32 v7, null, v2, v2, v1
	v_div_scale_f32 v17, vcc_lo, v1, v2, v1
	s_delay_alu instid0(VALU_DEP_2) | instskip(SKIP_2) | instid1(VALU_DEP_1)
	v_rcp_f32_e32 v8, v7
	s_waitcnt_depctr 0xfff
	v_fma_f32 v16, -v7, v8, 1.0
	v_fmac_f32_e32 v8, v16, v8
	s_delay_alu instid0(VALU_DEP_1) | instskip(NEXT) | instid1(VALU_DEP_1)
	v_mul_f32_e32 v16, v17, v8
	v_fma_f32 v18, -v7, v16, v17
	s_delay_alu instid0(VALU_DEP_1) | instskip(NEXT) | instid1(VALU_DEP_1)
	v_fmac_f32_e32 v16, v18, v8
	v_fma_f32 v7, -v7, v16, v17
	s_delay_alu instid0(VALU_DEP_1) | instskip(NEXT) | instid1(VALU_DEP_1)
	v_div_fmas_f32 v7, v7, v8, v16
	v_div_fixup_f32 v7, v7, v2, v1
	s_delay_alu instid0(VALU_DEP_1) | instskip(NEXT) | instid1(VALU_DEP_1)
	v_fma_f32 v8, v1, v7, v2
	v_div_scale_f32 v16, null, v8, v8, 1.0
	v_div_scale_f32 v19, vcc_lo, 1.0, v8, 1.0
	s_delay_alu instid0(VALU_DEP_2) | instskip(SKIP_2) | instid1(VALU_DEP_1)
	v_rcp_f32_e32 v17, v16
	s_waitcnt_depctr 0xfff
	v_fma_f32 v18, -v16, v17, 1.0
	v_fmac_f32_e32 v17, v18, v17
	s_delay_alu instid0(VALU_DEP_1) | instskip(NEXT) | instid1(VALU_DEP_1)
	v_mul_f32_e32 v18, v19, v17
	v_fma_f32 v20, -v16, v18, v19
	s_delay_alu instid0(VALU_DEP_1) | instskip(NEXT) | instid1(VALU_DEP_1)
	v_fmac_f32_e32 v18, v20, v17
	v_fma_f32 v16, -v16, v18, v19
	s_delay_alu instid0(VALU_DEP_1) | instskip(SKIP_1) | instid1(VALU_DEP_2)
	v_div_fmas_f32 v16, v16, v17, v18
	v_fma_f32 v17, v7, v3, v4
	v_div_fixup_f32 v8, v16, v8, 1.0
	v_fma_f32 v16, v7, v4, -v3
	s_delay_alu instid0(VALU_DEP_2) | instskip(NEXT) | instid1(VALU_DEP_2)
	v_mul_f32_e32 v7, v17, v8
	v_mul_f32_e32 v8, v16, v8
	s_cbranch_execz .LBB172_161
	s_branch .LBB172_162
.LBB172_160:                            ;   in Loop: Header=BB172_147 Depth=1
                                        ; implicit-def: $vgpr8
.LBB172_161:                            ;   in Loop: Header=BB172_147 Depth=1
	v_div_scale_f32 v7, null, v1, v1, v2
	v_div_scale_f32 v17, vcc_lo, v2, v1, v2
	s_delay_alu instid0(VALU_DEP_2) | instskip(SKIP_2) | instid1(VALU_DEP_1)
	v_rcp_f32_e32 v8, v7
	s_waitcnt_depctr 0xfff
	v_fma_f32 v16, -v7, v8, 1.0
	v_fmac_f32_e32 v8, v16, v8
	s_delay_alu instid0(VALU_DEP_1) | instskip(NEXT) | instid1(VALU_DEP_1)
	v_mul_f32_e32 v16, v17, v8
	v_fma_f32 v18, -v7, v16, v17
	s_delay_alu instid0(VALU_DEP_1) | instskip(NEXT) | instid1(VALU_DEP_1)
	v_fmac_f32_e32 v16, v18, v8
	v_fma_f32 v7, -v7, v16, v17
	s_delay_alu instid0(VALU_DEP_1) | instskip(NEXT) | instid1(VALU_DEP_1)
	v_div_fmas_f32 v7, v7, v8, v16
	v_div_fixup_f32 v7, v7, v1, v2
	s_delay_alu instid0(VALU_DEP_1) | instskip(NEXT) | instid1(VALU_DEP_1)
	v_fmac_f32_e32 v1, v2, v7
	v_div_scale_f32 v2, null, v1, v1, 1.0
	v_div_scale_f32 v17, vcc_lo, 1.0, v1, 1.0
	s_delay_alu instid0(VALU_DEP_2) | instskip(SKIP_2) | instid1(VALU_DEP_1)
	v_rcp_f32_e32 v8, v2
	s_waitcnt_depctr 0xfff
	v_fma_f32 v16, -v2, v8, 1.0
	v_fmac_f32_e32 v8, v16, v8
	s_delay_alu instid0(VALU_DEP_1) | instskip(NEXT) | instid1(VALU_DEP_1)
	v_mul_f32_e32 v16, v17, v8
	v_fma_f32 v18, -v2, v16, v17
	s_delay_alu instid0(VALU_DEP_1) | instskip(NEXT) | instid1(VALU_DEP_1)
	v_fmac_f32_e32 v16, v18, v8
	v_fma_f32 v2, -v2, v16, v17
	s_delay_alu instid0(VALU_DEP_1) | instskip(SKIP_1) | instid1(VALU_DEP_2)
	v_div_fmas_f32 v2, v2, v8, v16
	v_fma_f32 v8, v7, v4, v3
	v_div_fixup_f32 v1, v2, v1, 1.0
	v_fma_f32 v2, -v7, v3, v4
	s_delay_alu instid0(VALU_DEP_2) | instskip(NEXT) | instid1(VALU_DEP_2)
	v_mul_f32_e32 v7, v8, v1
	v_mul_f32_e32 v8, v2, v1
.LBB172_162:                            ;   in Loop: Header=BB172_147 Depth=1
	s_add_i32 s5, s5, s4
	s_delay_alu instid0(SALU_CYCLE_1) | instskip(NEXT) | instid1(SALU_CYCLE_1)
	s_lshl_b32 s5, s5, 3
	v_mov_b32_e32 v1, s5
	ds_load_b128 v[16:19], v1
	ds_load_b128 v[1:4], v1 offset:16
	ds_store_b64 v15, v[7:8]
	s_waitcnt lgkmcnt(2)
	v_mul_f32_e32 v20, v10, v17
	s_waitcnt lgkmcnt(1)
	v_dual_mul_f32 v17, v9, v17 :: v_dual_mul_f32 v22, v8, v2
	v_dual_mul_f32 v21, v12, v19 :: v_dual_mul_f32 v2, v7, v2
	v_cmp_gt_f32_e32 vcc_lo, 0, v3
	v_fma_f32 v9, v9, v16, -v20
	s_delay_alu instid0(VALU_DEP_3) | instskip(SKIP_2) | instid1(VALU_DEP_3)
	v_dual_fmac_f32 v17, v10, v16 :: v_dual_fmac_f32 v2, v8, v1
	v_mul_f32_e32 v19, v11, v19
	v_cndmask_b32_e64 v10, v3, -v3, vcc_lo
	v_sub_f32_e32 v6, v6, v17
	v_cmp_gt_f32_e32 vcc_lo, 0, v4
	v_fma_f32 v11, v11, v18, -v21
	v_fmac_f32_e32 v19, v12, v18
	v_sub_f32_e32 v5, v5, v9
	v_fma_f32 v12, v7, v1, -v22
	v_cndmask_b32_e64 v9, v4, -v4, vcc_lo
	s_delay_alu instid0(VALU_DEP_4) | instskip(NEXT) | instid1(VALU_DEP_4)
	v_sub_f32_e32 v6, v6, v19
	v_sub_f32_e32 v1, v5, v11
	s_delay_alu instid0(VALU_DEP_3) | instskip(NEXT) | instid1(VALU_DEP_2)
	v_cmp_ngt_f32_e32 vcc_lo, v10, v9
	v_dual_sub_f32 v6, v6, v2 :: v_dual_sub_f32 v5, v1, v12
	s_cbranch_vccz .LBB172_164
; %bb.163:                              ;   in Loop: Header=BB172_147 Depth=1
	v_div_scale_f32 v1, null, v4, v4, v3
	v_div_scale_f32 v8, vcc_lo, v3, v4, v3
	s_delay_alu instid0(VALU_DEP_2) | instskip(SKIP_2) | instid1(VALU_DEP_1)
	v_rcp_f32_e32 v2, v1
	s_waitcnt_depctr 0xfff
	v_fma_f32 v7, -v1, v2, 1.0
	v_fmac_f32_e32 v2, v7, v2
	s_delay_alu instid0(VALU_DEP_1) | instskip(NEXT) | instid1(VALU_DEP_1)
	v_mul_f32_e32 v7, v8, v2
	v_fma_f32 v9, -v1, v7, v8
	s_delay_alu instid0(VALU_DEP_1) | instskip(NEXT) | instid1(VALU_DEP_1)
	v_fmac_f32_e32 v7, v9, v2
	v_fma_f32 v1, -v1, v7, v8
	s_delay_alu instid0(VALU_DEP_1) | instskip(NEXT) | instid1(VALU_DEP_1)
	v_div_fmas_f32 v1, v1, v2, v7
	v_div_fixup_f32 v1, v1, v4, v3
	s_delay_alu instid0(VALU_DEP_1) | instskip(NEXT) | instid1(VALU_DEP_1)
	v_fma_f32 v2, v3, v1, v4
	v_div_scale_f32 v7, null, v2, v2, 1.0
	v_div_scale_f32 v10, vcc_lo, 1.0, v2, 1.0
	s_delay_alu instid0(VALU_DEP_2) | instskip(SKIP_2) | instid1(VALU_DEP_1)
	v_rcp_f32_e32 v8, v7
	s_waitcnt_depctr 0xfff
	v_fma_f32 v9, -v7, v8, 1.0
	v_fmac_f32_e32 v8, v9, v8
	s_delay_alu instid0(VALU_DEP_1) | instskip(NEXT) | instid1(VALU_DEP_1)
	v_mul_f32_e32 v9, v10, v8
	v_fma_f32 v11, -v7, v9, v10
	s_delay_alu instid0(VALU_DEP_1) | instskip(NEXT) | instid1(VALU_DEP_1)
	v_fmac_f32_e32 v9, v11, v8
	v_fma_f32 v7, -v7, v9, v10
	s_delay_alu instid0(VALU_DEP_1) | instskip(SKIP_1) | instid1(VALU_DEP_2)
	v_div_fmas_f32 v7, v7, v8, v9
	v_fma_f32 v8, v1, v5, v6
	v_div_fixup_f32 v2, v7, v2, 1.0
	v_fma_f32 v7, v1, v6, -v5
	s_delay_alu instid0(VALU_DEP_2) | instskip(NEXT) | instid1(VALU_DEP_2)
	v_mul_f32_e32 v1, v8, v2
	v_mul_f32_e32 v2, v7, v2
	s_cbranch_execz .LBB172_165
	s_branch .LBB172_166
.LBB172_164:                            ;   in Loop: Header=BB172_147 Depth=1
                                        ; implicit-def: $vgpr2
.LBB172_165:                            ;   in Loop: Header=BB172_147 Depth=1
	v_div_scale_f32 v1, null, v3, v3, v4
	v_div_scale_f32 v8, vcc_lo, v4, v3, v4
	s_delay_alu instid0(VALU_DEP_2) | instskip(SKIP_2) | instid1(VALU_DEP_1)
	v_rcp_f32_e32 v2, v1
	s_waitcnt_depctr 0xfff
	v_fma_f32 v7, -v1, v2, 1.0
	v_fmac_f32_e32 v2, v7, v2
	s_delay_alu instid0(VALU_DEP_1) | instskip(NEXT) | instid1(VALU_DEP_1)
	v_mul_f32_e32 v7, v8, v2
	v_fma_f32 v9, -v1, v7, v8
	s_delay_alu instid0(VALU_DEP_1) | instskip(NEXT) | instid1(VALU_DEP_1)
	v_fmac_f32_e32 v7, v9, v2
	v_fma_f32 v1, -v1, v7, v8
	s_delay_alu instid0(VALU_DEP_1) | instskip(NEXT) | instid1(VALU_DEP_1)
	v_div_fmas_f32 v1, v1, v2, v7
	v_div_fixup_f32 v1, v1, v3, v4
	s_delay_alu instid0(VALU_DEP_1) | instskip(NEXT) | instid1(VALU_DEP_1)
	v_fmac_f32_e32 v3, v4, v1
	v_div_scale_f32 v2, null, v3, v3, 1.0
	v_div_scale_f32 v8, vcc_lo, 1.0, v3, 1.0
	s_delay_alu instid0(VALU_DEP_2) | instskip(SKIP_2) | instid1(VALU_DEP_1)
	v_rcp_f32_e32 v4, v2
	s_waitcnt_depctr 0xfff
	v_fma_f32 v7, -v2, v4, 1.0
	v_fmac_f32_e32 v4, v7, v4
	s_delay_alu instid0(VALU_DEP_1) | instskip(NEXT) | instid1(VALU_DEP_1)
	v_mul_f32_e32 v7, v8, v4
	v_fma_f32 v9, -v2, v7, v8
	s_delay_alu instid0(VALU_DEP_1) | instskip(NEXT) | instid1(VALU_DEP_1)
	v_fmac_f32_e32 v7, v9, v4
	v_fma_f32 v2, -v2, v7, v8
	s_delay_alu instid0(VALU_DEP_1) | instskip(SKIP_1) | instid1(VALU_DEP_2)
	v_div_fmas_f32 v2, v2, v4, v7
	v_fma_f32 v4, v1, v6, v5
	v_div_fixup_f32 v2, v2, v3, 1.0
	v_fma_f32 v3, -v1, v5, v6
	s_delay_alu instid0(VALU_DEP_2) | instskip(NEXT) | instid1(VALU_DEP_2)
	v_mul_f32_e32 v1, v4, v2
	v_mul_f32_e32 v2, v3, v2
.LBB172_166:                            ;   in Loop: Header=BB172_147 Depth=1
	s_add_i32 s5, s4, 4
	s_add_i32 s4, s4, 7
	s_addk_i32 s1, 0x400
	s_cmp_ge_i32 s4, s11
	ds_store_b64 v14, v[1:2]
	s_cbranch_scc1 .LBB172_168
; %bb.167:                              ;   in Loop: Header=BB172_147 Depth=1
	s_mov_b32 s4, s5
	s_branch .LBB172_147
.LBB172_168:
	s_cmp_ge_i32 s5, s11
	s_cbranch_scc1 .LBB172_183
; %bb.169:
	v_lshl_or_b32 v7, v0, 3, 0x2000
	v_lshlrev_b32_e32 v8, 3, v0
	s_add_i32 s1, s5, -1
	s_lshl_b32 s4, s5, 8
	s_mov_b32 s9, 0
	s_mov_b32 s10, s5
	s_branch .LBB172_171
.LBB172_170:                            ;   in Loop: Header=BB172_171 Depth=1
	v_add_nc_u16 v1, s10, 1
	s_add_i32 s5, s5, 1
	s_add_i32 s9, s9, 1
	s_addk_i32 s4, 0x100
	s_cmp_ge_i32 s5, s11
	v_readfirstlane_b32 s10, v1
	ds_store_b64 v9, v[5:6]
	s_cbranch_scc1 .LBB172_183
.LBB172_171:                            ; =>This Loop Header: Depth=1
                                        ;     Child Loop BB172_174 Depth 2
                                        ;     Child Loop BB172_178 Depth 2
	v_lshl_or_b32 v3, s5, 8, v8
	s_cmp_eq_u32 s5, 0
	ds_load_b64 v[1:2], v3 offset:8192
	s_cbranch_scc1 .LBB172_179
; %bb.172:                              ;   in Loop: Header=BB172_171 Depth=1
	s_add_i32 s14, s1, s9
	s_delay_alu instid0(SALU_CYCLE_1)
	s_cmp_lt_u32 s14, 7
	s_cbranch_scc1 .LBB172_176
; %bb.173:                              ;   in Loop: Header=BB172_171 Depth=1
	v_mov_b32_e32 v4, v7
	s_and_b32 s14, s5, -8
	s_mov_b32 s15, 0
	s_mov_b32 s16, s4
.LBB172_174:                            ;   Parent Loop BB172_171 Depth=1
                                        ; =>  This Inner Loop Header: Depth=2
	s_delay_alu instid0(SALU_CYCLE_1)
	v_mov_b32_e32 v5, s16
	ds_load_2addr_b64 v[9:12], v4 offset1:32
	ds_load_2addr_b64 v[13:16], v4 offset0:64 offset1:96
	ds_load_2addr_b64 v[17:20], v4 offset0:128 offset1:160
	;; [unrolled: 1-line block ×3, first 2 shown]
	ds_load_b128 v[25:28], v5
	ds_load_b128 v[29:32], v5 offset:16
	ds_load_b128 v[33:36], v5 offset:32
	;; [unrolled: 1-line block ×3, first 2 shown]
	v_add_nc_u32_e32 v4, 0x800, v4
	s_add_i32 s15, s15, 8
	s_add_i32 s16, s16, 64
	s_cmp_eq_u32 s14, s15
	s_waitcnt lgkmcnt(3)
	v_mul_f32_e32 v6, v25, v10
	v_dual_mul_f32 v5, v26, v10 :: v_dual_mul_f32 v10, v28, v12
	s_waitcnt lgkmcnt(2)
	v_dual_mul_f32 v12, v27, v12 :: v_dual_mul_f32 v41, v30, v14
	s_waitcnt lgkmcnt(1)
	v_dual_mul_f32 v42, v32, v16 :: v_dual_mul_f32 v43, v34, v18
	v_fma_f32 v5, v25, v9, -v5
	v_mul_f32_e32 v16, v31, v16
	v_fma_f32 v10, v27, v11, -v10
	v_mul_f32_e32 v14, v29, v14
	v_mul_f32_e32 v18, v33, v18
	v_sub_f32_e32 v1, v1, v5
	v_dual_mul_f32 v5, v35, v20 :: v_dual_fmac_f32 v6, v26, v9
	s_delay_alu instid0(VALU_DEP_4) | instskip(NEXT) | instid1(VALU_DEP_3)
	v_dual_mul_f32 v9, v36, v20 :: v_dual_fmac_f32 v14, v30, v13
	v_sub_f32_e32 v1, v1, v10
	s_delay_alu instid0(VALU_DEP_3) | instskip(SKIP_4) | instid1(VALU_DEP_4)
	v_dual_fmac_f32 v5, v36, v19 :: v_dual_sub_f32 v2, v2, v6
	v_fma_f32 v6, v29, v13, -v41
	v_fmac_f32_e32 v12, v28, v11
	v_fma_f32 v11, v31, v15, -v42
	v_fma_f32 v9, v35, v19, -v9
	v_sub_f32_e32 v1, v1, v6
	s_waitcnt lgkmcnt(0)
	v_mul_f32_e32 v6, v37, v22
	s_delay_alu instid0(VALU_DEP_2) | instskip(SKIP_2) | instid1(VALU_DEP_2)
	v_dual_sub_f32 v1, v1, v11 :: v_dual_sub_f32 v2, v2, v12
	v_fma_f32 v12, v33, v17, -v43
	v_dual_mul_f32 v10, v38, v22 :: v_dual_mul_f32 v11, v40, v24
	v_dual_fmac_f32 v6, v38, v21 :: v_dual_sub_f32 v1, v1, v12
	v_fmac_f32_e32 v16, v32, v15
	s_delay_alu instid0(VALU_DEP_3) | instskip(NEXT) | instid1(VALU_DEP_3)
	v_fma_f32 v10, v37, v21, -v10
	v_dual_mul_f32 v12, v39, v24 :: v_dual_sub_f32 v1, v1, v9
	v_fmac_f32_e32 v18, v34, v17
	s_delay_alu instid0(VALU_DEP_2) | instskip(SKIP_1) | instid1(VALU_DEP_1)
	v_dual_fmac_f32 v12, v40, v23 :: v_dual_sub_f32 v1, v1, v10
	v_sub_f32_e32 v2, v2, v14
	v_sub_f32_e32 v2, v2, v16
	s_delay_alu instid0(VALU_DEP_1) | instskip(NEXT) | instid1(VALU_DEP_1)
	v_sub_f32_e32 v2, v2, v18
	v_sub_f32_e32 v2, v2, v5
	v_fma_f32 v5, v39, v23, -v11
	s_delay_alu instid0(VALU_DEP_1) | instskip(NEXT) | instid1(VALU_DEP_1)
	v_dual_sub_f32 v2, v2, v6 :: v_dual_sub_f32 v1, v1, v5
	v_sub_f32_e32 v2, v2, v12
	s_cbranch_scc0 .LBB172_174
; %bb.175:                              ;   in Loop: Header=BB172_171 Depth=1
	s_and_b32 s15, s5, 7
	s_delay_alu instid0(SALU_CYCLE_1)
	s_cmp_eq_u32 s15, 0
	s_cbranch_scc0 .LBB172_177
	s_branch .LBB172_179
.LBB172_176:                            ;   in Loop: Header=BB172_171 Depth=1
	s_mov_b32 s14, 0
	s_and_b32 s15, s5, 7
	s_delay_alu instid0(SALU_CYCLE_1)
	s_cmp_eq_u32 s15, 0
	s_cbranch_scc1 .LBB172_179
.LBB172_177:                            ;   in Loop: Header=BB172_171 Depth=1
	v_lshl_add_u32 v4, s14, 8, v7
	s_and_b32 s15, s10, 7
	s_lshl_b32 s14, s14, 3
	.p2align	6
.LBB172_178:                            ;   Parent Loop BB172_171 Depth=1
                                        ; =>  This Inner Loop Header: Depth=2
	s_delay_alu instid0(SALU_CYCLE_1)
	s_add_i32 s16, s4, s14
	s_add_i32 s15, s15, -1
	v_mov_b32_e32 v9, s16
	s_add_i32 s14, s14, 8
	s_cmp_lg_u32 s15, 0
	ds_load_b64 v[5:6], v4
	ds_load_b64 v[9:10], v9
	s_waitcnt lgkmcnt(0)
	v_dual_mul_f32 v11, v10, v6 :: v_dual_add_nc_u32 v4, 0x100, v4
	v_mul_f32_e32 v6, v9, v6
	s_delay_alu instid0(VALU_DEP_2) | instskip(NEXT) | instid1(VALU_DEP_2)
	v_fma_f32 v9, v9, v5, -v11
	v_fmac_f32_e32 v6, v10, v5
	s_delay_alu instid0(VALU_DEP_1)
	v_dual_sub_f32 v1, v1, v9 :: v_dual_sub_f32 v2, v2, v6
	s_cbranch_scc1 .LBB172_178
.LBB172_179:                            ;   in Loop: Header=BB172_171 Depth=1
	s_mul_i32 s14, s5, 0x108
	v_add_nc_u32_e32 v9, 0x2000, v3
	v_mov_b32_e32 v3, s14
	ds_load_b64 v[3:4], v3
	s_waitcnt lgkmcnt(0)
	v_cmp_gt_f32_e32 vcc_lo, 0, v3
	v_cndmask_b32_e64 v5, v3, -v3, vcc_lo
	v_cmp_gt_f32_e32 vcc_lo, 0, v4
	v_cndmask_b32_e64 v6, v4, -v4, vcc_lo
	s_delay_alu instid0(VALU_DEP_1)
	v_cmp_ngt_f32_e32 vcc_lo, v5, v6
	s_cbranch_vccz .LBB172_181
; %bb.180:                              ;   in Loop: Header=BB172_171 Depth=1
	v_div_scale_f32 v5, null, v4, v4, v3
	v_div_scale_f32 v11, vcc_lo, v3, v4, v3
	s_delay_alu instid0(VALU_DEP_2) | instskip(SKIP_2) | instid1(VALU_DEP_1)
	v_rcp_f32_e32 v6, v5
	s_waitcnt_depctr 0xfff
	v_fma_f32 v10, -v5, v6, 1.0
	v_fmac_f32_e32 v6, v10, v6
	s_delay_alu instid0(VALU_DEP_1) | instskip(NEXT) | instid1(VALU_DEP_1)
	v_mul_f32_e32 v10, v11, v6
	v_fma_f32 v12, -v5, v10, v11
	s_delay_alu instid0(VALU_DEP_1) | instskip(NEXT) | instid1(VALU_DEP_1)
	v_fmac_f32_e32 v10, v12, v6
	v_fma_f32 v5, -v5, v10, v11
	s_delay_alu instid0(VALU_DEP_1) | instskip(NEXT) | instid1(VALU_DEP_1)
	v_div_fmas_f32 v5, v5, v6, v10
	v_div_fixup_f32 v5, v5, v4, v3
	s_delay_alu instid0(VALU_DEP_1) | instskip(NEXT) | instid1(VALU_DEP_1)
	v_fma_f32 v6, v3, v5, v4
	v_div_scale_f32 v10, null, v6, v6, 1.0
	v_div_scale_f32 v13, vcc_lo, 1.0, v6, 1.0
	s_delay_alu instid0(VALU_DEP_2) | instskip(SKIP_2) | instid1(VALU_DEP_1)
	v_rcp_f32_e32 v11, v10
	s_waitcnt_depctr 0xfff
	v_fma_f32 v12, -v10, v11, 1.0
	v_fmac_f32_e32 v11, v12, v11
	s_delay_alu instid0(VALU_DEP_1) | instskip(NEXT) | instid1(VALU_DEP_1)
	v_mul_f32_e32 v12, v13, v11
	v_fma_f32 v14, -v10, v12, v13
	s_delay_alu instid0(VALU_DEP_1) | instskip(NEXT) | instid1(VALU_DEP_1)
	v_fmac_f32_e32 v12, v14, v11
	v_fma_f32 v10, -v10, v12, v13
	s_delay_alu instid0(VALU_DEP_1) | instskip(SKIP_1) | instid1(VALU_DEP_2)
	v_div_fmas_f32 v10, v10, v11, v12
	v_fma_f32 v11, v1, v5, v2
	v_div_fixup_f32 v6, v10, v6, 1.0
	v_fma_f32 v10, v2, v5, -v1
	s_delay_alu instid0(VALU_DEP_2) | instskip(NEXT) | instid1(VALU_DEP_2)
	v_mul_f32_e32 v5, v11, v6
	v_mul_f32_e32 v6, v10, v6
	s_cbranch_execnz .LBB172_170
	s_branch .LBB172_182
.LBB172_181:                            ;   in Loop: Header=BB172_171 Depth=1
                                        ; implicit-def: $vgpr5
.LBB172_182:                            ;   in Loop: Header=BB172_171 Depth=1
	v_div_scale_f32 v5, null, v3, v3, v4
	v_div_scale_f32 v11, vcc_lo, v4, v3, v4
	s_delay_alu instid0(VALU_DEP_2) | instskip(SKIP_2) | instid1(VALU_DEP_1)
	v_rcp_f32_e32 v6, v5
	s_waitcnt_depctr 0xfff
	v_fma_f32 v10, -v5, v6, 1.0
	v_fmac_f32_e32 v6, v10, v6
	s_delay_alu instid0(VALU_DEP_1) | instskip(NEXT) | instid1(VALU_DEP_1)
	v_mul_f32_e32 v10, v11, v6
	v_fma_f32 v12, -v5, v10, v11
	s_delay_alu instid0(VALU_DEP_1) | instskip(NEXT) | instid1(VALU_DEP_1)
	v_fmac_f32_e32 v10, v12, v6
	v_fma_f32 v5, -v5, v10, v11
	s_delay_alu instid0(VALU_DEP_1) | instskip(NEXT) | instid1(VALU_DEP_1)
	v_div_fmas_f32 v5, v5, v6, v10
	v_div_fixup_f32 v5, v5, v3, v4
	s_delay_alu instid0(VALU_DEP_1) | instskip(NEXT) | instid1(VALU_DEP_1)
	v_fmac_f32_e32 v3, v4, v5
	v_div_scale_f32 v4, null, v3, v3, 1.0
	v_div_scale_f32 v11, vcc_lo, 1.0, v3, 1.0
	s_delay_alu instid0(VALU_DEP_2) | instskip(SKIP_2) | instid1(VALU_DEP_1)
	v_rcp_f32_e32 v6, v4
	s_waitcnt_depctr 0xfff
	v_fma_f32 v10, -v4, v6, 1.0
	v_fmac_f32_e32 v6, v10, v6
	s_delay_alu instid0(VALU_DEP_1) | instskip(NEXT) | instid1(VALU_DEP_1)
	v_mul_f32_e32 v10, v11, v6
	v_fma_f32 v12, -v4, v10, v11
	s_delay_alu instid0(VALU_DEP_1) | instskip(NEXT) | instid1(VALU_DEP_1)
	v_fmac_f32_e32 v10, v12, v6
	v_fma_f32 v4, -v4, v10, v11
	s_delay_alu instid0(VALU_DEP_1) | instskip(SKIP_2) | instid1(VALU_DEP_3)
	v_div_fmas_f32 v4, v4, v6, v10
	v_fma_f32 v6, v2, v5, v1
	v_fma_f32 v1, -v1, v5, v2
	v_div_fixup_f32 v3, v4, v3, 1.0
	s_delay_alu instid0(VALU_DEP_1) | instskip(NEXT) | instid1(VALU_DEP_3)
	v_mul_f32_e32 v5, v6, v3
	v_mul_f32_e32 v6, v1, v3
	s_branch .LBB172_170
.LBB172_183:
	s_and_saveexec_b32 s1, s20
	s_cbranch_execz .LBB172_190
; %bb.184:
	v_lshlrev_b32_e32 v3, 3, v0
	s_ashr_i32 s1, s0, 31
	s_cmp_lt_u32 s8, 4
	s_mov_b32 s9, 0
	s_cbranch_scc1 .LBB172_187
; %bb.185:
	v_add_co_u32 v1, s4, s18, v3
	s_delay_alu instid0(VALU_DEP_1)
	v_add_co_ci_u32_e64 v2, null, s19, 0, s4
	v_lshl_or_b32 v0, v0, 3, 0x2000
	s_and_b32 s9, s8, 0x7ffffffc
	s_mul_hi_i32 s16, s0, 24
	s_mul_i32 s17, s0, 24
	s_lshl_b64 s[4:5], s[0:1], 5
	s_lshl_b64 s[10:11], s[0:1], 4
	;; [unrolled: 1-line block ×3, first 2 shown]
	s_mov_b32 s18, 0
	.p2align	6
.LBB172_186:                            ; =>This Inner Loop Header: Depth=1
	ds_load_2addr_b64 v[4:7], v0 offset1:32
	ds_load_2addr_b64 v[8:11], v0 offset0:64 offset1:96
	v_add_co_u32 v12, vcc_lo, v1, s14
	v_add_co_ci_u32_e32 v13, vcc_lo, s15, v2, vcc_lo
	v_add_co_u32 v14, vcc_lo, v1, s10
	v_add_co_ci_u32_e32 v15, vcc_lo, s11, v2, vcc_lo
	;; [unrolled: 2-line block ×3, first 2 shown]
	v_add_nc_u32_e32 v0, 0x400, v0
	s_add_i32 s18, s18, 4
	s_delay_alu instid0(SALU_CYCLE_1)
	s_cmp_lg_u32 s9, s18
	s_waitcnt lgkmcnt(1)
	global_store_b64 v[1:2], v[4:5], off
	v_add_co_u32 v1, vcc_lo, v1, s4
	v_add_co_ci_u32_e32 v2, vcc_lo, s5, v2, vcc_lo
	global_store_b64 v[12:13], v[6:7], off
	s_waitcnt lgkmcnt(0)
	s_clause 0x1
	global_store_b64 v[14:15], v[8:9], off
	global_store_b64 v[16:17], v[10:11], off
	s_cbranch_scc1 .LBB172_186
.LBB172_187:
	s_and_b32 s4, s8, 3
	s_delay_alu instid0(SALU_CYCLE_1)
	s_cmp_eq_u32 s4, 0
	s_cbranch_scc1 .LBB172_190
; %bb.188:
	s_mul_hi_i32 s11, s0, s9
	s_mul_i32 s10, s0, s9
	v_lshl_or_b32 v2, s9, 8, v3
	s_lshl_b64 s[10:11], s[10:11], 3
	s_delay_alu instid0(SALU_CYCLE_1)
	s_add_u32 s5, s10, s6
	s_addc_u32 s6, s11, s7
	s_add_u32 s5, s5, s12
	s_addc_u32 s6, s6, s13
	;; [unrolled: 2-line block ×3, first 2 shown]
	v_add_co_u32 v0, s2, s2, v3
	s_delay_alu instid0(VALU_DEP_1)
	v_add_co_ci_u32_e64 v1, null, s3, 0, s2
	v_add_nc_u32_e32 v2, 0x2000, v2
	s_lshl_b64 s[0:1], s[0:1], 3
.LBB172_189:                            ; =>This Inner Loop Header: Depth=1
	ds_load_b64 v[3:4], v2
	v_add_nc_u32_e32 v2, 0x100, v2
	s_add_i32 s4, s4, -1
	s_delay_alu instid0(SALU_CYCLE_1)
	s_cmp_lg_u32 s4, 0
	s_waitcnt lgkmcnt(0)
	global_store_b64 v[0:1], v[3:4], off
	v_add_co_u32 v0, vcc_lo, v0, s0
	v_add_co_ci_u32_e32 v1, vcc_lo, s1, v1, vcc_lo
	s_cbranch_scc1 .LBB172_189
.LBB172_190:
	s_nop 0
	s_sendmsg sendmsg(MSG_DEALLOC_VGPRS)
	s_endpgm
	.section	.rodata,"a",@progbits
	.p2align	6, 0x0
	.amdhsa_kernel _ZL31rocblas_trsm_small_right_deviceI19rocblas_complex_numIfES1_PKPKS1_PKPS1_Li32EEv13rocblas_fill_18rocblas_operation_17rocblas_diagonal_iiT0_T1_lilT2_lili
		.amdhsa_group_segment_fixed_size 16384
		.amdhsa_private_segment_fixed_size 0
		.amdhsa_kernarg_size 360
		.amdhsa_user_sgpr_count 14
		.amdhsa_user_sgpr_dispatch_ptr 0
		.amdhsa_user_sgpr_queue_ptr 0
		.amdhsa_user_sgpr_kernarg_segment_ptr 1
		.amdhsa_user_sgpr_dispatch_id 0
		.amdhsa_user_sgpr_private_segment_size 0
		.amdhsa_wavefront_size32 1
		.amdhsa_uses_dynamic_stack 0
		.amdhsa_enable_private_segment 0
		.amdhsa_system_sgpr_workgroup_id_x 1
		.amdhsa_system_sgpr_workgroup_id_y 0
		.amdhsa_system_sgpr_workgroup_id_z 1
		.amdhsa_system_sgpr_workgroup_info 0
		.amdhsa_system_vgpr_workitem_id 0
		.amdhsa_next_free_vgpr 46
		.amdhsa_next_free_sgpr 36
		.amdhsa_reserve_vcc 1
		.amdhsa_float_round_mode_32 0
		.amdhsa_float_round_mode_16_64 0
		.amdhsa_float_denorm_mode_32 3
		.amdhsa_float_denorm_mode_16_64 3
		.amdhsa_dx10_clamp 1
		.amdhsa_ieee_mode 1
		.amdhsa_fp16_overflow 0
		.amdhsa_workgroup_processor_mode 1
		.amdhsa_memory_ordered 1
		.amdhsa_forward_progress 0
		.amdhsa_shared_vgpr_count 0
		.amdhsa_exception_fp_ieee_invalid_op 0
		.amdhsa_exception_fp_denorm_src 0
		.amdhsa_exception_fp_ieee_div_zero 0
		.amdhsa_exception_fp_ieee_overflow 0
		.amdhsa_exception_fp_ieee_underflow 0
		.amdhsa_exception_fp_ieee_inexact 0
		.amdhsa_exception_int_div_zero 0
	.end_amdhsa_kernel
	.section	.text._ZL31rocblas_trsm_small_right_deviceI19rocblas_complex_numIfES1_PKPKS1_PKPS1_Li32EEv13rocblas_fill_18rocblas_operation_17rocblas_diagonal_iiT0_T1_lilT2_lili,"axG",@progbits,_ZL31rocblas_trsm_small_right_deviceI19rocblas_complex_numIfES1_PKPKS1_PKPS1_Li32EEv13rocblas_fill_18rocblas_operation_17rocblas_diagonal_iiT0_T1_lilT2_lili,comdat
.Lfunc_end172:
	.size	_ZL31rocblas_trsm_small_right_deviceI19rocblas_complex_numIfES1_PKPKS1_PKPS1_Li32EEv13rocblas_fill_18rocblas_operation_17rocblas_diagonal_iiT0_T1_lilT2_lili, .Lfunc_end172-_ZL31rocblas_trsm_small_right_deviceI19rocblas_complex_numIfES1_PKPKS1_PKPS1_Li32EEv13rocblas_fill_18rocblas_operation_17rocblas_diagonal_iiT0_T1_lilT2_lili
                                        ; -- End function
	.section	.AMDGPU.csdata,"",@progbits
; Kernel info:
; codeLenInByte = 17240
; NumSgprs: 38
; NumVgprs: 46
; ScratchSize: 0
; MemoryBound: 0
; FloatMode: 240
; IeeeMode: 1
; LDSByteSize: 16384 bytes/workgroup (compile time only)
; SGPRBlocks: 4
; VGPRBlocks: 5
; NumSGPRsForWavesPerEU: 38
; NumVGPRsForWavesPerEU: 46
; Occupancy: 2
; WaveLimiterHint : 0
; COMPUTE_PGM_RSRC2:SCRATCH_EN: 0
; COMPUTE_PGM_RSRC2:USER_SGPR: 14
; COMPUTE_PGM_RSRC2:TRAP_HANDLER: 0
; COMPUTE_PGM_RSRC2:TGID_X_EN: 1
; COMPUTE_PGM_RSRC2:TGID_Y_EN: 0
; COMPUTE_PGM_RSRC2:TGID_Z_EN: 1
; COMPUTE_PGM_RSRC2:TIDIG_COMP_CNT: 0
	.section	.text._ZL38rocblas_trsm_small_left_device_sharedBILi64ELi32ELb0E19rocblas_complex_numIfES1_PKPKS1_PKPS1_Ev13rocblas_fill_18rocblas_operation_17rocblas_diagonal_iiT3_T4_lilT5_lili,"axG",@progbits,_ZL38rocblas_trsm_small_left_device_sharedBILi64ELi32ELb0E19rocblas_complex_numIfES1_PKPKS1_PKPS1_Ev13rocblas_fill_18rocblas_operation_17rocblas_diagonal_iiT3_T4_lilT5_lili,comdat
	.globl	_ZL38rocblas_trsm_small_left_device_sharedBILi64ELi32ELb0E19rocblas_complex_numIfES1_PKPKS1_PKPS1_Ev13rocblas_fill_18rocblas_operation_17rocblas_diagonal_iiT3_T4_lilT5_lili ; -- Begin function _ZL38rocblas_trsm_small_left_device_sharedBILi64ELi32ELb0E19rocblas_complex_numIfES1_PKPKS1_PKPS1_Ev13rocblas_fill_18rocblas_operation_17rocblas_diagonal_iiT3_T4_lilT5_lili
	.p2align	8
	.type	_ZL38rocblas_trsm_small_left_device_sharedBILi64ELi32ELb0E19rocblas_complex_numIfES1_PKPKS1_PKPS1_Ev13rocblas_fill_18rocblas_operation_17rocblas_diagonal_iiT3_T4_lilT5_lili,@function
_ZL38rocblas_trsm_small_left_device_sharedBILi64ELi32ELb0E19rocblas_complex_numIfES1_PKPKS1_PKPS1_Ev13rocblas_fill_18rocblas_operation_17rocblas_diagonal_iiT3_T4_lilT5_lili: ; @_ZL38rocblas_trsm_small_left_device_sharedBILi64ELi32ELb0E19rocblas_complex_numIfES1_PKPKS1_PKPS1_Ev13rocblas_fill_18rocblas_operation_17rocblas_diagonal_iiT3_T4_lilT5_lili
; %bb.0:
	s_clause 0x1
	s_load_b128 s[8:11], s[0:1], 0x40
	s_load_b128 s[4:7], s[0:1], 0x4
	s_mov_b32 s20, s15
	s_mov_b32 s21, 0
	s_load_b32 s15, s[0:1], 0x68
	s_lshl_b64 s[22:23], s[20:21], 3
	s_mov_b32 s29, exec_lo
	s_waitcnt lgkmcnt(0)
	s_add_u32 s2, s8, s22
	s_addc_u32 s3, s9, s23
	s_load_b64 s[12:13], s[0:1], 0x14
	s_load_b64 s[2:3], s[2:3], 0x0
	s_min_i32 s20, s6, 64
	s_delay_alu instid0(SALU_CYCLE_1)
	s_add_i32 s28, s20, -1
	v_cmpx_gt_i32_e64 s20, v0
	s_cbranch_execz .LBB173_35
; %bb.1:
	s_clause 0x1
	s_load_b32 s8, s[0:1], 0x30
	s_load_b128 s[16:19], s[0:1], 0x20
	s_waitcnt lgkmcnt(0)
	s_ashr_i32 s9, s8, 31
	s_cmpk_lg_i32 s4, 0x71
	s_cselect_b32 s30, -1, 0
	s_add_u32 s16, s16, s22
	s_addc_u32 s17, s17, s23
	v_cndmask_b32_e64 v7, 0, 1, s30
	s_load_b64 s[16:17], s[16:17], 0x0
	s_cmp_lt_u32 s28, 3
	s_cbranch_scc1 .LBB173_20
; %bb.2:
	v_lshlrev_b32_e32 v8, 3, v0
	s_lshl_b64 s[22:23], s[18:19], 3
	s_mul_hi_i32 s31, s8, 24
	s_waitcnt lgkmcnt(0)
	s_add_u32 s21, s16, s22
	s_addc_u32 s22, s17, s23
	v_add_co_u32 v1, s21, s21, v8
	s_delay_alu instid0(VALU_DEP_1)
	v_add_co_ci_u32_e64 v2, null, s22, 0, s21
	s_and_b32 s21, s20, -4
	s_mul_i32 s33, s8, 24
	s_lshl_b64 s[22:23], s[8:9], 5
	s_lshl_b64 s[24:25], s[8:9], 4
	;; [unrolled: 1-line block ×3, first 2 shown]
	s_mov_b32 s34, 0
	s_branch .LBB173_4
.LBB173_3:                              ;   in Loop: Header=BB173_4 Depth=1
	global_load_b32 v3, v[5:6], off
	v_add_co_u32 v1, vcc_lo, v1, s22
	v_add_co_ci_u32_e32 v2, vcc_lo, s23, v2, vcc_lo
	s_add_i32 s34, s34, 4
	s_delay_alu instid0(SALU_CYCLE_1)
	s_cmp_eq_u32 s21, s34
	s_waitcnt vmcnt(0)
	ds_store_b64 v8, v[3:4] offset:1536
	v_add_nc_u32_e32 v8, 0x800, v8
	s_cbranch_scc1 .LBB173_20
.LBB173_4:                              ; =>This Inner Loop Header: Depth=1
	s_and_b32 vcc_lo, exec_lo, s30
	s_cbranch_vccz .LBB173_6
; %bb.5:                                ;   in Loop: Header=BB173_4 Depth=1
	global_load_b32 v4, v[1:2], off offset:4
	s_cbranch_execz .LBB173_7
	s_branch .LBB173_8
.LBB173_6:                              ;   in Loop: Header=BB173_4 Depth=1
                                        ; implicit-def: $vgpr4
.LBB173_7:                              ;   in Loop: Header=BB173_4 Depth=1
	global_load_b32 v3, v[1:2], off offset:4
	s_waitcnt vmcnt(0)
	v_xor_b32_e32 v4, 0x80000000, v3
.LBB173_8:                              ;   in Loop: Header=BB173_4 Depth=1
	global_load_b32 v3, v[1:2], off
	v_add_co_u32 v5, vcc_lo, v1, s26
	v_add_co_ci_u32_e32 v6, vcc_lo, s27, v2, vcc_lo
	s_and_not1_b32 vcc_lo, exec_lo, s30
	s_waitcnt vmcnt(0)
	ds_store_b64 v8, v[3:4]
	s_cbranch_vccnz .LBB173_10
; %bb.9:                                ;   in Loop: Header=BB173_4 Depth=1
	global_load_b32 v4, v[5:6], off offset:4
	s_cbranch_execz .LBB173_11
	s_branch .LBB173_12
.LBB173_10:                             ;   in Loop: Header=BB173_4 Depth=1
                                        ; implicit-def: $vgpr4
.LBB173_11:                             ;   in Loop: Header=BB173_4 Depth=1
	global_load_b32 v3, v[5:6], off offset:4
	s_waitcnt vmcnt(0)
	v_xor_b32_e32 v4, 0x80000000, v3
.LBB173_12:                             ;   in Loop: Header=BB173_4 Depth=1
	global_load_b32 v3, v[5:6], off
	v_add_co_u32 v5, vcc_lo, v1, s24
	v_add_co_ci_u32_e32 v6, vcc_lo, s25, v2, vcc_lo
	s_and_not1_b32 vcc_lo, exec_lo, s30
	s_waitcnt vmcnt(0)
	ds_store_b64 v8, v[3:4] offset:512
	s_cbranch_vccnz .LBB173_14
; %bb.13:                               ;   in Loop: Header=BB173_4 Depth=1
	global_load_b32 v4, v[5:6], off offset:4
	s_cbranch_execz .LBB173_15
	s_branch .LBB173_16
.LBB173_14:                             ;   in Loop: Header=BB173_4 Depth=1
                                        ; implicit-def: $vgpr4
.LBB173_15:                             ;   in Loop: Header=BB173_4 Depth=1
	global_load_b32 v3, v[5:6], off offset:4
	s_waitcnt vmcnt(0)
	v_xor_b32_e32 v4, 0x80000000, v3
.LBB173_16:                             ;   in Loop: Header=BB173_4 Depth=1
	global_load_b32 v3, v[5:6], off
	v_add_co_u32 v5, vcc_lo, v1, s33
	v_add_co_ci_u32_e32 v6, vcc_lo, s31, v2, vcc_lo
	s_and_not1_b32 vcc_lo, exec_lo, s30
	s_waitcnt vmcnt(0)
	ds_store_b64 v8, v[3:4] offset:1024
	s_cbranch_vccnz .LBB173_18
; %bb.17:                               ;   in Loop: Header=BB173_4 Depth=1
	global_load_b32 v4, v[5:6], off offset:4
	s_cbranch_execnz .LBB173_3
	s_branch .LBB173_19
.LBB173_18:                             ;   in Loop: Header=BB173_4 Depth=1
                                        ; implicit-def: $vgpr4
.LBB173_19:                             ;   in Loop: Header=BB173_4 Depth=1
	global_load_b32 v3, v[5:6], off offset:4
	s_waitcnt vmcnt(0)
	v_xor_b32_e32 v4, 0x80000000, v3
	s_branch .LBB173_3
.LBB173_20:
	s_and_b32 s22, s20, 3
	s_delay_alu instid0(SALU_CYCLE_1)
	s_cmp_eq_u32 s22, 0
	s_cbranch_scc1 .LBB173_27
; %bb.21:
	s_mul_i32 s23, s9, s21
	s_mul_hi_u32 s25, s8, s21
	s_mul_i32 s24, s8, s21
	s_add_i32 s25, s25, s23
	s_lshl_b64 s[18:19], s[18:19], 3
	s_lshl_b64 s[24:25], s[24:25], 3
	v_lshlrev_b32_e32 v1, 3, v0
	s_add_u32 s18, s24, s18
	s_addc_u32 s19, s25, s19
	s_waitcnt lgkmcnt(0)
	s_add_u32 s16, s16, s18
	s_addc_u32 s17, s17, s19
	v_add_co_u32 v2, s16, s16, v1
	s_delay_alu instid0(VALU_DEP_1) | instskip(SKIP_1) | instid1(VALU_DEP_3)
	v_add_co_ci_u32_e64 v3, null, s17, 0, s16
	v_lshl_or_b32 v5, s21, 9, v1
	v_add_co_u32 v1, vcc_lo, v2, 4
	s_delay_alu instid0(VALU_DEP_3)
	v_add_co_ci_u32_e32 v2, vcc_lo, 0, v3, vcc_lo
	s_lshl_b64 s[8:9], s[8:9], 3
	s_set_inst_prefetch_distance 0x1
	s_branch .LBB173_23
	.p2align	6
.LBB173_22:                             ;   in Loop: Header=BB173_23 Depth=1
	global_load_b32 v3, v[1:2], off offset:-4
	v_add_co_u32 v1, vcc_lo, v1, s8
	v_add_co_ci_u32_e32 v2, vcc_lo, s9, v2, vcc_lo
	s_add_i32 s22, s22, -1
	s_delay_alu instid0(SALU_CYCLE_1)
	s_cmp_lg_u32 s22, 0
	s_waitcnt vmcnt(0)
	ds_store_b64 v5, v[3:4]
	v_add_nc_u32_e32 v5, 0x200, v5
	s_cbranch_scc0 .LBB173_27
.LBB173_23:                             ; =>This Inner Loop Header: Depth=1
	v_cmp_ne_u32_e32 vcc_lo, 1, v7
	s_mov_b32 s16, -1
                                        ; implicit-def: $vgpr4
	s_cbranch_vccnz .LBB173_25
; %bb.24:                               ;   in Loop: Header=BB173_23 Depth=1
	global_load_b32 v4, v[1:2], off
	s_mov_b32 s16, 0
.LBB173_25:                             ;   in Loop: Header=BB173_23 Depth=1
	s_delay_alu instid0(SALU_CYCLE_1)
	s_and_not1_b32 vcc_lo, exec_lo, s16
	s_cbranch_vccnz .LBB173_22
; %bb.26:                               ;   in Loop: Header=BB173_23 Depth=1
	global_load_b32 v3, v[1:2], off
	s_waitcnt vmcnt(0)
	v_xor_b32_e32 v4, 0x80000000, v3
	s_branch .LBB173_22
.LBB173_27:
	s_set_inst_prefetch_distance 0x2
	v_mul_u32_u24_e32 v1, 0x41, v0
	s_cmpk_lg_i32 s5, 0x84
	s_mov_b32 s5, -1
	s_delay_alu instid0(VALU_DEP_1)
	v_lshlrev_b32_e32 v5, 3, v1
	s_cbranch_scc0 .LBB173_33
; %bb.28:
	ds_load_b64 v[1:2], v5
	s_waitcnt lgkmcnt(0)
	v_cmp_gt_f32_e32 vcc_lo, 0, v1
	v_cndmask_b32_e64 v3, v1, -v1, vcc_lo
	v_cmp_gt_f32_e32 vcc_lo, 0, v2
	v_cndmask_b32_e64 v4, v2, -v2, vcc_lo
	s_delay_alu instid0(VALU_DEP_1) | instskip(SKIP_1) | instid1(SALU_CYCLE_1)
	v_cmp_ngt_f32_e32 vcc_lo, v3, v4
                                        ; implicit-def: $vgpr3
	s_and_saveexec_b32 s5, vcc_lo
	s_xor_b32 s5, exec_lo, s5
	s_cbranch_execz .LBB173_30
; %bb.29:
	v_div_scale_f32 v3, null, v2, v2, v1
	v_div_scale_f32 v7, vcc_lo, v1, v2, v1
	s_delay_alu instid0(VALU_DEP_2) | instskip(SKIP_2) | instid1(VALU_DEP_1)
	v_rcp_f32_e32 v4, v3
	s_waitcnt_depctr 0xfff
	v_fma_f32 v6, -v3, v4, 1.0
	v_fmac_f32_e32 v4, v6, v4
	s_delay_alu instid0(VALU_DEP_1) | instskip(NEXT) | instid1(VALU_DEP_1)
	v_mul_f32_e32 v6, v7, v4
	v_fma_f32 v8, -v3, v6, v7
	s_delay_alu instid0(VALU_DEP_1) | instskip(NEXT) | instid1(VALU_DEP_1)
	v_fmac_f32_e32 v6, v8, v4
	v_fma_f32 v3, -v3, v6, v7
	s_delay_alu instid0(VALU_DEP_1) | instskip(NEXT) | instid1(VALU_DEP_1)
	v_div_fmas_f32 v3, v3, v4, v6
	v_div_fixup_f32 v3, v3, v2, v1
	s_delay_alu instid0(VALU_DEP_1) | instskip(NEXT) | instid1(VALU_DEP_1)
	v_fmac_f32_e32 v2, v1, v3
	v_div_scale_f32 v1, null, v2, v2, 1.0
	v_div_scale_f32 v7, vcc_lo, 1.0, v2, 1.0
	s_delay_alu instid0(VALU_DEP_2) | instskip(SKIP_2) | instid1(VALU_DEP_1)
	v_rcp_f32_e32 v4, v1
	s_waitcnt_depctr 0xfff
	v_fma_f32 v6, -v1, v4, 1.0
	v_fmac_f32_e32 v4, v6, v4
	s_delay_alu instid0(VALU_DEP_1) | instskip(NEXT) | instid1(VALU_DEP_1)
	v_mul_f32_e32 v6, v7, v4
	v_fma_f32 v8, -v1, v6, v7
	s_delay_alu instid0(VALU_DEP_1) | instskip(NEXT) | instid1(VALU_DEP_1)
	v_fmac_f32_e32 v6, v8, v4
	v_fma_f32 v1, -v1, v6, v7
	s_delay_alu instid0(VALU_DEP_1) | instskip(SKIP_1) | instid1(VALU_DEP_2)
	v_div_fmas_f32 v1, v1, v4, v6
	v_add_f32_e32 v4, 0, v3
	v_div_fixup_f32 v1, v1, v2, 1.0
	v_fma_f32 v2, v3, 0, -1.0
	s_delay_alu instid0(VALU_DEP_2) | instskip(NEXT) | instid1(VALU_DEP_2)
	v_mul_f32_e32 v3, v4, v1
	v_mul_f32_e32 v4, v2, v1
                                        ; implicit-def: $vgpr1_vgpr2
.LBB173_30:
	s_and_not1_saveexec_b32 s5, s5
	s_cbranch_execz .LBB173_32
; %bb.31:
	v_div_scale_f32 v3, null, v1, v1, v2
	v_div_scale_f32 v7, vcc_lo, v2, v1, v2
	s_delay_alu instid0(VALU_DEP_2) | instskip(SKIP_2) | instid1(VALU_DEP_1)
	v_rcp_f32_e32 v4, v3
	s_waitcnt_depctr 0xfff
	v_fma_f32 v6, -v3, v4, 1.0
	v_fmac_f32_e32 v4, v6, v4
	s_delay_alu instid0(VALU_DEP_1) | instskip(NEXT) | instid1(VALU_DEP_1)
	v_mul_f32_e32 v6, v7, v4
	v_fma_f32 v8, -v3, v6, v7
	s_delay_alu instid0(VALU_DEP_1) | instskip(NEXT) | instid1(VALU_DEP_1)
	v_fmac_f32_e32 v6, v8, v4
	v_fma_f32 v3, -v3, v6, v7
	s_delay_alu instid0(VALU_DEP_1) | instskip(NEXT) | instid1(VALU_DEP_1)
	v_div_fmas_f32 v3, v3, v4, v6
	v_div_fixup_f32 v4, v3, v1, v2
	s_delay_alu instid0(VALU_DEP_1) | instskip(NEXT) | instid1(VALU_DEP_1)
	v_fmac_f32_e32 v1, v2, v4
	v_div_scale_f32 v2, null, v1, v1, 1.0
	v_div_scale_f32 v7, vcc_lo, 1.0, v1, 1.0
	s_delay_alu instid0(VALU_DEP_2) | instskip(SKIP_2) | instid1(VALU_DEP_1)
	v_rcp_f32_e32 v3, v2
	s_waitcnt_depctr 0xfff
	v_fma_f32 v6, -v2, v3, 1.0
	v_fmac_f32_e32 v3, v6, v3
	s_delay_alu instid0(VALU_DEP_1) | instskip(NEXT) | instid1(VALU_DEP_1)
	v_mul_f32_e32 v6, v7, v3
	v_fma_f32 v8, -v2, v6, v7
	s_delay_alu instid0(VALU_DEP_1) | instskip(NEXT) | instid1(VALU_DEP_1)
	v_fmac_f32_e32 v6, v8, v3
	v_fma_f32 v2, -v2, v6, v7
	s_delay_alu instid0(VALU_DEP_1) | instskip(SKIP_1) | instid1(VALU_DEP_2)
	v_div_fmas_f32 v2, v2, v3, v6
	v_fma_f32 v3, v4, 0, 1.0
	v_div_fixup_f32 v1, v2, v1, 1.0
	s_delay_alu instid0(VALU_DEP_1)
	v_mul_f32_e32 v3, v3, v1
	v_mul_f32_e64 v4, -v4, v1
.LBB173_32:
	s_or_b32 exec_lo, exec_lo, s5
	s_mov_b32 s5, 0
	ds_store_b64 v5, v[3:4]
.LBB173_33:
	s_and_b32 vcc_lo, exec_lo, s5
	s_cbranch_vccz .LBB173_35
; %bb.34:
	v_dual_mov_b32 v1, 1.0 :: v_dual_mov_b32 v2, 0
	ds_store_b64 v5, v[1:2]
.LBB173_35:
	s_or_b32 exec_lo, exec_lo, s29
	s_waitcnt lgkmcnt(0)
	s_load_b32 s16, s[0:1], 0x50
	s_lshl_b64 s[0:1], s[10:11], 3
	s_waitcnt lgkmcnt(0)
	s_ashr_i32 s17, s16, 31
	s_add_u32 s5, s2, s0
	s_addc_u32 s18, s3, s1
	s_lshl_b32 s8, s14, 6
	s_add_i32 s15, s15, -1
	s_sub_i32 s7, s7, s8
	s_mul_hi_i32 s11, s16, s8
	s_cmp_ge_u32 s14, s15
	s_mul_i32 s10, s16, s8
	s_cselect_b32 s14, s7, 64
	s_lshl_b64 s[10:11], s[10:11], 3
	s_ashr_i32 s9, s8, 31
	s_add_u32 s7, s5, s10
	s_addc_u32 s18, s18, s11
	v_cmp_gt_i32_e32 vcc_lo, s14, v0
	s_cmp_gt_i32 s6, 0
	s_mov_b32 s10, 0
	s_cselect_b32 s5, -1, 0
	s_delay_alu instid0(SALU_CYCLE_1) | instskip(NEXT) | instid1(SALU_CYCLE_1)
	s_and_b32 s19, vcc_lo, s5
	s_and_saveexec_b32 s5, s19
	s_cbranch_execz .LBB173_42
; %bb.36:
	s_cmp_lt_i32 s6, 8
	s_cbranch_scc1 .LBB173_39
; %bb.37:
	v_mad_i64_i32 v[1:2], null, s16, v0, 0
	v_lshl_or_b32 v3, v0, 3, 0x8000
	s_lshl_b32 s10, s20, 3
	s_mov_b64 s[14:15], 0
	s_and_b32 s11, s10, 0x3c0
	s_mov_b32 s10, 0
	s_delay_alu instid0(VALU_DEP_2) | instskip(NEXT) | instid1(VALU_DEP_1)
	v_lshlrev_b64 v[1:2], 3, v[1:2]
	v_add_co_u32 v1, vcc_lo, s7, v1
	s_delay_alu instid0(VALU_DEP_2)
	v_add_co_ci_u32_e32 v2, vcc_lo, s18, v2, vcc_lo
.LBB173_38:                             ; =>This Inner Loop Header: Depth=1
	s_delay_alu instid0(VALU_DEP_2) | instskip(NEXT) | instid1(VALU_DEP_2)
	v_add_co_u32 v16, vcc_lo, v1, s14
	v_add_co_ci_u32_e32 v17, vcc_lo, s15, v2, vcc_lo
	s_add_i32 s10, s10, 8
	s_add_u32 s14, s14, 64
	s_addc_u32 s15, s15, 0
	s_clause 0x3
	global_load_b128 v[4:7], v[16:17], off
	global_load_b128 v[8:11], v[16:17], off offset:16
	global_load_b128 v[12:15], v[16:17], off offset:32
	;; [unrolled: 1-line block ×3, first 2 shown]
	s_cmp_lg_u32 s11, s14
	s_waitcnt vmcnt(3)
	v_dual_mul_f32 v21, s13, v5 :: v_dual_mul_f32 v22, s13, v7
	v_dual_mul_f32 v20, s12, v5 :: v_dual_mul_f32 v5, s12, v7
	s_waitcnt vmcnt(2)
	v_dual_mul_f32 v23, s13, v9 :: v_dual_mul_f32 v24, s13, v11
	s_waitcnt vmcnt(1)
	v_dual_mul_f32 v7, s12, v9 :: v_dual_mul_f32 v26, s13, v15
	v_dual_mul_f32 v9, s12, v11 :: v_dual_fmac_f32 v20, s13, v4
	s_waitcnt vmcnt(0)
	v_dual_mul_f32 v25, s13, v13 :: v_dual_mul_f32 v28, s13, v19
	v_mul_f32_e32 v11, s12, v13
	v_mul_f32_e32 v13, s12, v15
	;; [unrolled: 1-line block ×5, first 2 shown]
	v_fma_f32 v19, s12, v4, -v21
	v_fma_f32 v4, s12, v6, -v22
	v_fmac_f32_e32 v5, s13, v6
	v_fma_f32 v6, s12, v8, -v23
	v_fmac_f32_e32 v7, s13, v8
	;; [unrolled: 2-line block ×7, first 2 shown]
	ds_store_2addr_stride64_b64 v3, v[19:20], v[4:5] offset1:1
	ds_store_2addr_stride64_b64 v3, v[6:7], v[8:9] offset0:2 offset1:3
	ds_store_2addr_stride64_b64 v3, v[10:11], v[12:13] offset0:4 offset1:5
	ds_store_2addr_stride64_b64 v3, v[14:15], v[16:17] offset0:6 offset1:7
	v_add_nc_u32_e32 v3, 0x1000, v3
	s_cbranch_scc1 .LBB173_38
.LBB173_39:
	s_and_b32 s14, s20, 7
	s_mov_b32 s11, 0
	s_cmp_eq_u32 s14, 0
	s_cbranch_scc1 .LBB173_42
; %bb.40:
	v_lshlrev_b32_e32 v3, 3, v0
	s_lshl_b64 s[22:23], s[8:9], 3
	s_lshl_b64 s[24:25], s[10:11], 3
	s_delay_alu instid0(VALU_DEP_1) | instskip(NEXT) | instid1(VALU_DEP_1)
	v_add_co_u32 v4, s11, s22, v3
	v_add_co_ci_u32_e64 v5, null, s23, 0, s11
	s_add_u32 s11, s2, s24
	s_addc_u32 s15, s3, s25
	s_add_u32 s22, s11, s0
	s_addc_u32 s23, s15, s1
	v_mul_lo_u32 v5, v5, s16
	v_mad_u64_u32 v[1:2], null, v4, s16, s[22:23]
	v_mul_lo_u32 v4, v4, s17
	v_lshl_or_b32 v3, s10, 9, v3
	s_delay_alu instid0(VALU_DEP_1) | instskip(NEXT) | instid1(VALU_DEP_4)
	v_add_nc_u32_e32 v3, 0x8000, v3
	v_add_co_u32 v1, vcc_lo, v1, 4
	s_delay_alu instid0(VALU_DEP_4) | instskip(NEXT) | instid1(VALU_DEP_1)
	v_add3_u32 v2, v5, v2, v4
	v_add_co_ci_u32_e32 v2, vcc_lo, 0, v2, vcc_lo
	.p2align	6
.LBB173_41:                             ; =>This Inner Loop Header: Depth=1
	global_load_b64 v[4:5], v[1:2], off offset:-4
	v_add_co_u32 v1, vcc_lo, v1, 8
	v_add_co_ci_u32_e32 v2, vcc_lo, 0, v2, vcc_lo
	s_add_i32 s14, s14, -1
	s_delay_alu instid0(SALU_CYCLE_1) | instskip(SKIP_2) | instid1(VALU_DEP_1)
	s_cmp_lg_u32 s14, 0
	s_waitcnt vmcnt(0)
	v_mul_f32_e32 v6, s12, v5
	v_dual_mul_f32 v7, s13, v5 :: v_dual_fmac_f32 v6, s13, v4
	s_delay_alu instid0(VALU_DEP_1)
	v_fma_f32 v5, s12, v4, -v7
	ds_store_b64 v3, v[5:6]
	v_add_nc_u32_e32 v3, 0x200, v3
	s_cbranch_scc1 .LBB173_41
.LBB173_42:
	s_or_b32 exec_lo, exec_lo, s5
	v_or_b32_e64 v3, 0, 4
	s_cmpk_eq_i32 s4, 0x6f
	s_mov_b32 s4, -1
	s_waitcnt lgkmcnt(0)
	s_barrier
	buffer_gl0_inv
	s_cbranch_scc1 .LBB173_64
; %bb.43:
	v_lshl_or_b32 v4, v0, 3, 0x8000
	v_lshlrev_b32_e32 v5, 3, v0
	s_mov_b32 s5, 0
	s_delay_alu instid0(SALU_CYCLE_1)
	s_mov_b32 s4, s5
	s_mov_b32 s10, s5
	s_branch .LBB173_45
.LBB173_44:                             ;   in Loop: Header=BB173_45 Depth=1
	s_cmp_ge_i32 s10, s20
	s_cselect_b32 s11, -1, 0
	s_add_i32 s4, s4, 1
	s_delay_alu instid0(SALU_CYCLE_1) | instskip(SKIP_1) | instid1(SALU_CYCLE_1)
	s_cmp_eq_u32 s4, 3
	s_cselect_b32 s12, -1, 0
	s_or_b32 s11, s11, s12
	s_delay_alu instid0(SALU_CYCLE_1)
	s_and_not1_b32 vcc_lo, exec_lo, s11
	s_cbranch_vccz .LBB173_63
.LBB173_45:                             ; =>This Loop Header: Depth=1
                                        ;     Child Loop BB173_48 Depth 2
                                        ;       Child Loop BB173_49 Depth 3
                                        ;       Child Loop BB173_52 Depth 3
                                        ;         Child Loop BB173_53 Depth 4
                                        ;       Child Loop BB173_57 Depth 3
                                        ;         Child Loop BB173_59 Depth 4
	s_getpc_b64 s[12:13]
	s_add_u32 s12, s12, __const._ZL38rocblas_trsm_small_left_device_sharedBILi64ELi32ELb0E19rocblas_complex_numIfES1_PKPKS1_PKPS1_Ev13rocblas_fill_18rocblas_operation_17rocblas_diagonal_iiT3_T4_lilT5_lili.step_sizes@rel32@lo+4
	s_addc_u32 s13, s13, __const._ZL38rocblas_trsm_small_left_device_sharedBILi64ELi32ELb0E19rocblas_complex_numIfES1_PKPKS1_PKPS1_Ev13rocblas_fill_18rocblas_operation_17rocblas_diagonal_iiT3_T4_lilT5_lili.step_sizes@rel32@hi+12
	s_lshl_b64 s[14:15], s[4:5], 2
	s_delay_alu instid0(SALU_CYCLE_1) | instskip(SKIP_4) | instid1(SALU_CYCLE_1)
	s_add_u32 s12, s14, s12
	s_addc_u32 s13, s15, s13
	s_load_b32 s11, s[12:13], 0x0
	s_waitcnt lgkmcnt(0)
	s_add_i32 s12, s11, -1
	s_add_i32 s13, s12, s10
	s_delay_alu instid0(SALU_CYCLE_1)
	s_cmp_ge_i32 s13, s20
	s_cbranch_scc1 .LBB173_44
; %bb.46:                               ;   in Loop: Header=BB173_45 Depth=1
	s_lshl_b32 s13, s10, 9
	s_max_i32 s14, s11, 1
	v_add_nc_u32_e32 v6, s13, v4
	s_lshl_b32 s15, s11, 9
	s_mul_i32 s21, s10, 0x208
	s_mul_i32 s22, s11, 0x208
	s_branch .LBB173_48
.LBB173_47:                             ;   in Loop: Header=BB173_48 Depth=2
	s_add_i32 s10, s10, s11
	v_add_nc_u32_e32 v6, s15, v6
	s_add_i32 s23, s12, s10
	s_add_i32 s13, s13, s15
	;; [unrolled: 1-line block ×3, first 2 shown]
	s_cmp_ge_i32 s23, s20
	s_cbranch_scc1 .LBB173_44
.LBB173_48:                             ;   Parent Loop BB173_45 Depth=1
                                        ; =>  This Loop Header: Depth=2
                                        ;       Child Loop BB173_49 Depth 3
                                        ;       Child Loop BB173_52 Depth 3
                                        ;         Child Loop BB173_53 Depth 4
                                        ;       Child Loop BB173_57 Depth 3
                                        ;         Child Loop BB173_59 Depth 4
	v_dual_mov_b32 v1, 0 :: v_dual_mov_b32 v2, v6
	s_mov_b32 s23, s14
.LBB173_49:                             ;   Parent Loop BB173_45 Depth=1
                                        ;     Parent Loop BB173_48 Depth=2
                                        ; =>    This Inner Loop Header: Depth=3
	ds_load_b64 v[7:8], v2
	v_add_nc_u32_e32 v2, 0x200, v2
	s_add_i32 s23, s23, -1
	s_delay_alu instid0(SALU_CYCLE_1)
	s_cmp_eq_u32 s23, 0
	s_waitcnt lgkmcnt(0)
	scratch_store_b64 v1, v[7:8], off
	v_add_nc_u32_e32 v1, 8, v1
	s_cbranch_scc0 .LBB173_49
; %bb.50:                               ;   in Loop: Header=BB173_48 Depth=2
	s_cmp_lt_i32 s10, 1
	s_cbranch_scc1 .LBB173_55
; %bb.51:                               ;   in Loop: Header=BB173_48 Depth=2
	s_mov_b32 s23, 0
	s_mov_b32 s24, s13
	.p2align	6
.LBB173_52:                             ;   Parent Loop BB173_45 Depth=1
                                        ;     Parent Loop BB173_48 Depth=2
                                        ; =>    This Loop Header: Depth=3
                                        ;         Child Loop BB173_53 Depth 4
	v_lshl_or_b32 v1, s23, 9, v5
	v_mov_b32_e32 v7, v3
	s_mov_b32 s25, s24
	s_mov_b32 s26, s14
	ds_load_b64 v[1:2], v1 offset:32768
	.p2align	6
.LBB173_53:                             ;   Parent Loop BB173_45 Depth=1
                                        ;     Parent Loop BB173_48 Depth=2
                                        ;       Parent Loop BB173_52 Depth=3
                                        ; =>      This Inner Loop Header: Depth=4
	scratch_load_b64 v[8:9], v7, off offset:-4
	v_mov_b32_e32 v10, s25
	s_add_i32 s26, s26, -1
	s_addk_i32 s25, 0x200
	s_cmp_eq_u32 s26, 0
	ds_load_b64 v[10:11], v10
	s_waitcnt lgkmcnt(0)
	v_mul_f32_e32 v12, v11, v2
	v_mul_f32_e32 v11, v11, v1
	s_delay_alu instid0(VALU_DEP_1) | instskip(SKIP_1) | instid1(VALU_DEP_1)
	v_fmac_f32_e32 v11, v10, v2
	s_waitcnt vmcnt(0)
	v_sub_f32_e32 v9, v9, v11
	v_fma_f32 v12, v10, v1, -v12
	s_delay_alu instid0(VALU_DEP_1)
	v_sub_f32_e32 v8, v8, v12
	scratch_store_b64 v7, v[8:9], off offset:-4
	v_add_nc_u32_e32 v7, 8, v7
	s_cbranch_scc0 .LBB173_53
; %bb.54:                               ;   in Loop: Header=BB173_52 Depth=3
	s_add_i32 s23, s23, 1
	s_add_i32 s24, s24, 8
	s_cmp_ge_i32 s23, s10
	s_cbranch_scc0 .LBB173_52
.LBB173_55:                             ;   in Loop: Header=BB173_48 Depth=2
	s_lshl_b32 s23, s10, 6
	s_mov_b32 s24, 0
	s_mov_b32 s25, s21
	s_branch .LBB173_57
.LBB173_56:                             ;   in Loop: Header=BB173_57 Depth=3
	s_mulk_i32 s27, 0x208
	s_addk_i32 s25, 0x200
	v_mov_b32_e32 v7, s27
	s_lshl_b32 s27, s24, 3
	s_add_i32 s24, s24, 1
	ds_load_b64 v[7:8], v7
	s_waitcnt vmcnt(0) lgkmcnt(0)
	v_mul_f32_e32 v9, v8, v2
	v_mul_f32_e32 v10, v7, v2
	v_add_lshl_u32 v2, s26, v0, 3
	s_add_i32 s26, s27, 0
	s_cmp_eq_u32 s24, s14
	v_fma_f32 v9, v7, v1, -v9
	v_fmac_f32_e32 v10, v8, v1
	scratch_store_b64 off, v[9:10], s26
	ds_store_b64 v2, v[9:10] offset:32768
	s_cbranch_scc1 .LBB173_47
.LBB173_57:                             ;   Parent Loop BB173_45 Depth=1
                                        ;     Parent Loop BB173_48 Depth=2
                                        ; =>    This Loop Header: Depth=3
                                        ;         Child Loop BB173_59 Depth 4
	s_cmp_lg_u32 s24, 0
	s_cbranch_scc0 .LBB173_61
; %bb.58:                               ;   in Loop: Header=BB173_57 Depth=3
	s_lshl_b32 s26, s24, 3
	v_mov_b32_e32 v8, 0
	s_add_i32 s27, s26, 0
	v_add_nc_u32_e64 v7, s26, 0
	scratch_load_b64 v[1:2], off, s27
	s_add_i32 s27, s24, s10
	s_mov_b32 s29, 0
	s_lshl_b32 s26, s27, 6
	s_mov_b32 s30, s25
	.p2align	6
.LBB173_59:                             ;   Parent Loop BB173_45 Depth=1
                                        ;     Parent Loop BB173_48 Depth=2
                                        ;       Parent Loop BB173_57 Depth=3
                                        ; =>      This Inner Loop Header: Depth=4
	scratch_load_b64 v[9:10], v8, off
	v_mov_b32_e32 v11, s30
	s_add_i32 s29, s29, 1
	s_add_i32 s30, s30, 8
	s_cmp_ge_u32 s29, s24
	v_add_nc_u32_e32 v8, 8, v8
	ds_load_b64 v[11:12], v11
	s_waitcnt vmcnt(0) lgkmcnt(0)
	v_mul_f32_e32 v13, v12, v10
	v_mul_f32_e32 v10, v11, v10
	s_delay_alu instid0(VALU_DEP_2) | instskip(NEXT) | instid1(VALU_DEP_1)
	v_fma_f32 v11, v11, v9, -v13
	v_dual_sub_f32 v1, v1, v11 :: v_dual_fmac_f32 v10, v12, v9
	s_delay_alu instid0(VALU_DEP_1)
	v_sub_f32_e32 v2, v2, v10
	scratch_store_b64 v7, v[1:2], off
	s_cbranch_scc0 .LBB173_59
; %bb.60:                               ;   in Loop: Header=BB173_57 Depth=3
	s_branch .LBB173_56
.LBB173_61:                             ;   in Loop: Header=BB173_57 Depth=3
                                        ; implicit-def: $vgpr1
                                        ; implicit-def: $sgpr27
                                        ; implicit-def: $sgpr26
	s_cbranch_execz .LBB173_56
; %bb.62:                               ;   in Loop: Header=BB173_57 Depth=3
	scratch_load_b64 v[1:2], off, off
	s_mov_b32 s26, s23
	s_mov_b32 s27, s10
	s_branch .LBB173_56
.LBB173_63:
	s_mov_b32 s4, 0
.LBB173_64:
	s_delay_alu instid0(SALU_CYCLE_1)
	s_and_b32 vcc_lo, exec_lo, s4
	s_cbranch_vccz .LBB173_84
; %bb.65:
	v_lshl_or_b32 v4, v0, 3, 0x8000
	v_lshlrev_b32_e32 v5, 3, v0
	s_lshl_b32 s10, s20, 9
	s_mov_b32 s5, 0
	s_addk_i32 s10, 0xfe00
	s_mov_b32 s4, s5
	s_mov_b32 s11, s28
	s_branch .LBB173_67
.LBB173_66:                             ;   in Loop: Header=BB173_67 Depth=1
	s_cmp_lt_i32 s11, 0
	s_cselect_b32 s12, -1, 0
	s_add_i32 s4, s4, 1
	s_delay_alu instid0(SALU_CYCLE_1) | instskip(SKIP_1) | instid1(SALU_CYCLE_1)
	s_cmp_eq_u32 s4, 3
	s_cselect_b32 s13, -1, 0
	s_or_b32 s12, s12, s13
	s_delay_alu instid0(SALU_CYCLE_1)
	s_and_b32 vcc_lo, exec_lo, s12
	s_cbranch_vccnz .LBB173_84
.LBB173_67:                             ; =>This Loop Header: Depth=1
                                        ;     Child Loop BB173_70 Depth 2
                                        ;       Child Loop BB173_71 Depth 3
                                        ;       Child Loop BB173_73 Depth 3
                                        ;         Child Loop BB173_74 Depth 4
                                        ;       Child Loop BB173_78 Depth 3
                                        ;         Child Loop BB173_80 Depth 4
	s_getpc_b64 s[12:13]
	s_add_u32 s12, s12, __const._ZL38rocblas_trsm_small_left_device_sharedBILi64ELi32ELb0E19rocblas_complex_numIfES1_PKPKS1_PKPS1_Ev13rocblas_fill_18rocblas_operation_17rocblas_diagonal_iiT3_T4_lilT5_lili.step_sizes@rel32@lo+4
	s_addc_u32 s13, s13, __const._ZL38rocblas_trsm_small_left_device_sharedBILi64ELi32ELb0E19rocblas_complex_numIfES1_PKPKS1_PKPS1_Ev13rocblas_fill_18rocblas_operation_17rocblas_diagonal_iiT3_T4_lilT5_lili.step_sizes@rel32@hi+12
	s_lshl_b64 s[14:15], s[4:5], 2
	s_delay_alu instid0(SALU_CYCLE_1) | instskip(SKIP_4) | instid1(SALU_CYCLE_1)
	s_add_u32 s12, s14, s12
	s_addc_u32 s13, s15, s13
	s_load_b32 s12, s[12:13], 0x0
	s_waitcnt lgkmcnt(0)
	s_add_i32 s13, s12, -1
	s_cmp_lt_i32 s11, s13
	s_cbranch_scc1 .LBB173_66
; %bb.68:                               ;   in Loop: Header=BB173_67 Depth=1
	v_lshl_add_u32 v6, s11, 9, v4
	s_lshl_b32 s15, s12, 9
	s_lshl_b32 s21, s11, 3
	;; [unrolled: 1-line block ×3, first 2 shown]
	s_max_i32 s14, s12, 1
	s_sub_i32 s15, 0, s15
	s_add_i32 s21, s10, s21
	s_sub_i32 s22, 0, s22
	s_mul_i32 s23, s11, 0x208
	s_mul_i32 s24, s12, 0xfffffdf8
	s_branch .LBB173_70
.LBB173_69:                             ;   in Loop: Header=BB173_70 Depth=2
	v_add_nc_u32_e32 v6, s15, v6
	s_sub_i32 s11, s11, s12
	s_add_i32 s21, s21, s22
	s_add_i32 s23, s23, s24
	s_cmp_lt_i32 s11, s13
	s_cbranch_scc1 .LBB173_66
.LBB173_70:                             ;   Parent Loop BB173_67 Depth=1
                                        ; =>  This Loop Header: Depth=2
                                        ;       Child Loop BB173_71 Depth 3
                                        ;       Child Loop BB173_73 Depth 3
                                        ;         Child Loop BB173_74 Depth 4
                                        ;       Child Loop BB173_78 Depth 3
                                        ;         Child Loop BB173_80 Depth 4
	v_dual_mov_b32 v1, 0 :: v_dual_mov_b32 v2, v6
	s_mov_b32 s25, s14
.LBB173_71:                             ;   Parent Loop BB173_67 Depth=1
                                        ;     Parent Loop BB173_70 Depth=2
                                        ; =>    This Inner Loop Header: Depth=3
	ds_load_b64 v[7:8], v2
	v_add_nc_u32_e32 v2, 0xfffffe00, v2
	s_add_i32 s25, s25, -1
	s_delay_alu instid0(SALU_CYCLE_1)
	s_cmp_eq_u32 s25, 0
	s_waitcnt lgkmcnt(0)
	scratch_store_b64 v1, v[7:8], off
	v_add_nc_u32_e32 v1, 8, v1
	s_cbranch_scc0 .LBB173_71
; %bb.72:                               ;   in Loop: Header=BB173_70 Depth=2
	s_cmp_le_i32 s28, s11
	s_mov_b32 s25, s21
	s_mov_b32 s26, s28
	s_cbranch_scc1 .LBB173_76
	.p2align	6
.LBB173_73:                             ;   Parent Loop BB173_67 Depth=1
                                        ;     Parent Loop BB173_70 Depth=2
                                        ; =>    This Loop Header: Depth=3
                                        ;         Child Loop BB173_74 Depth 4
	v_lshl_or_b32 v1, s26, 9, v5
	v_mov_b32_e32 v7, v3
	s_mov_b32 s27, s14
	s_mov_b32 s29, s25
	ds_load_b64 v[1:2], v1 offset:32768
	.p2align	6
.LBB173_74:                             ;   Parent Loop BB173_67 Depth=1
                                        ;     Parent Loop BB173_70 Depth=2
                                        ;       Parent Loop BB173_73 Depth=3
                                        ; =>      This Inner Loop Header: Depth=4
	scratch_load_b64 v[8:9], v7, off offset:-4
	v_mov_b32_e32 v10, s29
	s_add_i32 s27, s27, -1
	s_add_i32 s29, s29, -8
	s_cmp_eq_u32 s27, 0
	ds_load_b64 v[10:11], v10
	s_waitcnt lgkmcnt(0)
	v_mul_f32_e32 v12, v11, v2
	v_mul_f32_e32 v11, v11, v1
	s_delay_alu instid0(VALU_DEP_1) | instskip(SKIP_1) | instid1(VALU_DEP_1)
	v_fmac_f32_e32 v11, v10, v2
	s_waitcnt vmcnt(0)
	v_sub_f32_e32 v9, v9, v11
	v_fma_f32 v12, v10, v1, -v12
	s_delay_alu instid0(VALU_DEP_1)
	v_sub_f32_e32 v8, v8, v12
	scratch_store_b64 v7, v[8:9], off offset:-4
	v_add_nc_u32_e32 v7, 8, v7
	s_cbranch_scc0 .LBB173_74
; %bb.75:                               ;   in Loop: Header=BB173_73 Depth=3
	s_add_i32 s26, s26, -1
	s_addk_i32 s25, 0xfe00
	s_cmp_le_i32 s26, s11
	s_cbranch_scc0 .LBB173_73
.LBB173_76:                             ;   in Loop: Header=BB173_70 Depth=2
	s_mov_b32 s25, 0
	s_mov_b32 s26, s23
	s_branch .LBB173_78
.LBB173_77:                             ;   in Loop: Header=BB173_78 Depth=3
	s_mul_i32 s29, s27, 0x208
	s_add_i32 s26, s26, -8
	v_mov_b32_e32 v7, s29
	s_lshl_b32 s29, s25, 3
	s_add_i32 s25, s25, 1
	ds_load_b64 v[7:8], v7
	s_waitcnt vmcnt(0) lgkmcnt(0)
	v_mul_f32_e32 v9, v8, v2
	v_mul_f32_e32 v10, v7, v2
	v_lshl_or_b32 v2, s27, 9, v5
	s_add_i32 s27, s29, 0
	s_cmp_eq_u32 s25, s14
	v_fma_f32 v9, v7, v1, -v9
	v_fmac_f32_e32 v10, v8, v1
	scratch_store_b64 off, v[9:10], s27
	ds_store_b64 v2, v[9:10] offset:32768
	s_cbranch_scc1 .LBB173_69
.LBB173_78:                             ;   Parent Loop BB173_67 Depth=1
                                        ;     Parent Loop BB173_70 Depth=2
                                        ; =>    This Loop Header: Depth=3
                                        ;         Child Loop BB173_80 Depth 4
	s_cmp_lg_u32 s25, 0
	s_cbranch_scc0 .LBB173_82
; %bb.79:                               ;   in Loop: Header=BB173_78 Depth=3
	s_lshl_b32 s27, s25, 3
	v_mov_b32_e32 v8, 0
	s_add_i32 s29, s27, 0
	v_add_nc_u32_e64 v7, s27, 0
	scratch_load_b64 v[1:2], off, s29
	s_sub_i32 s27, s11, s25
	s_mov_b32 s29, 0
	s_mov_b32 s30, s26
	.p2align	6
.LBB173_80:                             ;   Parent Loop BB173_67 Depth=1
                                        ;     Parent Loop BB173_70 Depth=2
                                        ;       Parent Loop BB173_78 Depth=3
                                        ; =>      This Inner Loop Header: Depth=4
	scratch_load_b64 v[9:10], v8, off
	v_mov_b32_e32 v11, s30
	s_add_i32 s29, s29, 1
	s_addk_i32 s30, 0xfe00
	s_cmp_ge_u32 s29, s25
	v_add_nc_u32_e32 v8, 8, v8
	ds_load_b64 v[11:12], v11
	s_waitcnt vmcnt(0) lgkmcnt(0)
	v_mul_f32_e32 v13, v12, v10
	v_mul_f32_e32 v10, v11, v10
	s_delay_alu instid0(VALU_DEP_2) | instskip(NEXT) | instid1(VALU_DEP_1)
	v_fma_f32 v11, v11, v9, -v13
	v_dual_sub_f32 v1, v1, v11 :: v_dual_fmac_f32 v10, v12, v9
	s_delay_alu instid0(VALU_DEP_1)
	v_sub_f32_e32 v2, v2, v10
	scratch_store_b64 v7, v[1:2], off
	s_cbranch_scc0 .LBB173_80
; %bb.81:                               ;   in Loop: Header=BB173_78 Depth=3
	s_branch .LBB173_77
.LBB173_82:                             ;   in Loop: Header=BB173_78 Depth=3
                                        ; implicit-def: $vgpr1
                                        ; implicit-def: $sgpr27
	s_cbranch_execz .LBB173_77
; %bb.83:                               ;   in Loop: Header=BB173_78 Depth=3
	scratch_load_b64 v[1:2], off, off
	s_mov_b32 s27, s11
	s_branch .LBB173_77
.LBB173_84:
	s_waitcnt lgkmcnt(0)
	s_waitcnt_vscnt null, 0x0
	s_barrier
	buffer_gl0_inv
	s_and_saveexec_b32 s4, s19
	s_cbranch_execz .LBB173_91
; %bb.85:
	s_cmp_lt_i32 s6, 8
	s_mov_b32 s4, 0
	s_cbranch_scc1 .LBB173_88
; %bb.86:
	v_mad_i64_i32 v[1:2], null, s16, v0, 0
	v_lshl_or_b32 v3, v0, 3, 0x8000
	s_lshl_b32 s4, s20, 3
	s_delay_alu instid0(SALU_CYCLE_1) | instskip(SKIP_1) | instid1(VALU_DEP_2)
	s_and_b32 s5, s4, 0x3c0
	s_mov_b32 s4, 0
	v_lshlrev_b64 v[1:2], 3, v[1:2]
	s_delay_alu instid0(VALU_DEP_1) | instskip(NEXT) | instid1(VALU_DEP_2)
	v_add_co_u32 v1, vcc_lo, s7, v1
	v_add_co_ci_u32_e32 v2, vcc_lo, s18, v2, vcc_lo
	s_mov_b64 s[6:7], 0
	.p2align	6
.LBB173_87:                             ; =>This Inner Loop Header: Depth=1
	ds_load_2addr_stride64_b64 v[4:7], v3 offset1:1
	ds_load_2addr_stride64_b64 v[8:11], v3 offset0:2 offset1:3
	ds_load_2addr_stride64_b64 v[12:15], v3 offset0:4 offset1:5
	;; [unrolled: 1-line block ×3, first 2 shown]
	v_add_co_u32 v20, vcc_lo, v1, s6
	v_add_co_ci_u32_e32 v21, vcc_lo, s7, v2, vcc_lo
	s_add_i32 s4, s4, 8
	v_add_nc_u32_e32 v3, 0x1000, v3
	s_add_u32 s6, s6, 64
	s_addc_u32 s7, s7, 0
	s_cmp_lg_u32 s5, s6
	s_waitcnt lgkmcnt(3)
	global_store_b128 v[20:21], v[4:7], off
	s_waitcnt lgkmcnt(2)
	global_store_b128 v[20:21], v[8:11], off offset:16
	s_waitcnt lgkmcnt(1)
	global_store_b128 v[20:21], v[12:15], off offset:32
	;; [unrolled: 2-line block ×3, first 2 shown]
	s_cbranch_scc1 .LBB173_87
.LBB173_88:
	s_and_b32 s6, s20, 7
	s_mov_b32 s5, 0
	s_cmp_eq_u32 s6, 0
	s_cbranch_scc1 .LBB173_91
; %bb.89:
	v_lshlrev_b32_e32 v2, 3, v0
	s_lshl_b64 s[8:9], s[8:9], 3
	s_lshl_b64 s[10:11], s[4:5], 3
	s_delay_alu instid0(SALU_CYCLE_1) | instskip(NEXT) | instid1(VALU_DEP_1)
	s_add_u32 s2, s2, s10
	v_add_co_u32 v3, s5, s8, v2
	s_delay_alu instid0(VALU_DEP_1) | instskip(SKIP_3) | instid1(VALU_DEP_1)
	v_add_co_ci_u32_e64 v4, null, s9, 0, s5
	s_addc_u32 s3, s3, s11
	s_add_u32 s0, s2, s0
	s_addc_u32 s1, s3, s1
	v_mul_lo_u32 v4, v4, s16
	v_mad_u64_u32 v[0:1], null, v3, s16, s[0:1]
	v_mul_lo_u32 v3, v3, s17
	v_lshl_or_b32 v2, s4, 9, v2
	s_delay_alu instid0(VALU_DEP_1) | instskip(NEXT) | instid1(VALU_DEP_3)
	v_add_nc_u32_e32 v2, 0x8000, v2
	v_add3_u32 v1, v4, v1, v3
.LBB173_90:                             ; =>This Inner Loop Header: Depth=1
	ds_load_b64 v[3:4], v2
	v_add_nc_u32_e32 v2, 0x200, v2
	s_add_i32 s6, s6, -1
	s_delay_alu instid0(SALU_CYCLE_1)
	s_cmp_lg_u32 s6, 0
	s_waitcnt lgkmcnt(0)
	global_store_b64 v[0:1], v[3:4], off
	v_add_co_u32 v0, vcc_lo, v0, 8
	v_add_co_ci_u32_e32 v1, vcc_lo, 0, v1, vcc_lo
	s_cbranch_scc1 .LBB173_90
.LBB173_91:
	s_nop 0
	s_sendmsg sendmsg(MSG_DEALLOC_VGPRS)
	s_endpgm
	.section	.rodata,"a",@progbits
	.p2align	6, 0x0
	.amdhsa_kernel _ZL38rocblas_trsm_small_left_device_sharedBILi64ELi32ELb0E19rocblas_complex_numIfES1_PKPKS1_PKPS1_Ev13rocblas_fill_18rocblas_operation_17rocblas_diagonal_iiT3_T4_lilT5_lili
		.amdhsa_group_segment_fixed_size 65536
		.amdhsa_private_segment_fixed_size 272
		.amdhsa_kernarg_size 360
		.amdhsa_user_sgpr_count 14
		.amdhsa_user_sgpr_dispatch_ptr 0
		.amdhsa_user_sgpr_queue_ptr 0
		.amdhsa_user_sgpr_kernarg_segment_ptr 1
		.amdhsa_user_sgpr_dispatch_id 0
		.amdhsa_user_sgpr_private_segment_size 0
		.amdhsa_wavefront_size32 1
		.amdhsa_uses_dynamic_stack 0
		.amdhsa_enable_private_segment 1
		.amdhsa_system_sgpr_workgroup_id_x 1
		.amdhsa_system_sgpr_workgroup_id_y 0
		.amdhsa_system_sgpr_workgroup_id_z 1
		.amdhsa_system_sgpr_workgroup_info 0
		.amdhsa_system_vgpr_workitem_id 0
		.amdhsa_next_free_vgpr 29
		.amdhsa_next_free_sgpr 35
		.amdhsa_reserve_vcc 1
		.amdhsa_float_round_mode_32 0
		.amdhsa_float_round_mode_16_64 0
		.amdhsa_float_denorm_mode_32 3
		.amdhsa_float_denorm_mode_16_64 3
		.amdhsa_dx10_clamp 1
		.amdhsa_ieee_mode 1
		.amdhsa_fp16_overflow 0
		.amdhsa_workgroup_processor_mode 1
		.amdhsa_memory_ordered 1
		.amdhsa_forward_progress 0
		.amdhsa_shared_vgpr_count 0
		.amdhsa_exception_fp_ieee_invalid_op 0
		.amdhsa_exception_fp_denorm_src 0
		.amdhsa_exception_fp_ieee_div_zero 0
		.amdhsa_exception_fp_ieee_overflow 0
		.amdhsa_exception_fp_ieee_underflow 0
		.amdhsa_exception_fp_ieee_inexact 0
		.amdhsa_exception_int_div_zero 0
	.end_amdhsa_kernel
	.section	.text._ZL38rocblas_trsm_small_left_device_sharedBILi64ELi32ELb0E19rocblas_complex_numIfES1_PKPKS1_PKPS1_Ev13rocblas_fill_18rocblas_operation_17rocblas_diagonal_iiT3_T4_lilT5_lili,"axG",@progbits,_ZL38rocblas_trsm_small_left_device_sharedBILi64ELi32ELb0E19rocblas_complex_numIfES1_PKPKS1_PKPS1_Ev13rocblas_fill_18rocblas_operation_17rocblas_diagonal_iiT3_T4_lilT5_lili,comdat
.Lfunc_end173:
	.size	_ZL38rocblas_trsm_small_left_device_sharedBILi64ELi32ELb0E19rocblas_complex_numIfES1_PKPKS1_PKPS1_Ev13rocblas_fill_18rocblas_operation_17rocblas_diagonal_iiT3_T4_lilT5_lili, .Lfunc_end173-_ZL38rocblas_trsm_small_left_device_sharedBILi64ELi32ELb0E19rocblas_complex_numIfES1_PKPKS1_PKPS1_Ev13rocblas_fill_18rocblas_operation_17rocblas_diagonal_iiT3_T4_lilT5_lili
                                        ; -- End function
	.section	.AMDGPU.csdata,"",@progbits
; Kernel info:
; codeLenInByte = 3920
; NumSgprs: 37
; NumVgprs: 29
; ScratchSize: 272
; MemoryBound: 0
; FloatMode: 240
; IeeeMode: 1
; LDSByteSize: 65536 bytes/workgroup (compile time only)
; SGPRBlocks: 4
; VGPRBlocks: 3
; NumSGPRsForWavesPerEU: 37
; NumVGPRsForWavesPerEU: 29
; Occupancy: 1
; WaveLimiterHint : 1
; COMPUTE_PGM_RSRC2:SCRATCH_EN: 1
; COMPUTE_PGM_RSRC2:USER_SGPR: 14
; COMPUTE_PGM_RSRC2:TRAP_HANDLER: 0
; COMPUTE_PGM_RSRC2:TGID_X_EN: 1
; COMPUTE_PGM_RSRC2:TGID_Y_EN: 0
; COMPUTE_PGM_RSRC2:TGID_Z_EN: 1
; COMPUTE_PGM_RSRC2:TIDIG_COMP_CNT: 0
	.section	.text._ZL30rocblas_trsm_small_left_deviceILi64ELi32ELb0E19rocblas_complex_numIfES1_PKPKS1_PKPS1_Ev13rocblas_fill_18rocblas_operation_17rocblas_diagonal_iiT3_T4_lilT5_lili,"axG",@progbits,_ZL30rocblas_trsm_small_left_deviceILi64ELi32ELb0E19rocblas_complex_numIfES1_PKPKS1_PKPS1_Ev13rocblas_fill_18rocblas_operation_17rocblas_diagonal_iiT3_T4_lilT5_lili,comdat
	.globl	_ZL30rocblas_trsm_small_left_deviceILi64ELi32ELb0E19rocblas_complex_numIfES1_PKPKS1_PKPS1_Ev13rocblas_fill_18rocblas_operation_17rocblas_diagonal_iiT3_T4_lilT5_lili ; -- Begin function _ZL30rocblas_trsm_small_left_deviceILi64ELi32ELb0E19rocblas_complex_numIfES1_PKPKS1_PKPS1_Ev13rocblas_fill_18rocblas_operation_17rocblas_diagonal_iiT3_T4_lilT5_lili
	.p2align	8
	.type	_ZL30rocblas_trsm_small_left_deviceILi64ELi32ELb0E19rocblas_complex_numIfES1_PKPKS1_PKPS1_Ev13rocblas_fill_18rocblas_operation_17rocblas_diagonal_iiT3_T4_lilT5_lili,@function
_ZL30rocblas_trsm_small_left_deviceILi64ELi32ELb0E19rocblas_complex_numIfES1_PKPKS1_PKPS1_Ev13rocblas_fill_18rocblas_operation_17rocblas_diagonal_iiT3_T4_lilT5_lili: ; @_ZL30rocblas_trsm_small_left_deviceILi64ELi32ELb0E19rocblas_complex_numIfES1_PKPKS1_PKPS1_Ev13rocblas_fill_18rocblas_operation_17rocblas_diagonal_iiT3_T4_lilT5_lili
; %bb.0:
	s_clause 0x1
	s_load_b128 s[8:11], s[0:1], 0x40
	s_load_b128 s[4:7], s[0:1], 0x4
	s_mov_b32 s12, s15
	s_mov_b32 s13, 0
	s_load_b32 s15, s[0:1], 0x68
	s_lshl_b64 s[22:23], s[12:13], 3
	s_waitcnt lgkmcnt(0)
	s_add_u32 s8, s8, s22
	s_addc_u32 s9, s9, s23
	s_load_b64 s[2:3], s[0:1], 0x14
	s_load_b64 s[8:9], s[8:9], 0x0
	s_min_i32 s29, s6, 64
	s_mov_b32 s6, exec_lo
	s_add_i32 s28, s29, -1
	v_cmpx_gt_i32_e64 s29, v0
	s_cbranch_execz .LBB174_35
; %bb.1:
	s_clause 0x1
	s_load_b32 s20, s[0:1], 0x30
	s_load_b128 s[16:19], s[0:1], 0x20
	v_lshlrev_b32_e32 v8, 3, v0
	s_waitcnt lgkmcnt(0)
	s_ashr_i32 s21, s20, 31
	s_cmpk_lg_i32 s4, 0x71
	s_cselect_b32 s12, -1, 0
	s_add_u32 s16, s16, s22
	s_addc_u32 s17, s17, s23
	v_cndmask_b32_e64 v7, 0, 1, s12
	s_load_b64 s[16:17], s[16:17], 0x0
	s_cmp_lt_u32 s28, 3
	s_cbranch_scc1 .LBB174_20
; %bb.2:
	s_lshl_b64 s[22:23], s[18:19], 3
	v_mov_b32_e32 v9, v8
	s_waitcnt lgkmcnt(0)
	s_add_u32 s13, s16, s22
	s_addc_u32 s22, s17, s23
	v_add_co_u32 v1, s13, s13, v8
	s_delay_alu instid0(VALU_DEP_1)
	v_add_co_ci_u32_e64 v2, null, s22, 0, s13
	s_and_b32 s13, s29, -4
	s_mul_hi_i32 s30, s20, 24
	s_mul_i32 s31, s20, 24
	s_lshl_b64 s[22:23], s[20:21], 5
	s_lshl_b64 s[24:25], s[20:21], 4
	;; [unrolled: 1-line block ×3, first 2 shown]
	s_mov_b32 s33, 0
	s_branch .LBB174_4
.LBB174_3:                              ;   in Loop: Header=BB174_4 Depth=1
	global_load_b32 v3, v[5:6], off
	v_add_co_u32 v1, vcc_lo, v1, s22
	v_add_co_ci_u32_e32 v2, vcc_lo, s23, v2, vcc_lo
	s_add_i32 s33, s33, 4
	s_delay_alu instid0(SALU_CYCLE_1)
	s_cmp_eq_u32 s13, s33
	s_waitcnt vmcnt(0)
	ds_store_b64 v9, v[3:4] offset:1536
	v_add_nc_u32_e32 v9, 0x800, v9
	s_cbranch_scc1 .LBB174_20
.LBB174_4:                              ; =>This Inner Loop Header: Depth=1
	s_and_b32 vcc_lo, exec_lo, s12
	s_cbranch_vccz .LBB174_6
; %bb.5:                                ;   in Loop: Header=BB174_4 Depth=1
	global_load_b32 v4, v[1:2], off offset:4
	s_cbranch_execz .LBB174_7
	s_branch .LBB174_8
.LBB174_6:                              ;   in Loop: Header=BB174_4 Depth=1
                                        ; implicit-def: $vgpr4
.LBB174_7:                              ;   in Loop: Header=BB174_4 Depth=1
	global_load_b32 v3, v[1:2], off offset:4
	s_waitcnt vmcnt(0)
	v_xor_b32_e32 v4, 0x80000000, v3
.LBB174_8:                              ;   in Loop: Header=BB174_4 Depth=1
	global_load_b32 v3, v[1:2], off
	v_add_co_u32 v5, vcc_lo, v1, s26
	v_add_co_ci_u32_e32 v6, vcc_lo, s27, v2, vcc_lo
	s_and_not1_b32 vcc_lo, exec_lo, s12
	s_waitcnt vmcnt(0)
	ds_store_b64 v9, v[3:4]
	s_cbranch_vccnz .LBB174_10
; %bb.9:                                ;   in Loop: Header=BB174_4 Depth=1
	global_load_b32 v4, v[5:6], off offset:4
	s_cbranch_execz .LBB174_11
	s_branch .LBB174_12
.LBB174_10:                             ;   in Loop: Header=BB174_4 Depth=1
                                        ; implicit-def: $vgpr4
.LBB174_11:                             ;   in Loop: Header=BB174_4 Depth=1
	global_load_b32 v3, v[5:6], off offset:4
	s_waitcnt vmcnt(0)
	v_xor_b32_e32 v4, 0x80000000, v3
.LBB174_12:                             ;   in Loop: Header=BB174_4 Depth=1
	global_load_b32 v3, v[5:6], off
	v_add_co_u32 v5, vcc_lo, v1, s24
	v_add_co_ci_u32_e32 v6, vcc_lo, s25, v2, vcc_lo
	s_and_not1_b32 vcc_lo, exec_lo, s12
	s_waitcnt vmcnt(0)
	ds_store_b64 v9, v[3:4] offset:512
	s_cbranch_vccnz .LBB174_14
; %bb.13:                               ;   in Loop: Header=BB174_4 Depth=1
	global_load_b32 v4, v[5:6], off offset:4
	s_cbranch_execz .LBB174_15
	s_branch .LBB174_16
.LBB174_14:                             ;   in Loop: Header=BB174_4 Depth=1
                                        ; implicit-def: $vgpr4
.LBB174_15:                             ;   in Loop: Header=BB174_4 Depth=1
	global_load_b32 v3, v[5:6], off offset:4
	s_waitcnt vmcnt(0)
	v_xor_b32_e32 v4, 0x80000000, v3
.LBB174_16:                             ;   in Loop: Header=BB174_4 Depth=1
	global_load_b32 v3, v[5:6], off
	v_add_co_u32 v5, vcc_lo, v1, s31
	v_add_co_ci_u32_e32 v6, vcc_lo, s30, v2, vcc_lo
	s_and_not1_b32 vcc_lo, exec_lo, s12
	s_waitcnt vmcnt(0)
	ds_store_b64 v9, v[3:4] offset:1024
	s_cbranch_vccnz .LBB174_18
; %bb.17:                               ;   in Loop: Header=BB174_4 Depth=1
	global_load_b32 v4, v[5:6], off offset:4
	s_cbranch_execnz .LBB174_3
	s_branch .LBB174_19
.LBB174_18:                             ;   in Loop: Header=BB174_4 Depth=1
                                        ; implicit-def: $vgpr4
.LBB174_19:                             ;   in Loop: Header=BB174_4 Depth=1
	global_load_b32 v3, v[5:6], off offset:4
	s_waitcnt vmcnt(0)
	v_xor_b32_e32 v4, 0x80000000, v3
	s_branch .LBB174_3
.LBB174_20:
	s_and_b32 s22, s29, 3
	s_delay_alu instid0(SALU_CYCLE_1)
	s_cmp_eq_u32 s22, 0
	s_cbranch_scc1 .LBB174_27
; %bb.21:
	s_mul_i32 s12, s21, s13
	s_mul_hi_u32 s23, s20, s13
	s_mul_i32 s24, s20, s13
	s_add_i32 s25, s23, s12
	s_lshl_b64 s[18:19], s[18:19], 3
	s_lshl_b64 s[24:25], s[24:25], 3
	v_lshl_or_b32 v5, s13, 9, v8
	s_add_u32 s12, s24, s18
	s_addc_u32 s18, s25, s19
	s_waitcnt lgkmcnt(0)
	s_add_u32 s12, s16, s12
	s_addc_u32 s16, s17, s18
	v_add_co_u32 v1, s12, s12, v8
	s_delay_alu instid0(VALU_DEP_1) | instskip(SKIP_1) | instid1(VALU_DEP_2)
	v_add_co_ci_u32_e64 v2, null, s16, 0, s12
	s_lshl_b64 s[12:13], s[20:21], 3
	v_add_co_u32 v1, vcc_lo, v1, 4
	s_delay_alu instid0(VALU_DEP_2)
	v_add_co_ci_u32_e32 v2, vcc_lo, 0, v2, vcc_lo
	s_set_inst_prefetch_distance 0x1
	s_branch .LBB174_23
	.p2align	6
.LBB174_22:                             ;   in Loop: Header=BB174_23 Depth=1
	global_load_b32 v3, v[1:2], off offset:-4
	v_add_co_u32 v1, vcc_lo, v1, s12
	v_add_co_ci_u32_e32 v2, vcc_lo, s13, v2, vcc_lo
	s_add_i32 s22, s22, -1
	s_delay_alu instid0(SALU_CYCLE_1)
	s_cmp_lg_u32 s22, 0
	s_waitcnt vmcnt(0)
	ds_store_b64 v5, v[3:4]
	v_add_nc_u32_e32 v5, 0x200, v5
	s_cbranch_scc0 .LBB174_27
.LBB174_23:                             ; =>This Inner Loop Header: Depth=1
	v_cmp_ne_u32_e32 vcc_lo, 1, v7
	s_mov_b32 s16, -1
                                        ; implicit-def: $vgpr4
	s_cbranch_vccnz .LBB174_25
; %bb.24:                               ;   in Loop: Header=BB174_23 Depth=1
	global_load_b32 v4, v[1:2], off
	s_mov_b32 s16, 0
.LBB174_25:                             ;   in Loop: Header=BB174_23 Depth=1
	s_delay_alu instid0(SALU_CYCLE_1)
	s_and_not1_b32 vcc_lo, exec_lo, s16
	s_cbranch_vccnz .LBB174_22
; %bb.26:                               ;   in Loop: Header=BB174_23 Depth=1
	global_load_b32 v3, v[1:2], off
	s_waitcnt vmcnt(0)
	v_xor_b32_e32 v4, 0x80000000, v3
	s_branch .LBB174_22
.LBB174_27:
	s_set_inst_prefetch_distance 0x2
	v_mul_u32_u24_e32 v1, 0x41, v0
	s_cmpk_lg_i32 s5, 0x84
	s_mov_b32 s5, -1
	s_delay_alu instid0(VALU_DEP_1)
	v_lshlrev_b32_e32 v5, 3, v1
	s_cbranch_scc0 .LBB174_33
; %bb.28:
	ds_load_b64 v[1:2], v5
	s_waitcnt lgkmcnt(0)
	v_cmp_gt_f32_e32 vcc_lo, 0, v1
	v_cndmask_b32_e64 v3, v1, -v1, vcc_lo
	v_cmp_gt_f32_e32 vcc_lo, 0, v2
	v_cndmask_b32_e64 v4, v2, -v2, vcc_lo
	s_delay_alu instid0(VALU_DEP_1) | instskip(SKIP_1) | instid1(SALU_CYCLE_1)
	v_cmp_ngt_f32_e32 vcc_lo, v3, v4
                                        ; implicit-def: $vgpr3
	s_and_saveexec_b32 s5, vcc_lo
	s_xor_b32 s5, exec_lo, s5
	s_cbranch_execz .LBB174_30
; %bb.29:
	v_div_scale_f32 v3, null, v2, v2, v1
	v_div_scale_f32 v7, vcc_lo, v1, v2, v1
	s_delay_alu instid0(VALU_DEP_2) | instskip(SKIP_2) | instid1(VALU_DEP_1)
	v_rcp_f32_e32 v4, v3
	s_waitcnt_depctr 0xfff
	v_fma_f32 v6, -v3, v4, 1.0
	v_fmac_f32_e32 v4, v6, v4
	s_delay_alu instid0(VALU_DEP_1) | instskip(NEXT) | instid1(VALU_DEP_1)
	v_mul_f32_e32 v6, v7, v4
	v_fma_f32 v8, -v3, v6, v7
	s_delay_alu instid0(VALU_DEP_1) | instskip(NEXT) | instid1(VALU_DEP_1)
	v_fmac_f32_e32 v6, v8, v4
	v_fma_f32 v3, -v3, v6, v7
	s_delay_alu instid0(VALU_DEP_1) | instskip(NEXT) | instid1(VALU_DEP_1)
	v_div_fmas_f32 v3, v3, v4, v6
	v_div_fixup_f32 v3, v3, v2, v1
	s_delay_alu instid0(VALU_DEP_1) | instskip(NEXT) | instid1(VALU_DEP_1)
	v_fmac_f32_e32 v2, v1, v3
	v_div_scale_f32 v1, null, v2, v2, 1.0
	v_div_scale_f32 v7, vcc_lo, 1.0, v2, 1.0
	s_delay_alu instid0(VALU_DEP_2) | instskip(SKIP_2) | instid1(VALU_DEP_1)
	v_rcp_f32_e32 v4, v1
	s_waitcnt_depctr 0xfff
	v_fma_f32 v6, -v1, v4, 1.0
	v_fmac_f32_e32 v4, v6, v4
	s_delay_alu instid0(VALU_DEP_1) | instskip(NEXT) | instid1(VALU_DEP_1)
	v_mul_f32_e32 v6, v7, v4
	v_fma_f32 v8, -v1, v6, v7
	s_delay_alu instid0(VALU_DEP_1) | instskip(NEXT) | instid1(VALU_DEP_1)
	v_fmac_f32_e32 v6, v8, v4
	v_fma_f32 v1, -v1, v6, v7
	s_delay_alu instid0(VALU_DEP_1) | instskip(SKIP_1) | instid1(VALU_DEP_2)
	v_div_fmas_f32 v1, v1, v4, v6
	v_add_f32_e32 v4, 0, v3
	v_div_fixup_f32 v1, v1, v2, 1.0
	v_fma_f32 v2, v3, 0, -1.0
	s_delay_alu instid0(VALU_DEP_2) | instskip(NEXT) | instid1(VALU_DEP_2)
	v_mul_f32_e32 v3, v4, v1
	v_mul_f32_e32 v4, v2, v1
                                        ; implicit-def: $vgpr1_vgpr2
.LBB174_30:
	s_and_not1_saveexec_b32 s5, s5
	s_cbranch_execz .LBB174_32
; %bb.31:
	v_div_scale_f32 v3, null, v1, v1, v2
	v_div_scale_f32 v7, vcc_lo, v2, v1, v2
	s_delay_alu instid0(VALU_DEP_2) | instskip(SKIP_2) | instid1(VALU_DEP_1)
	v_rcp_f32_e32 v4, v3
	s_waitcnt_depctr 0xfff
	v_fma_f32 v6, -v3, v4, 1.0
	v_fmac_f32_e32 v4, v6, v4
	s_delay_alu instid0(VALU_DEP_1) | instskip(NEXT) | instid1(VALU_DEP_1)
	v_mul_f32_e32 v6, v7, v4
	v_fma_f32 v8, -v3, v6, v7
	s_delay_alu instid0(VALU_DEP_1) | instskip(NEXT) | instid1(VALU_DEP_1)
	v_fmac_f32_e32 v6, v8, v4
	v_fma_f32 v3, -v3, v6, v7
	s_delay_alu instid0(VALU_DEP_1) | instskip(NEXT) | instid1(VALU_DEP_1)
	v_div_fmas_f32 v3, v3, v4, v6
	v_div_fixup_f32 v4, v3, v1, v2
	s_delay_alu instid0(VALU_DEP_1) | instskip(NEXT) | instid1(VALU_DEP_1)
	v_fmac_f32_e32 v1, v2, v4
	v_div_scale_f32 v2, null, v1, v1, 1.0
	v_div_scale_f32 v7, vcc_lo, 1.0, v1, 1.0
	s_delay_alu instid0(VALU_DEP_2) | instskip(SKIP_2) | instid1(VALU_DEP_1)
	v_rcp_f32_e32 v3, v2
	s_waitcnt_depctr 0xfff
	v_fma_f32 v6, -v2, v3, 1.0
	v_fmac_f32_e32 v3, v6, v3
	s_delay_alu instid0(VALU_DEP_1) | instskip(NEXT) | instid1(VALU_DEP_1)
	v_mul_f32_e32 v6, v7, v3
	v_fma_f32 v8, -v2, v6, v7
	s_delay_alu instid0(VALU_DEP_1) | instskip(NEXT) | instid1(VALU_DEP_1)
	v_fmac_f32_e32 v6, v8, v3
	v_fma_f32 v2, -v2, v6, v7
	s_delay_alu instid0(VALU_DEP_1) | instskip(SKIP_1) | instid1(VALU_DEP_2)
	v_div_fmas_f32 v2, v2, v3, v6
	v_fma_f32 v3, v4, 0, 1.0
	v_div_fixup_f32 v1, v2, v1, 1.0
	s_delay_alu instid0(VALU_DEP_1)
	v_mul_f32_e32 v3, v3, v1
	v_mul_f32_e64 v4, -v4, v1
.LBB174_32:
	s_or_b32 exec_lo, exec_lo, s5
	s_mov_b32 s5, 0
	ds_store_b64 v5, v[3:4]
.LBB174_33:
	s_and_b32 vcc_lo, exec_lo, s5
	s_cbranch_vccz .LBB174_35
; %bb.34:
	v_dual_mov_b32 v1, 1.0 :: v_dual_mov_b32 v2, 0
	ds_store_b64 v5, v[1:2]
.LBB174_35:
	s_or_b32 exec_lo, exec_lo, s6
	s_lshl_b32 s6, s14, 6
	s_add_i32 s15, s15, -1
	s_sub_i32 s5, s7, s6
	s_cmp_ge_u32 s14, s15
	s_waitcnt lgkmcnt(0)
	s_cselect_b32 s5, s5, 64
	s_barrier
	v_cmp_gt_i32_e32 vcc_lo, s5, v0
	s_mov_b32 s5, -1
	buffer_gl0_inv
	s_and_saveexec_b32 s7, vcc_lo
	s_cbranch_execz .LBB174_78
; %bb.36:
	s_load_b32 s0, s[0:1], 0x50
	v_add_nc_u32_e32 v2, s6, v0
	v_or_b32_e64 v8, 0, 4
	s_waitcnt lgkmcnt(0)
	s_delay_alu instid0(VALU_DEP_2) | instskip(SKIP_1) | instid1(SALU_CYCLE_1)
	v_mad_i64_i32 v[0:1], null, s0, v2, 0
	s_lshl_b64 s[0:1], s[10:11], 3
	s_add_u32 s6, s8, s0
	s_addc_u32 s7, s9, s1
	s_cmpk_eq_i32 s4, 0x6f
	s_delay_alu instid0(VALU_DEP_1) | instskip(NEXT) | instid1(VALU_DEP_1)
	v_lshlrev_b64 v[0:1], 3, v[0:1]
	v_add_co_u32 v6, vcc_lo, s6, v0
	s_delay_alu instid0(VALU_DEP_2)
	v_add_co_ci_u32_e32 v7, vcc_lo, s7, v1, vcc_lo
	s_cbranch_scc1 .LBB174_58
; %bb.37:
	s_add_u32 s4, s8, s0
	s_addc_u32 s5, s9, s1
	v_add_co_u32 v2, vcc_lo, s4, v0
	v_add_co_ci_u32_e32 v3, vcc_lo, s5, v1, vcc_lo
	s_mov_b32 s5, 0
	s_delay_alu instid0(VALU_DEP_2) | instskip(NEXT) | instid1(VALU_DEP_2)
	v_add_co_u32 v9, vcc_lo, v2, 4
	v_add_co_ci_u32_e32 v10, vcc_lo, 0, v3, vcc_lo
	s_mov_b32 s6, s5
	s_mov_b32 s10, s5
	s_branch .LBB174_39
.LBB174_38:                             ;   in Loop: Header=BB174_39 Depth=1
	s_cmp_ge_i32 s10, s29
	s_cselect_b32 s4, -1, 0
	s_add_i32 s6, s6, 1
	s_delay_alu instid0(SALU_CYCLE_1) | instskip(SKIP_1) | instid1(SALU_CYCLE_1)
	s_cmp_eq_u32 s6, 3
	s_cselect_b32 s7, -1, 0
	s_or_b32 s4, s4, s7
	s_delay_alu instid0(SALU_CYCLE_1)
	s_and_not1_b32 vcc_lo, exec_lo, s4
	s_cbranch_vccz .LBB174_57
.LBB174_39:                             ; =>This Loop Header: Depth=1
                                        ;     Child Loop BB174_42 Depth 2
                                        ;       Child Loop BB174_43 Depth 3
                                        ;       Child Loop BB174_46 Depth 3
                                        ;         Child Loop BB174_47 Depth 4
                                        ;       Child Loop BB174_51 Depth 3
                                        ;         Child Loop BB174_53 Depth 4
	s_mov_b32 s7, s5
	s_getpc_b64 s[12:13]
	s_add_u32 s12, s12, __const._ZL30rocblas_trsm_small_left_deviceILi64ELi32ELb0E19rocblas_complex_numIfES1_PKPKS1_PKPS1_Ev13rocblas_fill_18rocblas_operation_17rocblas_diagonal_iiT3_T4_lilT5_lili.step_sizes@rel32@lo+4
	s_addc_u32 s13, s13, __const._ZL30rocblas_trsm_small_left_deviceILi64ELi32ELb0E19rocblas_complex_numIfES1_PKPKS1_PKPS1_Ev13rocblas_fill_18rocblas_operation_17rocblas_diagonal_iiT3_T4_lilT5_lili.step_sizes@rel32@hi+12
	s_lshl_b64 s[14:15], s[6:7], 2
	s_delay_alu instid0(SALU_CYCLE_1) | instskip(SKIP_4) | instid1(SALU_CYCLE_1)
	s_add_u32 s12, s14, s12
	s_addc_u32 s13, s15, s13
	s_load_b32 s12, s[12:13], 0x0
	s_waitcnt lgkmcnt(0)
	s_add_i32 s7, s12, -1
	s_add_i32 s4, s7, s10
	s_delay_alu instid0(SALU_CYCLE_1)
	s_cmp_ge_i32 s4, s29
	s_cbranch_scc1 .LBB174_38
; %bb.40:                               ;   in Loop: Header=BB174_39 Depth=1
	s_ashr_i32 s11, s10, 31
	s_ashr_i32 s13, s12, 31
	s_lshl_b64 s[14:15], s[10:11], 3
	s_max_i32 s18, s12, 1
	v_add_co_u32 v2, vcc_lo, v9, s14
	v_add_co_ci_u32_e32 v3, vcc_lo, s15, v10, vcc_lo
	s_lshl_b64 s[14:15], s[12:13], 3
	s_lshl_b32 s11, s10, 9
	s_lshl_b32 s13, s12, 9
	s_mul_i32 s19, s10, 0x208
	s_mul_i32 s20, s12, 0x208
	s_branch .LBB174_42
.LBB174_41:                             ;   in Loop: Header=BB174_42 Depth=2
	v_add_co_u32 v2, vcc_lo, v2, s14
	s_add_i32 s10, s10, s12
	v_add_co_ci_u32_e32 v3, vcc_lo, s15, v3, vcc_lo
	s_add_i32 s4, s7, s10
	s_add_i32 s11, s11, s13
	;; [unrolled: 1-line block ×3, first 2 shown]
	s_cmp_ge_i32 s4, s29
	s_cbranch_scc1 .LBB174_38
.LBB174_42:                             ;   Parent Loop BB174_39 Depth=1
                                        ; =>  This Loop Header: Depth=2
                                        ;       Child Loop BB174_43 Depth 3
                                        ;       Child Loop BB174_46 Depth 3
                                        ;         Child Loop BB174_47 Depth 4
                                        ;       Child Loop BB174_51 Depth 3
                                        ;         Child Loop BB174_53 Depth 4
	v_dual_mov_b32 v5, v3 :: v_dual_mov_b32 v4, v2
	s_mov_b32 s4, 4
	s_mov_b32 s16, s18
	.p2align	6
.LBB174_43:                             ;   Parent Loop BB174_39 Depth=1
                                        ;     Parent Loop BB174_42 Depth=2
                                        ; =>    This Inner Loop Header: Depth=3
	global_load_b64 v[11:12], v[4:5], off offset:-4
	v_add_co_u32 v4, vcc_lo, v4, 8
	v_add_co_ci_u32_e32 v5, vcc_lo, 0, v5, vcc_lo
	s_add_i32 s16, s16, -1
	s_add_i32 s17, s4, 0
	s_add_i32 s4, s4, 8
	s_cmp_eq_u32 s16, 0
	s_waitcnt vmcnt(0)
	v_mul_f32_e32 v13, s2, v12
	s_delay_alu instid0(VALU_DEP_1) | instskip(NEXT) | instid1(VALU_DEP_1)
	v_dual_mul_f32 v14, s3, v12 :: v_dual_fmac_f32 v13, s3, v11
	v_fma_f32 v12, v11, s2, -v14
	scratch_store_b64 off, v[12:13], s17 offset:-4
	s_cbranch_scc0 .LBB174_43
; %bb.44:                               ;   in Loop: Header=BB174_42 Depth=2
	s_cmp_lt_i32 s10, 1
	s_cbranch_scc1 .LBB174_49
; %bb.45:                               ;   in Loop: Header=BB174_42 Depth=2
	s_mov_b32 s4, 0
	s_mov_b32 s16, s11
	.p2align	6
.LBB174_46:                             ;   Parent Loop BB174_39 Depth=1
                                        ;     Parent Loop BB174_42 Depth=2
                                        ; =>    This Loop Header: Depth=3
                                        ;         Child Loop BB174_47 Depth 4
	s_lshl_b64 s[22:23], s[4:5], 3
	v_mov_b32_e32 v11, v8
	v_add_co_u32 v4, vcc_lo, v6, s22
	v_add_co_ci_u32_e32 v5, vcc_lo, s23, v7, vcc_lo
	s_mov_b32 s17, s16
	s_mov_b32 s21, s18
	global_load_b64 v[4:5], v[4:5], off
	.p2align	6
.LBB174_47:                             ;   Parent Loop BB174_39 Depth=1
                                        ;     Parent Loop BB174_42 Depth=2
                                        ;       Parent Loop BB174_46 Depth=3
                                        ; =>      This Inner Loop Header: Depth=4
	scratch_load_b64 v[12:13], v11, off offset:-4
	v_mov_b32_e32 v14, s17
	s_add_i32 s21, s21, -1
	s_addk_i32 s17, 0x200
	s_cmp_eq_u32 s21, 0
	ds_load_b64 v[14:15], v14
	s_waitcnt vmcnt(1) lgkmcnt(0)
	v_mul_f32_e32 v16, v15, v5
	v_mul_f32_e32 v15, v15, v4
	s_delay_alu instid0(VALU_DEP_1) | instskip(SKIP_1) | instid1(VALU_DEP_1)
	v_fmac_f32_e32 v15, v14, v5
	s_waitcnt vmcnt(0)
	v_sub_f32_e32 v13, v13, v15
	v_fma_f32 v16, v14, v4, -v16
	s_delay_alu instid0(VALU_DEP_1)
	v_sub_f32_e32 v12, v12, v16
	scratch_store_b64 v11, v[12:13], off offset:-4
	v_add_nc_u32_e32 v11, 8, v11
	s_cbranch_scc0 .LBB174_47
; %bb.48:                               ;   in Loop: Header=BB174_46 Depth=3
	s_add_i32 s4, s4, 1
	s_add_i32 s16, s16, 8
	s_cmp_ge_i32 s4, s10
	s_cbranch_scc0 .LBB174_46
.LBB174_49:                             ;   in Loop: Header=BB174_42 Depth=2
	s_mov_b32 s4, 0
	s_mov_b32 s21, s19
	s_branch .LBB174_51
.LBB174_50:                             ;   in Loop: Header=BB174_51 Depth=3
	s_mul_i32 s17, s16, 0x208
	s_lshl_b32 s22, s4, 3
	v_mov_b32_e32 v11, s17
	s_ashr_i32 s17, s16, 31
	s_add_i32 s4, s4, 1
	s_lshl_b64 s[16:17], s[16:17], 3
	s_addk_i32 s21, 0x200
	ds_load_b64 v[11:12], v11
	s_waitcnt vmcnt(0) lgkmcnt(0)
	v_mul_f32_e32 v13, v12, v5
	v_mul_f32_e32 v14, v11, v5
	s_delay_alu instid0(VALU_DEP_2) | instskip(NEXT) | instid1(VALU_DEP_2)
	v_fma_f32 v13, v11, v4, -v13
	v_fmac_f32_e32 v14, v12, v4
	v_add_co_u32 v4, vcc_lo, v6, s16
	v_add_co_ci_u32_e32 v5, vcc_lo, s17, v7, vcc_lo
	s_add_i32 s16, s22, 0
	s_cmp_eq_u32 s4, s18
	scratch_store_b64 off, v[13:14], s16
	global_store_b64 v[4:5], v[13:14], off
	s_cbranch_scc1 .LBB174_41
.LBB174_51:                             ;   Parent Loop BB174_39 Depth=1
                                        ;     Parent Loop BB174_42 Depth=2
                                        ; =>    This Loop Header: Depth=3
                                        ;         Child Loop BB174_53 Depth 4
	s_cmp_lg_u32 s4, 0
	s_cbranch_scc0 .LBB174_55
; %bb.52:                               ;   in Loop: Header=BB174_51 Depth=3
	s_lshl_b32 s16, s4, 3
	v_mov_b32_e32 v12, 0
	s_add_i32 s17, s16, 0
	v_add_nc_u32_e64 v11, s16, 0
	scratch_load_b64 v[4:5], off, s17
	s_add_i32 s16, s4, s10
	s_mov_b32 s17, 0
	s_mov_b32 s22, s21
	.p2align	6
.LBB174_53:                             ;   Parent Loop BB174_39 Depth=1
                                        ;     Parent Loop BB174_42 Depth=2
                                        ;       Parent Loop BB174_51 Depth=3
                                        ; =>      This Inner Loop Header: Depth=4
	scratch_load_b64 v[13:14], v12, off
	v_mov_b32_e32 v15, s22
	s_add_i32 s17, s17, 1
	s_add_i32 s22, s22, 8
	s_cmp_ge_u32 s17, s4
	v_add_nc_u32_e32 v12, 8, v12
	ds_load_b64 v[15:16], v15
	s_waitcnt vmcnt(0) lgkmcnt(0)
	v_mul_f32_e32 v17, v16, v14
	v_mul_f32_e32 v14, v15, v14
	s_delay_alu instid0(VALU_DEP_2) | instskip(NEXT) | instid1(VALU_DEP_2)
	v_fma_f32 v15, v15, v13, -v17
	v_fmac_f32_e32 v14, v16, v13
	s_delay_alu instid0(VALU_DEP_1)
	v_dual_sub_f32 v4, v4, v15 :: v_dual_sub_f32 v5, v5, v14
	scratch_store_b64 v11, v[4:5], off
	s_cbranch_scc0 .LBB174_53
; %bb.54:                               ;   in Loop: Header=BB174_51 Depth=3
	s_branch .LBB174_50
.LBB174_55:                             ;   in Loop: Header=BB174_51 Depth=3
                                        ; implicit-def: $vgpr4
                                        ; implicit-def: $sgpr16
	s_cbranch_execz .LBB174_50
; %bb.56:                               ;   in Loop: Header=BB174_51 Depth=3
	scratch_load_b64 v[4:5], off, off
	s_mov_b32 s16, s10
	s_branch .LBB174_50
.LBB174_57:
	s_mov_b32 s5, 0
.LBB174_58:
	s_delay_alu instid0(SALU_CYCLE_1)
	s_and_b32 vcc_lo, exec_lo, s5
	s_cbranch_vccz .LBB174_78
; %bb.59:
	s_add_u32 s0, s8, s0
	s_addc_u32 s1, s9, s1
	v_add_co_u32 v0, vcc_lo, s0, v0
	v_add_co_ci_u32_e32 v1, vcc_lo, s1, v1, vcc_lo
	s_lshl_b32 s10, s29, 9
	s_delay_alu instid0(VALU_DEP_2) | instskip(NEXT) | instid1(VALU_DEP_2)
	v_add_co_u32 v2, vcc_lo, v0, 4
	v_add_co_ci_u32_e32 v3, vcc_lo, 0, v1, vcc_lo
	s_mov_b32 s1, 0
	s_addk_i32 s10, 0xfe00
	s_mov_b32 s4, s28
	s_mov_b32 s0, s1
	s_branch .LBB174_61
.LBB174_60:                             ;   in Loop: Header=BB174_61 Depth=1
	s_cmp_lt_i32 s4, 0
	s_cselect_b32 s5, -1, 0
	s_add_i32 s0, s0, 1
	s_delay_alu instid0(SALU_CYCLE_1) | instskip(SKIP_1) | instid1(SALU_CYCLE_1)
	s_cmp_eq_u32 s0, 3
	s_cselect_b32 s6, -1, 0
	s_or_b32 s5, s5, s6
	s_delay_alu instid0(SALU_CYCLE_1)
	s_and_b32 vcc_lo, exec_lo, s5
	s_cbranch_vccnz .LBB174_78
.LBB174_61:                             ; =>This Loop Header: Depth=1
                                        ;     Child Loop BB174_64 Depth 2
                                        ;       Child Loop BB174_65 Depth 3
                                        ;       Child Loop BB174_67 Depth 3
                                        ;         Child Loop BB174_68 Depth 4
                                        ;       Child Loop BB174_72 Depth 3
                                        ;         Child Loop BB174_74 Depth 4
	s_getpc_b64 s[6:7]
	s_add_u32 s6, s6, __const._ZL30rocblas_trsm_small_left_deviceILi64ELi32ELb0E19rocblas_complex_numIfES1_PKPKS1_PKPS1_Ev13rocblas_fill_18rocblas_operation_17rocblas_diagonal_iiT3_T4_lilT5_lili.step_sizes@rel32@lo+4
	s_addc_u32 s7, s7, __const._ZL30rocblas_trsm_small_left_deviceILi64ELi32ELb0E19rocblas_complex_numIfES1_PKPKS1_PKPS1_Ev13rocblas_fill_18rocblas_operation_17rocblas_diagonal_iiT3_T4_lilT5_lili.step_sizes@rel32@hi+12
	s_lshl_b64 s[8:9], s[0:1], 2
	s_delay_alu instid0(SALU_CYCLE_1) | instskip(SKIP_4) | instid1(SALU_CYCLE_1)
	s_add_u32 s6, s8, s6
	s_addc_u32 s7, s9, s7
	s_load_b32 s11, s[6:7], 0x0
	s_waitcnt lgkmcnt(0)
	s_add_i32 s12, s11, -1
	s_cmp_lt_i32 s4, s12
	s_cbranch_scc1 .LBB174_60
; %bb.62:                               ;   in Loop: Header=BB174_61 Depth=1
	s_lshl_b32 s5, s4, 3
	s_lshl_b32 s6, s11, 3
	s_max_i32 s13, s11, 1
	s_add_i32 s14, s10, s5
	s_sub_i32 s15, 0, s6
	s_mul_i32 s16, s4, 0x208
	s_mul_i32 s17, s11, 0xfffffdf8
	s_branch .LBB174_64
.LBB174_63:                             ;   in Loop: Header=BB174_64 Depth=2
	s_sub_i32 s4, s4, s11
	s_add_i32 s14, s14, s15
	s_add_i32 s16, s16, s17
	s_cmp_lt_i32 s4, s12
	s_cbranch_scc1 .LBB174_60
.LBB174_64:                             ;   Parent Loop BB174_61 Depth=1
                                        ; =>  This Loop Header: Depth=2
                                        ;       Child Loop BB174_65 Depth 3
                                        ;       Child Loop BB174_67 Depth 3
                                        ;         Child Loop BB174_68 Depth 4
                                        ;       Child Loop BB174_72 Depth 3
                                        ;         Child Loop BB174_74 Depth 4
	s_ashr_i32 s5, s4, 31
	s_delay_alu instid0(SALU_CYCLE_1) | instskip(NEXT) | instid1(SALU_CYCLE_1)
	s_lshl_b64 s[6:7], s[4:5], 3
	v_add_co_u32 v0, vcc_lo, v2, s6
	v_add_co_ci_u32_e32 v1, vcc_lo, s7, v3, vcc_lo
	s_mov_b32 s6, 4
	s_mov_b32 s7, s13
	.p2align	6
.LBB174_65:                             ;   Parent Loop BB174_61 Depth=1
                                        ;     Parent Loop BB174_64 Depth=2
                                        ; =>    This Inner Loop Header: Depth=3
	global_load_b64 v[4:5], v[0:1], off offset:-4
	v_add_co_u32 v0, vcc_lo, v0, -8
	v_add_co_ci_u32_e32 v1, vcc_lo, -1, v1, vcc_lo
	s_add_i32 s7, s7, -1
	s_add_i32 s8, s6, 0
	s_add_i32 s6, s6, 8
	s_cmp_eq_u32 s7, 0
	s_waitcnt vmcnt(0)
	v_mul_f32_e32 v10, s2, v5
	s_delay_alu instid0(VALU_DEP_1) | instskip(NEXT) | instid1(VALU_DEP_1)
	v_dual_mul_f32 v9, s3, v5 :: v_dual_fmac_f32 v10, s3, v4
	v_fma_f32 v9, v4, s2, -v9
	scratch_store_b64 off, v[9:10], s8 offset:-4
	s_cbranch_scc0 .LBB174_65
; %bb.66:                               ;   in Loop: Header=BB174_64 Depth=2
	s_cmp_le_i32 s28, s4
	s_mov_b32 s8, s14
	s_mov_b32 s6, s28
	s_cbranch_scc1 .LBB174_70
	.p2align	6
.LBB174_67:                             ;   Parent Loop BB174_61 Depth=1
                                        ;     Parent Loop BB174_64 Depth=2
                                        ; =>    This Loop Header: Depth=3
                                        ;         Child Loop BB174_68 Depth 4
	s_ashr_i32 s7, s6, 31
	v_mov_b32_e32 v4, v8
	s_lshl_b64 s[18:19], s[6:7], 3
	s_mov_b32 s7, s13
	v_add_co_u32 v0, vcc_lo, v6, s18
	v_add_co_ci_u32_e32 v1, vcc_lo, s19, v7, vcc_lo
	s_mov_b32 s9, s8
	global_load_b64 v[0:1], v[0:1], off
	.p2align	6
.LBB174_68:                             ;   Parent Loop BB174_61 Depth=1
                                        ;     Parent Loop BB174_64 Depth=2
                                        ;       Parent Loop BB174_67 Depth=3
                                        ; =>      This Inner Loop Header: Depth=4
	scratch_load_b64 v[9:10], v4, off offset:-4
	v_mov_b32_e32 v5, s9
	s_add_i32 s7, s7, -1
	s_add_i32 s9, s9, -8
	s_cmp_eq_u32 s7, 0
	ds_load_b64 v[11:12], v5
	s_waitcnt vmcnt(1) lgkmcnt(0)
	v_mul_f32_e32 v5, v12, v1
	v_mul_f32_e32 v12, v12, v0
	s_delay_alu instid0(VALU_DEP_1) | instskip(SKIP_1) | instid1(VALU_DEP_1)
	v_fmac_f32_e32 v12, v11, v1
	s_waitcnt vmcnt(0)
	v_sub_f32_e32 v10, v10, v12
	v_fma_f32 v5, v11, v0, -v5
	s_delay_alu instid0(VALU_DEP_1)
	v_sub_f32_e32 v9, v9, v5
	scratch_store_b64 v4, v[9:10], off offset:-4
	v_add_nc_u32_e32 v4, 8, v4
	s_cbranch_scc0 .LBB174_68
; %bb.69:                               ;   in Loop: Header=BB174_67 Depth=3
	s_add_i32 s6, s6, -1
	s_addk_i32 s8, 0xfe00
	s_cmp_le_i32 s6, s4
	s_cbranch_scc0 .LBB174_67
.LBB174_70:                             ;   in Loop: Header=BB174_64 Depth=2
	s_mov_b32 s18, 0
	s_mov_b32 s19, s16
	s_branch .LBB174_72
.LBB174_71:                             ;   in Loop: Header=BB174_72 Depth=3
	s_mulk_i32 s8, 0x208
	s_lshl_b64 s[6:7], s[6:7], 3
	v_mov_b32_e32 v4, s8
	s_lshl_b32 s8, s18, 3
	s_add_i32 s18, s18, 1
	s_add_i32 s19, s19, -8
	ds_load_b64 v[4:5], v4
	s_waitcnt vmcnt(0) lgkmcnt(0)
	v_mul_f32_e32 v9, v5, v1
	v_mul_f32_e32 v10, v4, v1
	s_delay_alu instid0(VALU_DEP_2) | instskip(NEXT) | instid1(VALU_DEP_2)
	v_fma_f32 v9, v4, v0, -v9
	v_fmac_f32_e32 v10, v5, v0
	v_add_co_u32 v0, vcc_lo, v6, s6
	v_add_co_ci_u32_e32 v1, vcc_lo, s7, v7, vcc_lo
	s_add_i32 s6, s8, 0
	s_cmp_eq_u32 s18, s13
	scratch_store_b64 off, v[9:10], s6
	global_store_b64 v[0:1], v[9:10], off
	s_cbranch_scc1 .LBB174_63
.LBB174_72:                             ;   Parent Loop BB174_61 Depth=1
                                        ;     Parent Loop BB174_64 Depth=2
                                        ; =>    This Loop Header: Depth=3
                                        ;         Child Loop BB174_74 Depth 4
	s_cmp_lg_u32 s18, 0
	s_cbranch_scc0 .LBB174_76
; %bb.73:                               ;   in Loop: Header=BB174_72 Depth=3
	s_lshl_b32 s6, s18, 3
	v_mov_b32_e32 v5, 0
	s_add_i32 s7, s6, 0
	v_add_nc_u32_e64 v4, s6, 0
	scratch_load_b64 v[0:1], off, s7
	s_mov_b32 s6, 0
	s_mov_b32 s7, s19
	.p2align	6
.LBB174_74:                             ;   Parent Loop BB174_61 Depth=1
                                        ;     Parent Loop BB174_64 Depth=2
                                        ;       Parent Loop BB174_72 Depth=3
                                        ; =>      This Inner Loop Header: Depth=4
	scratch_load_b64 v[9:10], v5, off
	v_mov_b32_e32 v11, s7
	s_add_i32 s6, s6, 1
	s_addk_i32 s7, 0xfe00
	s_cmp_ge_u32 s6, s18
	v_add_nc_u32_e32 v5, 8, v5
	ds_load_b64 v[11:12], v11
	s_waitcnt vmcnt(0) lgkmcnt(0)
	v_mul_f32_e32 v13, v12, v10
	v_mul_f32_e32 v10, v11, v10
	s_delay_alu instid0(VALU_DEP_2) | instskip(NEXT) | instid1(VALU_DEP_2)
	v_fma_f32 v11, v11, v9, -v13
	v_fmac_f32_e32 v10, v12, v9
	s_delay_alu instid0(VALU_DEP_1)
	v_dual_sub_f32 v0, v0, v11 :: v_dual_sub_f32 v1, v1, v10
	scratch_store_b64 v4, v[0:1], off
	s_cbranch_scc0 .LBB174_74
; %bb.75:                               ;   in Loop: Header=BB174_72 Depth=3
	s_sub_i32 s8, s4, s18
	s_delay_alu instid0(SALU_CYCLE_1) | instskip(NEXT) | instid1(SALU_CYCLE_1)
	s_ashr_i32 s9, s8, 31
	s_mov_b64 s[6:7], s[8:9]
	s_branch .LBB174_71
.LBB174_76:                             ;   in Loop: Header=BB174_72 Depth=3
                                        ; implicit-def: $vgpr0
                                        ; implicit-def: $sgpr8
                                        ; implicit-def: $sgpr6_sgpr7
	s_cbranch_execz .LBB174_71
; %bb.77:                               ;   in Loop: Header=BB174_72 Depth=3
	scratch_load_b64 v[0:1], off, off
	s_mov_b64 s[6:7], s[4:5]
	s_mov_b32 s8, s4
	s_branch .LBB174_71
.LBB174_78:
	s_endpgm
	.section	.rodata,"a",@progbits
	.p2align	6, 0x0
	.amdhsa_kernel _ZL30rocblas_trsm_small_left_deviceILi64ELi32ELb0E19rocblas_complex_numIfES1_PKPKS1_PKPS1_Ev13rocblas_fill_18rocblas_operation_17rocblas_diagonal_iiT3_T4_lilT5_lili
		.amdhsa_group_segment_fixed_size 32768
		.amdhsa_private_segment_fixed_size 272
		.amdhsa_kernarg_size 360
		.amdhsa_user_sgpr_count 14
		.amdhsa_user_sgpr_dispatch_ptr 0
		.amdhsa_user_sgpr_queue_ptr 0
		.amdhsa_user_sgpr_kernarg_segment_ptr 1
		.amdhsa_user_sgpr_dispatch_id 0
		.amdhsa_user_sgpr_private_segment_size 0
		.amdhsa_wavefront_size32 1
		.amdhsa_uses_dynamic_stack 0
		.amdhsa_enable_private_segment 1
		.amdhsa_system_sgpr_workgroup_id_x 1
		.amdhsa_system_sgpr_workgroup_id_y 0
		.amdhsa_system_sgpr_workgroup_id_z 1
		.amdhsa_system_sgpr_workgroup_info 0
		.amdhsa_system_vgpr_workitem_id 0
		.amdhsa_next_free_vgpr 18
		.amdhsa_next_free_sgpr 34
		.amdhsa_reserve_vcc 1
		.amdhsa_float_round_mode_32 0
		.amdhsa_float_round_mode_16_64 0
		.amdhsa_float_denorm_mode_32 3
		.amdhsa_float_denorm_mode_16_64 3
		.amdhsa_dx10_clamp 1
		.amdhsa_ieee_mode 1
		.amdhsa_fp16_overflow 0
		.amdhsa_workgroup_processor_mode 1
		.amdhsa_memory_ordered 1
		.amdhsa_forward_progress 0
		.amdhsa_shared_vgpr_count 0
		.amdhsa_exception_fp_ieee_invalid_op 0
		.amdhsa_exception_fp_denorm_src 0
		.amdhsa_exception_fp_ieee_div_zero 0
		.amdhsa_exception_fp_ieee_overflow 0
		.amdhsa_exception_fp_ieee_underflow 0
		.amdhsa_exception_fp_ieee_inexact 0
		.amdhsa_exception_int_div_zero 0
	.end_amdhsa_kernel
	.section	.text._ZL30rocblas_trsm_small_left_deviceILi64ELi32ELb0E19rocblas_complex_numIfES1_PKPKS1_PKPS1_Ev13rocblas_fill_18rocblas_operation_17rocblas_diagonal_iiT3_T4_lilT5_lili,"axG",@progbits,_ZL30rocblas_trsm_small_left_deviceILi64ELi32ELb0E19rocblas_complex_numIfES1_PKPKS1_PKPS1_Ev13rocblas_fill_18rocblas_operation_17rocblas_diagonal_iiT3_T4_lilT5_lili,comdat
.Lfunc_end174:
	.size	_ZL30rocblas_trsm_small_left_deviceILi64ELi32ELb0E19rocblas_complex_numIfES1_PKPKS1_PKPS1_Ev13rocblas_fill_18rocblas_operation_17rocblas_diagonal_iiT3_T4_lilT5_lili, .Lfunc_end174-_ZL30rocblas_trsm_small_left_deviceILi64ELi32ELb0E19rocblas_complex_numIfES1_PKPKS1_PKPS1_Ev13rocblas_fill_18rocblas_operation_17rocblas_diagonal_iiT3_T4_lilT5_lili
                                        ; -- End function
	.section	.AMDGPU.csdata,"",@progbits
; Kernel info:
; codeLenInByte = 3100
; NumSgprs: 36
; NumVgprs: 18
; ScratchSize: 272
; MemoryBound: 0
; FloatMode: 240
; IeeeMode: 1
; LDSByteSize: 32768 bytes/workgroup (compile time only)
; SGPRBlocks: 4
; VGPRBlocks: 2
; NumSGPRsForWavesPerEU: 36
; NumVGPRsForWavesPerEU: 18
; Occupancy: 2
; WaveLimiterHint : 1
; COMPUTE_PGM_RSRC2:SCRATCH_EN: 1
; COMPUTE_PGM_RSRC2:USER_SGPR: 14
; COMPUTE_PGM_RSRC2:TRAP_HANDLER: 0
; COMPUTE_PGM_RSRC2:TGID_X_EN: 1
; COMPUTE_PGM_RSRC2:TGID_Y_EN: 0
; COMPUTE_PGM_RSRC2:TGID_Z_EN: 1
; COMPUTE_PGM_RSRC2:TIDIG_COMP_CNT: 0
	.section	.text._ZL38rocblas_trsm_small_left_device_sharedBILi64ELi32ELb1E19rocblas_complex_numIfES1_PKPKS1_PKPS1_Ev13rocblas_fill_18rocblas_operation_17rocblas_diagonal_iiT3_T4_lilT5_lili,"axG",@progbits,_ZL38rocblas_trsm_small_left_device_sharedBILi64ELi32ELb1E19rocblas_complex_numIfES1_PKPKS1_PKPS1_Ev13rocblas_fill_18rocblas_operation_17rocblas_diagonal_iiT3_T4_lilT5_lili,comdat
	.globl	_ZL38rocblas_trsm_small_left_device_sharedBILi64ELi32ELb1E19rocblas_complex_numIfES1_PKPKS1_PKPS1_Ev13rocblas_fill_18rocblas_operation_17rocblas_diagonal_iiT3_T4_lilT5_lili ; -- Begin function _ZL38rocblas_trsm_small_left_device_sharedBILi64ELi32ELb1E19rocblas_complex_numIfES1_PKPKS1_PKPS1_Ev13rocblas_fill_18rocblas_operation_17rocblas_diagonal_iiT3_T4_lilT5_lili
	.p2align	8
	.type	_ZL38rocblas_trsm_small_left_device_sharedBILi64ELi32ELb1E19rocblas_complex_numIfES1_PKPKS1_PKPS1_Ev13rocblas_fill_18rocblas_operation_17rocblas_diagonal_iiT3_T4_lilT5_lili,@function
_ZL38rocblas_trsm_small_left_device_sharedBILi64ELi32ELb1E19rocblas_complex_numIfES1_PKPKS1_PKPS1_Ev13rocblas_fill_18rocblas_operation_17rocblas_diagonal_iiT3_T4_lilT5_lili: ; @_ZL38rocblas_trsm_small_left_device_sharedBILi64ELi32ELb1E19rocblas_complex_numIfES1_PKPKS1_PKPS1_Ev13rocblas_fill_18rocblas_operation_17rocblas_diagonal_iiT3_T4_lilT5_lili
; %bb.0:
	s_clause 0x1
	s_load_b128 s[8:11], s[0:1], 0x40
	s_load_b128 s[4:7], s[0:1], 0x4
	s_mov_b32 s20, s15
	s_mov_b32 s21, 0
	s_load_b32 s15, s[0:1], 0x68
	s_lshl_b64 s[22:23], s[20:21], 3
	s_mov_b32 s29, exec_lo
	s_waitcnt lgkmcnt(0)
	s_add_u32 s2, s8, s22
	s_addc_u32 s3, s9, s23
	s_load_b64 s[12:13], s[0:1], 0x14
	s_load_b64 s[2:3], s[2:3], 0x0
	s_min_i32 s20, s6, 64
	s_delay_alu instid0(SALU_CYCLE_1)
	s_add_i32 s28, s20, -1
	v_cmpx_gt_i32_e64 s20, v0
	s_cbranch_execz .LBB175_35
; %bb.1:
	s_clause 0x1
	s_load_b32 s8, s[0:1], 0x30
	s_load_b128 s[16:19], s[0:1], 0x20
	s_waitcnt lgkmcnt(0)
	s_ashr_i32 s9, s8, 31
	s_cmpk_lg_i32 s4, 0x71
	s_cselect_b32 s30, -1, 0
	s_add_u32 s16, s16, s22
	s_addc_u32 s17, s17, s23
	v_cndmask_b32_e64 v7, 0, 1, s30
	s_load_b64 s[16:17], s[16:17], 0x0
	s_cmp_lt_u32 s28, 3
	s_cbranch_scc1 .LBB175_20
; %bb.2:
	v_lshlrev_b32_e32 v8, 3, v0
	s_lshl_b64 s[22:23], s[18:19], 3
	s_mul_hi_i32 s31, s8, 24
	s_waitcnt lgkmcnt(0)
	s_add_u32 s21, s16, s22
	s_addc_u32 s22, s17, s23
	v_add_co_u32 v1, s21, s21, v8
	s_delay_alu instid0(VALU_DEP_1)
	v_add_co_ci_u32_e64 v2, null, s22, 0, s21
	s_and_b32 s21, s20, -4
	s_mul_i32 s33, s8, 24
	s_lshl_b64 s[22:23], s[8:9], 5
	s_lshl_b64 s[24:25], s[8:9], 4
	;; [unrolled: 1-line block ×3, first 2 shown]
	s_mov_b32 s34, 0
	s_branch .LBB175_4
.LBB175_3:                              ;   in Loop: Header=BB175_4 Depth=1
	global_load_b32 v3, v[5:6], off
	v_add_co_u32 v1, vcc_lo, v1, s22
	v_add_co_ci_u32_e32 v2, vcc_lo, s23, v2, vcc_lo
	s_add_i32 s34, s34, 4
	s_delay_alu instid0(SALU_CYCLE_1)
	s_cmp_eq_u32 s21, s34
	s_waitcnt vmcnt(0)
	ds_store_b64 v8, v[3:4] offset:1536
	v_add_nc_u32_e32 v8, 0x800, v8
	s_cbranch_scc1 .LBB175_20
.LBB175_4:                              ; =>This Inner Loop Header: Depth=1
	s_and_b32 vcc_lo, exec_lo, s30
	s_cbranch_vccz .LBB175_6
; %bb.5:                                ;   in Loop: Header=BB175_4 Depth=1
	global_load_b32 v4, v[1:2], off offset:4
	s_cbranch_execz .LBB175_7
	s_branch .LBB175_8
.LBB175_6:                              ;   in Loop: Header=BB175_4 Depth=1
                                        ; implicit-def: $vgpr4
.LBB175_7:                              ;   in Loop: Header=BB175_4 Depth=1
	global_load_b32 v3, v[1:2], off offset:4
	s_waitcnt vmcnt(0)
	v_xor_b32_e32 v4, 0x80000000, v3
.LBB175_8:                              ;   in Loop: Header=BB175_4 Depth=1
	global_load_b32 v3, v[1:2], off
	v_add_co_u32 v5, vcc_lo, v1, s26
	v_add_co_ci_u32_e32 v6, vcc_lo, s27, v2, vcc_lo
	s_and_not1_b32 vcc_lo, exec_lo, s30
	s_waitcnt vmcnt(0)
	ds_store_b64 v8, v[3:4]
	s_cbranch_vccnz .LBB175_10
; %bb.9:                                ;   in Loop: Header=BB175_4 Depth=1
	global_load_b32 v4, v[5:6], off offset:4
	s_cbranch_execz .LBB175_11
	s_branch .LBB175_12
.LBB175_10:                             ;   in Loop: Header=BB175_4 Depth=1
                                        ; implicit-def: $vgpr4
.LBB175_11:                             ;   in Loop: Header=BB175_4 Depth=1
	global_load_b32 v3, v[5:6], off offset:4
	s_waitcnt vmcnt(0)
	v_xor_b32_e32 v4, 0x80000000, v3
.LBB175_12:                             ;   in Loop: Header=BB175_4 Depth=1
	global_load_b32 v3, v[5:6], off
	v_add_co_u32 v5, vcc_lo, v1, s24
	v_add_co_ci_u32_e32 v6, vcc_lo, s25, v2, vcc_lo
	s_and_not1_b32 vcc_lo, exec_lo, s30
	s_waitcnt vmcnt(0)
	ds_store_b64 v8, v[3:4] offset:512
	s_cbranch_vccnz .LBB175_14
; %bb.13:                               ;   in Loop: Header=BB175_4 Depth=1
	global_load_b32 v4, v[5:6], off offset:4
	s_cbranch_execz .LBB175_15
	s_branch .LBB175_16
.LBB175_14:                             ;   in Loop: Header=BB175_4 Depth=1
                                        ; implicit-def: $vgpr4
.LBB175_15:                             ;   in Loop: Header=BB175_4 Depth=1
	global_load_b32 v3, v[5:6], off offset:4
	s_waitcnt vmcnt(0)
	v_xor_b32_e32 v4, 0x80000000, v3
.LBB175_16:                             ;   in Loop: Header=BB175_4 Depth=1
	global_load_b32 v3, v[5:6], off
	v_add_co_u32 v5, vcc_lo, v1, s33
	v_add_co_ci_u32_e32 v6, vcc_lo, s31, v2, vcc_lo
	s_and_not1_b32 vcc_lo, exec_lo, s30
	s_waitcnt vmcnt(0)
	ds_store_b64 v8, v[3:4] offset:1024
	s_cbranch_vccnz .LBB175_18
; %bb.17:                               ;   in Loop: Header=BB175_4 Depth=1
	global_load_b32 v4, v[5:6], off offset:4
	s_cbranch_execnz .LBB175_3
	s_branch .LBB175_19
.LBB175_18:                             ;   in Loop: Header=BB175_4 Depth=1
                                        ; implicit-def: $vgpr4
.LBB175_19:                             ;   in Loop: Header=BB175_4 Depth=1
	global_load_b32 v3, v[5:6], off offset:4
	s_waitcnt vmcnt(0)
	v_xor_b32_e32 v4, 0x80000000, v3
	s_branch .LBB175_3
.LBB175_20:
	s_and_b32 s22, s20, 3
	s_delay_alu instid0(SALU_CYCLE_1)
	s_cmp_eq_u32 s22, 0
	s_cbranch_scc1 .LBB175_27
; %bb.21:
	s_mul_i32 s23, s9, s21
	s_mul_hi_u32 s25, s8, s21
	s_mul_i32 s24, s8, s21
	s_add_i32 s25, s25, s23
	s_lshl_b64 s[18:19], s[18:19], 3
	s_lshl_b64 s[24:25], s[24:25], 3
	v_lshlrev_b32_e32 v1, 3, v0
	s_add_u32 s18, s24, s18
	s_addc_u32 s19, s25, s19
	s_waitcnt lgkmcnt(0)
	s_add_u32 s16, s16, s18
	s_addc_u32 s17, s17, s19
	v_add_co_u32 v2, s16, s16, v1
	s_delay_alu instid0(VALU_DEP_1) | instskip(SKIP_1) | instid1(VALU_DEP_3)
	v_add_co_ci_u32_e64 v3, null, s17, 0, s16
	v_lshl_or_b32 v5, s21, 9, v1
	v_add_co_u32 v1, vcc_lo, v2, 4
	s_delay_alu instid0(VALU_DEP_3)
	v_add_co_ci_u32_e32 v2, vcc_lo, 0, v3, vcc_lo
	s_lshl_b64 s[8:9], s[8:9], 3
	s_set_inst_prefetch_distance 0x1
	s_branch .LBB175_23
	.p2align	6
.LBB175_22:                             ;   in Loop: Header=BB175_23 Depth=1
	global_load_b32 v3, v[1:2], off offset:-4
	v_add_co_u32 v1, vcc_lo, v1, s8
	v_add_co_ci_u32_e32 v2, vcc_lo, s9, v2, vcc_lo
	s_add_i32 s22, s22, -1
	s_delay_alu instid0(SALU_CYCLE_1)
	s_cmp_lg_u32 s22, 0
	s_waitcnt vmcnt(0)
	ds_store_b64 v5, v[3:4]
	v_add_nc_u32_e32 v5, 0x200, v5
	s_cbranch_scc0 .LBB175_27
.LBB175_23:                             ; =>This Inner Loop Header: Depth=1
	v_cmp_ne_u32_e32 vcc_lo, 1, v7
	s_mov_b32 s16, -1
                                        ; implicit-def: $vgpr4
	s_cbranch_vccnz .LBB175_25
; %bb.24:                               ;   in Loop: Header=BB175_23 Depth=1
	global_load_b32 v4, v[1:2], off
	s_mov_b32 s16, 0
.LBB175_25:                             ;   in Loop: Header=BB175_23 Depth=1
	s_delay_alu instid0(SALU_CYCLE_1)
	s_and_not1_b32 vcc_lo, exec_lo, s16
	s_cbranch_vccnz .LBB175_22
; %bb.26:                               ;   in Loop: Header=BB175_23 Depth=1
	global_load_b32 v3, v[1:2], off
	s_waitcnt vmcnt(0)
	v_xor_b32_e32 v4, 0x80000000, v3
	s_branch .LBB175_22
.LBB175_27:
	s_set_inst_prefetch_distance 0x2
	v_mul_u32_u24_e32 v1, 0x41, v0
	s_cmpk_lg_i32 s5, 0x84
	s_mov_b32 s5, -1
	s_delay_alu instid0(VALU_DEP_1)
	v_lshlrev_b32_e32 v5, 3, v1
	s_cbranch_scc0 .LBB175_33
; %bb.28:
	ds_load_b64 v[1:2], v5
	s_waitcnt lgkmcnt(0)
	v_cmp_gt_f32_e32 vcc_lo, 0, v1
	v_cndmask_b32_e64 v3, v1, -v1, vcc_lo
	v_cmp_gt_f32_e32 vcc_lo, 0, v2
	v_cndmask_b32_e64 v4, v2, -v2, vcc_lo
	s_delay_alu instid0(VALU_DEP_1) | instskip(SKIP_1) | instid1(SALU_CYCLE_1)
	v_cmp_ngt_f32_e32 vcc_lo, v3, v4
                                        ; implicit-def: $vgpr3
	s_and_saveexec_b32 s5, vcc_lo
	s_xor_b32 s5, exec_lo, s5
	s_cbranch_execz .LBB175_30
; %bb.29:
	v_div_scale_f32 v3, null, v2, v2, v1
	v_div_scale_f32 v7, vcc_lo, v1, v2, v1
	s_delay_alu instid0(VALU_DEP_2) | instskip(SKIP_2) | instid1(VALU_DEP_1)
	v_rcp_f32_e32 v4, v3
	s_waitcnt_depctr 0xfff
	v_fma_f32 v6, -v3, v4, 1.0
	v_fmac_f32_e32 v4, v6, v4
	s_delay_alu instid0(VALU_DEP_1) | instskip(NEXT) | instid1(VALU_DEP_1)
	v_mul_f32_e32 v6, v7, v4
	v_fma_f32 v8, -v3, v6, v7
	s_delay_alu instid0(VALU_DEP_1) | instskip(NEXT) | instid1(VALU_DEP_1)
	v_fmac_f32_e32 v6, v8, v4
	v_fma_f32 v3, -v3, v6, v7
	s_delay_alu instid0(VALU_DEP_1) | instskip(NEXT) | instid1(VALU_DEP_1)
	v_div_fmas_f32 v3, v3, v4, v6
	v_div_fixup_f32 v3, v3, v2, v1
	s_delay_alu instid0(VALU_DEP_1) | instskip(NEXT) | instid1(VALU_DEP_1)
	v_fmac_f32_e32 v2, v1, v3
	v_div_scale_f32 v1, null, v2, v2, 1.0
	v_div_scale_f32 v7, vcc_lo, 1.0, v2, 1.0
	s_delay_alu instid0(VALU_DEP_2) | instskip(SKIP_2) | instid1(VALU_DEP_1)
	v_rcp_f32_e32 v4, v1
	s_waitcnt_depctr 0xfff
	v_fma_f32 v6, -v1, v4, 1.0
	v_fmac_f32_e32 v4, v6, v4
	s_delay_alu instid0(VALU_DEP_1) | instskip(NEXT) | instid1(VALU_DEP_1)
	v_mul_f32_e32 v6, v7, v4
	v_fma_f32 v8, -v1, v6, v7
	s_delay_alu instid0(VALU_DEP_1) | instskip(NEXT) | instid1(VALU_DEP_1)
	v_fmac_f32_e32 v6, v8, v4
	v_fma_f32 v1, -v1, v6, v7
	s_delay_alu instid0(VALU_DEP_1) | instskip(SKIP_1) | instid1(VALU_DEP_2)
	v_div_fmas_f32 v1, v1, v4, v6
	v_add_f32_e32 v4, 0, v3
	v_div_fixup_f32 v1, v1, v2, 1.0
	v_fma_f32 v2, v3, 0, -1.0
	s_delay_alu instid0(VALU_DEP_2) | instskip(NEXT) | instid1(VALU_DEP_2)
	v_mul_f32_e32 v3, v4, v1
	v_mul_f32_e32 v4, v2, v1
                                        ; implicit-def: $vgpr1_vgpr2
.LBB175_30:
	s_and_not1_saveexec_b32 s5, s5
	s_cbranch_execz .LBB175_32
; %bb.31:
	v_div_scale_f32 v3, null, v1, v1, v2
	v_div_scale_f32 v7, vcc_lo, v2, v1, v2
	s_delay_alu instid0(VALU_DEP_2) | instskip(SKIP_2) | instid1(VALU_DEP_1)
	v_rcp_f32_e32 v4, v3
	s_waitcnt_depctr 0xfff
	v_fma_f32 v6, -v3, v4, 1.0
	v_fmac_f32_e32 v4, v6, v4
	s_delay_alu instid0(VALU_DEP_1) | instskip(NEXT) | instid1(VALU_DEP_1)
	v_mul_f32_e32 v6, v7, v4
	v_fma_f32 v8, -v3, v6, v7
	s_delay_alu instid0(VALU_DEP_1) | instskip(NEXT) | instid1(VALU_DEP_1)
	v_fmac_f32_e32 v6, v8, v4
	v_fma_f32 v3, -v3, v6, v7
	s_delay_alu instid0(VALU_DEP_1) | instskip(NEXT) | instid1(VALU_DEP_1)
	v_div_fmas_f32 v3, v3, v4, v6
	v_div_fixup_f32 v4, v3, v1, v2
	s_delay_alu instid0(VALU_DEP_1) | instskip(NEXT) | instid1(VALU_DEP_1)
	v_fmac_f32_e32 v1, v2, v4
	v_div_scale_f32 v2, null, v1, v1, 1.0
	v_div_scale_f32 v7, vcc_lo, 1.0, v1, 1.0
	s_delay_alu instid0(VALU_DEP_2) | instskip(SKIP_2) | instid1(VALU_DEP_1)
	v_rcp_f32_e32 v3, v2
	s_waitcnt_depctr 0xfff
	v_fma_f32 v6, -v2, v3, 1.0
	v_fmac_f32_e32 v3, v6, v3
	s_delay_alu instid0(VALU_DEP_1) | instskip(NEXT) | instid1(VALU_DEP_1)
	v_mul_f32_e32 v6, v7, v3
	v_fma_f32 v8, -v2, v6, v7
	s_delay_alu instid0(VALU_DEP_1) | instskip(NEXT) | instid1(VALU_DEP_1)
	v_fmac_f32_e32 v6, v8, v3
	v_fma_f32 v2, -v2, v6, v7
	s_delay_alu instid0(VALU_DEP_1) | instskip(SKIP_1) | instid1(VALU_DEP_2)
	v_div_fmas_f32 v2, v2, v3, v6
	v_fma_f32 v3, v4, 0, 1.0
	v_div_fixup_f32 v1, v2, v1, 1.0
	s_delay_alu instid0(VALU_DEP_1)
	v_mul_f32_e32 v3, v3, v1
	v_mul_f32_e64 v4, -v4, v1
.LBB175_32:
	s_or_b32 exec_lo, exec_lo, s5
	s_mov_b32 s5, 0
	ds_store_b64 v5, v[3:4]
.LBB175_33:
	s_and_b32 vcc_lo, exec_lo, s5
	s_cbranch_vccz .LBB175_35
; %bb.34:
	v_dual_mov_b32 v1, 1.0 :: v_dual_mov_b32 v2, 0
	ds_store_b64 v5, v[1:2]
.LBB175_35:
	s_or_b32 exec_lo, exec_lo, s29
	s_waitcnt lgkmcnt(0)
	s_load_b32 s16, s[0:1], 0x50
	s_lshl_b64 s[0:1], s[10:11], 3
	s_waitcnt lgkmcnt(0)
	s_ashr_i32 s17, s16, 31
	s_add_u32 s5, s2, s0
	s_addc_u32 s18, s3, s1
	s_lshl_b32 s8, s14, 6
	s_add_i32 s15, s15, -1
	s_sub_i32 s7, s7, s8
	s_mul_hi_i32 s11, s16, s8
	s_cmp_ge_u32 s14, s15
	s_mul_i32 s10, s16, s8
	s_cselect_b32 s14, s7, 64
	s_lshl_b64 s[10:11], s[10:11], 3
	s_ashr_i32 s9, s8, 31
	s_add_u32 s7, s5, s10
	s_addc_u32 s18, s18, s11
	v_cmp_gt_i32_e32 vcc_lo, s14, v0
	s_cmp_gt_i32 s6, 0
	s_mov_b32 s10, 0
	s_cselect_b32 s5, -1, 0
	s_delay_alu instid0(SALU_CYCLE_1) | instskip(NEXT) | instid1(SALU_CYCLE_1)
	s_and_b32 s19, vcc_lo, s5
	s_and_saveexec_b32 s5, s19
	s_cbranch_execz .LBB175_42
; %bb.36:
	s_cmp_lt_i32 s6, 8
	s_cbranch_scc1 .LBB175_39
; %bb.37:
	v_mad_i64_i32 v[1:2], null, s16, v0, 0
	v_lshl_or_b32 v3, v0, 3, 0x8000
	s_lshl_b32 s10, s20, 3
	s_mov_b64 s[14:15], 0
	s_and_b32 s11, s10, 0x3c0
	s_mov_b32 s10, 0
	s_delay_alu instid0(VALU_DEP_2) | instskip(NEXT) | instid1(VALU_DEP_1)
	v_lshlrev_b64 v[1:2], 3, v[1:2]
	v_add_co_u32 v1, vcc_lo, s7, v1
	s_delay_alu instid0(VALU_DEP_2)
	v_add_co_ci_u32_e32 v2, vcc_lo, s18, v2, vcc_lo
.LBB175_38:                             ; =>This Inner Loop Header: Depth=1
	s_delay_alu instid0(VALU_DEP_2) | instskip(NEXT) | instid1(VALU_DEP_2)
	v_add_co_u32 v16, vcc_lo, v1, s14
	v_add_co_ci_u32_e32 v17, vcc_lo, s15, v2, vcc_lo
	s_add_i32 s10, s10, 8
	s_add_u32 s14, s14, 64
	s_addc_u32 s15, s15, 0
	s_clause 0x3
	global_load_b128 v[4:7], v[16:17], off
	global_load_b128 v[8:11], v[16:17], off offset:16
	global_load_b128 v[12:15], v[16:17], off offset:32
	;; [unrolled: 1-line block ×3, first 2 shown]
	s_cmp_lg_u32 s11, s14
	s_waitcnt vmcnt(3)
	v_dual_mul_f32 v21, s13, v5 :: v_dual_mul_f32 v22, s13, v7
	v_dual_mul_f32 v20, s12, v5 :: v_dual_mul_f32 v5, s12, v7
	s_waitcnt vmcnt(2)
	v_dual_mul_f32 v23, s13, v9 :: v_dual_mul_f32 v24, s13, v11
	s_waitcnt vmcnt(1)
	v_dual_mul_f32 v7, s12, v9 :: v_dual_mul_f32 v26, s13, v15
	v_dual_mul_f32 v9, s12, v11 :: v_dual_fmac_f32 v20, s13, v4
	s_waitcnt vmcnt(0)
	v_dual_mul_f32 v25, s13, v13 :: v_dual_mul_f32 v28, s13, v19
	v_mul_f32_e32 v11, s12, v13
	v_mul_f32_e32 v13, s12, v15
	;; [unrolled: 1-line block ×5, first 2 shown]
	v_fma_f32 v19, s12, v4, -v21
	v_fma_f32 v4, s12, v6, -v22
	v_fmac_f32_e32 v5, s13, v6
	v_fma_f32 v6, s12, v8, -v23
	v_fmac_f32_e32 v7, s13, v8
	;; [unrolled: 2-line block ×7, first 2 shown]
	ds_store_2addr_stride64_b64 v3, v[19:20], v[4:5] offset1:1
	ds_store_2addr_stride64_b64 v3, v[6:7], v[8:9] offset0:2 offset1:3
	ds_store_2addr_stride64_b64 v3, v[10:11], v[12:13] offset0:4 offset1:5
	;; [unrolled: 1-line block ×3, first 2 shown]
	v_add_nc_u32_e32 v3, 0x1000, v3
	s_cbranch_scc1 .LBB175_38
.LBB175_39:
	s_and_b32 s14, s20, 7
	s_mov_b32 s11, 0
	s_cmp_eq_u32 s14, 0
	s_cbranch_scc1 .LBB175_42
; %bb.40:
	v_lshlrev_b32_e32 v3, 3, v0
	s_lshl_b64 s[22:23], s[8:9], 3
	s_lshl_b64 s[24:25], s[10:11], 3
	s_delay_alu instid0(VALU_DEP_1) | instskip(NEXT) | instid1(VALU_DEP_1)
	v_add_co_u32 v4, s11, s22, v3
	v_add_co_ci_u32_e64 v5, null, s23, 0, s11
	s_add_u32 s11, s2, s24
	s_addc_u32 s15, s3, s25
	s_add_u32 s22, s11, s0
	s_addc_u32 s23, s15, s1
	v_mul_lo_u32 v5, v5, s16
	v_mad_u64_u32 v[1:2], null, v4, s16, s[22:23]
	v_mul_lo_u32 v4, v4, s17
	v_lshl_or_b32 v3, s10, 9, v3
	s_delay_alu instid0(VALU_DEP_1) | instskip(NEXT) | instid1(VALU_DEP_4)
	v_add_nc_u32_e32 v3, 0x8000, v3
	v_add_co_u32 v1, vcc_lo, v1, 4
	s_delay_alu instid0(VALU_DEP_4) | instskip(NEXT) | instid1(VALU_DEP_1)
	v_add3_u32 v2, v5, v2, v4
	v_add_co_ci_u32_e32 v2, vcc_lo, 0, v2, vcc_lo
	.p2align	6
.LBB175_41:                             ; =>This Inner Loop Header: Depth=1
	global_load_b64 v[4:5], v[1:2], off offset:-4
	v_add_co_u32 v1, vcc_lo, v1, 8
	v_add_co_ci_u32_e32 v2, vcc_lo, 0, v2, vcc_lo
	s_add_i32 s14, s14, -1
	s_delay_alu instid0(SALU_CYCLE_1) | instskip(SKIP_2) | instid1(VALU_DEP_1)
	s_cmp_lg_u32 s14, 0
	s_waitcnt vmcnt(0)
	v_mul_f32_e32 v6, s12, v5
	v_dual_mul_f32 v7, s13, v5 :: v_dual_fmac_f32 v6, s13, v4
	s_delay_alu instid0(VALU_DEP_1)
	v_fma_f32 v5, s12, v4, -v7
	ds_store_b64 v3, v[5:6]
	v_add_nc_u32_e32 v3, 0x200, v3
	s_cbranch_scc1 .LBB175_41
.LBB175_42:
	s_or_b32 exec_lo, exec_lo, s5
	v_or_b32_e64 v3, 0, 4
	s_cmpk_eq_i32 s4, 0x6f
	s_mov_b32 s4, -1
	s_waitcnt lgkmcnt(0)
	s_barrier
	buffer_gl0_inv
	s_cbranch_scc1 .LBB175_63
; %bb.43:
	v_lshl_or_b32 v4, v0, 3, 0x8000
	v_lshlrev_b32_e32 v5, 3, v0
	s_lshl_b32 s10, s20, 3
	s_mov_b32 s5, 0
	s_add_i32 s10, s10, -8
	s_mov_b32 s4, s5
	s_mov_b32 s11, s28
	s_branch .LBB175_45
.LBB175_44:                             ;   in Loop: Header=BB175_45 Depth=1
	s_cmp_lt_i32 s11, 0
	s_cselect_b32 s12, -1, 0
	s_add_i32 s4, s4, 1
	s_delay_alu instid0(SALU_CYCLE_1) | instskip(SKIP_1) | instid1(SALU_CYCLE_1)
	s_cmp_eq_u32 s4, 3
	s_cselect_b32 s13, -1, 0
	s_or_b32 s12, s12, s13
	s_delay_alu instid0(SALU_CYCLE_1)
	s_and_not1_b32 vcc_lo, exec_lo, s12
	s_cbranch_vccz .LBB175_62
.LBB175_45:                             ; =>This Loop Header: Depth=1
                                        ;     Child Loop BB175_48 Depth 2
                                        ;       Child Loop BB175_49 Depth 3
                                        ;       Child Loop BB175_51 Depth 3
                                        ;         Child Loop BB175_52 Depth 4
                                        ;       Child Loop BB175_56 Depth 3
                                        ;         Child Loop BB175_58 Depth 4
	s_getpc_b64 s[12:13]
	s_add_u32 s12, s12, __const._ZL38rocblas_trsm_small_left_device_sharedBILi64ELi32ELb1E19rocblas_complex_numIfES1_PKPKS1_PKPS1_Ev13rocblas_fill_18rocblas_operation_17rocblas_diagonal_iiT3_T4_lilT5_lili.step_sizes@rel32@lo+4
	s_addc_u32 s13, s13, __const._ZL38rocblas_trsm_small_left_device_sharedBILi64ELi32ELb1E19rocblas_complex_numIfES1_PKPKS1_PKPS1_Ev13rocblas_fill_18rocblas_operation_17rocblas_diagonal_iiT3_T4_lilT5_lili.step_sizes@rel32@hi+12
	s_lshl_b64 s[14:15], s[4:5], 2
	s_delay_alu instid0(SALU_CYCLE_1) | instskip(SKIP_4) | instid1(SALU_CYCLE_1)
	s_add_u32 s12, s14, s12
	s_addc_u32 s13, s15, s13
	s_load_b32 s12, s[12:13], 0x0
	s_waitcnt lgkmcnt(0)
	s_add_i32 s13, s12, -1
	s_cmp_lt_i32 s11, s13
	s_cbranch_scc1 .LBB175_44
; %bb.46:                               ;   in Loop: Header=BB175_45 Depth=1
	s_lshl_b32 s21, s11, 9
	s_lshl_b32 s15, s12, 9
	v_add_nc_u32_e32 v6, s21, v4
	s_max_i32 s14, s12, 1
	s_sub_i32 s15, 0, s15
	s_add_i32 s21, s10, s21
	s_mul_i32 s22, s11, 0x208
	s_mul_i32 s23, s12, 0xfffffdf8
	s_branch .LBB175_48
.LBB175_47:                             ;   in Loop: Header=BB175_48 Depth=2
	v_add_nc_u32_e32 v6, s15, v6
	s_sub_i32 s11, s11, s12
	s_add_i32 s21, s21, s15
	s_add_i32 s22, s22, s23
	s_cmp_lt_i32 s11, s13
	s_cbranch_scc1 .LBB175_44
.LBB175_48:                             ;   Parent Loop BB175_45 Depth=1
                                        ; =>  This Loop Header: Depth=2
                                        ;       Child Loop BB175_49 Depth 3
                                        ;       Child Loop BB175_51 Depth 3
                                        ;         Child Loop BB175_52 Depth 4
                                        ;       Child Loop BB175_56 Depth 3
                                        ;         Child Loop BB175_58 Depth 4
	v_dual_mov_b32 v1, 0 :: v_dual_mov_b32 v2, v6
	s_mov_b32 s24, s14
.LBB175_49:                             ;   Parent Loop BB175_45 Depth=1
                                        ;     Parent Loop BB175_48 Depth=2
                                        ; =>    This Inner Loop Header: Depth=3
	ds_load_b64 v[7:8], v2
	v_add_nc_u32_e32 v2, 0xfffffe00, v2
	s_add_i32 s24, s24, -1
	s_delay_alu instid0(SALU_CYCLE_1)
	s_cmp_eq_u32 s24, 0
	s_waitcnt lgkmcnt(0)
	scratch_store_b64 v1, v[7:8], off
	v_add_nc_u32_e32 v1, 8, v1
	s_cbranch_scc0 .LBB175_49
; %bb.50:                               ;   in Loop: Header=BB175_48 Depth=2
	s_cmp_le_i32 s28, s11
	s_mov_b32 s24, s21
	s_mov_b32 s25, s28
	s_cbranch_scc1 .LBB175_54
	.p2align	6
.LBB175_51:                             ;   Parent Loop BB175_45 Depth=1
                                        ;     Parent Loop BB175_48 Depth=2
                                        ; =>    This Loop Header: Depth=3
                                        ;         Child Loop BB175_52 Depth 4
	v_lshl_or_b32 v1, s25, 9, v5
	v_mov_b32_e32 v7, v3
	s_mov_b32 s26, s24
	s_mov_b32 s27, s14
	ds_load_b64 v[1:2], v1 offset:32768
	.p2align	6
.LBB175_52:                             ;   Parent Loop BB175_45 Depth=1
                                        ;     Parent Loop BB175_48 Depth=2
                                        ;       Parent Loop BB175_51 Depth=3
                                        ; =>      This Inner Loop Header: Depth=4
	scratch_load_b64 v[8:9], v7, off offset:-4
	v_mov_b32_e32 v10, s26
	s_add_i32 s27, s27, -1
	s_addk_i32 s26, 0xfe00
	s_cmp_eq_u32 s27, 0
	ds_load_b64 v[10:11], v10
	s_waitcnt lgkmcnt(0)
	v_mul_f32_e32 v12, v11, v2
	v_mul_f32_e32 v11, v11, v1
	s_delay_alu instid0(VALU_DEP_1) | instskip(SKIP_1) | instid1(VALU_DEP_1)
	v_fmac_f32_e32 v11, v10, v2
	s_waitcnt vmcnt(0)
	v_sub_f32_e32 v9, v9, v11
	v_fma_f32 v12, v10, v1, -v12
	s_delay_alu instid0(VALU_DEP_1)
	v_sub_f32_e32 v8, v8, v12
	scratch_store_b64 v7, v[8:9], off offset:-4
	v_add_nc_u32_e32 v7, 8, v7
	s_cbranch_scc0 .LBB175_52
; %bb.53:                               ;   in Loop: Header=BB175_51 Depth=3
	s_add_i32 s25, s25, -1
	s_add_i32 s24, s24, -8
	s_cmp_le_i32 s25, s11
	s_cbranch_scc0 .LBB175_51
.LBB175_54:                             ;   in Loop: Header=BB175_48 Depth=2
	s_lshl_b32 s24, s11, 6
	s_mov_b32 s25, 0
	s_mov_b32 s26, s22
	s_branch .LBB175_56
.LBB175_55:                             ;   in Loop: Header=BB175_56 Depth=3
	s_mulk_i32 s29, 0x208
	s_addk_i32 s26, 0xfe00
	v_mov_b32_e32 v7, s29
	s_lshl_b32 s29, s25, 3
	s_add_i32 s25, s25, 1
	ds_load_b64 v[7:8], v7
	s_waitcnt vmcnt(0) lgkmcnt(0)
	v_mul_f32_e32 v9, v8, v2
	v_mul_f32_e32 v10, v7, v2
	v_add_lshl_u32 v2, s27, v0, 3
	s_add_i32 s27, s29, 0
	s_cmp_eq_u32 s25, s14
	v_fma_f32 v9, v7, v1, -v9
	v_fmac_f32_e32 v10, v8, v1
	scratch_store_b64 off, v[9:10], s27
	ds_store_b64 v2, v[9:10] offset:32768
	s_cbranch_scc1 .LBB175_47
.LBB175_56:                             ;   Parent Loop BB175_45 Depth=1
                                        ;     Parent Loop BB175_48 Depth=2
                                        ; =>    This Loop Header: Depth=3
                                        ;         Child Loop BB175_58 Depth 4
	s_cmp_lg_u32 s25, 0
	s_cbranch_scc0 .LBB175_60
; %bb.57:                               ;   in Loop: Header=BB175_56 Depth=3
	s_lshl_b32 s27, s25, 3
	v_mov_b32_e32 v8, 0
	s_add_i32 s29, s27, 0
	v_add_nc_u32_e64 v7, s27, 0
	scratch_load_b64 v[1:2], off, s29
	s_sub_i32 s29, s11, s25
	s_mov_b32 s30, 0
	s_lshl_b32 s27, s29, 6
	s_mov_b32 s31, s26
	.p2align	6
.LBB175_58:                             ;   Parent Loop BB175_45 Depth=1
                                        ;     Parent Loop BB175_48 Depth=2
                                        ;       Parent Loop BB175_56 Depth=3
                                        ; =>      This Inner Loop Header: Depth=4
	scratch_load_b64 v[9:10], v8, off
	v_mov_b32_e32 v11, s31
	s_add_i32 s30, s30, 1
	s_add_i32 s31, s31, -8
	s_cmp_ge_u32 s30, s25
	v_add_nc_u32_e32 v8, 8, v8
	ds_load_b64 v[11:12], v11
	s_waitcnt vmcnt(0) lgkmcnt(0)
	v_mul_f32_e32 v13, v12, v10
	v_mul_f32_e32 v10, v11, v10
	s_delay_alu instid0(VALU_DEP_2) | instskip(NEXT) | instid1(VALU_DEP_1)
	v_fma_f32 v11, v11, v9, -v13
	v_dual_sub_f32 v1, v1, v11 :: v_dual_fmac_f32 v10, v12, v9
	s_delay_alu instid0(VALU_DEP_1)
	v_sub_f32_e32 v2, v2, v10
	scratch_store_b64 v7, v[1:2], off
	s_cbranch_scc0 .LBB175_58
; %bb.59:                               ;   in Loop: Header=BB175_56 Depth=3
	s_branch .LBB175_55
.LBB175_60:                             ;   in Loop: Header=BB175_56 Depth=3
                                        ; implicit-def: $vgpr1
                                        ; implicit-def: $sgpr29
                                        ; implicit-def: $sgpr27
	s_cbranch_execz .LBB175_55
; %bb.61:                               ;   in Loop: Header=BB175_56 Depth=3
	scratch_load_b64 v[1:2], off, off
	s_mov_b32 s27, s24
	s_mov_b32 s29, s11
	s_branch .LBB175_55
.LBB175_62:
	s_mov_b32 s4, 0
.LBB175_63:
	s_delay_alu instid0(SALU_CYCLE_1)
	s_and_b32 vcc_lo, exec_lo, s4
	s_cbranch_vccz .LBB175_84
; %bb.64:
	v_lshl_or_b32 v4, v0, 3, 0x8000
	v_lshlrev_b32_e32 v5, 3, v0
	s_mov_b32 s5, 0
	s_delay_alu instid0(SALU_CYCLE_1)
	s_mov_b32 s4, s5
	s_mov_b32 s10, s5
	s_branch .LBB175_66
.LBB175_65:                             ;   in Loop: Header=BB175_66 Depth=1
	s_cmp_ge_i32 s10, s20
	s_cselect_b32 s11, -1, 0
	s_add_i32 s4, s4, 1
	s_delay_alu instid0(SALU_CYCLE_1) | instskip(SKIP_1) | instid1(SALU_CYCLE_1)
	s_cmp_eq_u32 s4, 3
	s_cselect_b32 s12, -1, 0
	s_or_b32 s11, s11, s12
	s_delay_alu instid0(SALU_CYCLE_1)
	s_and_b32 vcc_lo, exec_lo, s11
	s_cbranch_vccnz .LBB175_84
.LBB175_66:                             ; =>This Loop Header: Depth=1
                                        ;     Child Loop BB175_69 Depth 2
                                        ;       Child Loop BB175_70 Depth 3
                                        ;       Child Loop BB175_73 Depth 3
                                        ;         Child Loop BB175_74 Depth 4
                                        ;       Child Loop BB175_78 Depth 3
                                        ;         Child Loop BB175_80 Depth 4
	s_getpc_b64 s[12:13]
	s_add_u32 s12, s12, __const._ZL38rocblas_trsm_small_left_device_sharedBILi64ELi32ELb1E19rocblas_complex_numIfES1_PKPKS1_PKPS1_Ev13rocblas_fill_18rocblas_operation_17rocblas_diagonal_iiT3_T4_lilT5_lili.step_sizes@rel32@lo+4
	s_addc_u32 s13, s13, __const._ZL38rocblas_trsm_small_left_device_sharedBILi64ELi32ELb1E19rocblas_complex_numIfES1_PKPKS1_PKPS1_Ev13rocblas_fill_18rocblas_operation_17rocblas_diagonal_iiT3_T4_lilT5_lili.step_sizes@rel32@hi+12
	s_lshl_b64 s[14:15], s[4:5], 2
	s_delay_alu instid0(SALU_CYCLE_1) | instskip(SKIP_4) | instid1(SALU_CYCLE_1)
	s_add_u32 s12, s14, s12
	s_addc_u32 s13, s15, s13
	s_load_b32 s11, s[12:13], 0x0
	s_waitcnt lgkmcnt(0)
	s_add_i32 s12, s11, -1
	s_add_i32 s13, s12, s10
	s_delay_alu instid0(SALU_CYCLE_1)
	s_cmp_ge_i32 s13, s20
	s_cbranch_scc1 .LBB175_65
; %bb.67:                               ;   in Loop: Header=BB175_66 Depth=1
	v_lshl_add_u32 v6, s10, 9, v4
	s_max_i32 s13, s11, 1
	s_lshl_b32 s14, s11, 9
	s_lshl_b32 s15, s10, 3
	;; [unrolled: 1-line block ×3, first 2 shown]
	s_mul_i32 s22, s10, 0x208
	s_mul_i32 s23, s11, 0x208
	s_branch .LBB175_69
.LBB175_68:                             ;   in Loop: Header=BB175_69 Depth=2
	s_add_i32 s10, s10, s11
	v_add_nc_u32_e32 v6, s14, v6
	s_add_i32 s24, s12, s10
	s_add_i32 s15, s15, s21
	;; [unrolled: 1-line block ×3, first 2 shown]
	s_cmp_ge_i32 s24, s20
	s_cbranch_scc1 .LBB175_65
.LBB175_69:                             ;   Parent Loop BB175_66 Depth=1
                                        ; =>  This Loop Header: Depth=2
                                        ;       Child Loop BB175_70 Depth 3
                                        ;       Child Loop BB175_73 Depth 3
                                        ;         Child Loop BB175_74 Depth 4
                                        ;       Child Loop BB175_78 Depth 3
                                        ;         Child Loop BB175_80 Depth 4
	v_dual_mov_b32 v1, 0 :: v_dual_mov_b32 v2, v6
	s_mov_b32 s24, s13
.LBB175_70:                             ;   Parent Loop BB175_66 Depth=1
                                        ;     Parent Loop BB175_69 Depth=2
                                        ; =>    This Inner Loop Header: Depth=3
	ds_load_b64 v[7:8], v2
	v_add_nc_u32_e32 v2, 0x200, v2
	s_add_i32 s24, s24, -1
	s_delay_alu instid0(SALU_CYCLE_1)
	s_cmp_eq_u32 s24, 0
	s_waitcnt lgkmcnt(0)
	scratch_store_b64 v1, v[7:8], off
	v_add_nc_u32_e32 v1, 8, v1
	s_cbranch_scc0 .LBB175_70
; %bb.71:                               ;   in Loop: Header=BB175_69 Depth=2
	s_cmp_lt_i32 s10, 1
	s_cbranch_scc1 .LBB175_76
; %bb.72:                               ;   in Loop: Header=BB175_69 Depth=2
	s_mov_b32 s24, 0
	s_mov_b32 s25, s15
	.p2align	6
.LBB175_73:                             ;   Parent Loop BB175_66 Depth=1
                                        ;     Parent Loop BB175_69 Depth=2
                                        ; =>    This Loop Header: Depth=3
                                        ;         Child Loop BB175_74 Depth 4
	v_lshl_or_b32 v1, s24, 9, v5
	v_mov_b32_e32 v7, v3
	s_mov_b32 s26, s25
	s_mov_b32 s27, s13
	ds_load_b64 v[1:2], v1 offset:32768
	.p2align	6
.LBB175_74:                             ;   Parent Loop BB175_66 Depth=1
                                        ;     Parent Loop BB175_69 Depth=2
                                        ;       Parent Loop BB175_73 Depth=3
                                        ; =>      This Inner Loop Header: Depth=4
	scratch_load_b64 v[8:9], v7, off offset:-4
	v_mov_b32_e32 v10, s26
	s_add_i32 s27, s27, -1
	s_add_i32 s26, s26, 8
	s_cmp_eq_u32 s27, 0
	ds_load_b64 v[10:11], v10
	s_waitcnt lgkmcnt(0)
	v_mul_f32_e32 v12, v11, v2
	v_mul_f32_e32 v11, v11, v1
	s_delay_alu instid0(VALU_DEP_1) | instskip(SKIP_1) | instid1(VALU_DEP_1)
	v_fmac_f32_e32 v11, v10, v2
	s_waitcnt vmcnt(0)
	v_sub_f32_e32 v9, v9, v11
	v_fma_f32 v12, v10, v1, -v12
	s_delay_alu instid0(VALU_DEP_1)
	v_sub_f32_e32 v8, v8, v12
	scratch_store_b64 v7, v[8:9], off offset:-4
	v_add_nc_u32_e32 v7, 8, v7
	s_cbranch_scc0 .LBB175_74
; %bb.75:                               ;   in Loop: Header=BB175_73 Depth=3
	s_add_i32 s24, s24, 1
	s_addk_i32 s25, 0x200
	s_cmp_ge_i32 s24, s10
	s_cbranch_scc0 .LBB175_73
.LBB175_76:                             ;   in Loop: Header=BB175_69 Depth=2
	s_mov_b32 s24, 0
	s_mov_b32 s25, s22
	s_branch .LBB175_78
.LBB175_77:                             ;   in Loop: Header=BB175_78 Depth=3
	s_mul_i32 s27, s26, 0x208
	s_add_i32 s25, s25, 8
	v_mov_b32_e32 v7, s27
	s_lshl_b32 s27, s24, 3
	s_add_i32 s24, s24, 1
	ds_load_b64 v[7:8], v7
	s_waitcnt vmcnt(0) lgkmcnt(0)
	v_mul_f32_e32 v9, v8, v2
	v_mul_f32_e32 v10, v7, v2
	v_lshl_or_b32 v2, s26, 9, v5
	s_add_i32 s26, s27, 0
	s_cmp_eq_u32 s24, s13
	v_fma_f32 v9, v7, v1, -v9
	v_fmac_f32_e32 v10, v8, v1
	scratch_store_b64 off, v[9:10], s26
	ds_store_b64 v2, v[9:10] offset:32768
	s_cbranch_scc1 .LBB175_68
.LBB175_78:                             ;   Parent Loop BB175_66 Depth=1
                                        ;     Parent Loop BB175_69 Depth=2
                                        ; =>    This Loop Header: Depth=3
                                        ;         Child Loop BB175_80 Depth 4
	s_cmp_lg_u32 s24, 0
	s_cbranch_scc0 .LBB175_82
; %bb.79:                               ;   in Loop: Header=BB175_78 Depth=3
	s_lshl_b32 s26, s24, 3
	v_mov_b32_e32 v8, 0
	s_add_i32 s27, s26, 0
	v_add_nc_u32_e64 v7, s26, 0
	scratch_load_b64 v[1:2], off, s27
	s_add_i32 s26, s24, s10
	s_mov_b32 s27, 0
	s_mov_b32 s28, s25
	.p2align	6
.LBB175_80:                             ;   Parent Loop BB175_66 Depth=1
                                        ;     Parent Loop BB175_69 Depth=2
                                        ;       Parent Loop BB175_78 Depth=3
                                        ; =>      This Inner Loop Header: Depth=4
	scratch_load_b64 v[9:10], v8, off
	v_mov_b32_e32 v11, s28
	s_add_i32 s27, s27, 1
	s_addk_i32 s28, 0x200
	s_cmp_ge_u32 s27, s24
	v_add_nc_u32_e32 v8, 8, v8
	ds_load_b64 v[11:12], v11
	s_waitcnt vmcnt(0) lgkmcnt(0)
	v_mul_f32_e32 v13, v12, v10
	v_mul_f32_e32 v10, v11, v10
	s_delay_alu instid0(VALU_DEP_2) | instskip(NEXT) | instid1(VALU_DEP_1)
	v_fma_f32 v11, v11, v9, -v13
	v_dual_sub_f32 v1, v1, v11 :: v_dual_fmac_f32 v10, v12, v9
	s_delay_alu instid0(VALU_DEP_1)
	v_sub_f32_e32 v2, v2, v10
	scratch_store_b64 v7, v[1:2], off
	s_cbranch_scc0 .LBB175_80
; %bb.81:                               ;   in Loop: Header=BB175_78 Depth=3
	s_branch .LBB175_77
.LBB175_82:                             ;   in Loop: Header=BB175_78 Depth=3
                                        ; implicit-def: $vgpr1
                                        ; implicit-def: $sgpr26
	s_cbranch_execz .LBB175_77
; %bb.83:                               ;   in Loop: Header=BB175_78 Depth=3
	scratch_load_b64 v[1:2], off, off
	s_mov_b32 s26, s10
	s_branch .LBB175_77
.LBB175_84:
	s_waitcnt lgkmcnt(0)
	s_waitcnt_vscnt null, 0x0
	s_barrier
	buffer_gl0_inv
	s_and_saveexec_b32 s4, s19
	s_cbranch_execz .LBB175_91
; %bb.85:
	s_cmp_lt_i32 s6, 8
	s_mov_b32 s4, 0
	s_cbranch_scc1 .LBB175_88
; %bb.86:
	v_mad_i64_i32 v[1:2], null, s16, v0, 0
	v_lshl_or_b32 v3, v0, 3, 0x8000
	s_lshl_b32 s4, s20, 3
	s_delay_alu instid0(SALU_CYCLE_1) | instskip(SKIP_1) | instid1(VALU_DEP_2)
	s_and_b32 s5, s4, 0x3c0
	s_mov_b32 s4, 0
	v_lshlrev_b64 v[1:2], 3, v[1:2]
	s_delay_alu instid0(VALU_DEP_1) | instskip(NEXT) | instid1(VALU_DEP_2)
	v_add_co_u32 v1, vcc_lo, s7, v1
	v_add_co_ci_u32_e32 v2, vcc_lo, s18, v2, vcc_lo
	s_mov_b64 s[6:7], 0
	.p2align	6
.LBB175_87:                             ; =>This Inner Loop Header: Depth=1
	ds_load_2addr_stride64_b64 v[4:7], v3 offset1:1
	ds_load_2addr_stride64_b64 v[8:11], v3 offset0:2 offset1:3
	ds_load_2addr_stride64_b64 v[12:15], v3 offset0:4 offset1:5
	;; [unrolled: 1-line block ×3, first 2 shown]
	v_add_co_u32 v20, vcc_lo, v1, s6
	v_add_co_ci_u32_e32 v21, vcc_lo, s7, v2, vcc_lo
	s_add_i32 s4, s4, 8
	v_add_nc_u32_e32 v3, 0x1000, v3
	s_add_u32 s6, s6, 64
	s_addc_u32 s7, s7, 0
	s_cmp_lg_u32 s5, s6
	s_waitcnt lgkmcnt(3)
	global_store_b128 v[20:21], v[4:7], off
	s_waitcnt lgkmcnt(2)
	global_store_b128 v[20:21], v[8:11], off offset:16
	s_waitcnt lgkmcnt(1)
	global_store_b128 v[20:21], v[12:15], off offset:32
	;; [unrolled: 2-line block ×3, first 2 shown]
	s_cbranch_scc1 .LBB175_87
.LBB175_88:
	s_and_b32 s6, s20, 7
	s_mov_b32 s5, 0
	s_cmp_eq_u32 s6, 0
	s_cbranch_scc1 .LBB175_91
; %bb.89:
	v_lshlrev_b32_e32 v2, 3, v0
	s_lshl_b64 s[8:9], s[8:9], 3
	s_lshl_b64 s[10:11], s[4:5], 3
	s_delay_alu instid0(SALU_CYCLE_1) | instskip(NEXT) | instid1(VALU_DEP_1)
	s_add_u32 s2, s2, s10
	v_add_co_u32 v3, s5, s8, v2
	s_delay_alu instid0(VALU_DEP_1) | instskip(SKIP_3) | instid1(VALU_DEP_1)
	v_add_co_ci_u32_e64 v4, null, s9, 0, s5
	s_addc_u32 s3, s3, s11
	s_add_u32 s0, s2, s0
	s_addc_u32 s1, s3, s1
	v_mul_lo_u32 v4, v4, s16
	v_mad_u64_u32 v[0:1], null, v3, s16, s[0:1]
	v_mul_lo_u32 v3, v3, s17
	v_lshl_or_b32 v2, s4, 9, v2
	s_delay_alu instid0(VALU_DEP_1) | instskip(NEXT) | instid1(VALU_DEP_3)
	v_add_nc_u32_e32 v2, 0x8000, v2
	v_add3_u32 v1, v4, v1, v3
.LBB175_90:                             ; =>This Inner Loop Header: Depth=1
	ds_load_b64 v[3:4], v2
	v_add_nc_u32_e32 v2, 0x200, v2
	s_add_i32 s6, s6, -1
	s_delay_alu instid0(SALU_CYCLE_1)
	s_cmp_lg_u32 s6, 0
	s_waitcnt lgkmcnt(0)
	global_store_b64 v[0:1], v[3:4], off
	v_add_co_u32 v0, vcc_lo, v0, 8
	v_add_co_ci_u32_e32 v1, vcc_lo, 0, v1, vcc_lo
	s_cbranch_scc1 .LBB175_90
.LBB175_91:
	s_nop 0
	s_sendmsg sendmsg(MSG_DEALLOC_VGPRS)
	s_endpgm
	.section	.rodata,"a",@progbits
	.p2align	6, 0x0
	.amdhsa_kernel _ZL38rocblas_trsm_small_left_device_sharedBILi64ELi32ELb1E19rocblas_complex_numIfES1_PKPKS1_PKPS1_Ev13rocblas_fill_18rocblas_operation_17rocblas_diagonal_iiT3_T4_lilT5_lili
		.amdhsa_group_segment_fixed_size 65536
		.amdhsa_private_segment_fixed_size 272
		.amdhsa_kernarg_size 360
		.amdhsa_user_sgpr_count 14
		.amdhsa_user_sgpr_dispatch_ptr 0
		.amdhsa_user_sgpr_queue_ptr 0
		.amdhsa_user_sgpr_kernarg_segment_ptr 1
		.amdhsa_user_sgpr_dispatch_id 0
		.amdhsa_user_sgpr_private_segment_size 0
		.amdhsa_wavefront_size32 1
		.amdhsa_uses_dynamic_stack 0
		.amdhsa_enable_private_segment 1
		.amdhsa_system_sgpr_workgroup_id_x 1
		.amdhsa_system_sgpr_workgroup_id_y 0
		.amdhsa_system_sgpr_workgroup_id_z 1
		.amdhsa_system_sgpr_workgroup_info 0
		.amdhsa_system_vgpr_workitem_id 0
		.amdhsa_next_free_vgpr 29
		.amdhsa_next_free_sgpr 35
		.amdhsa_reserve_vcc 1
		.amdhsa_float_round_mode_32 0
		.amdhsa_float_round_mode_16_64 0
		.amdhsa_float_denorm_mode_32 3
		.amdhsa_float_denorm_mode_16_64 3
		.amdhsa_dx10_clamp 1
		.amdhsa_ieee_mode 1
		.amdhsa_fp16_overflow 0
		.amdhsa_workgroup_processor_mode 1
		.amdhsa_memory_ordered 1
		.amdhsa_forward_progress 0
		.amdhsa_shared_vgpr_count 0
		.amdhsa_exception_fp_ieee_invalid_op 0
		.amdhsa_exception_fp_denorm_src 0
		.amdhsa_exception_fp_ieee_div_zero 0
		.amdhsa_exception_fp_ieee_overflow 0
		.amdhsa_exception_fp_ieee_underflow 0
		.amdhsa_exception_fp_ieee_inexact 0
		.amdhsa_exception_int_div_zero 0
	.end_amdhsa_kernel
	.section	.text._ZL38rocblas_trsm_small_left_device_sharedBILi64ELi32ELb1E19rocblas_complex_numIfES1_PKPKS1_PKPS1_Ev13rocblas_fill_18rocblas_operation_17rocblas_diagonal_iiT3_T4_lilT5_lili,"axG",@progbits,_ZL38rocblas_trsm_small_left_device_sharedBILi64ELi32ELb1E19rocblas_complex_numIfES1_PKPKS1_PKPS1_Ev13rocblas_fill_18rocblas_operation_17rocblas_diagonal_iiT3_T4_lilT5_lili,comdat
.Lfunc_end175:
	.size	_ZL38rocblas_trsm_small_left_device_sharedBILi64ELi32ELb1E19rocblas_complex_numIfES1_PKPKS1_PKPS1_Ev13rocblas_fill_18rocblas_operation_17rocblas_diagonal_iiT3_T4_lilT5_lili, .Lfunc_end175-_ZL38rocblas_trsm_small_left_device_sharedBILi64ELi32ELb1E19rocblas_complex_numIfES1_PKPKS1_PKPS1_Ev13rocblas_fill_18rocblas_operation_17rocblas_diagonal_iiT3_T4_lilT5_lili
                                        ; -- End function
	.section	.AMDGPU.csdata,"",@progbits
; Kernel info:
; codeLenInByte = 3916
; NumSgprs: 37
; NumVgprs: 29
; ScratchSize: 272
; MemoryBound: 0
; FloatMode: 240
; IeeeMode: 1
; LDSByteSize: 65536 bytes/workgroup (compile time only)
; SGPRBlocks: 4
; VGPRBlocks: 3
; NumSGPRsForWavesPerEU: 37
; NumVGPRsForWavesPerEU: 29
; Occupancy: 1
; WaveLimiterHint : 1
; COMPUTE_PGM_RSRC2:SCRATCH_EN: 1
; COMPUTE_PGM_RSRC2:USER_SGPR: 14
; COMPUTE_PGM_RSRC2:TRAP_HANDLER: 0
; COMPUTE_PGM_RSRC2:TGID_X_EN: 1
; COMPUTE_PGM_RSRC2:TGID_Y_EN: 0
; COMPUTE_PGM_RSRC2:TGID_Z_EN: 1
; COMPUTE_PGM_RSRC2:TIDIG_COMP_CNT: 0
	.section	.text._ZL30rocblas_trsm_small_left_deviceILi64ELi32ELb1E19rocblas_complex_numIfES1_PKPKS1_PKPS1_Ev13rocblas_fill_18rocblas_operation_17rocblas_diagonal_iiT3_T4_lilT5_lili,"axG",@progbits,_ZL30rocblas_trsm_small_left_deviceILi64ELi32ELb1E19rocblas_complex_numIfES1_PKPKS1_PKPS1_Ev13rocblas_fill_18rocblas_operation_17rocblas_diagonal_iiT3_T4_lilT5_lili,comdat
	.globl	_ZL30rocblas_trsm_small_left_deviceILi64ELi32ELb1E19rocblas_complex_numIfES1_PKPKS1_PKPS1_Ev13rocblas_fill_18rocblas_operation_17rocblas_diagonal_iiT3_T4_lilT5_lili ; -- Begin function _ZL30rocblas_trsm_small_left_deviceILi64ELi32ELb1E19rocblas_complex_numIfES1_PKPKS1_PKPS1_Ev13rocblas_fill_18rocblas_operation_17rocblas_diagonal_iiT3_T4_lilT5_lili
	.p2align	8
	.type	_ZL30rocblas_trsm_small_left_deviceILi64ELi32ELb1E19rocblas_complex_numIfES1_PKPKS1_PKPS1_Ev13rocblas_fill_18rocblas_operation_17rocblas_diagonal_iiT3_T4_lilT5_lili,@function
_ZL30rocblas_trsm_small_left_deviceILi64ELi32ELb1E19rocblas_complex_numIfES1_PKPKS1_PKPS1_Ev13rocblas_fill_18rocblas_operation_17rocblas_diagonal_iiT3_T4_lilT5_lili: ; @_ZL30rocblas_trsm_small_left_deviceILi64ELi32ELb1E19rocblas_complex_numIfES1_PKPKS1_PKPS1_Ev13rocblas_fill_18rocblas_operation_17rocblas_diagonal_iiT3_T4_lilT5_lili
; %bb.0:
	s_clause 0x1
	s_load_b128 s[8:11], s[0:1], 0x40
	s_load_b128 s[4:7], s[0:1], 0x4
	s_mov_b32 s12, s15
	s_mov_b32 s13, 0
	s_load_b32 s29, s[0:1], 0x68
	s_lshl_b64 s[22:23], s[12:13], 3
	s_waitcnt lgkmcnt(0)
	s_add_u32 s8, s8, s22
	s_addc_u32 s9, s9, s23
	s_load_b64 s[2:3], s[0:1], 0x14
	s_load_b64 s[8:9], s[8:9], 0x0
	s_min_i32 s15, s6, 64
	s_mov_b32 s6, exec_lo
	s_add_i32 s28, s15, -1
	v_cmpx_gt_i32_e64 s15, v0
	s_cbranch_execz .LBB176_35
; %bb.1:
	s_clause 0x1
	s_load_b32 s20, s[0:1], 0x30
	s_load_b128 s[16:19], s[0:1], 0x20
	v_lshlrev_b32_e32 v8, 3, v0
	s_waitcnt lgkmcnt(0)
	s_ashr_i32 s21, s20, 31
	s_cmpk_lg_i32 s4, 0x71
	s_cselect_b32 s12, -1, 0
	s_add_u32 s16, s16, s22
	s_addc_u32 s17, s17, s23
	v_cndmask_b32_e64 v7, 0, 1, s12
	s_load_b64 s[16:17], s[16:17], 0x0
	s_cmp_lt_u32 s28, 3
	s_cbranch_scc1 .LBB176_20
; %bb.2:
	s_lshl_b64 s[22:23], s[18:19], 3
	v_mov_b32_e32 v9, v8
	s_waitcnt lgkmcnt(0)
	s_add_u32 s13, s16, s22
	s_addc_u32 s22, s17, s23
	v_add_co_u32 v1, s13, s13, v8
	s_delay_alu instid0(VALU_DEP_1)
	v_add_co_ci_u32_e64 v2, null, s22, 0, s13
	s_and_b32 s13, s15, -4
	s_mul_hi_i32 s30, s20, 24
	s_mul_i32 s31, s20, 24
	s_lshl_b64 s[22:23], s[20:21], 5
	s_lshl_b64 s[24:25], s[20:21], 4
	;; [unrolled: 1-line block ×3, first 2 shown]
	s_mov_b32 s33, 0
	s_branch .LBB176_4
.LBB176_3:                              ;   in Loop: Header=BB176_4 Depth=1
	global_load_b32 v3, v[5:6], off
	v_add_co_u32 v1, vcc_lo, v1, s22
	v_add_co_ci_u32_e32 v2, vcc_lo, s23, v2, vcc_lo
	s_add_i32 s33, s33, 4
	s_delay_alu instid0(SALU_CYCLE_1)
	s_cmp_eq_u32 s13, s33
	s_waitcnt vmcnt(0)
	ds_store_b64 v9, v[3:4] offset:1536
	v_add_nc_u32_e32 v9, 0x800, v9
	s_cbranch_scc1 .LBB176_20
.LBB176_4:                              ; =>This Inner Loop Header: Depth=1
	s_and_b32 vcc_lo, exec_lo, s12
	s_cbranch_vccz .LBB176_6
; %bb.5:                                ;   in Loop: Header=BB176_4 Depth=1
	global_load_b32 v4, v[1:2], off offset:4
	s_cbranch_execz .LBB176_7
	s_branch .LBB176_8
.LBB176_6:                              ;   in Loop: Header=BB176_4 Depth=1
                                        ; implicit-def: $vgpr4
.LBB176_7:                              ;   in Loop: Header=BB176_4 Depth=1
	global_load_b32 v3, v[1:2], off offset:4
	s_waitcnt vmcnt(0)
	v_xor_b32_e32 v4, 0x80000000, v3
.LBB176_8:                              ;   in Loop: Header=BB176_4 Depth=1
	global_load_b32 v3, v[1:2], off
	v_add_co_u32 v5, vcc_lo, v1, s26
	v_add_co_ci_u32_e32 v6, vcc_lo, s27, v2, vcc_lo
	s_and_not1_b32 vcc_lo, exec_lo, s12
	s_waitcnt vmcnt(0)
	ds_store_b64 v9, v[3:4]
	s_cbranch_vccnz .LBB176_10
; %bb.9:                                ;   in Loop: Header=BB176_4 Depth=1
	global_load_b32 v4, v[5:6], off offset:4
	s_cbranch_execz .LBB176_11
	s_branch .LBB176_12
.LBB176_10:                             ;   in Loop: Header=BB176_4 Depth=1
                                        ; implicit-def: $vgpr4
.LBB176_11:                             ;   in Loop: Header=BB176_4 Depth=1
	global_load_b32 v3, v[5:6], off offset:4
	s_waitcnt vmcnt(0)
	v_xor_b32_e32 v4, 0x80000000, v3
.LBB176_12:                             ;   in Loop: Header=BB176_4 Depth=1
	global_load_b32 v3, v[5:6], off
	v_add_co_u32 v5, vcc_lo, v1, s24
	v_add_co_ci_u32_e32 v6, vcc_lo, s25, v2, vcc_lo
	s_and_not1_b32 vcc_lo, exec_lo, s12
	s_waitcnt vmcnt(0)
	ds_store_b64 v9, v[3:4] offset:512
	s_cbranch_vccnz .LBB176_14
; %bb.13:                               ;   in Loop: Header=BB176_4 Depth=1
	global_load_b32 v4, v[5:6], off offset:4
	s_cbranch_execz .LBB176_15
	s_branch .LBB176_16
.LBB176_14:                             ;   in Loop: Header=BB176_4 Depth=1
                                        ; implicit-def: $vgpr4
.LBB176_15:                             ;   in Loop: Header=BB176_4 Depth=1
	global_load_b32 v3, v[5:6], off offset:4
	s_waitcnt vmcnt(0)
	v_xor_b32_e32 v4, 0x80000000, v3
.LBB176_16:                             ;   in Loop: Header=BB176_4 Depth=1
	global_load_b32 v3, v[5:6], off
	v_add_co_u32 v5, vcc_lo, v1, s31
	v_add_co_ci_u32_e32 v6, vcc_lo, s30, v2, vcc_lo
	s_and_not1_b32 vcc_lo, exec_lo, s12
	s_waitcnt vmcnt(0)
	ds_store_b64 v9, v[3:4] offset:1024
	s_cbranch_vccnz .LBB176_18
; %bb.17:                               ;   in Loop: Header=BB176_4 Depth=1
	global_load_b32 v4, v[5:6], off offset:4
	s_cbranch_execnz .LBB176_3
	s_branch .LBB176_19
.LBB176_18:                             ;   in Loop: Header=BB176_4 Depth=1
                                        ; implicit-def: $vgpr4
.LBB176_19:                             ;   in Loop: Header=BB176_4 Depth=1
	global_load_b32 v3, v[5:6], off offset:4
	s_waitcnt vmcnt(0)
	v_xor_b32_e32 v4, 0x80000000, v3
	s_branch .LBB176_3
.LBB176_20:
	s_and_b32 s22, s15, 3
	s_delay_alu instid0(SALU_CYCLE_1)
	s_cmp_eq_u32 s22, 0
	s_cbranch_scc1 .LBB176_27
; %bb.21:
	s_mul_i32 s12, s21, s13
	s_mul_hi_u32 s23, s20, s13
	s_mul_i32 s24, s20, s13
	s_add_i32 s25, s23, s12
	s_lshl_b64 s[18:19], s[18:19], 3
	s_lshl_b64 s[24:25], s[24:25], 3
	v_lshl_or_b32 v5, s13, 9, v8
	s_add_u32 s12, s24, s18
	s_addc_u32 s18, s25, s19
	s_waitcnt lgkmcnt(0)
	s_add_u32 s12, s16, s12
	s_addc_u32 s16, s17, s18
	v_add_co_u32 v1, s12, s12, v8
	s_delay_alu instid0(VALU_DEP_1) | instskip(SKIP_1) | instid1(VALU_DEP_2)
	v_add_co_ci_u32_e64 v2, null, s16, 0, s12
	s_lshl_b64 s[12:13], s[20:21], 3
	v_add_co_u32 v1, vcc_lo, v1, 4
	s_delay_alu instid0(VALU_DEP_2)
	v_add_co_ci_u32_e32 v2, vcc_lo, 0, v2, vcc_lo
	s_set_inst_prefetch_distance 0x1
	s_branch .LBB176_23
	.p2align	6
.LBB176_22:                             ;   in Loop: Header=BB176_23 Depth=1
	global_load_b32 v3, v[1:2], off offset:-4
	v_add_co_u32 v1, vcc_lo, v1, s12
	v_add_co_ci_u32_e32 v2, vcc_lo, s13, v2, vcc_lo
	s_add_i32 s22, s22, -1
	s_delay_alu instid0(SALU_CYCLE_1)
	s_cmp_lg_u32 s22, 0
	s_waitcnt vmcnt(0)
	ds_store_b64 v5, v[3:4]
	v_add_nc_u32_e32 v5, 0x200, v5
	s_cbranch_scc0 .LBB176_27
.LBB176_23:                             ; =>This Inner Loop Header: Depth=1
	v_cmp_ne_u32_e32 vcc_lo, 1, v7
	s_mov_b32 s16, -1
                                        ; implicit-def: $vgpr4
	s_cbranch_vccnz .LBB176_25
; %bb.24:                               ;   in Loop: Header=BB176_23 Depth=1
	global_load_b32 v4, v[1:2], off
	s_mov_b32 s16, 0
.LBB176_25:                             ;   in Loop: Header=BB176_23 Depth=1
	s_delay_alu instid0(SALU_CYCLE_1)
	s_and_not1_b32 vcc_lo, exec_lo, s16
	s_cbranch_vccnz .LBB176_22
; %bb.26:                               ;   in Loop: Header=BB176_23 Depth=1
	global_load_b32 v3, v[1:2], off
	s_waitcnt vmcnt(0)
	v_xor_b32_e32 v4, 0x80000000, v3
	s_branch .LBB176_22
.LBB176_27:
	s_set_inst_prefetch_distance 0x2
	v_mul_u32_u24_e32 v1, 0x41, v0
	s_cmpk_lg_i32 s5, 0x84
	s_mov_b32 s5, -1
	s_delay_alu instid0(VALU_DEP_1)
	v_lshlrev_b32_e32 v5, 3, v1
	s_cbranch_scc0 .LBB176_33
; %bb.28:
	ds_load_b64 v[1:2], v5
	s_waitcnt lgkmcnt(0)
	v_cmp_gt_f32_e32 vcc_lo, 0, v1
	v_cndmask_b32_e64 v3, v1, -v1, vcc_lo
	v_cmp_gt_f32_e32 vcc_lo, 0, v2
	v_cndmask_b32_e64 v4, v2, -v2, vcc_lo
	s_delay_alu instid0(VALU_DEP_1) | instskip(SKIP_1) | instid1(SALU_CYCLE_1)
	v_cmp_ngt_f32_e32 vcc_lo, v3, v4
                                        ; implicit-def: $vgpr3
	s_and_saveexec_b32 s5, vcc_lo
	s_xor_b32 s5, exec_lo, s5
	s_cbranch_execz .LBB176_30
; %bb.29:
	v_div_scale_f32 v3, null, v2, v2, v1
	v_div_scale_f32 v7, vcc_lo, v1, v2, v1
	s_delay_alu instid0(VALU_DEP_2) | instskip(SKIP_2) | instid1(VALU_DEP_1)
	v_rcp_f32_e32 v4, v3
	s_waitcnt_depctr 0xfff
	v_fma_f32 v6, -v3, v4, 1.0
	v_fmac_f32_e32 v4, v6, v4
	s_delay_alu instid0(VALU_DEP_1) | instskip(NEXT) | instid1(VALU_DEP_1)
	v_mul_f32_e32 v6, v7, v4
	v_fma_f32 v8, -v3, v6, v7
	s_delay_alu instid0(VALU_DEP_1) | instskip(NEXT) | instid1(VALU_DEP_1)
	v_fmac_f32_e32 v6, v8, v4
	v_fma_f32 v3, -v3, v6, v7
	s_delay_alu instid0(VALU_DEP_1) | instskip(NEXT) | instid1(VALU_DEP_1)
	v_div_fmas_f32 v3, v3, v4, v6
	v_div_fixup_f32 v3, v3, v2, v1
	s_delay_alu instid0(VALU_DEP_1) | instskip(NEXT) | instid1(VALU_DEP_1)
	v_fmac_f32_e32 v2, v1, v3
	v_div_scale_f32 v1, null, v2, v2, 1.0
	v_div_scale_f32 v7, vcc_lo, 1.0, v2, 1.0
	s_delay_alu instid0(VALU_DEP_2) | instskip(SKIP_2) | instid1(VALU_DEP_1)
	v_rcp_f32_e32 v4, v1
	s_waitcnt_depctr 0xfff
	v_fma_f32 v6, -v1, v4, 1.0
	v_fmac_f32_e32 v4, v6, v4
	s_delay_alu instid0(VALU_DEP_1) | instskip(NEXT) | instid1(VALU_DEP_1)
	v_mul_f32_e32 v6, v7, v4
	v_fma_f32 v8, -v1, v6, v7
	s_delay_alu instid0(VALU_DEP_1) | instskip(NEXT) | instid1(VALU_DEP_1)
	v_fmac_f32_e32 v6, v8, v4
	v_fma_f32 v1, -v1, v6, v7
	s_delay_alu instid0(VALU_DEP_1) | instskip(SKIP_1) | instid1(VALU_DEP_2)
	v_div_fmas_f32 v1, v1, v4, v6
	v_add_f32_e32 v4, 0, v3
	v_div_fixup_f32 v1, v1, v2, 1.0
	v_fma_f32 v2, v3, 0, -1.0
	s_delay_alu instid0(VALU_DEP_2) | instskip(NEXT) | instid1(VALU_DEP_2)
	v_mul_f32_e32 v3, v4, v1
	v_mul_f32_e32 v4, v2, v1
                                        ; implicit-def: $vgpr1_vgpr2
.LBB176_30:
	s_and_not1_saveexec_b32 s5, s5
	s_cbranch_execz .LBB176_32
; %bb.31:
	v_div_scale_f32 v3, null, v1, v1, v2
	v_div_scale_f32 v7, vcc_lo, v2, v1, v2
	s_delay_alu instid0(VALU_DEP_2) | instskip(SKIP_2) | instid1(VALU_DEP_1)
	v_rcp_f32_e32 v4, v3
	s_waitcnt_depctr 0xfff
	v_fma_f32 v6, -v3, v4, 1.0
	v_fmac_f32_e32 v4, v6, v4
	s_delay_alu instid0(VALU_DEP_1) | instskip(NEXT) | instid1(VALU_DEP_1)
	v_mul_f32_e32 v6, v7, v4
	v_fma_f32 v8, -v3, v6, v7
	s_delay_alu instid0(VALU_DEP_1) | instskip(NEXT) | instid1(VALU_DEP_1)
	v_fmac_f32_e32 v6, v8, v4
	v_fma_f32 v3, -v3, v6, v7
	s_delay_alu instid0(VALU_DEP_1) | instskip(NEXT) | instid1(VALU_DEP_1)
	v_div_fmas_f32 v3, v3, v4, v6
	v_div_fixup_f32 v4, v3, v1, v2
	s_delay_alu instid0(VALU_DEP_1) | instskip(NEXT) | instid1(VALU_DEP_1)
	v_fmac_f32_e32 v1, v2, v4
	v_div_scale_f32 v2, null, v1, v1, 1.0
	v_div_scale_f32 v7, vcc_lo, 1.0, v1, 1.0
	s_delay_alu instid0(VALU_DEP_2) | instskip(SKIP_2) | instid1(VALU_DEP_1)
	v_rcp_f32_e32 v3, v2
	s_waitcnt_depctr 0xfff
	v_fma_f32 v6, -v2, v3, 1.0
	v_fmac_f32_e32 v3, v6, v3
	s_delay_alu instid0(VALU_DEP_1) | instskip(NEXT) | instid1(VALU_DEP_1)
	v_mul_f32_e32 v6, v7, v3
	v_fma_f32 v8, -v2, v6, v7
	s_delay_alu instid0(VALU_DEP_1) | instskip(NEXT) | instid1(VALU_DEP_1)
	v_fmac_f32_e32 v6, v8, v3
	v_fma_f32 v2, -v2, v6, v7
	s_delay_alu instid0(VALU_DEP_1) | instskip(SKIP_1) | instid1(VALU_DEP_2)
	v_div_fmas_f32 v2, v2, v3, v6
	v_fma_f32 v3, v4, 0, 1.0
	v_div_fixup_f32 v1, v2, v1, 1.0
	s_delay_alu instid0(VALU_DEP_1)
	v_mul_f32_e32 v3, v3, v1
	v_mul_f32_e64 v4, -v4, v1
.LBB176_32:
	s_or_b32 exec_lo, exec_lo, s5
	s_mov_b32 s5, 0
	ds_store_b64 v5, v[3:4]
.LBB176_33:
	s_and_b32 vcc_lo, exec_lo, s5
	s_cbranch_vccz .LBB176_35
; %bb.34:
	v_dual_mov_b32 v1, 1.0 :: v_dual_mov_b32 v2, 0
	ds_store_b64 v5, v[1:2]
.LBB176_35:
	s_or_b32 exec_lo, exec_lo, s6
	s_lshl_b32 s6, s14, 6
	s_add_i32 s29, s29, -1
	s_sub_i32 s5, s7, s6
	s_cmp_ge_u32 s14, s29
	s_waitcnt lgkmcnt(0)
	s_cselect_b32 s5, s5, 64
	s_barrier
	v_cmp_gt_i32_e32 vcc_lo, s5, v0
	s_mov_b32 s5, -1
	buffer_gl0_inv
	s_and_saveexec_b32 s7, vcc_lo
	s_cbranch_execz .LBB176_78
; %bb.36:
	s_load_b32 s0, s[0:1], 0x50
	v_add_nc_u32_e32 v2, s6, v0
	v_or_b32_e64 v6, 0, 4
	s_waitcnt lgkmcnt(0)
	s_delay_alu instid0(VALU_DEP_2) | instskip(SKIP_1) | instid1(SALU_CYCLE_1)
	v_mad_i64_i32 v[0:1], null, s0, v2, 0
	s_lshl_b64 s[0:1], s[10:11], 3
	s_add_u32 s6, s8, s0
	s_addc_u32 s7, s9, s1
	s_cmpk_eq_i32 s4, 0x6f
	s_delay_alu instid0(VALU_DEP_1) | instskip(NEXT) | instid1(VALU_DEP_1)
	v_lshlrev_b64 v[0:1], 3, v[0:1]
	v_add_co_u32 v4, vcc_lo, s6, v0
	s_delay_alu instid0(VALU_DEP_2)
	v_add_co_ci_u32_e32 v5, vcc_lo, s7, v1, vcc_lo
	s_cbranch_scc1 .LBB176_57
; %bb.37:
	s_add_u32 s4, s8, s0
	s_addc_u32 s5, s9, s1
	v_add_co_u32 v2, vcc_lo, s4, v0
	v_add_co_ci_u32_e32 v3, vcc_lo, s5, v1, vcc_lo
	s_lshl_b32 s14, s15, 3
	s_delay_alu instid0(VALU_DEP_2) | instskip(NEXT) | instid1(VALU_DEP_2)
	v_add_co_u32 v7, vcc_lo, v2, 4
	v_add_co_ci_u32_e32 v8, vcc_lo, 0, v3, vcc_lo
	s_mov_b32 s5, 0
	s_add_i32 s14, s14, -8
	s_mov_b32 s4, s5
	s_mov_b32 s6, s28
	s_branch .LBB176_39
.LBB176_38:                             ;   in Loop: Header=BB176_39 Depth=1
	s_cmp_lt_i32 s6, 0
	s_cselect_b32 s7, -1, 0
	s_add_i32 s4, s4, 1
	s_delay_alu instid0(SALU_CYCLE_1) | instskip(SKIP_1) | instid1(SALU_CYCLE_1)
	s_cmp_eq_u32 s4, 3
	s_cselect_b32 s10, -1, 0
	s_or_b32 s7, s7, s10
	s_delay_alu instid0(SALU_CYCLE_1)
	s_and_not1_b32 vcc_lo, exec_lo, s7
	s_cbranch_vccz .LBB176_56
.LBB176_39:                             ; =>This Loop Header: Depth=1
                                        ;     Child Loop BB176_42 Depth 2
                                        ;       Child Loop BB176_43 Depth 3
                                        ;       Child Loop BB176_45 Depth 3
                                        ;         Child Loop BB176_46 Depth 4
                                        ;       Child Loop BB176_50 Depth 3
                                        ;         Child Loop BB176_52 Depth 4
	s_getpc_b64 s[10:11]
	s_add_u32 s10, s10, __const._ZL30rocblas_trsm_small_left_deviceILi64ELi32ELb1E19rocblas_complex_numIfES1_PKPKS1_PKPS1_Ev13rocblas_fill_18rocblas_operation_17rocblas_diagonal_iiT3_T4_lilT5_lili.step_sizes@rel32@lo+4
	s_addc_u32 s11, s11, __const._ZL30rocblas_trsm_small_left_deviceILi64ELi32ELb1E19rocblas_complex_numIfES1_PKPKS1_PKPS1_Ev13rocblas_fill_18rocblas_operation_17rocblas_diagonal_iiT3_T4_lilT5_lili.step_sizes@rel32@hi+12
	s_lshl_b64 s[12:13], s[4:5], 2
	s_delay_alu instid0(SALU_CYCLE_1) | instskip(SKIP_4) | instid1(SALU_CYCLE_1)
	s_add_u32 s10, s12, s10
	s_addc_u32 s11, s13, s11
	s_load_b32 s16, s[10:11], 0x0
	s_waitcnt lgkmcnt(0)
	s_add_i32 s17, s16, -1
	s_cmp_lt_i32 s6, s17
	s_cbranch_scc1 .LBB176_38
; %bb.40:                               ;   in Loop: Header=BB176_39 Depth=1
	s_lshl_b32 s7, s6, 9
	s_lshl_b32 s10, s16, 9
	s_max_i32 s18, s16, 1
	s_add_i32 s19, s14, s7
	s_sub_i32 s20, 0, s10
	s_mul_i32 s21, s6, 0x208
	s_mul_i32 s22, s16, 0xfffffdf8
	s_branch .LBB176_42
.LBB176_41:                             ;   in Loop: Header=BB176_42 Depth=2
	s_sub_i32 s6, s6, s16
	s_add_i32 s19, s19, s20
	s_add_i32 s21, s21, s22
	s_cmp_lt_i32 s6, s17
	s_cbranch_scc1 .LBB176_38
.LBB176_42:                             ;   Parent Loop BB176_39 Depth=1
                                        ; =>  This Loop Header: Depth=2
                                        ;       Child Loop BB176_43 Depth 3
                                        ;       Child Loop BB176_45 Depth 3
                                        ;         Child Loop BB176_46 Depth 4
                                        ;       Child Loop BB176_50 Depth 3
                                        ;         Child Loop BB176_52 Depth 4
	s_ashr_i32 s7, s6, 31
	s_delay_alu instid0(SALU_CYCLE_1) | instskip(NEXT) | instid1(SALU_CYCLE_1)
	s_lshl_b64 s[10:11], s[6:7], 3
	v_add_co_u32 v2, vcc_lo, v7, s10
	v_add_co_ci_u32_e32 v3, vcc_lo, s11, v8, vcc_lo
	s_mov_b32 s10, 4
	s_mov_b32 s11, s18
	.p2align	6
.LBB176_43:                             ;   Parent Loop BB176_39 Depth=1
                                        ;     Parent Loop BB176_42 Depth=2
                                        ; =>    This Inner Loop Header: Depth=3
	global_load_b64 v[9:10], v[2:3], off offset:-4
	v_add_co_u32 v2, vcc_lo, v2, -8
	v_add_co_ci_u32_e32 v3, vcc_lo, -1, v3, vcc_lo
	s_add_i32 s11, s11, -1
	s_add_i32 s12, s10, 0
	s_add_i32 s10, s10, 8
	s_cmp_eq_u32 s11, 0
	s_waitcnt vmcnt(0)
	v_mul_f32_e32 v11, s2, v10
	s_delay_alu instid0(VALU_DEP_1) | instskip(NEXT) | instid1(VALU_DEP_1)
	v_dual_mul_f32 v12, s3, v10 :: v_dual_fmac_f32 v11, s3, v9
	v_fma_f32 v10, v9, s2, -v12
	scratch_store_b64 off, v[10:11], s12 offset:-4
	s_cbranch_scc0 .LBB176_43
; %bb.44:                               ;   in Loop: Header=BB176_42 Depth=2
	s_cmp_le_i32 s28, s6
	s_mov_b32 s12, s19
	s_mov_b32 s10, s28
	s_cbranch_scc1 .LBB176_48
	.p2align	6
.LBB176_45:                             ;   Parent Loop BB176_39 Depth=1
                                        ;     Parent Loop BB176_42 Depth=2
                                        ; =>    This Loop Header: Depth=3
                                        ;         Child Loop BB176_46 Depth 4
	s_ashr_i32 s11, s10, 31
	v_mov_b32_e32 v9, v6
	s_lshl_b64 s[24:25], s[10:11], 3
	s_mov_b32 s11, s12
	v_add_co_u32 v2, vcc_lo, v4, s24
	v_add_co_ci_u32_e32 v3, vcc_lo, s25, v5, vcc_lo
	s_mov_b32 s13, s18
	global_load_b64 v[2:3], v[2:3], off
	.p2align	6
.LBB176_46:                             ;   Parent Loop BB176_39 Depth=1
                                        ;     Parent Loop BB176_42 Depth=2
                                        ;       Parent Loop BB176_45 Depth=3
                                        ; =>      This Inner Loop Header: Depth=4
	scratch_load_b64 v[10:11], v9, off offset:-4
	v_mov_b32_e32 v12, s11
	s_add_i32 s13, s13, -1
	s_addk_i32 s11, 0xfe00
	s_cmp_eq_u32 s13, 0
	ds_load_b64 v[12:13], v12
	s_waitcnt vmcnt(1) lgkmcnt(0)
	v_mul_f32_e32 v14, v13, v3
	v_mul_f32_e32 v13, v13, v2
	s_delay_alu instid0(VALU_DEP_1) | instskip(SKIP_1) | instid1(VALU_DEP_1)
	v_fmac_f32_e32 v13, v12, v3
	s_waitcnt vmcnt(0)
	v_sub_f32_e32 v11, v11, v13
	v_fma_f32 v14, v12, v2, -v14
	s_delay_alu instid0(VALU_DEP_1)
	v_sub_f32_e32 v10, v10, v14
	scratch_store_b64 v9, v[10:11], off offset:-4
	v_add_nc_u32_e32 v9, 8, v9
	s_cbranch_scc0 .LBB176_46
; %bb.47:                               ;   in Loop: Header=BB176_45 Depth=3
	s_add_i32 s10, s10, -1
	s_add_i32 s12, s12, -8
	s_cmp_le_i32 s10, s6
	s_cbranch_scc0 .LBB176_45
.LBB176_48:                             ;   in Loop: Header=BB176_42 Depth=2
	s_mov_b32 s23, 0
	s_mov_b32 s24, s21
	s_branch .LBB176_50
.LBB176_49:                             ;   in Loop: Header=BB176_50 Depth=3
	s_mulk_i32 s12, 0x208
	s_lshl_b64 s[10:11], s[10:11], 3
	v_mov_b32_e32 v9, s12
	s_lshl_b32 s12, s23, 3
	s_add_i32 s23, s23, 1
	s_addk_i32 s24, 0xfe00
	ds_load_b64 v[9:10], v9
	s_waitcnt vmcnt(0) lgkmcnt(0)
	v_mul_f32_e32 v11, v10, v3
	v_mul_f32_e32 v12, v9, v3
	s_delay_alu instid0(VALU_DEP_2) | instskip(NEXT) | instid1(VALU_DEP_2)
	v_fma_f32 v11, v9, v2, -v11
	v_fmac_f32_e32 v12, v10, v2
	v_add_co_u32 v2, vcc_lo, v4, s10
	v_add_co_ci_u32_e32 v3, vcc_lo, s11, v5, vcc_lo
	s_add_i32 s10, s12, 0
	s_cmp_eq_u32 s23, s18
	scratch_store_b64 off, v[11:12], s10
	global_store_b64 v[2:3], v[11:12], off
	s_cbranch_scc1 .LBB176_41
.LBB176_50:                             ;   Parent Loop BB176_39 Depth=1
                                        ;     Parent Loop BB176_42 Depth=2
                                        ; =>    This Loop Header: Depth=3
                                        ;         Child Loop BB176_52 Depth 4
	s_cmp_lg_u32 s23, 0
	s_cbranch_scc0 .LBB176_54
; %bb.51:                               ;   in Loop: Header=BB176_50 Depth=3
	s_lshl_b32 s10, s23, 3
	v_mov_b32_e32 v10, 0
	s_add_i32 s11, s10, 0
	v_add_nc_u32_e64 v9, s10, 0
	scratch_load_b64 v[2:3], off, s11
	s_mov_b32 s10, 0
	s_mov_b32 s11, s24
	.p2align	6
.LBB176_52:                             ;   Parent Loop BB176_39 Depth=1
                                        ;     Parent Loop BB176_42 Depth=2
                                        ;       Parent Loop BB176_50 Depth=3
                                        ; =>      This Inner Loop Header: Depth=4
	scratch_load_b64 v[11:12], v10, off
	v_mov_b32_e32 v13, s11
	s_add_i32 s10, s10, 1
	s_add_i32 s11, s11, -8
	s_cmp_ge_u32 s10, s23
	v_add_nc_u32_e32 v10, 8, v10
	ds_load_b64 v[13:14], v13
	s_waitcnt vmcnt(0) lgkmcnt(0)
	v_mul_f32_e32 v15, v14, v12
	v_mul_f32_e32 v12, v13, v12
	s_delay_alu instid0(VALU_DEP_2) | instskip(NEXT) | instid1(VALU_DEP_2)
	v_fma_f32 v13, v13, v11, -v15
	v_fmac_f32_e32 v12, v14, v11
	s_delay_alu instid0(VALU_DEP_1)
	v_dual_sub_f32 v2, v2, v13 :: v_dual_sub_f32 v3, v3, v12
	scratch_store_b64 v9, v[2:3], off
	s_cbranch_scc0 .LBB176_52
; %bb.53:                               ;   in Loop: Header=BB176_50 Depth=3
	s_sub_i32 s12, s6, s23
	s_delay_alu instid0(SALU_CYCLE_1) | instskip(NEXT) | instid1(SALU_CYCLE_1)
	s_ashr_i32 s13, s12, 31
	s_mov_b64 s[10:11], s[12:13]
	s_branch .LBB176_49
.LBB176_54:                             ;   in Loop: Header=BB176_50 Depth=3
                                        ; implicit-def: $vgpr2
                                        ; implicit-def: $sgpr12
                                        ; implicit-def: $sgpr10_sgpr11
	s_cbranch_execz .LBB176_49
; %bb.55:                               ;   in Loop: Header=BB176_50 Depth=3
	scratch_load_b64 v[2:3], off, off
	s_mov_b64 s[10:11], s[6:7]
	s_mov_b32 s12, s6
	s_branch .LBB176_49
.LBB176_56:
	s_mov_b32 s5, 0
.LBB176_57:
	s_delay_alu instid0(SALU_CYCLE_1)
	s_and_b32 vcc_lo, exec_lo, s5
	s_cbranch_vccz .LBB176_78
; %bb.58:
	s_add_u32 s0, s8, s0
	s_addc_u32 s1, s9, s1
	v_add_co_u32 v0, vcc_lo, s0, v0
	v_add_co_ci_u32_e32 v1, vcc_lo, s1, v1, vcc_lo
	s_mov_b32 s1, 0
	s_delay_alu instid0(VALU_DEP_2) | instskip(NEXT) | instid1(VALU_DEP_2)
	v_add_co_u32 v7, vcc_lo, v0, 4
	v_add_co_ci_u32_e32 v8, vcc_lo, 0, v1, vcc_lo
	s_mov_b32 s4, s1
	s_mov_b32 s6, s1
	s_branch .LBB176_60
.LBB176_59:                             ;   in Loop: Header=BB176_60 Depth=1
	s_cmp_ge_i32 s4, s15
	s_cselect_b32 s0, -1, 0
	s_add_i32 s6, s6, 1
	s_delay_alu instid0(SALU_CYCLE_1) | instskip(SKIP_1) | instid1(SALU_CYCLE_1)
	s_cmp_eq_u32 s6, 3
	s_cselect_b32 s5, -1, 0
	s_or_b32 s0, s0, s5
	s_delay_alu instid0(SALU_CYCLE_1)
	s_and_b32 vcc_lo, exec_lo, s0
	s_cbranch_vccnz .LBB176_78
.LBB176_60:                             ; =>This Loop Header: Depth=1
                                        ;     Child Loop BB176_63 Depth 2
                                        ;       Child Loop BB176_64 Depth 3
                                        ;       Child Loop BB176_67 Depth 3
                                        ;         Child Loop BB176_68 Depth 4
                                        ;       Child Loop BB176_72 Depth 3
                                        ;         Child Loop BB176_74 Depth 4
	s_mov_b32 s7, s1
	s_getpc_b64 s[8:9]
	s_add_u32 s8, s8, __const._ZL30rocblas_trsm_small_left_deviceILi64ELi32ELb1E19rocblas_complex_numIfES1_PKPKS1_PKPS1_Ev13rocblas_fill_18rocblas_operation_17rocblas_diagonal_iiT3_T4_lilT5_lili.step_sizes@rel32@lo+4
	s_addc_u32 s9, s9, __const._ZL30rocblas_trsm_small_left_deviceILi64ELi32ELb1E19rocblas_complex_numIfES1_PKPKS1_PKPS1_Ev13rocblas_fill_18rocblas_operation_17rocblas_diagonal_iiT3_T4_lilT5_lili.step_sizes@rel32@hi+12
	s_lshl_b64 s[10:11], s[6:7], 2
	s_delay_alu instid0(SALU_CYCLE_1) | instskip(SKIP_4) | instid1(SALU_CYCLE_1)
	s_add_u32 s8, s10, s8
	s_addc_u32 s9, s11, s9
	s_load_b32 s8, s[8:9], 0x0
	s_waitcnt lgkmcnt(0)
	s_add_i32 s7, s8, -1
	s_add_i32 s0, s7, s4
	s_delay_alu instid0(SALU_CYCLE_1)
	s_cmp_ge_i32 s0, s15
	s_cbranch_scc1 .LBB176_59
; %bb.61:                               ;   in Loop: Header=BB176_60 Depth=1
	s_ashr_i32 s5, s4, 31
	s_ashr_i32 s9, s8, 31
	s_lshl_b64 s[10:11], s[4:5], 3
	s_max_i32 s14, s8, 1
	v_add_co_u32 v0, vcc_lo, v7, s10
	v_add_co_ci_u32_e32 v1, vcc_lo, s11, v8, vcc_lo
	s_lshl_b64 s[10:11], s[8:9], 3
	s_lshl_b32 s5, s4, 3
	s_lshl_b32 s9, s8, 3
	s_mul_i32 s16, s4, 0x208
	s_mul_i32 s17, s8, 0x208
	s_branch .LBB176_63
.LBB176_62:                             ;   in Loop: Header=BB176_63 Depth=2
	v_add_co_u32 v0, vcc_lo, v0, s10
	s_add_i32 s4, s4, s8
	v_add_co_ci_u32_e32 v1, vcc_lo, s11, v1, vcc_lo
	s_add_i32 s0, s7, s4
	s_add_i32 s5, s5, s9
	;; [unrolled: 1-line block ×3, first 2 shown]
	s_cmp_ge_i32 s0, s15
	s_cbranch_scc1 .LBB176_59
.LBB176_63:                             ;   Parent Loop BB176_60 Depth=1
                                        ; =>  This Loop Header: Depth=2
                                        ;       Child Loop BB176_64 Depth 3
                                        ;       Child Loop BB176_67 Depth 3
                                        ;         Child Loop BB176_68 Depth 4
                                        ;       Child Loop BB176_72 Depth 3
                                        ;         Child Loop BB176_74 Depth 4
	v_dual_mov_b32 v3, v1 :: v_dual_mov_b32 v2, v0
	s_mov_b32 s0, 4
	s_mov_b32 s12, s14
	.p2align	6
.LBB176_64:                             ;   Parent Loop BB176_60 Depth=1
                                        ;     Parent Loop BB176_63 Depth=2
                                        ; =>    This Inner Loop Header: Depth=3
	global_load_b64 v[9:10], v[2:3], off offset:-4
	v_add_co_u32 v2, vcc_lo, v2, 8
	v_add_co_ci_u32_e32 v3, vcc_lo, 0, v3, vcc_lo
	s_add_i32 s12, s12, -1
	s_add_i32 s13, s0, 0
	s_add_i32 s0, s0, 8
	s_cmp_eq_u32 s12, 0
	s_waitcnt vmcnt(0)
	v_mul_f32_e32 v11, s2, v10
	s_delay_alu instid0(VALU_DEP_1) | instskip(NEXT) | instid1(VALU_DEP_1)
	v_dual_mul_f32 v12, s3, v10 :: v_dual_fmac_f32 v11, s3, v9
	v_fma_f32 v10, v9, s2, -v12
	scratch_store_b64 off, v[10:11], s13 offset:-4
	s_cbranch_scc0 .LBB176_64
; %bb.65:                               ;   in Loop: Header=BB176_63 Depth=2
	s_cmp_lt_i32 s4, 1
	s_cbranch_scc1 .LBB176_70
; %bb.66:                               ;   in Loop: Header=BB176_63 Depth=2
	s_mov_b32 s0, 0
	s_mov_b32 s12, s5
	.p2align	6
.LBB176_67:                             ;   Parent Loop BB176_60 Depth=1
                                        ;     Parent Loop BB176_63 Depth=2
                                        ; =>    This Loop Header: Depth=3
                                        ;         Child Loop BB176_68 Depth 4
	s_lshl_b64 s[18:19], s[0:1], 3
	v_mov_b32_e32 v9, v6
	v_add_co_u32 v2, vcc_lo, v4, s18
	v_add_co_ci_u32_e32 v3, vcc_lo, s19, v5, vcc_lo
	s_mov_b32 s13, s12
	s_mov_b32 s18, s14
	global_load_b64 v[2:3], v[2:3], off
	.p2align	6
.LBB176_68:                             ;   Parent Loop BB176_60 Depth=1
                                        ;     Parent Loop BB176_63 Depth=2
                                        ;       Parent Loop BB176_67 Depth=3
                                        ; =>      This Inner Loop Header: Depth=4
	scratch_load_b64 v[10:11], v9, off offset:-4
	v_mov_b32_e32 v12, s13
	s_add_i32 s18, s18, -1
	s_add_i32 s13, s13, 8
	s_cmp_eq_u32 s18, 0
	ds_load_b64 v[12:13], v12
	s_waitcnt vmcnt(1) lgkmcnt(0)
	v_mul_f32_e32 v14, v13, v3
	v_mul_f32_e32 v13, v13, v2
	s_delay_alu instid0(VALU_DEP_1) | instskip(SKIP_1) | instid1(VALU_DEP_1)
	v_fmac_f32_e32 v13, v12, v3
	s_waitcnt vmcnt(0)
	v_sub_f32_e32 v11, v11, v13
	v_fma_f32 v14, v12, v2, -v14
	s_delay_alu instid0(VALU_DEP_1)
	v_sub_f32_e32 v10, v10, v14
	scratch_store_b64 v9, v[10:11], off offset:-4
	v_add_nc_u32_e32 v9, 8, v9
	s_cbranch_scc0 .LBB176_68
; %bb.69:                               ;   in Loop: Header=BB176_67 Depth=3
	s_add_i32 s0, s0, 1
	s_addk_i32 s12, 0x200
	s_cmp_ge_i32 s0, s4
	s_cbranch_scc0 .LBB176_67
.LBB176_70:                             ;   in Loop: Header=BB176_63 Depth=2
	s_mov_b32 s0, 0
	s_mov_b32 s18, s16
	s_branch .LBB176_72
.LBB176_71:                             ;   in Loop: Header=BB176_72 Depth=3
	s_mul_i32 s13, s12, 0x208
	s_lshl_b32 s19, s0, 3
	v_mov_b32_e32 v9, s13
	s_ashr_i32 s13, s12, 31
	s_add_i32 s0, s0, 1
	s_lshl_b64 s[12:13], s[12:13], 3
	s_add_i32 s18, s18, 8
	ds_load_b64 v[9:10], v9
	s_waitcnt vmcnt(0) lgkmcnt(0)
	v_mul_f32_e32 v11, v10, v3
	v_mul_f32_e32 v12, v9, v3
	s_delay_alu instid0(VALU_DEP_2) | instskip(NEXT) | instid1(VALU_DEP_2)
	v_fma_f32 v11, v9, v2, -v11
	v_fmac_f32_e32 v12, v10, v2
	v_add_co_u32 v2, vcc_lo, v4, s12
	v_add_co_ci_u32_e32 v3, vcc_lo, s13, v5, vcc_lo
	s_add_i32 s12, s19, 0
	s_cmp_eq_u32 s0, s14
	scratch_store_b64 off, v[11:12], s12
	global_store_b64 v[2:3], v[11:12], off
	s_cbranch_scc1 .LBB176_62
.LBB176_72:                             ;   Parent Loop BB176_60 Depth=1
                                        ;     Parent Loop BB176_63 Depth=2
                                        ; =>    This Loop Header: Depth=3
                                        ;         Child Loop BB176_74 Depth 4
	s_cmp_lg_u32 s0, 0
	s_cbranch_scc0 .LBB176_76
; %bb.73:                               ;   in Loop: Header=BB176_72 Depth=3
	s_lshl_b32 s12, s0, 3
	v_mov_b32_e32 v10, 0
	s_add_i32 s13, s12, 0
	v_add_nc_u32_e64 v9, s12, 0
	scratch_load_b64 v[2:3], off, s13
	s_add_i32 s12, s0, s4
	s_mov_b32 s13, 0
	s_mov_b32 s19, s18
	.p2align	6
.LBB176_74:                             ;   Parent Loop BB176_60 Depth=1
                                        ;     Parent Loop BB176_63 Depth=2
                                        ;       Parent Loop BB176_72 Depth=3
                                        ; =>      This Inner Loop Header: Depth=4
	scratch_load_b64 v[11:12], v10, off
	v_mov_b32_e32 v13, s19
	s_add_i32 s13, s13, 1
	s_addk_i32 s19, 0x200
	s_cmp_ge_u32 s13, s0
	v_add_nc_u32_e32 v10, 8, v10
	ds_load_b64 v[13:14], v13
	s_waitcnt vmcnt(0) lgkmcnt(0)
	v_mul_f32_e32 v15, v14, v12
	v_mul_f32_e32 v12, v13, v12
	s_delay_alu instid0(VALU_DEP_2) | instskip(NEXT) | instid1(VALU_DEP_2)
	v_fma_f32 v13, v13, v11, -v15
	v_fmac_f32_e32 v12, v14, v11
	s_delay_alu instid0(VALU_DEP_1)
	v_dual_sub_f32 v2, v2, v13 :: v_dual_sub_f32 v3, v3, v12
	scratch_store_b64 v9, v[2:3], off
	s_cbranch_scc0 .LBB176_74
; %bb.75:                               ;   in Loop: Header=BB176_72 Depth=3
	s_branch .LBB176_71
.LBB176_76:                             ;   in Loop: Header=BB176_72 Depth=3
                                        ; implicit-def: $vgpr2
                                        ; implicit-def: $sgpr12
	s_cbranch_execz .LBB176_71
; %bb.77:                               ;   in Loop: Header=BB176_72 Depth=3
	scratch_load_b64 v[2:3], off, off
	s_mov_b32 s12, s4
	s_branch .LBB176_71
.LBB176_78:
	s_endpgm
	.section	.rodata,"a",@progbits
	.p2align	6, 0x0
	.amdhsa_kernel _ZL30rocblas_trsm_small_left_deviceILi64ELi32ELb1E19rocblas_complex_numIfES1_PKPKS1_PKPS1_Ev13rocblas_fill_18rocblas_operation_17rocblas_diagonal_iiT3_T4_lilT5_lili
		.amdhsa_group_segment_fixed_size 32768
		.amdhsa_private_segment_fixed_size 272
		.amdhsa_kernarg_size 360
		.amdhsa_user_sgpr_count 14
		.amdhsa_user_sgpr_dispatch_ptr 0
		.amdhsa_user_sgpr_queue_ptr 0
		.amdhsa_user_sgpr_kernarg_segment_ptr 1
		.amdhsa_user_sgpr_dispatch_id 0
		.amdhsa_user_sgpr_private_segment_size 0
		.amdhsa_wavefront_size32 1
		.amdhsa_uses_dynamic_stack 0
		.amdhsa_enable_private_segment 1
		.amdhsa_system_sgpr_workgroup_id_x 1
		.amdhsa_system_sgpr_workgroup_id_y 0
		.amdhsa_system_sgpr_workgroup_id_z 1
		.amdhsa_system_sgpr_workgroup_info 0
		.amdhsa_system_vgpr_workitem_id 0
		.amdhsa_next_free_vgpr 16
		.amdhsa_next_free_sgpr 34
		.amdhsa_reserve_vcc 1
		.amdhsa_float_round_mode_32 0
		.amdhsa_float_round_mode_16_64 0
		.amdhsa_float_denorm_mode_32 3
		.amdhsa_float_denorm_mode_16_64 3
		.amdhsa_dx10_clamp 1
		.amdhsa_ieee_mode 1
		.amdhsa_fp16_overflow 0
		.amdhsa_workgroup_processor_mode 1
		.amdhsa_memory_ordered 1
		.amdhsa_forward_progress 0
		.amdhsa_shared_vgpr_count 0
		.amdhsa_exception_fp_ieee_invalid_op 0
		.amdhsa_exception_fp_denorm_src 0
		.amdhsa_exception_fp_ieee_div_zero 0
		.amdhsa_exception_fp_ieee_overflow 0
		.amdhsa_exception_fp_ieee_underflow 0
		.amdhsa_exception_fp_ieee_inexact 0
		.amdhsa_exception_int_div_zero 0
	.end_amdhsa_kernel
	.section	.text._ZL30rocblas_trsm_small_left_deviceILi64ELi32ELb1E19rocblas_complex_numIfES1_PKPKS1_PKPS1_Ev13rocblas_fill_18rocblas_operation_17rocblas_diagonal_iiT3_T4_lilT5_lili,"axG",@progbits,_ZL30rocblas_trsm_small_left_deviceILi64ELi32ELb1E19rocblas_complex_numIfES1_PKPKS1_PKPS1_Ev13rocblas_fill_18rocblas_operation_17rocblas_diagonal_iiT3_T4_lilT5_lili,comdat
.Lfunc_end176:
	.size	_ZL30rocblas_trsm_small_left_deviceILi64ELi32ELb1E19rocblas_complex_numIfES1_PKPKS1_PKPS1_Ev13rocblas_fill_18rocblas_operation_17rocblas_diagonal_iiT3_T4_lilT5_lili, .Lfunc_end176-_ZL30rocblas_trsm_small_left_deviceILi64ELi32ELb1E19rocblas_complex_numIfES1_PKPKS1_PKPS1_Ev13rocblas_fill_18rocblas_operation_17rocblas_diagonal_iiT3_T4_lilT5_lili
                                        ; -- End function
	.section	.AMDGPU.csdata,"",@progbits
; Kernel info:
; codeLenInByte = 3100
; NumSgprs: 36
; NumVgprs: 16
; ScratchSize: 272
; MemoryBound: 0
; FloatMode: 240
; IeeeMode: 1
; LDSByteSize: 32768 bytes/workgroup (compile time only)
; SGPRBlocks: 4
; VGPRBlocks: 1
; NumSGPRsForWavesPerEU: 36
; NumVGPRsForWavesPerEU: 16
; Occupancy: 2
; WaveLimiterHint : 1
; COMPUTE_PGM_RSRC2:SCRATCH_EN: 1
; COMPUTE_PGM_RSRC2:USER_SGPR: 14
; COMPUTE_PGM_RSRC2:TRAP_HANDLER: 0
; COMPUTE_PGM_RSRC2:TGID_X_EN: 1
; COMPUTE_PGM_RSRC2:TGID_Y_EN: 0
; COMPUTE_PGM_RSRC2:TGID_Z_EN: 1
; COMPUTE_PGM_RSRC2:TIDIG_COMP_CNT: 0
	.section	.text._ZL31rocblas_trsm_small_right_deviceI19rocblas_complex_numIfES1_PKPKS1_PKPS1_Li64EEv13rocblas_fill_18rocblas_operation_17rocblas_diagonal_iiT0_T1_lilT2_lili,"axG",@progbits,_ZL31rocblas_trsm_small_right_deviceI19rocblas_complex_numIfES1_PKPKS1_PKPS1_Li64EEv13rocblas_fill_18rocblas_operation_17rocblas_diagonal_iiT0_T1_lilT2_lili,comdat
	.globl	_ZL31rocblas_trsm_small_right_deviceI19rocblas_complex_numIfES1_PKPKS1_PKPS1_Li64EEv13rocblas_fill_18rocblas_operation_17rocblas_diagonal_iiT0_T1_lilT2_lili ; -- Begin function _ZL31rocblas_trsm_small_right_deviceI19rocblas_complex_numIfES1_PKPKS1_PKPS1_Li64EEv13rocblas_fill_18rocblas_operation_17rocblas_diagonal_iiT0_T1_lilT2_lili
	.p2align	8
	.type	_ZL31rocblas_trsm_small_right_deviceI19rocblas_complex_numIfES1_PKPKS1_PKPS1_Li64EEv13rocblas_fill_18rocblas_operation_17rocblas_diagonal_iiT0_T1_lilT2_lili,@function
_ZL31rocblas_trsm_small_right_deviceI19rocblas_complex_numIfES1_PKPKS1_PKPS1_Li64EEv13rocblas_fill_18rocblas_operation_17rocblas_diagonal_iiT0_T1_lilT2_lili: ; @_ZL31rocblas_trsm_small_right_deviceI19rocblas_complex_numIfES1_PKPKS1_PKPS1_Li64EEv13rocblas_fill_18rocblas_operation_17rocblas_diagonal_iiT0_T1_lilT2_lili
; %bb.0:
	s_clause 0x1
	s_load_b128 s[16:19], s[0:1], 0x40
	s_load_b256 s[4:11], s[0:1], 0x0
	s_mov_b32 s12, s15
	s_mov_b32 s13, 0
	s_load_b32 s15, s[0:1], 0x68
	s_lshl_b64 s[24:25], s[12:13], 3
	s_mov_b32 s31, exec_lo
	s_waitcnt lgkmcnt(0)
	s_add_u32 s2, s16, s24
	s_addc_u32 s3, s17, s25
	s_min_i32 s11, s8, 64
	s_load_b64 s[2:3], s[2:3], 0x0
	s_add_i32 s30, s11, -1
	v_cmpx_gt_i32_e64 s11, v0
	s_cbranch_execz .LBB177_29
; %bb.1:
	s_clause 0x1
	s_load_b32 s16, s[0:1], 0x30
	s_load_b128 s[20:23], s[0:1], 0x20
	s_waitcnt lgkmcnt(0)
	s_ashr_i32 s17, s16, 31
	s_cmpk_lg_i32 s5, 0x71
	s_cselect_b32 s12, -1, 0
	s_add_u32 s20, s20, s24
	s_addc_u32 s21, s21, s25
	v_cndmask_b32_e64 v7, 0, 1, s12
	s_load_b64 s[20:21], s[20:21], 0x0
	s_cmp_lt_u32 s30, 3
	s_cbranch_scc1 .LBB177_20
; %bb.2:
	v_lshlrev_b32_e32 v8, 3, v0
	s_lshl_b64 s[24:25], s[22:23], 3
	s_mul_hi_i32 s33, s16, 24
	s_waitcnt lgkmcnt(0)
	s_add_u32 s13, s20, s24
	s_addc_u32 s24, s21, s25
	v_add_co_u32 v1, s13, s13, v8
	s_delay_alu instid0(VALU_DEP_1)
	v_add_co_ci_u32_e64 v2, null, s24, 0, s13
	s_and_b32 s13, s11, -4
	s_mul_i32 s34, s16, 24
	s_lshl_b64 s[24:25], s[16:17], 5
	s_lshl_b64 s[26:27], s[16:17], 4
	;; [unrolled: 1-line block ×3, first 2 shown]
	s_mov_b32 s35, 0
	s_branch .LBB177_4
.LBB177_3:                              ;   in Loop: Header=BB177_4 Depth=1
	global_load_b32 v3, v[5:6], off
	v_add_co_u32 v1, vcc_lo, v1, s24
	v_add_co_ci_u32_e32 v2, vcc_lo, s25, v2, vcc_lo
	s_add_i32 s35, s35, 4
	s_delay_alu instid0(SALU_CYCLE_1)
	s_cmp_eq_u32 s13, s35
	s_waitcnt vmcnt(0)
	ds_store_b64 v8, v[3:4] offset:1536
	v_add_nc_u32_e32 v8, 0x800, v8
	s_cbranch_scc1 .LBB177_20
.LBB177_4:                              ; =>This Inner Loop Header: Depth=1
	s_and_b32 vcc_lo, exec_lo, s12
	s_cbranch_vccz .LBB177_6
; %bb.5:                                ;   in Loop: Header=BB177_4 Depth=1
	global_load_b32 v4, v[1:2], off offset:4
	s_cbranch_execz .LBB177_7
	s_branch .LBB177_8
.LBB177_6:                              ;   in Loop: Header=BB177_4 Depth=1
                                        ; implicit-def: $vgpr4
.LBB177_7:                              ;   in Loop: Header=BB177_4 Depth=1
	global_load_b32 v3, v[1:2], off offset:4
	s_waitcnt vmcnt(0)
	v_xor_b32_e32 v4, 0x80000000, v3
.LBB177_8:                              ;   in Loop: Header=BB177_4 Depth=1
	global_load_b32 v3, v[1:2], off
	v_add_co_u32 v5, vcc_lo, v1, s28
	v_add_co_ci_u32_e32 v6, vcc_lo, s29, v2, vcc_lo
	s_and_not1_b32 vcc_lo, exec_lo, s12
	s_waitcnt vmcnt(0)
	ds_store_b64 v8, v[3:4]
	s_cbranch_vccnz .LBB177_10
; %bb.9:                                ;   in Loop: Header=BB177_4 Depth=1
	global_load_b32 v4, v[5:6], off offset:4
	s_cbranch_execz .LBB177_11
	s_branch .LBB177_12
.LBB177_10:                             ;   in Loop: Header=BB177_4 Depth=1
                                        ; implicit-def: $vgpr4
.LBB177_11:                             ;   in Loop: Header=BB177_4 Depth=1
	global_load_b32 v3, v[5:6], off offset:4
	s_waitcnt vmcnt(0)
	v_xor_b32_e32 v4, 0x80000000, v3
.LBB177_12:                             ;   in Loop: Header=BB177_4 Depth=1
	global_load_b32 v3, v[5:6], off
	v_add_co_u32 v5, vcc_lo, v1, s26
	v_add_co_ci_u32_e32 v6, vcc_lo, s27, v2, vcc_lo
	s_and_not1_b32 vcc_lo, exec_lo, s12
	s_waitcnt vmcnt(0)
	ds_store_b64 v8, v[3:4] offset:512
	s_cbranch_vccnz .LBB177_14
; %bb.13:                               ;   in Loop: Header=BB177_4 Depth=1
	global_load_b32 v4, v[5:6], off offset:4
	s_cbranch_execz .LBB177_15
	s_branch .LBB177_16
.LBB177_14:                             ;   in Loop: Header=BB177_4 Depth=1
                                        ; implicit-def: $vgpr4
.LBB177_15:                             ;   in Loop: Header=BB177_4 Depth=1
	global_load_b32 v3, v[5:6], off offset:4
	s_waitcnt vmcnt(0)
	v_xor_b32_e32 v4, 0x80000000, v3
.LBB177_16:                             ;   in Loop: Header=BB177_4 Depth=1
	global_load_b32 v3, v[5:6], off
	v_add_co_u32 v5, vcc_lo, v1, s34
	v_add_co_ci_u32_e32 v6, vcc_lo, s33, v2, vcc_lo
	s_and_not1_b32 vcc_lo, exec_lo, s12
	s_waitcnt vmcnt(0)
	ds_store_b64 v8, v[3:4] offset:1024
	s_cbranch_vccnz .LBB177_18
; %bb.17:                               ;   in Loop: Header=BB177_4 Depth=1
	global_load_b32 v4, v[5:6], off offset:4
	s_cbranch_execnz .LBB177_3
	s_branch .LBB177_19
.LBB177_18:                             ;   in Loop: Header=BB177_4 Depth=1
                                        ; implicit-def: $vgpr4
.LBB177_19:                             ;   in Loop: Header=BB177_4 Depth=1
	global_load_b32 v3, v[5:6], off offset:4
	s_waitcnt vmcnt(0)
	v_xor_b32_e32 v4, 0x80000000, v3
	s_branch .LBB177_3
.LBB177_20:
	s_and_b32 s24, s11, 3
	s_delay_alu instid0(SALU_CYCLE_1)
	s_cmp_eq_u32 s24, 0
	s_cbranch_scc1 .LBB177_27
; %bb.21:
	s_mul_i32 s12, s17, s13
	s_mul_hi_u32 s25, s16, s13
	s_mul_i32 s26, s16, s13
	s_add_i32 s27, s25, s12
	s_lshl_b64 s[22:23], s[22:23], 3
	s_lshl_b64 s[26:27], s[26:27], 3
	v_lshlrev_b32_e32 v1, 3, v0
	s_add_u32 s12, s26, s22
	s_addc_u32 s22, s27, s23
	s_waitcnt lgkmcnt(0)
	s_add_u32 s12, s20, s12
	s_addc_u32 s20, s21, s22
	v_add_co_u32 v2, s12, s12, v1
	s_delay_alu instid0(VALU_DEP_1) | instskip(SKIP_1) | instid1(VALU_DEP_3)
	v_add_co_ci_u32_e64 v3, null, s20, 0, s12
	v_lshl_or_b32 v5, s13, 9, v1
	v_add_co_u32 v1, vcc_lo, v2, 4
	s_delay_alu instid0(VALU_DEP_3)
	v_add_co_ci_u32_e32 v2, vcc_lo, 0, v3, vcc_lo
	s_lshl_b64 s[12:13], s[16:17], 3
	s_set_inst_prefetch_distance 0x1
	s_branch .LBB177_23
	.p2align	6
.LBB177_22:                             ;   in Loop: Header=BB177_23 Depth=1
	global_load_b32 v3, v[1:2], off offset:-4
	v_add_co_u32 v1, vcc_lo, v1, s12
	v_add_co_ci_u32_e32 v2, vcc_lo, s13, v2, vcc_lo
	s_add_i32 s24, s24, -1
	s_delay_alu instid0(SALU_CYCLE_1)
	s_cmp_lg_u32 s24, 0
	s_waitcnt vmcnt(0)
	ds_store_b64 v5, v[3:4]
	v_add_nc_u32_e32 v5, 0x200, v5
	s_cbranch_scc0 .LBB177_27
.LBB177_23:                             ; =>This Inner Loop Header: Depth=1
	v_cmp_ne_u32_e32 vcc_lo, 1, v7
	s_mov_b32 s16, -1
                                        ; implicit-def: $vgpr4
	s_cbranch_vccnz .LBB177_25
; %bb.24:                               ;   in Loop: Header=BB177_23 Depth=1
	global_load_b32 v4, v[1:2], off
	s_mov_b32 s16, 0
.LBB177_25:                             ;   in Loop: Header=BB177_23 Depth=1
	s_delay_alu instid0(SALU_CYCLE_1)
	s_and_not1_b32 vcc_lo, exec_lo, s16
	s_cbranch_vccnz .LBB177_22
; %bb.26:                               ;   in Loop: Header=BB177_23 Depth=1
	global_load_b32 v3, v[1:2], off
	s_waitcnt vmcnt(0)
	v_xor_b32_e32 v4, 0x80000000, v3
	s_branch .LBB177_22
.LBB177_27:
	s_set_inst_prefetch_distance 0x2
	s_cmpk_eq_i32 s6, 0x84
	s_cbranch_scc0 .LBB177_29
; %bb.28:
	v_mul_u32_u24_e32 v2, 0x41, v0
	v_mov_b32_e32 v1, 1.0
	s_delay_alu instid0(VALU_DEP_2)
	v_dual_mov_b32 v2, 0 :: v_dual_lshlrev_b32 v3, 3, v2
	ds_store_b64 v3, v[1:2]
.LBB177_29:
	s_or_b32 exec_lo, exec_lo, s31
	s_lshl_b64 s[12:13], s[18:19], 3
	s_load_b32 s0, s[0:1], 0x50
	s_waitcnt lgkmcnt(0)
	s_add_u32 s1, s2, s12
	s_addc_u32 s16, s3, s13
	s_lshl_b32 s6, s14, 6
	s_add_i32 s15, s15, -1
	s_sub_i32 s6, s7, s6
	s_cmp_ge_u32 s14, s15
	s_mov_b32 s22, 0
	s_cselect_b32 s17, s6, 64
	s_ashr_i32 s15, s14, 31
	v_cmp_gt_i32_e32 vcc_lo, s17, v0
	s_lshl_b64 s[6:7], s[14:15], 9
	s_delay_alu instid0(SALU_CYCLE_1) | instskip(SKIP_3) | instid1(SALU_CYCLE_1)
	s_add_u32 s18, s1, s6
	s_addc_u32 s19, s16, s7
	s_cmp_gt_i32 s8, 0
	s_cselect_b32 s1, -1, 0
	s_and_b32 s20, vcc_lo, s1
	s_delay_alu instid0(SALU_CYCLE_1)
	s_and_saveexec_b32 s21, s20
	s_cbranch_execz .LBB177_36
; %bb.30:
	s_ashr_i32 s1, s0, 31
	s_cmp_lt_u32 s8, 4
	s_cbranch_scc1 .LBB177_33
; %bb.31:
	v_lshlrev_b32_e32 v1, 3, v0
	v_lshl_or_b32 v3, v0, 3, 0x8000
	s_and_b32 s22, s8, 0x7ffffffc
	s_lshl_b64 s[16:17], s[0:1], 3
	s_mov_b32 s23, 0
	v_add_co_u32 v1, s14, s18, v1
	s_delay_alu instid0(VALU_DEP_1)
	v_add_co_ci_u32_e64 v2, null, s19, 0, s14
	s_lshl_b64 s[14:15], s[0:1], 5
.LBB177_32:                             ; =>This Inner Loop Header: Depth=1
	s_delay_alu instid0(VALU_DEP_2) | instskip(NEXT) | instid1(VALU_DEP_2)
	v_add_co_u32 v4, vcc_lo, v1, s16
	v_add_co_ci_u32_e32 v5, vcc_lo, s17, v2, vcc_lo
	global_load_b64 v[6:7], v[1:2], off
	v_add_co_u32 v8, vcc_lo, v4, s16
	v_add_co_ci_u32_e32 v9, vcc_lo, s17, v5, vcc_lo
	global_load_b64 v[4:5], v[4:5], off
	v_add_co_u32 v10, vcc_lo, v8, s16
	v_add_co_ci_u32_e32 v11, vcc_lo, s17, v9, vcc_lo
	v_add_co_u32 v1, vcc_lo, v1, s14
	s_clause 0x1
	global_load_b64 v[8:9], v[8:9], off
	global_load_b64 v[10:11], v[10:11], off
	v_add_co_ci_u32_e32 v2, vcc_lo, s15, v2, vcc_lo
	s_add_i32 s23, s23, 4
	s_delay_alu instid0(SALU_CYCLE_1)
	s_cmp_lg_u32 s22, s23
	s_waitcnt vmcnt(3)
	v_mul_f32_e32 v12, s10, v7
	s_waitcnt vmcnt(2)
	v_dual_mul_f32 v13, s9, v7 :: v_dual_mul_f32 v14, s10, v5
	v_mul_f32_e32 v7, s9, v5
	s_delay_alu instid0(VALU_DEP_3) | instskip(NEXT) | instid1(VALU_DEP_3)
	v_fma_f32 v12, s9, v6, -v12
	v_fmac_f32_e32 v13, s10, v6
	s_delay_alu instid0(VALU_DEP_4)
	v_fma_f32 v6, s9, v4, -v14
	s_waitcnt vmcnt(0)
	v_dual_fmac_f32 v7, s10, v4 :: v_dual_mul_f32 v14, s10, v11
	v_mul_f32_e32 v4, s10, v9
	v_mul_f32_e32 v5, s9, v9
	;; [unrolled: 1-line block ×3, first 2 shown]
	s_delay_alu instid0(VALU_DEP_3) | instskip(NEXT) | instid1(VALU_DEP_3)
	v_fma_f32 v4, s9, v8, -v4
	v_fmac_f32_e32 v5, s10, v8
	v_fma_f32 v8, s9, v10, -v14
	s_delay_alu instid0(VALU_DEP_4)
	v_fmac_f32_e32 v9, s10, v10
	ds_store_2addr_stride64_b64 v3, v[12:13], v[6:7] offset1:1
	ds_store_2addr_stride64_b64 v3, v[4:5], v[8:9] offset0:2 offset1:3
	v_add_nc_u32_e32 v3, 0x800, v3
	s_cbranch_scc1 .LBB177_32
.LBB177_33:
	s_and_b32 s16, s8, 3
	s_delay_alu instid0(SALU_CYCLE_1)
	s_cmp_eq_u32 s16, 0
	s_cbranch_scc1 .LBB177_36
; %bb.34:
	s_mul_hi_i32 s15, s0, s22
	s_mul_i32 s14, s0, s22
	v_lshlrev_b32_e32 v1, 3, v0
	s_lshl_b64 s[14:15], s[14:15], 3
	s_delay_alu instid0(SALU_CYCLE_1)
	s_add_u32 s14, s14, s6
	s_addc_u32 s15, s15, s7
	s_add_u32 s14, s14, s12
	s_addc_u32 s15, s15, s13
	s_add_u32 s14, s2, s14
	v_lshl_or_b32 v2, s22, 9, v1
	s_addc_u32 s15, s3, s15
	v_add_co_u32 v1, s14, s14, v1
	s_delay_alu instid0(VALU_DEP_1) | instskip(NEXT) | instid1(VALU_DEP_3)
	v_add_co_ci_u32_e64 v4, null, s15, 0, s14
	v_add_nc_u32_e32 v3, 0x8000, v2
	s_delay_alu instid0(VALU_DEP_3) | instskip(NEXT) | instid1(VALU_DEP_3)
	v_add_co_u32 v1, vcc_lo, v1, 4
	v_add_co_ci_u32_e32 v2, vcc_lo, 0, v4, vcc_lo
	s_lshl_b64 s[14:15], s[0:1], 3
	.p2align	6
.LBB177_35:                             ; =>This Inner Loop Header: Depth=1
	global_load_b64 v[4:5], v[1:2], off offset:-4
	v_add_co_u32 v1, vcc_lo, v1, s14
	v_add_co_ci_u32_e32 v2, vcc_lo, s15, v2, vcc_lo
	s_add_i32 s16, s16, -1
	s_delay_alu instid0(SALU_CYCLE_1) | instskip(SKIP_2) | instid1(VALU_DEP_1)
	s_cmp_lg_u32 s16, 0
	s_waitcnt vmcnt(0)
	v_mul_f32_e32 v6, s9, v5
	v_dual_mul_f32 v7, s10, v5 :: v_dual_fmac_f32 v6, s10, v4
	s_delay_alu instid0(VALU_DEP_1)
	v_fma_f32 v5, s9, v4, -v7
	ds_store_b64 v3, v[5:6]
	v_add_nc_u32_e32 v3, 0x200, v3
	s_cbranch_scc1 .LBB177_35
.LBB177_36:
	s_or_b32 exec_lo, exec_lo, s21
	s_cmpk_eq_i32 s5, 0x6f
	s_waitcnt lgkmcnt(0)
	s_cselect_b32 s1, -1, 0
	s_cmpk_eq_i32 s4, 0x79
	s_barrier
	s_cselect_b32 s9, -1, 0
	s_cmpk_lg_i32 s4, 0x79
	buffer_gl0_inv
	s_cselect_b32 s5, -1, 0
	s_and_b32 s9, s9, s1
	s_delay_alu instid0(SALU_CYCLE_1)
	s_and_not1_b32 vcc_lo, exec_lo, s9
	s_mov_b32 s9, -1
	s_cbranch_vccz .LBB177_144
; %bb.37:
	s_cmpk_lg_i32 s4, 0x7a
	s_cselect_b32 s4, -1, 0
	s_xor_b32 s1, s1, -1
	s_delay_alu instid0(SALU_CYCLE_1)
	s_or_b32 s4, s4, s1
	s_cmp_gt_i32 s8, 3
	s_cselect_b32 s1, -1, 0
	s_and_b32 vcc_lo, exec_lo, s4
	s_mov_b32 s4, -1
	s_cbranch_vccz .LBB177_111
; %bb.38:
	s_and_not1_b32 vcc_lo, exec_lo, s5
	s_cbranch_vccnz .LBB177_78
; %bb.39:
	s_and_not1_b32 vcc_lo, exec_lo, s1
	s_mov_b32 s9, 0
	s_cbranch_vccnz .LBB177_62
; %bb.40:
	v_lshl_or_b32 v13, v0, 3, 0x8000
	s_mov_b32 s4, 0
	s_mov_b32 s5, 0
.LBB177_41:                             ; =>This Loop Header: Depth=1
                                        ;     Child Loop BB177_43 Depth 2
	s_delay_alu instid0(SALU_CYCLE_1)
	s_lshl_b32 s9, s5, 6
	s_lshl_b32 s14, s5, 9
	s_or_b32 s10, s9, 64
	v_or_b32_e32 v1, s9, v0
	s_bitset1_b32 s9, 7
	v_or_b32_e32 v2, s10, v0
	v_or_b32_e32 v5, s9, v0
	v_lshl_or_b32 v10, v0, 3, s14
	v_lshlrev_b32_e32 v3, 3, v1
	s_cmp_eq_u32 s5, 0
	v_lshlrev_b32_e32 v4, 3, v2
	v_lshlrev_b32_e32 v9, 3, v5
	ds_load_b64 v[1:2], v3 offset:32768
	ds_load_b64 v[11:12], v4 offset:32768
	ds_load_b64 v[7:8], v9 offset:32768
	ds_load_b64 v[5:6], v10 offset:34304
	s_cbranch_scc1 .LBB177_44
; %bb.42:                               ;   in Loop: Header=BB177_41 Depth=1
	v_mov_b32_e32 v14, v13
	s_mov_b32 s14, 0
	s_mov_b32 s15, s4
.LBB177_43:                             ;   Parent Loop BB177_41 Depth=1
                                        ; =>  This Inner Loop Header: Depth=2
	s_delay_alu instid0(SALU_CYCLE_1)
	v_mov_b32_e32 v31, s15
	ds_load_2addr_stride64_b64 v[15:18], v14 offset1:1
	v_add_nc_u32_e32 v14, 0x400, v14
	s_add_i32 s14, s14, 2
	s_addk_i32 s15, 0x400
	ds_load_b128 v[19:22], v31
	ds_load_b128 v[23:26], v31 offset:16
	ds_load_b128 v[27:30], v31 offset:512
	;; [unrolled: 1-line block ×3, first 2 shown]
	s_cmp_ge_u32 s14, s5
	s_waitcnt lgkmcnt(3)
	v_mul_f32_e32 v36, v19, v16
	v_mul_f32_e32 v37, v22, v16
	v_dual_mul_f32 v35, v20, v16 :: v_dual_mul_f32 v22, v22, v15
	s_waitcnt lgkmcnt(1)
	v_dual_mul_f32 v38, v24, v16 :: v_dual_mul_f32 v41, v27, v18
	v_dual_mul_f32 v24, v24, v15 :: v_dual_mul_f32 v39, v26, v16
	v_mul_f32_e32 v40, v28, v18
	s_waitcnt lgkmcnt(0)
	v_mul_f32_e32 v43, v32, v18
	v_fmac_f32_e32 v36, v20, v15
	v_fma_f32 v20, v21, v15, -v37
	v_dual_mul_f32 v26, v26, v15 :: v_dual_fmac_f32 v41, v28, v17
	v_fma_f32 v19, v19, v15, -v35
	v_mul_f32_e32 v42, v30, v18
	s_delay_alu instid0(VALU_DEP_4)
	v_dual_mul_f32 v30, v30, v17 :: v_dual_sub_f32 v11, v11, v20
	v_fmac_f32_e32 v22, v21, v16
	v_fma_f32 v21, v23, v15, -v38
	v_mul_f32_e32 v44, v34, v18
	v_fma_f32 v15, v25, v15, -v39
	v_mul_f32_e32 v32, v32, v17
	v_fmac_f32_e32 v26, v25, v16
	v_fma_f32 v25, v31, v17, -v43
	v_sub_f32_e32 v1, v1, v19
	v_dual_sub_f32 v5, v5, v15 :: v_dual_fmac_f32 v24, v23, v16
	v_fma_f32 v16, v27, v17, -v40
	v_mul_f32_e32 v34, v34, v17
	v_fma_f32 v23, v29, v17, -v42
	v_sub_f32_e32 v7, v7, v21
	v_fma_f32 v17, v33, v17, -v44
	v_sub_f32_e32 v1, v1, v16
	v_fmac_f32_e32 v30, v29, v18
	v_fmac_f32_e32 v32, v31, v18
	;; [unrolled: 1-line block ×3, first 2 shown]
	v_dual_sub_f32 v6, v6, v26 :: v_dual_sub_f32 v11, v11, v23
	v_dual_sub_f32 v12, v12, v22 :: v_dual_sub_f32 v7, v7, v25
	v_dual_sub_f32 v2, v2, v36 :: v_dual_sub_f32 v5, v5, v17
	v_sub_f32_e32 v8, v8, v24
	s_delay_alu instid0(VALU_DEP_3) | instskip(SKIP_1) | instid1(VALU_DEP_4)
	v_sub_f32_e32 v12, v12, v30
	v_sub_f32_e32 v6, v6, v34
	;; [unrolled: 1-line block ×3, first 2 shown]
	s_delay_alu instid0(VALU_DEP_4)
	v_sub_f32_e32 v8, v8, v32
	s_cbranch_scc0 .LBB177_43
.LBB177_44:                             ;   in Loop: Header=BB177_41 Depth=1
	s_mul_i32 s14, s5, 0x208
	v_add_nc_u32_e32 v17, 0x8000, v3
	v_dual_mov_b32 v3, s14 :: v_dual_add_nc_u32 v16, 0x8000, v4
	v_add_nc_u32_e32 v15, 0x8000, v9
	v_add_nc_u32_e32 v14, 0x8600, v10
	ds_load_b64 v[3:4], v3
	s_waitcnt lgkmcnt(0)
	v_cmp_gt_f32_e32 vcc_lo, 0, v3
	v_cndmask_b32_e64 v9, v3, -v3, vcc_lo
	v_cmp_gt_f32_e32 vcc_lo, 0, v4
	v_cndmask_b32_e64 v10, v4, -v4, vcc_lo
	s_delay_alu instid0(VALU_DEP_1)
	v_cmp_ngt_f32_e32 vcc_lo, v9, v10
	s_cbranch_vccz .LBB177_46
; %bb.45:                               ;   in Loop: Header=BB177_41 Depth=1
	v_div_scale_f32 v9, null, v4, v4, v3
	v_div_scale_f32 v19, vcc_lo, v3, v4, v3
	s_delay_alu instid0(VALU_DEP_2) | instskip(SKIP_2) | instid1(VALU_DEP_1)
	v_rcp_f32_e32 v10, v9
	s_waitcnt_depctr 0xfff
	v_fma_f32 v18, -v9, v10, 1.0
	v_fmac_f32_e32 v10, v18, v10
	s_delay_alu instid0(VALU_DEP_1) | instskip(NEXT) | instid1(VALU_DEP_1)
	v_mul_f32_e32 v18, v19, v10
	v_fma_f32 v20, -v9, v18, v19
	s_delay_alu instid0(VALU_DEP_1) | instskip(NEXT) | instid1(VALU_DEP_1)
	v_fmac_f32_e32 v18, v20, v10
	v_fma_f32 v9, -v9, v18, v19
	s_delay_alu instid0(VALU_DEP_1) | instskip(NEXT) | instid1(VALU_DEP_1)
	v_div_fmas_f32 v9, v9, v10, v18
	v_div_fixup_f32 v9, v9, v4, v3
	s_delay_alu instid0(VALU_DEP_1) | instskip(NEXT) | instid1(VALU_DEP_1)
	v_fma_f32 v10, v3, v9, v4
	v_div_scale_f32 v18, null, v10, v10, 1.0
	v_div_scale_f32 v21, vcc_lo, 1.0, v10, 1.0
	s_delay_alu instid0(VALU_DEP_2) | instskip(SKIP_2) | instid1(VALU_DEP_1)
	v_rcp_f32_e32 v19, v18
	s_waitcnt_depctr 0xfff
	v_fma_f32 v20, -v18, v19, 1.0
	v_fmac_f32_e32 v19, v20, v19
	s_delay_alu instid0(VALU_DEP_1) | instskip(NEXT) | instid1(VALU_DEP_1)
	v_mul_f32_e32 v20, v21, v19
	v_fma_f32 v22, -v18, v20, v21
	s_delay_alu instid0(VALU_DEP_1) | instskip(NEXT) | instid1(VALU_DEP_1)
	v_fmac_f32_e32 v20, v22, v19
	v_fma_f32 v18, -v18, v20, v21
	s_delay_alu instid0(VALU_DEP_1) | instskip(SKIP_1) | instid1(VALU_DEP_2)
	v_div_fmas_f32 v18, v18, v19, v20
	v_fma_f32 v19, v1, v9, v2
	v_div_fixup_f32 v10, v18, v10, 1.0
	v_fma_f32 v18, v2, v9, -v1
	s_delay_alu instid0(VALU_DEP_2) | instskip(NEXT) | instid1(VALU_DEP_2)
	v_mul_f32_e32 v9, v19, v10
	v_mul_f32_e32 v10, v18, v10
	s_cbranch_execz .LBB177_47
	s_branch .LBB177_48
.LBB177_46:                             ;   in Loop: Header=BB177_41 Depth=1
                                        ; implicit-def: $vgpr10
.LBB177_47:                             ;   in Loop: Header=BB177_41 Depth=1
	v_div_scale_f32 v9, null, v3, v3, v4
	v_div_scale_f32 v19, vcc_lo, v4, v3, v4
	s_delay_alu instid0(VALU_DEP_2) | instskip(SKIP_2) | instid1(VALU_DEP_1)
	v_rcp_f32_e32 v10, v9
	s_waitcnt_depctr 0xfff
	v_fma_f32 v18, -v9, v10, 1.0
	v_fmac_f32_e32 v10, v18, v10
	s_delay_alu instid0(VALU_DEP_1) | instskip(NEXT) | instid1(VALU_DEP_1)
	v_mul_f32_e32 v18, v19, v10
	v_fma_f32 v20, -v9, v18, v19
	s_delay_alu instid0(VALU_DEP_1) | instskip(NEXT) | instid1(VALU_DEP_1)
	v_fmac_f32_e32 v18, v20, v10
	v_fma_f32 v9, -v9, v18, v19
	s_delay_alu instid0(VALU_DEP_1) | instskip(NEXT) | instid1(VALU_DEP_1)
	v_div_fmas_f32 v9, v9, v10, v18
	v_div_fixup_f32 v9, v9, v3, v4
	s_delay_alu instid0(VALU_DEP_1) | instskip(NEXT) | instid1(VALU_DEP_1)
	v_fmac_f32_e32 v3, v4, v9
	v_div_scale_f32 v4, null, v3, v3, 1.0
	v_div_scale_f32 v19, vcc_lo, 1.0, v3, 1.0
	s_delay_alu instid0(VALU_DEP_2) | instskip(SKIP_2) | instid1(VALU_DEP_1)
	v_rcp_f32_e32 v10, v4
	s_waitcnt_depctr 0xfff
	v_fma_f32 v18, -v4, v10, 1.0
	v_fmac_f32_e32 v10, v18, v10
	s_delay_alu instid0(VALU_DEP_1) | instskip(NEXT) | instid1(VALU_DEP_1)
	v_mul_f32_e32 v18, v19, v10
	v_fma_f32 v20, -v4, v18, v19
	s_delay_alu instid0(VALU_DEP_1) | instskip(NEXT) | instid1(VALU_DEP_1)
	v_fmac_f32_e32 v18, v20, v10
	v_fma_f32 v4, -v4, v18, v19
	s_delay_alu instid0(VALU_DEP_1) | instskip(SKIP_2) | instid1(VALU_DEP_3)
	v_div_fmas_f32 v4, v4, v10, v18
	v_fma_f32 v10, v2, v9, v1
	v_fma_f32 v1, -v1, v9, v2
	v_div_fixup_f32 v3, v4, v3, 1.0
	s_delay_alu instid0(VALU_DEP_1) | instskip(NEXT) | instid1(VALU_DEP_3)
	v_mul_f32_e32 v9, v10, v3
	v_mul_f32_e32 v10, v1, v3
.LBB177_48:                             ;   in Loop: Header=BB177_41 Depth=1
	v_mov_b32_e32 v1, s14
	ds_store_b64 v17, v[9:10]
	ds_load_2addr_b64 v[1:4], v1 offset0:1 offset1:65
	s_waitcnt lgkmcnt(0)
	v_mul_f32_e32 v18, v10, v2
	v_cmp_gt_f32_e32 vcc_lo, 0, v3
	v_mul_f32_e32 v2, v9, v2
	s_delay_alu instid0(VALU_DEP_3) | instskip(SKIP_2) | instid1(VALU_DEP_3)
	v_fma_f32 v18, v9, v1, -v18
	v_cndmask_b32_e64 v19, v3, -v3, vcc_lo
	v_cmp_gt_f32_e32 vcc_lo, 0, v4
	v_dual_fmac_f32 v2, v10, v1 :: v_dual_sub_f32 v1, v11, v18
	v_cndmask_b32_e64 v20, v4, -v4, vcc_lo
	s_delay_alu instid0(VALU_DEP_2) | instskip(NEXT) | instid1(VALU_DEP_2)
	v_sub_f32_e32 v2, v12, v2
	v_cmp_ngt_f32_e32 vcc_lo, v19, v20
	s_cbranch_vccz .LBB177_50
; %bb.49:                               ;   in Loop: Header=BB177_41 Depth=1
	v_div_scale_f32 v11, null, v4, v4, v3
	v_div_scale_f32 v18, vcc_lo, v3, v4, v3
	s_delay_alu instid0(VALU_DEP_2) | instskip(SKIP_2) | instid1(VALU_DEP_1)
	v_rcp_f32_e32 v12, v11
	s_waitcnt_depctr 0xfff
	v_fma_f32 v17, -v11, v12, 1.0
	v_fmac_f32_e32 v12, v17, v12
	s_delay_alu instid0(VALU_DEP_1) | instskip(NEXT) | instid1(VALU_DEP_1)
	v_mul_f32_e32 v17, v18, v12
	v_fma_f32 v19, -v11, v17, v18
	s_delay_alu instid0(VALU_DEP_1) | instskip(NEXT) | instid1(VALU_DEP_1)
	v_fmac_f32_e32 v17, v19, v12
	v_fma_f32 v11, -v11, v17, v18
	s_delay_alu instid0(VALU_DEP_1) | instskip(NEXT) | instid1(VALU_DEP_1)
	v_div_fmas_f32 v11, v11, v12, v17
	v_div_fixup_f32 v11, v11, v4, v3
	s_delay_alu instid0(VALU_DEP_1) | instskip(NEXT) | instid1(VALU_DEP_1)
	v_fma_f32 v12, v3, v11, v4
	v_div_scale_f32 v17, null, v12, v12, 1.0
	v_div_scale_f32 v20, vcc_lo, 1.0, v12, 1.0
	s_delay_alu instid0(VALU_DEP_2) | instskip(SKIP_2) | instid1(VALU_DEP_1)
	v_rcp_f32_e32 v18, v17
	s_waitcnt_depctr 0xfff
	v_fma_f32 v19, -v17, v18, 1.0
	v_fmac_f32_e32 v18, v19, v18
	s_delay_alu instid0(VALU_DEP_1) | instskip(NEXT) | instid1(VALU_DEP_1)
	v_mul_f32_e32 v19, v20, v18
	v_fma_f32 v21, -v17, v19, v20
	s_delay_alu instid0(VALU_DEP_1) | instskip(NEXT) | instid1(VALU_DEP_1)
	v_fmac_f32_e32 v19, v21, v18
	v_fma_f32 v17, -v17, v19, v20
	s_delay_alu instid0(VALU_DEP_1) | instskip(SKIP_1) | instid1(VALU_DEP_2)
	v_div_fmas_f32 v17, v17, v18, v19
	v_fma_f32 v18, v11, v1, v2
	v_div_fixup_f32 v12, v17, v12, 1.0
	v_fma_f32 v17, v11, v2, -v1
	s_delay_alu instid0(VALU_DEP_2) | instskip(NEXT) | instid1(VALU_DEP_2)
	v_mul_f32_e32 v11, v18, v12
	v_mul_f32_e32 v12, v17, v12
	s_cbranch_execz .LBB177_51
	s_branch .LBB177_52
.LBB177_50:                             ;   in Loop: Header=BB177_41 Depth=1
                                        ; implicit-def: $vgpr12
.LBB177_51:                             ;   in Loop: Header=BB177_41 Depth=1
	v_div_scale_f32 v11, null, v3, v3, v4
	v_div_scale_f32 v18, vcc_lo, v4, v3, v4
	s_delay_alu instid0(VALU_DEP_2) | instskip(SKIP_2) | instid1(VALU_DEP_1)
	v_rcp_f32_e32 v12, v11
	s_waitcnt_depctr 0xfff
	v_fma_f32 v17, -v11, v12, 1.0
	v_fmac_f32_e32 v12, v17, v12
	s_delay_alu instid0(VALU_DEP_1) | instskip(NEXT) | instid1(VALU_DEP_1)
	v_mul_f32_e32 v17, v18, v12
	v_fma_f32 v19, -v11, v17, v18
	s_delay_alu instid0(VALU_DEP_1) | instskip(NEXT) | instid1(VALU_DEP_1)
	v_fmac_f32_e32 v17, v19, v12
	v_fma_f32 v11, -v11, v17, v18
	s_delay_alu instid0(VALU_DEP_1) | instskip(NEXT) | instid1(VALU_DEP_1)
	v_div_fmas_f32 v11, v11, v12, v17
	v_div_fixup_f32 v11, v11, v3, v4
	s_delay_alu instid0(VALU_DEP_1) | instskip(NEXT) | instid1(VALU_DEP_1)
	v_fmac_f32_e32 v3, v4, v11
	v_div_scale_f32 v4, null, v3, v3, 1.0
	v_div_scale_f32 v18, vcc_lo, 1.0, v3, 1.0
	s_delay_alu instid0(VALU_DEP_2) | instskip(SKIP_2) | instid1(VALU_DEP_1)
	v_rcp_f32_e32 v12, v4
	s_waitcnt_depctr 0xfff
	v_fma_f32 v17, -v4, v12, 1.0
	v_fmac_f32_e32 v12, v17, v12
	s_delay_alu instid0(VALU_DEP_1) | instskip(NEXT) | instid1(VALU_DEP_1)
	v_mul_f32_e32 v17, v18, v12
	v_fma_f32 v19, -v4, v17, v18
	s_delay_alu instid0(VALU_DEP_1) | instskip(NEXT) | instid1(VALU_DEP_1)
	v_fmac_f32_e32 v17, v19, v12
	v_fma_f32 v4, -v4, v17, v18
	s_delay_alu instid0(VALU_DEP_1) | instskip(SKIP_2) | instid1(VALU_DEP_3)
	v_div_fmas_f32 v4, v4, v12, v17
	v_fma_f32 v12, v11, v2, v1
	v_fma_f32 v1, -v11, v1, v2
	v_div_fixup_f32 v3, v4, v3, 1.0
	s_delay_alu instid0(VALU_DEP_1) | instskip(NEXT) | instid1(VALU_DEP_3)
	v_mul_f32_e32 v11, v12, v3
	v_mul_f32_e32 v12, v1, v3
.LBB177_52:                             ;   in Loop: Header=BB177_41 Depth=1
	s_add_i32 s10, s10, s5
	v_mov_b32_e32 v1, s14
	s_lshl_b32 s10, s10, 3
	s_delay_alu instid0(SALU_CYCLE_1)
	v_mov_b32_e32 v17, s10
	ds_load_2addr_b64 v[1:4], v1 offset0:2 offset1:130
	ds_load_b64 v[17:18], v17 offset:16
	ds_store_b64 v16, v[11:12]
	s_waitcnt lgkmcnt(2)
	v_cmp_gt_f32_e32 vcc_lo, 0, v3
	s_waitcnt lgkmcnt(1)
	v_mul_f32_e32 v21, v12, v18
	v_mul_f32_e32 v18, v11, v18
	;; [unrolled: 1-line block ×4, first 2 shown]
	v_cndmask_b32_e64 v20, v3, -v3, vcc_lo
	v_cmp_gt_f32_e32 vcc_lo, 0, v4
	v_fmac_f32_e32 v18, v12, v17
	v_fma_f32 v19, v9, v1, -v19
	v_fmac_f32_e32 v2, v10, v1
	v_fma_f32 v21, v11, v17, -v21
	v_cndmask_b32_e64 v1, v4, -v4, vcc_lo
	s_delay_alu instid0(VALU_DEP_3) | instskip(NEXT) | instid1(VALU_DEP_2)
	v_dual_sub_f32 v7, v7, v19 :: v_dual_sub_f32 v2, v8, v2
	v_cmp_ngt_f32_e32 vcc_lo, v20, v1
	s_delay_alu instid0(VALU_DEP_2)
	v_dual_sub_f32 v1, v7, v21 :: v_dual_sub_f32 v2, v2, v18
	s_cbranch_vccz .LBB177_54
; %bb.53:                               ;   in Loop: Header=BB177_41 Depth=1
	v_div_scale_f32 v7, null, v4, v4, v3
	v_div_scale_f32 v17, vcc_lo, v3, v4, v3
	s_delay_alu instid0(VALU_DEP_2) | instskip(SKIP_2) | instid1(VALU_DEP_1)
	v_rcp_f32_e32 v8, v7
	s_waitcnt_depctr 0xfff
	v_fma_f32 v16, -v7, v8, 1.0
	v_fmac_f32_e32 v8, v16, v8
	s_delay_alu instid0(VALU_DEP_1) | instskip(NEXT) | instid1(VALU_DEP_1)
	v_mul_f32_e32 v16, v17, v8
	v_fma_f32 v18, -v7, v16, v17
	s_delay_alu instid0(VALU_DEP_1) | instskip(NEXT) | instid1(VALU_DEP_1)
	v_fmac_f32_e32 v16, v18, v8
	v_fma_f32 v7, -v7, v16, v17
	s_delay_alu instid0(VALU_DEP_1) | instskip(NEXT) | instid1(VALU_DEP_1)
	v_div_fmas_f32 v7, v7, v8, v16
	v_div_fixup_f32 v7, v7, v4, v3
	s_delay_alu instid0(VALU_DEP_1) | instskip(NEXT) | instid1(VALU_DEP_1)
	v_fma_f32 v8, v3, v7, v4
	v_div_scale_f32 v16, null, v8, v8, 1.0
	v_div_scale_f32 v19, vcc_lo, 1.0, v8, 1.0
	s_delay_alu instid0(VALU_DEP_2) | instskip(SKIP_2) | instid1(VALU_DEP_1)
	v_rcp_f32_e32 v17, v16
	s_waitcnt_depctr 0xfff
	v_fma_f32 v18, -v16, v17, 1.0
	v_fmac_f32_e32 v17, v18, v17
	s_delay_alu instid0(VALU_DEP_1) | instskip(NEXT) | instid1(VALU_DEP_1)
	v_mul_f32_e32 v18, v19, v17
	v_fma_f32 v20, -v16, v18, v19
	s_delay_alu instid0(VALU_DEP_1) | instskip(NEXT) | instid1(VALU_DEP_1)
	v_fmac_f32_e32 v18, v20, v17
	v_fma_f32 v16, -v16, v18, v19
	s_delay_alu instid0(VALU_DEP_1) | instskip(SKIP_1) | instid1(VALU_DEP_2)
	v_div_fmas_f32 v16, v16, v17, v18
	v_fma_f32 v17, v7, v1, v2
	v_div_fixup_f32 v8, v16, v8, 1.0
	v_fma_f32 v16, v7, v2, -v1
	s_delay_alu instid0(VALU_DEP_2) | instskip(NEXT) | instid1(VALU_DEP_2)
	v_mul_f32_e32 v7, v17, v8
	v_mul_f32_e32 v8, v16, v8
	s_cbranch_execz .LBB177_55
	s_branch .LBB177_56
.LBB177_54:                             ;   in Loop: Header=BB177_41 Depth=1
                                        ; implicit-def: $vgpr8
.LBB177_55:                             ;   in Loop: Header=BB177_41 Depth=1
	v_div_scale_f32 v7, null, v3, v3, v4
	v_div_scale_f32 v17, vcc_lo, v4, v3, v4
	s_delay_alu instid0(VALU_DEP_2) | instskip(SKIP_2) | instid1(VALU_DEP_1)
	v_rcp_f32_e32 v8, v7
	s_waitcnt_depctr 0xfff
	v_fma_f32 v16, -v7, v8, 1.0
	v_fmac_f32_e32 v8, v16, v8
	s_delay_alu instid0(VALU_DEP_1) | instskip(NEXT) | instid1(VALU_DEP_1)
	v_mul_f32_e32 v16, v17, v8
	v_fma_f32 v18, -v7, v16, v17
	s_delay_alu instid0(VALU_DEP_1) | instskip(NEXT) | instid1(VALU_DEP_1)
	v_fmac_f32_e32 v16, v18, v8
	v_fma_f32 v7, -v7, v16, v17
	s_delay_alu instid0(VALU_DEP_1) | instskip(NEXT) | instid1(VALU_DEP_1)
	v_div_fmas_f32 v7, v7, v8, v16
	v_div_fixup_f32 v7, v7, v3, v4
	s_delay_alu instid0(VALU_DEP_1) | instskip(NEXT) | instid1(VALU_DEP_1)
	v_fmac_f32_e32 v3, v4, v7
	v_div_scale_f32 v4, null, v3, v3, 1.0
	v_div_scale_f32 v17, vcc_lo, 1.0, v3, 1.0
	s_delay_alu instid0(VALU_DEP_2) | instskip(SKIP_2) | instid1(VALU_DEP_1)
	v_rcp_f32_e32 v8, v4
	s_waitcnt_depctr 0xfff
	v_fma_f32 v16, -v4, v8, 1.0
	v_fmac_f32_e32 v8, v16, v8
	s_delay_alu instid0(VALU_DEP_1) | instskip(NEXT) | instid1(VALU_DEP_1)
	v_mul_f32_e32 v16, v17, v8
	v_fma_f32 v18, -v4, v16, v17
	s_delay_alu instid0(VALU_DEP_1) | instskip(NEXT) | instid1(VALU_DEP_1)
	v_fmac_f32_e32 v16, v18, v8
	v_fma_f32 v4, -v4, v16, v17
	s_delay_alu instid0(VALU_DEP_1) | instskip(SKIP_2) | instid1(VALU_DEP_3)
	v_div_fmas_f32 v4, v4, v8, v16
	v_fma_f32 v8, v7, v2, v1
	v_fma_f32 v1, -v7, v1, v2
	v_div_fixup_f32 v3, v4, v3, 1.0
	s_delay_alu instid0(VALU_DEP_1) | instskip(NEXT) | instid1(VALU_DEP_3)
	v_mul_f32_e32 v7, v8, v3
	v_mul_f32_e32 v8, v1, v3
.LBB177_56:                             ;   in Loop: Header=BB177_41 Depth=1
	v_dual_mov_b32 v1, s14 :: v_dual_mov_b32 v16, s10
	s_add_i32 s9, s9, s5
	s_delay_alu instid0(SALU_CYCLE_1)
	s_lshl_b32 s9, s9, 3
	ds_load_2addr_b64 v[1:4], v1 offset0:3 offset1:195
	v_mov_b32_e32 v18, s9
	ds_load_b64 v[16:17], v16 offset:24
	ds_load_b64 v[18:19], v18 offset:24
	ds_store_b64 v15, v[7:8]
	s_waitcnt lgkmcnt(3)
	v_mul_f32_e32 v20, v10, v2
	v_mul_f32_e32 v2, v9, v2
	v_cmp_gt_f32_e32 vcc_lo, 0, v3
	s_waitcnt lgkmcnt(2)
	v_mul_f32_e32 v21, v12, v17
	s_waitcnt lgkmcnt(1)
	v_mul_f32_e32 v23, v8, v19
	v_mul_f32_e32 v17, v11, v17
	v_fma_f32 v9, v9, v1, -v20
	v_dual_fmac_f32 v2, v10, v1 :: v_dual_mul_f32 v1, v7, v19
	v_cndmask_b32_e64 v22, v3, -v3, vcc_lo
	v_cmp_gt_f32_e32 vcc_lo, 0, v4
	v_fma_f32 v10, v11, v16, -v21
	s_delay_alu instid0(VALU_DEP_4) | instskip(SKIP_3) | instid1(VALU_DEP_4)
	v_dual_fmac_f32 v17, v12, v16 :: v_dual_sub_f32 v2, v6, v2
	v_sub_f32_e32 v5, v5, v9
	v_cndmask_b32_e64 v6, v4, -v4, vcc_lo
	v_fma_f32 v9, v7, v18, -v23
	v_dual_fmac_f32 v1, v8, v18 :: v_dual_sub_f32 v2, v2, v17
	s_delay_alu instid0(VALU_DEP_4) | instskip(NEXT) | instid1(VALU_DEP_4)
	v_sub_f32_e32 v5, v5, v10
	v_cmp_ngt_f32_e32 vcc_lo, v22, v6
	s_delay_alu instid0(VALU_DEP_3) | instskip(NEXT) | instid1(VALU_DEP_3)
	v_sub_f32_e32 v6, v2, v1
	v_sub_f32_e32 v5, v5, v9
	s_cbranch_vccz .LBB177_58
; %bb.57:                               ;   in Loop: Header=BB177_41 Depth=1
	v_div_scale_f32 v1, null, v4, v4, v3
	v_div_scale_f32 v8, vcc_lo, v3, v4, v3
	s_delay_alu instid0(VALU_DEP_2) | instskip(SKIP_2) | instid1(VALU_DEP_1)
	v_rcp_f32_e32 v2, v1
	s_waitcnt_depctr 0xfff
	v_fma_f32 v7, -v1, v2, 1.0
	v_fmac_f32_e32 v2, v7, v2
	s_delay_alu instid0(VALU_DEP_1) | instskip(NEXT) | instid1(VALU_DEP_1)
	v_mul_f32_e32 v7, v8, v2
	v_fma_f32 v9, -v1, v7, v8
	s_delay_alu instid0(VALU_DEP_1) | instskip(NEXT) | instid1(VALU_DEP_1)
	v_fmac_f32_e32 v7, v9, v2
	v_fma_f32 v1, -v1, v7, v8
	s_delay_alu instid0(VALU_DEP_1) | instskip(NEXT) | instid1(VALU_DEP_1)
	v_div_fmas_f32 v1, v1, v2, v7
	v_div_fixup_f32 v1, v1, v4, v3
	s_delay_alu instid0(VALU_DEP_1) | instskip(NEXT) | instid1(VALU_DEP_1)
	v_fma_f32 v2, v3, v1, v4
	v_div_scale_f32 v7, null, v2, v2, 1.0
	v_div_scale_f32 v10, vcc_lo, 1.0, v2, 1.0
	s_delay_alu instid0(VALU_DEP_2) | instskip(SKIP_2) | instid1(VALU_DEP_1)
	v_rcp_f32_e32 v8, v7
	s_waitcnt_depctr 0xfff
	v_fma_f32 v9, -v7, v8, 1.0
	v_fmac_f32_e32 v8, v9, v8
	s_delay_alu instid0(VALU_DEP_1) | instskip(NEXT) | instid1(VALU_DEP_1)
	v_mul_f32_e32 v9, v10, v8
	v_fma_f32 v11, -v7, v9, v10
	s_delay_alu instid0(VALU_DEP_1) | instskip(NEXT) | instid1(VALU_DEP_1)
	v_fmac_f32_e32 v9, v11, v8
	v_fma_f32 v7, -v7, v9, v10
	s_delay_alu instid0(VALU_DEP_1) | instskip(SKIP_1) | instid1(VALU_DEP_2)
	v_div_fmas_f32 v7, v7, v8, v9
	v_fma_f32 v8, v1, v5, v6
	v_div_fixup_f32 v2, v7, v2, 1.0
	v_fma_f32 v7, v1, v6, -v5
	s_delay_alu instid0(VALU_DEP_2) | instskip(NEXT) | instid1(VALU_DEP_2)
	v_mul_f32_e32 v1, v8, v2
	v_mul_f32_e32 v2, v7, v2
	s_cbranch_execz .LBB177_59
	s_branch .LBB177_60
.LBB177_58:                             ;   in Loop: Header=BB177_41 Depth=1
                                        ; implicit-def: $vgpr2
.LBB177_59:                             ;   in Loop: Header=BB177_41 Depth=1
	v_div_scale_f32 v1, null, v3, v3, v4
	v_div_scale_f32 v8, vcc_lo, v4, v3, v4
	s_delay_alu instid0(VALU_DEP_2) | instskip(SKIP_2) | instid1(VALU_DEP_1)
	v_rcp_f32_e32 v2, v1
	s_waitcnt_depctr 0xfff
	v_fma_f32 v7, -v1, v2, 1.0
	v_fmac_f32_e32 v2, v7, v2
	s_delay_alu instid0(VALU_DEP_1) | instskip(NEXT) | instid1(VALU_DEP_1)
	v_mul_f32_e32 v7, v8, v2
	v_fma_f32 v9, -v1, v7, v8
	s_delay_alu instid0(VALU_DEP_1) | instskip(NEXT) | instid1(VALU_DEP_1)
	v_fmac_f32_e32 v7, v9, v2
	v_fma_f32 v1, -v1, v7, v8
	s_delay_alu instid0(VALU_DEP_1) | instskip(NEXT) | instid1(VALU_DEP_1)
	v_div_fmas_f32 v1, v1, v2, v7
	v_div_fixup_f32 v1, v1, v3, v4
	s_delay_alu instid0(VALU_DEP_1) | instskip(NEXT) | instid1(VALU_DEP_1)
	v_fmac_f32_e32 v3, v4, v1
	v_div_scale_f32 v2, null, v3, v3, 1.0
	v_div_scale_f32 v8, vcc_lo, 1.0, v3, 1.0
	s_delay_alu instid0(VALU_DEP_2) | instskip(SKIP_2) | instid1(VALU_DEP_1)
	v_rcp_f32_e32 v4, v2
	s_waitcnt_depctr 0xfff
	v_fma_f32 v7, -v2, v4, 1.0
	v_fmac_f32_e32 v4, v7, v4
	s_delay_alu instid0(VALU_DEP_1) | instskip(NEXT) | instid1(VALU_DEP_1)
	v_mul_f32_e32 v7, v8, v4
	v_fma_f32 v9, -v2, v7, v8
	s_delay_alu instid0(VALU_DEP_1) | instskip(NEXT) | instid1(VALU_DEP_1)
	v_fmac_f32_e32 v7, v9, v4
	v_fma_f32 v2, -v2, v7, v8
	s_delay_alu instid0(VALU_DEP_1) | instskip(SKIP_1) | instid1(VALU_DEP_2)
	v_div_fmas_f32 v2, v2, v4, v7
	v_fma_f32 v4, v1, v6, v5
	v_div_fixup_f32 v2, v2, v3, 1.0
	v_fma_f32 v3, -v1, v5, v6
	s_delay_alu instid0(VALU_DEP_2) | instskip(NEXT) | instid1(VALU_DEP_2)
	v_mul_f32_e32 v1, v4, v2
	v_mul_f32_e32 v2, v3, v2
.LBB177_60:                             ;   in Loop: Header=BB177_41 Depth=1
	s_add_i32 s9, s5, 4
	s_add_i32 s5, s5, 7
	;; [unrolled: 1-line block ×3, first 2 shown]
	s_cmp_ge_i32 s5, s11
	ds_store_b64 v14, v[1:2]
	s_cbranch_scc1 .LBB177_62
; %bb.61:                               ;   in Loop: Header=BB177_41 Depth=1
	s_mov_b32 s5, s9
	s_branch .LBB177_41
.LBB177_62:
	s_cmp_ge_i32 s9, s11
	s_cbranch_scc1 .LBB177_77
; %bb.63:
	v_lshl_or_b32 v7, v0, 3, 0x8000
	v_lshlrev_b32_e32 v8, 3, v0
	s_add_i32 s4, s9, -1
	s_lshl_b32 s5, s9, 3
	s_mov_b32 s10, 0
	s_mov_b32 s14, s9
	s_branch .LBB177_65
.LBB177_64:                             ;   in Loop: Header=BB177_65 Depth=1
	v_add_nc_u16 v1, s14, 1
	s_add_i32 s9, s9, 1
	s_add_i32 s10, s10, 1
	;; [unrolled: 1-line block ×3, first 2 shown]
	s_cmp_ge_i32 s9, s11
	v_readfirstlane_b32 s14, v1
	ds_store_b64 v9, v[5:6]
	s_cbranch_scc1 .LBB177_77
.LBB177_65:                             ; =>This Loop Header: Depth=1
                                        ;     Child Loop BB177_68 Depth 2
                                        ;     Child Loop BB177_72 Depth 2
	v_lshl_or_b32 v3, s9, 9, v8
	s_cmp_eq_u32 s9, 0
	ds_load_b64 v[1:2], v3 offset:32768
	s_cbranch_scc1 .LBB177_73
; %bb.66:                               ;   in Loop: Header=BB177_65 Depth=1
	s_add_i32 s15, s4, s10
	s_delay_alu instid0(SALU_CYCLE_1)
	s_cmp_lt_u32 s15, 7
	s_cbranch_scc1 .LBB177_70
; %bb.67:                               ;   in Loop: Header=BB177_65 Depth=1
	v_mov_b32_e32 v4, v7
	s_and_b32 s15, s9, -8
	s_mov_b32 s16, 0
	s_mov_b32 s17, s5
.LBB177_68:                             ;   Parent Loop BB177_65 Depth=1
                                        ; =>  This Inner Loop Header: Depth=2
	s_delay_alu instid0(SALU_CYCLE_1)
	v_mov_b32_e32 v5, s17
	ds_load_2addr_stride64_b64 v[9:12], v4 offset1:1
	ds_load_2addr_stride64_b64 v[13:16], v4 offset0:2 offset1:3
	ds_load_2addr_stride64_b64 v[17:20], v4 offset0:4 offset1:5
	;; [unrolled: 1-line block ×3, first 2 shown]
	ds_load_2addr_stride64_b64 v[25:28], v5 offset1:1
	ds_load_2addr_stride64_b64 v[29:32], v5 offset0:2 offset1:3
	ds_load_2addr_stride64_b64 v[33:36], v5 offset0:4 offset1:5
	;; [unrolled: 1-line block ×3, first 2 shown]
	v_add_nc_u32_e32 v4, 0x1000, v4
	s_add_i32 s16, s16, 8
	s_addk_i32 s17, 0x1000
	s_cmp_eq_u32 s15, s16
	s_waitcnt lgkmcnt(3)
	v_mul_f32_e32 v6, v25, v10
	v_dual_mul_f32 v5, v26, v10 :: v_dual_mul_f32 v10, v28, v12
	s_waitcnt lgkmcnt(2)
	v_dual_mul_f32 v12, v27, v12 :: v_dual_mul_f32 v41, v30, v14
	s_waitcnt lgkmcnt(1)
	v_dual_mul_f32 v42, v32, v16 :: v_dual_mul_f32 v43, v34, v18
	v_fma_f32 v5, v25, v9, -v5
	v_mul_f32_e32 v16, v31, v16
	v_fma_f32 v10, v27, v11, -v10
	v_mul_f32_e32 v14, v29, v14
	v_mul_f32_e32 v18, v33, v18
	v_sub_f32_e32 v1, v1, v5
	v_dual_mul_f32 v5, v35, v20 :: v_dual_fmac_f32 v6, v26, v9
	s_delay_alu instid0(VALU_DEP_4) | instskip(NEXT) | instid1(VALU_DEP_3)
	v_dual_mul_f32 v9, v36, v20 :: v_dual_fmac_f32 v14, v30, v13
	v_sub_f32_e32 v1, v1, v10
	s_delay_alu instid0(VALU_DEP_3) | instskip(SKIP_4) | instid1(VALU_DEP_4)
	v_dual_fmac_f32 v5, v36, v19 :: v_dual_sub_f32 v2, v2, v6
	v_fma_f32 v6, v29, v13, -v41
	v_fmac_f32_e32 v12, v28, v11
	v_fma_f32 v11, v31, v15, -v42
	v_fma_f32 v9, v35, v19, -v9
	v_sub_f32_e32 v1, v1, v6
	s_waitcnt lgkmcnt(0)
	v_mul_f32_e32 v6, v37, v22
	s_delay_alu instid0(VALU_DEP_2) | instskip(SKIP_2) | instid1(VALU_DEP_2)
	v_dual_sub_f32 v1, v1, v11 :: v_dual_sub_f32 v2, v2, v12
	v_fma_f32 v12, v33, v17, -v43
	v_dual_mul_f32 v10, v38, v22 :: v_dual_mul_f32 v11, v40, v24
	v_dual_fmac_f32 v6, v38, v21 :: v_dual_sub_f32 v1, v1, v12
	v_fmac_f32_e32 v16, v32, v15
	s_delay_alu instid0(VALU_DEP_3) | instskip(NEXT) | instid1(VALU_DEP_3)
	v_fma_f32 v10, v37, v21, -v10
	v_dual_mul_f32 v12, v39, v24 :: v_dual_sub_f32 v1, v1, v9
	v_fmac_f32_e32 v18, v34, v17
	s_delay_alu instid0(VALU_DEP_2) | instskip(SKIP_1) | instid1(VALU_DEP_1)
	v_dual_fmac_f32 v12, v40, v23 :: v_dual_sub_f32 v1, v1, v10
	v_sub_f32_e32 v2, v2, v14
	v_sub_f32_e32 v2, v2, v16
	s_delay_alu instid0(VALU_DEP_1) | instskip(NEXT) | instid1(VALU_DEP_1)
	v_sub_f32_e32 v2, v2, v18
	v_sub_f32_e32 v2, v2, v5
	v_fma_f32 v5, v39, v23, -v11
	s_delay_alu instid0(VALU_DEP_1) | instskip(NEXT) | instid1(VALU_DEP_1)
	v_dual_sub_f32 v2, v2, v6 :: v_dual_sub_f32 v1, v1, v5
	v_sub_f32_e32 v2, v2, v12
	s_cbranch_scc0 .LBB177_68
; %bb.69:                               ;   in Loop: Header=BB177_65 Depth=1
	s_and_b32 s16, s9, 7
	s_delay_alu instid0(SALU_CYCLE_1)
	s_cmp_eq_u32 s16, 0
	s_cbranch_scc0 .LBB177_71
	s_branch .LBB177_73
.LBB177_70:                             ;   in Loop: Header=BB177_65 Depth=1
	s_mov_b32 s15, 0
	s_and_b32 s16, s9, 7
	s_delay_alu instid0(SALU_CYCLE_1)
	s_cmp_eq_u32 s16, 0
	s_cbranch_scc1 .LBB177_73
.LBB177_71:                             ;   in Loop: Header=BB177_65 Depth=1
	s_and_b32 s16, s14, 7
	s_lshl_b32 s15, s15, 9
	.p2align	6
.LBB177_72:                             ;   Parent Loop BB177_65 Depth=1
                                        ; =>  This Inner Loop Header: Depth=2
	s_delay_alu instid0(SALU_CYCLE_1)
	s_add_i32 s17, s5, s15
	v_add_nc_u32_e32 v4, s15, v7
	v_mov_b32_e32 v6, s17
	s_add_i32 s16, s16, -1
	s_addk_i32 s15, 0x200
	s_cmp_lg_u32 s16, 0
	ds_load_b64 v[4:5], v4
	ds_load_b64 v[9:10], v6
	s_waitcnt lgkmcnt(0)
	v_mul_f32_e32 v6, v10, v5
	v_mul_f32_e32 v5, v9, v5
	s_delay_alu instid0(VALU_DEP_2) | instskip(NEXT) | instid1(VALU_DEP_2)
	v_fma_f32 v6, v9, v4, -v6
	v_fmac_f32_e32 v5, v10, v4
	s_delay_alu instid0(VALU_DEP_1)
	v_dual_sub_f32 v1, v1, v6 :: v_dual_sub_f32 v2, v2, v5
	s_cbranch_scc1 .LBB177_72
.LBB177_73:                             ;   in Loop: Header=BB177_65 Depth=1
	s_mul_i32 s15, s9, 0x208
	v_add_nc_u32_e32 v9, 0x8000, v3
	v_mov_b32_e32 v3, s15
	ds_load_b64 v[3:4], v3
	s_waitcnt lgkmcnt(0)
	v_cmp_gt_f32_e32 vcc_lo, 0, v3
	v_cndmask_b32_e64 v5, v3, -v3, vcc_lo
	v_cmp_gt_f32_e32 vcc_lo, 0, v4
	v_cndmask_b32_e64 v6, v4, -v4, vcc_lo
	s_delay_alu instid0(VALU_DEP_1)
	v_cmp_ngt_f32_e32 vcc_lo, v5, v6
	s_cbranch_vccz .LBB177_75
; %bb.74:                               ;   in Loop: Header=BB177_65 Depth=1
	v_div_scale_f32 v5, null, v4, v4, v3
	v_div_scale_f32 v11, vcc_lo, v3, v4, v3
	s_delay_alu instid0(VALU_DEP_2) | instskip(SKIP_2) | instid1(VALU_DEP_1)
	v_rcp_f32_e32 v6, v5
	s_waitcnt_depctr 0xfff
	v_fma_f32 v10, -v5, v6, 1.0
	v_fmac_f32_e32 v6, v10, v6
	s_delay_alu instid0(VALU_DEP_1) | instskip(NEXT) | instid1(VALU_DEP_1)
	v_mul_f32_e32 v10, v11, v6
	v_fma_f32 v12, -v5, v10, v11
	s_delay_alu instid0(VALU_DEP_1) | instskip(NEXT) | instid1(VALU_DEP_1)
	v_fmac_f32_e32 v10, v12, v6
	v_fma_f32 v5, -v5, v10, v11
	s_delay_alu instid0(VALU_DEP_1) | instskip(NEXT) | instid1(VALU_DEP_1)
	v_div_fmas_f32 v5, v5, v6, v10
	v_div_fixup_f32 v5, v5, v4, v3
	s_delay_alu instid0(VALU_DEP_1) | instskip(NEXT) | instid1(VALU_DEP_1)
	v_fma_f32 v6, v3, v5, v4
	v_div_scale_f32 v10, null, v6, v6, 1.0
	v_div_scale_f32 v13, vcc_lo, 1.0, v6, 1.0
	s_delay_alu instid0(VALU_DEP_2) | instskip(SKIP_2) | instid1(VALU_DEP_1)
	v_rcp_f32_e32 v11, v10
	s_waitcnt_depctr 0xfff
	v_fma_f32 v12, -v10, v11, 1.0
	v_fmac_f32_e32 v11, v12, v11
	s_delay_alu instid0(VALU_DEP_1) | instskip(NEXT) | instid1(VALU_DEP_1)
	v_mul_f32_e32 v12, v13, v11
	v_fma_f32 v14, -v10, v12, v13
	s_delay_alu instid0(VALU_DEP_1) | instskip(NEXT) | instid1(VALU_DEP_1)
	v_fmac_f32_e32 v12, v14, v11
	v_fma_f32 v10, -v10, v12, v13
	s_delay_alu instid0(VALU_DEP_1) | instskip(SKIP_1) | instid1(VALU_DEP_2)
	v_div_fmas_f32 v10, v10, v11, v12
	v_fma_f32 v11, v1, v5, v2
	v_div_fixup_f32 v6, v10, v6, 1.0
	v_fma_f32 v10, v2, v5, -v1
	s_delay_alu instid0(VALU_DEP_2) | instskip(NEXT) | instid1(VALU_DEP_2)
	v_mul_f32_e32 v5, v11, v6
	v_mul_f32_e32 v6, v10, v6
	s_cbranch_execnz .LBB177_64
	s_branch .LBB177_76
.LBB177_75:                             ;   in Loop: Header=BB177_65 Depth=1
                                        ; implicit-def: $vgpr5
.LBB177_76:                             ;   in Loop: Header=BB177_65 Depth=1
	v_div_scale_f32 v5, null, v3, v3, v4
	v_div_scale_f32 v11, vcc_lo, v4, v3, v4
	s_delay_alu instid0(VALU_DEP_2) | instskip(SKIP_2) | instid1(VALU_DEP_1)
	v_rcp_f32_e32 v6, v5
	s_waitcnt_depctr 0xfff
	v_fma_f32 v10, -v5, v6, 1.0
	v_fmac_f32_e32 v6, v10, v6
	s_delay_alu instid0(VALU_DEP_1) | instskip(NEXT) | instid1(VALU_DEP_1)
	v_mul_f32_e32 v10, v11, v6
	v_fma_f32 v12, -v5, v10, v11
	s_delay_alu instid0(VALU_DEP_1) | instskip(NEXT) | instid1(VALU_DEP_1)
	v_fmac_f32_e32 v10, v12, v6
	v_fma_f32 v5, -v5, v10, v11
	s_delay_alu instid0(VALU_DEP_1) | instskip(NEXT) | instid1(VALU_DEP_1)
	v_div_fmas_f32 v5, v5, v6, v10
	v_div_fixup_f32 v5, v5, v3, v4
	s_delay_alu instid0(VALU_DEP_1) | instskip(NEXT) | instid1(VALU_DEP_1)
	v_fmac_f32_e32 v3, v4, v5
	v_div_scale_f32 v4, null, v3, v3, 1.0
	v_div_scale_f32 v11, vcc_lo, 1.0, v3, 1.0
	s_delay_alu instid0(VALU_DEP_2) | instskip(SKIP_2) | instid1(VALU_DEP_1)
	v_rcp_f32_e32 v6, v4
	s_waitcnt_depctr 0xfff
	v_fma_f32 v10, -v4, v6, 1.0
	v_fmac_f32_e32 v6, v10, v6
	s_delay_alu instid0(VALU_DEP_1) | instskip(NEXT) | instid1(VALU_DEP_1)
	v_mul_f32_e32 v10, v11, v6
	v_fma_f32 v12, -v4, v10, v11
	s_delay_alu instid0(VALU_DEP_1) | instskip(NEXT) | instid1(VALU_DEP_1)
	v_fmac_f32_e32 v10, v12, v6
	v_fma_f32 v4, -v4, v10, v11
	s_delay_alu instid0(VALU_DEP_1) | instskip(SKIP_2) | instid1(VALU_DEP_3)
	v_div_fmas_f32 v4, v4, v6, v10
	v_fma_f32 v6, v2, v5, v1
	v_fma_f32 v1, -v1, v5, v2
	v_div_fixup_f32 v3, v4, v3, 1.0
	s_delay_alu instid0(VALU_DEP_1) | instskip(NEXT) | instid1(VALU_DEP_3)
	v_mul_f32_e32 v5, v6, v3
	v_mul_f32_e32 v6, v1, v3
	s_branch .LBB177_64
.LBB177_77:
	s_mov_b32 s4, 0
.LBB177_78:
	s_delay_alu instid0(SALU_CYCLE_1)
	s_and_b32 vcc_lo, exec_lo, s4
	s_cbranch_vccz .LBB177_110
; %bb.79:
	s_and_not1_b32 vcc_lo, exec_lo, s1
	s_mov_b32 s9, s30
	s_cbranch_vccnz .LBB177_101
; %bb.80:
	v_lshlrev_b32_e32 v13, 3, v0
	s_mul_i32 s4, s11, 0x208
	s_mov_b32 s5, s30
	s_addk_i32 s4, 0xfbe0
	s_delay_alu instid0(VALU_DEP_1) | instskip(NEXT) | instid1(VALU_DEP_1)
	v_lshl_or_b32 v1, s11, 9, v13
	v_add_nc_u32_e32 v14, 0x7c00, v1
.LBB177_81:                             ; =>This Loop Header: Depth=1
                                        ;     Child Loop BB177_82 Depth 2
	s_add_i32 s17, s5, -1
	s_lshl_b32 s14, s5, 6
	s_add_i32 s16, s5, -2
	s_lshl_b32 s10, s17, 6
	v_or_b32_e32 v1, s14, v0
	s_lshl_b32 s9, s16, 6
	v_or_b32_e32 v2, s10, v0
	v_or_b32_e32 v3, s9, v0
	s_add_i32 s15, s5, -3
	v_lshlrev_b32_e32 v5, 3, v1
	v_lshl_or_b32 v12, s15, 9, v13
	v_dual_mov_b32 v15, v14 :: v_dual_lshlrev_b32 v6, 3, v2
	v_lshlrev_b32_e32 v11, 3, v3
	ds_load_b64 v[9:10], v5 offset:32768
	ds_load_b64 v[7:8], v6 offset:32768
	;; [unrolled: 1-line block ×4, first 2 shown]
	s_cmp_le_i32 s30, s5
	s_mov_b32 s21, s4
	s_mov_b32 s22, s30
	s_cbranch_scc1 .LBB177_83
.LBB177_82:                             ;   Parent Loop BB177_81 Depth=1
                                        ; =>  This Inner Loop Header: Depth=2
	v_mov_b32_e32 v32, s21
	ds_load_2addr_stride64_b64 v[16:19], v15 offset1:1
	v_add_nc_u32_e32 v15, 0xfffffc00, v15
	s_add_i32 s22, s22, -2
	s_addk_i32 s21, 0xfc00
	ds_load_2addr_b64 v[20:23], v32 offset0:66 offset1:67
	ds_load_2addr_b64 v[24:27], v32 offset0:64 offset1:65
	;; [unrolled: 1-line block ×3, first 2 shown]
	ds_load_2addr_b64 v[32:35], v32 offset1:1
	s_cmp_le_i32 s22, s5
	s_waitcnt lgkmcnt(3)
	v_mul_f32_e32 v36, v23, v19
	v_mul_f32_e32 v38, v21, v19
	;; [unrolled: 1-line block ×3, first 2 shown]
	s_waitcnt lgkmcnt(0)
	v_dual_mul_f32 v37, v22, v19 :: v_dual_mul_f32 v44, v35, v17
	v_dual_mul_f32 v39, v27, v19 :: v_dual_mul_f32 v42, v30, v17
	s_delay_alu instid0(VALU_DEP_3) | instskip(SKIP_2) | instid1(VALU_DEP_4)
	v_fmac_f32_e32 v21, v20, v19
	v_dual_mul_f32 v27, v27, v18 :: v_dual_mul_f32 v40, v25, v19
	v_mul_f32_e32 v41, v31, v17
	v_dual_mul_f32 v25, v25, v18 :: v_dual_fmac_f32 v42, v31, v16
	s_delay_alu instid0(VALU_DEP_4)
	v_dual_mul_f32 v35, v35, v16 :: v_dual_sub_f32 v8, v8, v21
	v_fmac_f32_e32 v37, v23, v18
	v_fma_f32 v22, v22, v18, -v36
	v_fma_f32 v23, v20, v18, -v38
	;; [unrolled: 1-line block ×3, first 2 shown]
	v_fmac_f32_e32 v27, v26, v19
	v_mul_f32_e32 v43, v29, v17
	v_dual_mul_f32 v29, v29, v16 :: v_dual_sub_f32 v10, v10, v37
	v_mul_f32_e32 v45, v33, v17
	v_fma_f32 v18, v24, v18, -v40
	v_fmac_f32_e32 v25, v24, v19
	v_mul_f32_e32 v33, v33, v16
	v_fma_f32 v19, v30, v16, -v41
	v_fmac_f32_e32 v29, v28, v17
	v_fma_f32 v26, v34, v16, -v44
	v_sub_f32_e32 v2, v2, v25
	v_fmac_f32_e32 v35, v34, v17
	v_fmac_f32_e32 v33, v32, v17
	v_sub_f32_e32 v7, v7, v23
	v_dual_sub_f32 v3, v3, v20 :: v_dual_sub_f32 v4, v4, v27
	v_fma_f32 v24, v28, v16, -v43
	v_sub_f32_e32 v9, v9, v22
	v_sub_f32_e32 v1, v1, v18
	;; [unrolled: 1-line block ×4, first 2 shown]
	v_fma_f32 v16, v32, v16, -v45
	v_sub_f32_e32 v9, v9, v19
	v_dual_sub_f32 v7, v7, v24 :: v_dual_sub_f32 v8, v8, v29
	v_sub_f32_e32 v3, v3, v26
	s_delay_alu instid0(VALU_DEP_4)
	v_dual_sub_f32 v1, v1, v16 :: v_dual_sub_f32 v2, v2, v33
	s_cbranch_scc0 .LBB177_82
.LBB177_83:                             ;   in Loop: Header=BB177_81 Depth=1
	s_mul_i32 s21, s5, 0x208
	s_delay_alu instid0(SALU_CYCLE_1)
	v_dual_mov_b32 v5, s21 :: v_dual_add_nc_u32 v18, 0x8000, v5
	v_add_nc_u32_e32 v16, 0x8000, v11
	v_add_nc_u32_e32 v15, 0x8000, v12
	;; [unrolled: 1-line block ×3, first 2 shown]
	ds_load_b64 v[11:12], v5
	s_waitcnt lgkmcnt(0)
	v_cmp_gt_f32_e32 vcc_lo, 0, v11
	v_cndmask_b32_e64 v5, v11, -v11, vcc_lo
	v_cmp_gt_f32_e32 vcc_lo, 0, v12
	v_cndmask_b32_e64 v6, v12, -v12, vcc_lo
	s_delay_alu instid0(VALU_DEP_1)
	v_cmp_ngt_f32_e32 vcc_lo, v5, v6
	s_cbranch_vccz .LBB177_85
; %bb.84:                               ;   in Loop: Header=BB177_81 Depth=1
	v_div_scale_f32 v5, null, v12, v12, v11
	v_div_scale_f32 v20, vcc_lo, v11, v12, v11
	s_delay_alu instid0(VALU_DEP_2) | instskip(SKIP_2) | instid1(VALU_DEP_1)
	v_rcp_f32_e32 v6, v5
	s_waitcnt_depctr 0xfff
	v_fma_f32 v19, -v5, v6, 1.0
	v_fmac_f32_e32 v6, v19, v6
	s_delay_alu instid0(VALU_DEP_1) | instskip(NEXT) | instid1(VALU_DEP_1)
	v_mul_f32_e32 v19, v20, v6
	v_fma_f32 v21, -v5, v19, v20
	s_delay_alu instid0(VALU_DEP_1) | instskip(NEXT) | instid1(VALU_DEP_1)
	v_fmac_f32_e32 v19, v21, v6
	v_fma_f32 v5, -v5, v19, v20
	s_delay_alu instid0(VALU_DEP_1) | instskip(NEXT) | instid1(VALU_DEP_1)
	v_div_fmas_f32 v5, v5, v6, v19
	v_div_fixup_f32 v5, v5, v12, v11
	s_delay_alu instid0(VALU_DEP_1) | instskip(NEXT) | instid1(VALU_DEP_1)
	v_fma_f32 v6, v11, v5, v12
	v_div_scale_f32 v19, null, v6, v6, 1.0
	v_div_scale_f32 v22, vcc_lo, 1.0, v6, 1.0
	s_delay_alu instid0(VALU_DEP_2) | instskip(SKIP_2) | instid1(VALU_DEP_1)
	v_rcp_f32_e32 v20, v19
	s_waitcnt_depctr 0xfff
	v_fma_f32 v21, -v19, v20, 1.0
	v_fmac_f32_e32 v20, v21, v20
	s_delay_alu instid0(VALU_DEP_1) | instskip(NEXT) | instid1(VALU_DEP_1)
	v_mul_f32_e32 v21, v22, v20
	v_fma_f32 v23, -v19, v21, v22
	s_delay_alu instid0(VALU_DEP_1) | instskip(NEXT) | instid1(VALU_DEP_1)
	v_fmac_f32_e32 v21, v23, v20
	v_fma_f32 v19, -v19, v21, v22
	s_delay_alu instid0(VALU_DEP_1) | instskip(SKIP_1) | instid1(VALU_DEP_2)
	v_div_fmas_f32 v19, v19, v20, v21
	v_fma_f32 v20, v9, v5, v10
	v_div_fixup_f32 v6, v19, v6, 1.0
	v_fma_f32 v19, v10, v5, -v9
	s_delay_alu instid0(VALU_DEP_2) | instskip(NEXT) | instid1(VALU_DEP_2)
	v_mul_f32_e32 v5, v20, v6
	v_mul_f32_e32 v6, v19, v6
	s_cbranch_execz .LBB177_86
	s_branch .LBB177_87
.LBB177_85:                             ;   in Loop: Header=BB177_81 Depth=1
                                        ; implicit-def: $vgpr6
.LBB177_86:                             ;   in Loop: Header=BB177_81 Depth=1
	v_div_scale_f32 v5, null, v11, v11, v12
	v_div_scale_f32 v20, vcc_lo, v12, v11, v12
	s_delay_alu instid0(VALU_DEP_2) | instskip(SKIP_2) | instid1(VALU_DEP_1)
	v_rcp_f32_e32 v6, v5
	s_waitcnt_depctr 0xfff
	v_fma_f32 v19, -v5, v6, 1.0
	v_fmac_f32_e32 v6, v19, v6
	s_delay_alu instid0(VALU_DEP_1) | instskip(NEXT) | instid1(VALU_DEP_1)
	v_mul_f32_e32 v19, v20, v6
	v_fma_f32 v21, -v5, v19, v20
	s_delay_alu instid0(VALU_DEP_1) | instskip(NEXT) | instid1(VALU_DEP_1)
	v_fmac_f32_e32 v19, v21, v6
	v_fma_f32 v5, -v5, v19, v20
	s_delay_alu instid0(VALU_DEP_1) | instskip(NEXT) | instid1(VALU_DEP_1)
	v_div_fmas_f32 v5, v5, v6, v19
	v_div_fixup_f32 v5, v5, v11, v12
	s_delay_alu instid0(VALU_DEP_1) | instskip(NEXT) | instid1(VALU_DEP_1)
	v_fmac_f32_e32 v11, v12, v5
	v_div_scale_f32 v6, null, v11, v11, 1.0
	v_div_scale_f32 v20, vcc_lo, 1.0, v11, 1.0
	s_delay_alu instid0(VALU_DEP_2) | instskip(SKIP_2) | instid1(VALU_DEP_1)
	v_rcp_f32_e32 v12, v6
	s_waitcnt_depctr 0xfff
	v_fma_f32 v19, -v6, v12, 1.0
	v_fmac_f32_e32 v12, v19, v12
	s_delay_alu instid0(VALU_DEP_1) | instskip(NEXT) | instid1(VALU_DEP_1)
	v_mul_f32_e32 v19, v20, v12
	v_fma_f32 v21, -v6, v19, v20
	s_delay_alu instid0(VALU_DEP_1) | instskip(NEXT) | instid1(VALU_DEP_1)
	v_fmac_f32_e32 v19, v21, v12
	v_fma_f32 v6, -v6, v19, v20
	s_delay_alu instid0(VALU_DEP_1) | instskip(SKIP_2) | instid1(VALU_DEP_3)
	v_div_fmas_f32 v6, v6, v12, v19
	v_fma_f32 v12, v10, v5, v9
	v_fma_f32 v9, -v9, v5, v10
	v_div_fixup_f32 v6, v6, v11, 1.0
	s_delay_alu instid0(VALU_DEP_1) | instskip(NEXT) | instid1(VALU_DEP_3)
	v_mul_f32_e32 v5, v12, v6
	v_mul_f32_e32 v6, v9, v6
.LBB177_87:                             ;   in Loop: Header=BB177_81 Depth=1
	s_add_i32 s17, s14, s17
	s_delay_alu instid0(SALU_CYCLE_1) | instskip(SKIP_1) | instid1(SALU_CYCLE_1)
	s_lshl_b32 s22, s17, 3
	s_add_i32 s17, s21, 0xfffffdf8
	v_dual_mov_b32 v9, s22 :: v_dual_mov_b32 v10, s17
	ds_load_b64 v[11:12], v9
	ds_load_b64 v[9:10], v10
	ds_store_b64 v18, v[5:6]
	s_waitcnt lgkmcnt(2)
	v_mul_f32_e32 v19, v6, v12
	s_waitcnt lgkmcnt(1)
	v_cmp_gt_f32_e32 vcc_lo, 0, v9
	s_delay_alu instid0(VALU_DEP_2) | instskip(SKIP_4) | instid1(VALU_DEP_2)
	v_fma_f32 v19, v5, v11, -v19
	v_cndmask_b32_e64 v20, v9, -v9, vcc_lo
	v_cmp_gt_f32_e32 vcc_lo, 0, v10
	v_mul_f32_e32 v12, v5, v12
	v_cndmask_b32_e64 v21, v10, -v10, vcc_lo
	v_fmac_f32_e32 v12, v6, v11
	v_sub_f32_e32 v11, v7, v19
	s_delay_alu instid0(VALU_DEP_3) | instskip(NEXT) | instid1(VALU_DEP_3)
	v_cmp_ngt_f32_e32 vcc_lo, v20, v21
	v_sub_f32_e32 v12, v8, v12
	s_cbranch_vccz .LBB177_89
; %bb.88:                               ;   in Loop: Header=BB177_81 Depth=1
	v_div_scale_f32 v7, null, v10, v10, v9
	v_div_scale_f32 v19, vcc_lo, v9, v10, v9
	s_delay_alu instid0(VALU_DEP_2) | instskip(SKIP_2) | instid1(VALU_DEP_1)
	v_rcp_f32_e32 v8, v7
	s_waitcnt_depctr 0xfff
	v_fma_f32 v18, -v7, v8, 1.0
	v_fmac_f32_e32 v8, v18, v8
	s_delay_alu instid0(VALU_DEP_1) | instskip(NEXT) | instid1(VALU_DEP_1)
	v_mul_f32_e32 v18, v19, v8
	v_fma_f32 v20, -v7, v18, v19
	s_delay_alu instid0(VALU_DEP_1) | instskip(NEXT) | instid1(VALU_DEP_1)
	v_fmac_f32_e32 v18, v20, v8
	v_fma_f32 v7, -v7, v18, v19
	s_delay_alu instid0(VALU_DEP_1) | instskip(NEXT) | instid1(VALU_DEP_1)
	v_div_fmas_f32 v7, v7, v8, v18
	v_div_fixup_f32 v7, v7, v10, v9
	s_delay_alu instid0(VALU_DEP_1) | instskip(NEXT) | instid1(VALU_DEP_1)
	v_fma_f32 v8, v9, v7, v10
	v_div_scale_f32 v18, null, v8, v8, 1.0
	v_div_scale_f32 v21, vcc_lo, 1.0, v8, 1.0
	s_delay_alu instid0(VALU_DEP_2) | instskip(SKIP_2) | instid1(VALU_DEP_1)
	v_rcp_f32_e32 v19, v18
	s_waitcnt_depctr 0xfff
	v_fma_f32 v20, -v18, v19, 1.0
	v_fmac_f32_e32 v19, v20, v19
	s_delay_alu instid0(VALU_DEP_1) | instskip(NEXT) | instid1(VALU_DEP_1)
	v_mul_f32_e32 v20, v21, v19
	v_fma_f32 v22, -v18, v20, v21
	s_delay_alu instid0(VALU_DEP_1) | instskip(NEXT) | instid1(VALU_DEP_1)
	v_fmac_f32_e32 v20, v22, v19
	v_fma_f32 v18, -v18, v20, v21
	s_delay_alu instid0(VALU_DEP_1) | instskip(SKIP_1) | instid1(VALU_DEP_2)
	v_div_fmas_f32 v18, v18, v19, v20
	v_fma_f32 v19, v7, v11, v12
	v_div_fixup_f32 v8, v18, v8, 1.0
	v_fma_f32 v18, v7, v12, -v11
	s_delay_alu instid0(VALU_DEP_2) | instskip(NEXT) | instid1(VALU_DEP_2)
	v_mul_f32_e32 v7, v19, v8
	v_mul_f32_e32 v8, v18, v8
	s_cbranch_execz .LBB177_90
	s_branch .LBB177_91
.LBB177_89:                             ;   in Loop: Header=BB177_81 Depth=1
                                        ; implicit-def: $vgpr8
.LBB177_90:                             ;   in Loop: Header=BB177_81 Depth=1
	v_div_scale_f32 v7, null, v9, v9, v10
	v_div_scale_f32 v19, vcc_lo, v10, v9, v10
	s_delay_alu instid0(VALU_DEP_2) | instskip(SKIP_2) | instid1(VALU_DEP_1)
	v_rcp_f32_e32 v8, v7
	s_waitcnt_depctr 0xfff
	v_fma_f32 v18, -v7, v8, 1.0
	v_fmac_f32_e32 v8, v18, v8
	s_delay_alu instid0(VALU_DEP_1) | instskip(NEXT) | instid1(VALU_DEP_1)
	v_mul_f32_e32 v18, v19, v8
	v_fma_f32 v20, -v7, v18, v19
	s_delay_alu instid0(VALU_DEP_1) | instskip(NEXT) | instid1(VALU_DEP_1)
	v_fmac_f32_e32 v18, v20, v8
	v_fma_f32 v7, -v7, v18, v19
	s_delay_alu instid0(VALU_DEP_1) | instskip(NEXT) | instid1(VALU_DEP_1)
	v_div_fmas_f32 v7, v7, v8, v18
	v_div_fixup_f32 v7, v7, v9, v10
	s_delay_alu instid0(VALU_DEP_1) | instskip(NEXT) | instid1(VALU_DEP_1)
	v_fmac_f32_e32 v9, v10, v7
	v_div_scale_f32 v8, null, v9, v9, 1.0
	v_div_scale_f32 v19, vcc_lo, 1.0, v9, 1.0
	s_delay_alu instid0(VALU_DEP_2) | instskip(SKIP_2) | instid1(VALU_DEP_1)
	v_rcp_f32_e32 v10, v8
	s_waitcnt_depctr 0xfff
	v_fma_f32 v18, -v8, v10, 1.0
	v_fmac_f32_e32 v10, v18, v10
	s_delay_alu instid0(VALU_DEP_1) | instskip(NEXT) | instid1(VALU_DEP_1)
	v_mul_f32_e32 v18, v19, v10
	v_fma_f32 v20, -v8, v18, v19
	s_delay_alu instid0(VALU_DEP_1) | instskip(NEXT) | instid1(VALU_DEP_1)
	v_fmac_f32_e32 v18, v20, v10
	v_fma_f32 v8, -v8, v18, v19
	s_delay_alu instid0(VALU_DEP_1) | instskip(SKIP_1) | instid1(VALU_DEP_2)
	v_div_fmas_f32 v8, v8, v10, v18
	v_fma_f32 v10, v7, v12, v11
	v_div_fixup_f32 v8, v8, v9, 1.0
	v_fma_f32 v9, -v7, v11, v12
	s_delay_alu instid0(VALU_DEP_2) | instskip(NEXT) | instid1(VALU_DEP_2)
	v_mul_f32_e32 v7, v10, v8
	v_mul_f32_e32 v8, v9, v8
.LBB177_91:                             ;   in Loop: Header=BB177_81 Depth=1
	s_add_i32 s21, s14, s16
	s_add_i32 s16, s10, s16
	s_lshl_b32 s21, s21, 3
	s_lshl_b32 s22, s16, 3
	s_delay_alu instid0(SALU_CYCLE_1) | instskip(SKIP_1) | instid1(SALU_CYCLE_1)
	v_dual_mov_b32 v9, s21 :: v_dual_mov_b32 v10, s22
	s_add_i32 s16, s17, 0xfffffdf8
	v_mov_b32_e32 v20, s16
	ds_load_b64 v[11:12], v9
	ds_load_b64 v[18:19], v10
	ds_load_b64 v[9:10], v20
	ds_store_b64 v17, v[7:8]
	s_waitcnt lgkmcnt(2)
	v_dual_mul_f32 v20, v6, v12 :: v_dual_mul_f32 v21, v8, v19
	v_mul_f32_e32 v19, v7, v19
	s_waitcnt lgkmcnt(1)
	v_cmp_gt_f32_e32 vcc_lo, 0, v9
	v_mul_f32_e32 v12, v5, v12
	v_fma_f32 v20, v5, v11, -v20
	v_fma_f32 v21, v7, v18, -v21
	v_fmac_f32_e32 v19, v8, v18
	v_cndmask_b32_e64 v22, v9, -v9, vcc_lo
	v_cmp_gt_f32_e32 vcc_lo, 0, v10
	v_dual_fmac_f32 v12, v6, v11 :: v_dual_sub_f32 v3, v3, v20
	v_cndmask_b32_e64 v11, v10, -v10, vcc_lo
	s_delay_alu instid0(VALU_DEP_2) | instskip(NEXT) | instid1(VALU_DEP_2)
	v_dual_sub_f32 v4, v4, v12 :: v_dual_sub_f32 v3, v3, v21
	v_cmp_ngt_f32_e32 vcc_lo, v22, v11
	s_delay_alu instid0(VALU_DEP_2)
	v_sub_f32_e32 v4, v4, v19
	s_cbranch_vccz .LBB177_93
; %bb.92:                               ;   in Loop: Header=BB177_81 Depth=1
	v_div_scale_f32 v11, null, v10, v10, v9
	v_div_scale_f32 v18, vcc_lo, v9, v10, v9
	s_delay_alu instid0(VALU_DEP_2) | instskip(SKIP_2) | instid1(VALU_DEP_1)
	v_rcp_f32_e32 v12, v11
	s_waitcnt_depctr 0xfff
	v_fma_f32 v17, -v11, v12, 1.0
	v_fmac_f32_e32 v12, v17, v12
	s_delay_alu instid0(VALU_DEP_1) | instskip(NEXT) | instid1(VALU_DEP_1)
	v_mul_f32_e32 v17, v18, v12
	v_fma_f32 v19, -v11, v17, v18
	s_delay_alu instid0(VALU_DEP_1) | instskip(NEXT) | instid1(VALU_DEP_1)
	v_fmac_f32_e32 v17, v19, v12
	v_fma_f32 v11, -v11, v17, v18
	s_delay_alu instid0(VALU_DEP_1) | instskip(NEXT) | instid1(VALU_DEP_1)
	v_div_fmas_f32 v11, v11, v12, v17
	v_div_fixup_f32 v11, v11, v10, v9
	s_delay_alu instid0(VALU_DEP_1) | instskip(NEXT) | instid1(VALU_DEP_1)
	v_fma_f32 v12, v9, v11, v10
	v_div_scale_f32 v17, null, v12, v12, 1.0
	v_div_scale_f32 v20, vcc_lo, 1.0, v12, 1.0
	s_delay_alu instid0(VALU_DEP_2) | instskip(SKIP_2) | instid1(VALU_DEP_1)
	v_rcp_f32_e32 v18, v17
	s_waitcnt_depctr 0xfff
	v_fma_f32 v19, -v17, v18, 1.0
	v_fmac_f32_e32 v18, v19, v18
	s_delay_alu instid0(VALU_DEP_1) | instskip(NEXT) | instid1(VALU_DEP_1)
	v_mul_f32_e32 v19, v20, v18
	v_fma_f32 v21, -v17, v19, v20
	s_delay_alu instid0(VALU_DEP_1) | instskip(NEXT) | instid1(VALU_DEP_1)
	v_fmac_f32_e32 v19, v21, v18
	v_fma_f32 v17, -v17, v19, v20
	s_delay_alu instid0(VALU_DEP_1) | instskip(SKIP_1) | instid1(VALU_DEP_2)
	v_div_fmas_f32 v17, v17, v18, v19
	v_fma_f32 v18, v11, v3, v4
	v_div_fixup_f32 v12, v17, v12, 1.0
	v_fma_f32 v17, v11, v4, -v3
	s_delay_alu instid0(VALU_DEP_2) | instskip(NEXT) | instid1(VALU_DEP_2)
	v_mul_f32_e32 v11, v18, v12
	v_mul_f32_e32 v12, v17, v12
	s_cbranch_execz .LBB177_94
	s_branch .LBB177_95
.LBB177_93:                             ;   in Loop: Header=BB177_81 Depth=1
                                        ; implicit-def: $vgpr12
.LBB177_94:                             ;   in Loop: Header=BB177_81 Depth=1
	v_div_scale_f32 v11, null, v9, v9, v10
	v_div_scale_f32 v18, vcc_lo, v10, v9, v10
	s_delay_alu instid0(VALU_DEP_2) | instskip(SKIP_2) | instid1(VALU_DEP_1)
	v_rcp_f32_e32 v12, v11
	s_waitcnt_depctr 0xfff
	v_fma_f32 v17, -v11, v12, 1.0
	v_fmac_f32_e32 v12, v17, v12
	s_delay_alu instid0(VALU_DEP_1) | instskip(NEXT) | instid1(VALU_DEP_1)
	v_mul_f32_e32 v17, v18, v12
	v_fma_f32 v19, -v11, v17, v18
	s_delay_alu instid0(VALU_DEP_1) | instskip(NEXT) | instid1(VALU_DEP_1)
	v_fmac_f32_e32 v17, v19, v12
	v_fma_f32 v11, -v11, v17, v18
	s_delay_alu instid0(VALU_DEP_1) | instskip(NEXT) | instid1(VALU_DEP_1)
	v_div_fmas_f32 v11, v11, v12, v17
	v_div_fixup_f32 v11, v11, v9, v10
	s_delay_alu instid0(VALU_DEP_1) | instskip(NEXT) | instid1(VALU_DEP_1)
	v_fmac_f32_e32 v9, v10, v11
	v_div_scale_f32 v10, null, v9, v9, 1.0
	v_div_scale_f32 v18, vcc_lo, 1.0, v9, 1.0
	s_delay_alu instid0(VALU_DEP_2) | instskip(SKIP_2) | instid1(VALU_DEP_1)
	v_rcp_f32_e32 v12, v10
	s_waitcnt_depctr 0xfff
	v_fma_f32 v17, -v10, v12, 1.0
	v_fmac_f32_e32 v12, v17, v12
	s_delay_alu instid0(VALU_DEP_1) | instskip(NEXT) | instid1(VALU_DEP_1)
	v_mul_f32_e32 v17, v18, v12
	v_fma_f32 v19, -v10, v17, v18
	s_delay_alu instid0(VALU_DEP_1) | instskip(NEXT) | instid1(VALU_DEP_1)
	v_fmac_f32_e32 v17, v19, v12
	v_fma_f32 v10, -v10, v17, v18
	s_delay_alu instid0(VALU_DEP_1) | instskip(SKIP_2) | instid1(VALU_DEP_3)
	v_div_fmas_f32 v10, v10, v12, v17
	v_fma_f32 v12, v11, v4, v3
	v_fma_f32 v3, -v11, v3, v4
	v_div_fixup_f32 v9, v10, v9, 1.0
	s_delay_alu instid0(VALU_DEP_1) | instskip(NEXT) | instid1(VALU_DEP_3)
	v_mul_f32_e32 v11, v12, v9
	v_mul_f32_e32 v12, v3, v9
.LBB177_95:                             ;   in Loop: Header=BB177_81 Depth=1
	s_add_i32 s14, s14, s15
	s_add_i32 s10, s10, s15
	s_lshl_b32 s14, s14, 3
	s_lshl_b32 s10, s10, 3
	s_delay_alu instid0(SALU_CYCLE_1) | instskip(SKIP_1) | instid1(SALU_CYCLE_1)
	v_dual_mov_b32 v3, s14 :: v_dual_mov_b32 v4, s10
	s_add_i32 s9, s9, s15
	s_lshl_b32 s9, s9, 3
	ds_load_b64 v[9:10], v3
	ds_load_b64 v[17:18], v4
	v_mov_b32_e32 v19, s9
	s_add_i32 s9, s16, 0xfffffdf8
	s_delay_alu instid0(SALU_CYCLE_1)
	v_mov_b32_e32 v3, s9
	s_waitcnt lgkmcnt(1)
	v_mul_f32_e32 v21, v6, v10
	v_mul_f32_e32 v10, v5, v10
	s_waitcnt lgkmcnt(0)
	v_mul_f32_e32 v22, v8, v18
	ds_load_b64 v[19:20], v19
	ds_load_b64 v[3:4], v3
	v_mul_f32_e32 v18, v7, v18
	ds_store_b64 v16, v[11:12]
	v_fma_f32 v7, v7, v17, -v22
	s_waitcnt lgkmcnt(2)
	v_mul_f32_e32 v23, v12, v20
	v_mul_f32_e32 v20, v11, v20
	v_fma_f32 v5, v5, v9, -v21
	s_waitcnt lgkmcnt(1)
	v_cmp_gt_f32_e32 vcc_lo, 0, v3
	s_delay_alu instid0(VALU_DEP_2) | instskip(SKIP_3) | instid1(VALU_DEP_4)
	v_dual_fmac_f32 v20, v12, v19 :: v_dual_sub_f32 v1, v1, v5
	v_fmac_f32_e32 v10, v6, v9
	v_cndmask_b32_e64 v6, v3, -v3, vcc_lo
	v_cmp_gt_f32_e32 vcc_lo, 0, v4
	v_dual_sub_f32 v1, v1, v7 :: v_dual_fmac_f32 v18, v8, v17
	s_delay_alu instid0(VALU_DEP_4) | instskip(SKIP_2) | instid1(VALU_DEP_2)
	v_sub_f32_e32 v2, v2, v10
	v_cndmask_b32_e64 v5, v4, -v4, vcc_lo
	v_fma_f32 v8, v11, v19, -v23
	v_cmp_ngt_f32_e32 vcc_lo, v6, v5
	s_delay_alu instid0(VALU_DEP_2) | instskip(NEXT) | instid1(VALU_DEP_1)
	v_dual_sub_f32 v5, v1, v8 :: v_dual_sub_f32 v2, v2, v18
	v_sub_f32_e32 v6, v2, v20
	s_cbranch_vccz .LBB177_97
; %bb.96:                               ;   in Loop: Header=BB177_81 Depth=1
	v_div_scale_f32 v1, null, v4, v4, v3
	v_div_scale_f32 v8, vcc_lo, v3, v4, v3
	s_delay_alu instid0(VALU_DEP_2) | instskip(SKIP_2) | instid1(VALU_DEP_1)
	v_rcp_f32_e32 v2, v1
	s_waitcnt_depctr 0xfff
	v_fma_f32 v7, -v1, v2, 1.0
	v_fmac_f32_e32 v2, v7, v2
	s_delay_alu instid0(VALU_DEP_1) | instskip(NEXT) | instid1(VALU_DEP_1)
	v_mul_f32_e32 v7, v8, v2
	v_fma_f32 v9, -v1, v7, v8
	s_delay_alu instid0(VALU_DEP_1) | instskip(NEXT) | instid1(VALU_DEP_1)
	v_fmac_f32_e32 v7, v9, v2
	v_fma_f32 v1, -v1, v7, v8
	s_delay_alu instid0(VALU_DEP_1) | instskip(NEXT) | instid1(VALU_DEP_1)
	v_div_fmas_f32 v1, v1, v2, v7
	v_div_fixup_f32 v1, v1, v4, v3
	s_delay_alu instid0(VALU_DEP_1) | instskip(NEXT) | instid1(VALU_DEP_1)
	v_fma_f32 v2, v3, v1, v4
	v_div_scale_f32 v7, null, v2, v2, 1.0
	v_div_scale_f32 v10, vcc_lo, 1.0, v2, 1.0
	s_delay_alu instid0(VALU_DEP_2) | instskip(SKIP_2) | instid1(VALU_DEP_1)
	v_rcp_f32_e32 v8, v7
	s_waitcnt_depctr 0xfff
	v_fma_f32 v9, -v7, v8, 1.0
	v_fmac_f32_e32 v8, v9, v8
	s_delay_alu instid0(VALU_DEP_1) | instskip(NEXT) | instid1(VALU_DEP_1)
	v_mul_f32_e32 v9, v10, v8
	v_fma_f32 v11, -v7, v9, v10
	s_delay_alu instid0(VALU_DEP_1) | instskip(NEXT) | instid1(VALU_DEP_1)
	v_fmac_f32_e32 v9, v11, v8
	v_fma_f32 v7, -v7, v9, v10
	s_delay_alu instid0(VALU_DEP_1) | instskip(SKIP_1) | instid1(VALU_DEP_2)
	v_div_fmas_f32 v7, v7, v8, v9
	v_fma_f32 v8, v1, v5, v6
	v_div_fixup_f32 v2, v7, v2, 1.0
	v_fma_f32 v7, v1, v6, -v5
	s_delay_alu instid0(VALU_DEP_2) | instskip(NEXT) | instid1(VALU_DEP_2)
	v_mul_f32_e32 v1, v8, v2
	v_mul_f32_e32 v2, v7, v2
	s_cbranch_execz .LBB177_98
	s_branch .LBB177_99
.LBB177_97:                             ;   in Loop: Header=BB177_81 Depth=1
                                        ; implicit-def: $vgpr2
.LBB177_98:                             ;   in Loop: Header=BB177_81 Depth=1
	v_div_scale_f32 v1, null, v3, v3, v4
	v_div_scale_f32 v8, vcc_lo, v4, v3, v4
	s_delay_alu instid0(VALU_DEP_2) | instskip(SKIP_2) | instid1(VALU_DEP_1)
	v_rcp_f32_e32 v2, v1
	s_waitcnt_depctr 0xfff
	v_fma_f32 v7, -v1, v2, 1.0
	v_fmac_f32_e32 v2, v7, v2
	s_delay_alu instid0(VALU_DEP_1) | instskip(NEXT) | instid1(VALU_DEP_1)
	v_mul_f32_e32 v7, v8, v2
	v_fma_f32 v9, -v1, v7, v8
	s_delay_alu instid0(VALU_DEP_1) | instskip(NEXT) | instid1(VALU_DEP_1)
	v_fmac_f32_e32 v7, v9, v2
	v_fma_f32 v1, -v1, v7, v8
	s_delay_alu instid0(VALU_DEP_1) | instskip(NEXT) | instid1(VALU_DEP_1)
	v_div_fmas_f32 v1, v1, v2, v7
	v_div_fixup_f32 v1, v1, v3, v4
	s_delay_alu instid0(VALU_DEP_1) | instskip(NEXT) | instid1(VALU_DEP_1)
	v_fmac_f32_e32 v3, v4, v1
	v_div_scale_f32 v2, null, v3, v3, 1.0
	v_div_scale_f32 v8, vcc_lo, 1.0, v3, 1.0
	s_delay_alu instid0(VALU_DEP_2) | instskip(SKIP_2) | instid1(VALU_DEP_1)
	v_rcp_f32_e32 v4, v2
	s_waitcnt_depctr 0xfff
	v_fma_f32 v7, -v2, v4, 1.0
	v_fmac_f32_e32 v4, v7, v4
	s_delay_alu instid0(VALU_DEP_1) | instskip(NEXT) | instid1(VALU_DEP_1)
	v_mul_f32_e32 v7, v8, v4
	v_fma_f32 v9, -v2, v7, v8
	s_delay_alu instid0(VALU_DEP_1) | instskip(NEXT) | instid1(VALU_DEP_1)
	v_fmac_f32_e32 v7, v9, v4
	v_fma_f32 v2, -v2, v7, v8
	s_delay_alu instid0(VALU_DEP_1) | instskip(SKIP_1) | instid1(VALU_DEP_2)
	v_div_fmas_f32 v2, v2, v4, v7
	v_fma_f32 v4, v1, v6, v5
	v_div_fixup_f32 v2, v2, v3, 1.0
	v_fma_f32 v3, -v1, v5, v6
	s_delay_alu instid0(VALU_DEP_2) | instskip(NEXT) | instid1(VALU_DEP_2)
	v_mul_f32_e32 v1, v4, v2
	v_mul_f32_e32 v2, v3, v2
.LBB177_99:                             ;   in Loop: Header=BB177_81 Depth=1
	s_add_i32 s9, s5, -4
	s_sub_i32 s4, s4, 32
	s_cmp_lt_i32 s5, 7
	ds_store_b64 v15, v[1:2]
	s_cbranch_scc1 .LBB177_101
; %bb.100:                              ;   in Loop: Header=BB177_81 Depth=1
	s_mov_b32 s5, s9
	s_branch .LBB177_81
.LBB177_101:
	s_cmp_lt_i32 s9, 0
	s_cbranch_scc1 .LBB177_110
; %bb.102:
	s_lshl_b32 s4, s11, 9
	s_lshl_b32 s5, s9, 3
	v_lshl_or_b32 v1, v0, 3, s4
	v_lshlrev_b32_e32 v8, 3, v0
	s_add_i32 s4, s4, s5
	s_delay_alu instid0(SALU_CYCLE_1) | instskip(NEXT) | instid1(VALU_DEP_2)
	s_addk_i32 s4, 0xfe00
	v_add_nc_u32_e32 v7, 0x7e00, v1
	s_branch .LBB177_104
.LBB177_103:                            ;   in Loop: Header=BB177_104 Depth=1
	s_add_i32 s5, s9, -1
	s_add_i32 s4, s4, -8
	s_cmp_lt_i32 s9, 1
	s_mov_b32 s9, s5
	ds_store_b64 v9, v[5:6]
	s_cbranch_scc1 .LBB177_110
.LBB177_104:                            ; =>This Loop Header: Depth=1
                                        ;     Child Loop BB177_105 Depth 2
	v_lshl_or_b32 v3, s9, 9, v8
	s_delay_alu instid0(VALU_DEP_2)
	v_mov_b32_e32 v4, v7
	s_cmp_le_i32 s30, s9
	s_mov_b32 s5, s4
	s_mov_b32 s10, s30
	ds_load_b64 v[1:2], v3 offset:32768
	s_cbranch_scc1 .LBB177_106
	.p2align	6
.LBB177_105:                            ;   Parent Loop BB177_104 Depth=1
                                        ; =>  This Inner Loop Header: Depth=2
	v_mov_b32_e32 v9, s5
	s_add_i32 s10, s10, -1
	s_addk_i32 s5, 0xfe00
	s_cmp_le_i32 s10, s9
	ds_load_b64 v[5:6], v4
	ds_load_b64 v[9:10], v9
	s_waitcnt lgkmcnt(0)
	v_dual_mul_f32 v11, v10, v6 :: v_dual_add_nc_u32 v4, 0xfffffe00, v4
	v_mul_f32_e32 v6, v9, v6
	s_delay_alu instid0(VALU_DEP_2) | instskip(NEXT) | instid1(VALU_DEP_2)
	v_fma_f32 v9, v9, v5, -v11
	v_fmac_f32_e32 v6, v10, v5
	s_delay_alu instid0(VALU_DEP_1)
	v_dual_sub_f32 v1, v1, v9 :: v_dual_sub_f32 v2, v2, v6
	s_cbranch_scc0 .LBB177_105
.LBB177_106:                            ;   in Loop: Header=BB177_104 Depth=1
	s_mul_i32 s5, s9, 0x208
	v_add_nc_u32_e32 v9, 0x8000, v3
	v_mov_b32_e32 v3, s5
	ds_load_b64 v[3:4], v3
	s_waitcnt lgkmcnt(0)
	v_cmp_gt_f32_e32 vcc_lo, 0, v3
	v_cndmask_b32_e64 v5, v3, -v3, vcc_lo
	v_cmp_gt_f32_e32 vcc_lo, 0, v4
	v_cndmask_b32_e64 v6, v4, -v4, vcc_lo
	s_delay_alu instid0(VALU_DEP_1)
	v_cmp_ngt_f32_e32 vcc_lo, v5, v6
	s_cbranch_vccz .LBB177_108
; %bb.107:                              ;   in Loop: Header=BB177_104 Depth=1
	v_div_scale_f32 v5, null, v4, v4, v3
	v_div_scale_f32 v11, vcc_lo, v3, v4, v3
	s_delay_alu instid0(VALU_DEP_2) | instskip(SKIP_2) | instid1(VALU_DEP_1)
	v_rcp_f32_e32 v6, v5
	s_waitcnt_depctr 0xfff
	v_fma_f32 v10, -v5, v6, 1.0
	v_fmac_f32_e32 v6, v10, v6
	s_delay_alu instid0(VALU_DEP_1) | instskip(NEXT) | instid1(VALU_DEP_1)
	v_mul_f32_e32 v10, v11, v6
	v_fma_f32 v12, -v5, v10, v11
	s_delay_alu instid0(VALU_DEP_1) | instskip(NEXT) | instid1(VALU_DEP_1)
	v_fmac_f32_e32 v10, v12, v6
	v_fma_f32 v5, -v5, v10, v11
	s_delay_alu instid0(VALU_DEP_1) | instskip(NEXT) | instid1(VALU_DEP_1)
	v_div_fmas_f32 v5, v5, v6, v10
	v_div_fixup_f32 v5, v5, v4, v3
	s_delay_alu instid0(VALU_DEP_1) | instskip(NEXT) | instid1(VALU_DEP_1)
	v_fma_f32 v6, v3, v5, v4
	v_div_scale_f32 v10, null, v6, v6, 1.0
	v_div_scale_f32 v13, vcc_lo, 1.0, v6, 1.0
	s_delay_alu instid0(VALU_DEP_2) | instskip(SKIP_2) | instid1(VALU_DEP_1)
	v_rcp_f32_e32 v11, v10
	s_waitcnt_depctr 0xfff
	v_fma_f32 v12, -v10, v11, 1.0
	v_fmac_f32_e32 v11, v12, v11
	s_delay_alu instid0(VALU_DEP_1) | instskip(NEXT) | instid1(VALU_DEP_1)
	v_mul_f32_e32 v12, v13, v11
	v_fma_f32 v14, -v10, v12, v13
	s_delay_alu instid0(VALU_DEP_1) | instskip(NEXT) | instid1(VALU_DEP_1)
	v_fmac_f32_e32 v12, v14, v11
	v_fma_f32 v10, -v10, v12, v13
	s_delay_alu instid0(VALU_DEP_1) | instskip(SKIP_1) | instid1(VALU_DEP_2)
	v_div_fmas_f32 v10, v10, v11, v12
	v_fma_f32 v11, v1, v5, v2
	v_div_fixup_f32 v6, v10, v6, 1.0
	v_fma_f32 v10, v2, v5, -v1
	s_delay_alu instid0(VALU_DEP_2) | instskip(NEXT) | instid1(VALU_DEP_2)
	v_mul_f32_e32 v5, v11, v6
	v_mul_f32_e32 v6, v10, v6
	s_cbranch_execnz .LBB177_103
	s_branch .LBB177_109
.LBB177_108:                            ;   in Loop: Header=BB177_104 Depth=1
                                        ; implicit-def: $vgpr5
.LBB177_109:                            ;   in Loop: Header=BB177_104 Depth=1
	v_div_scale_f32 v5, null, v3, v3, v4
	v_div_scale_f32 v11, vcc_lo, v4, v3, v4
	s_delay_alu instid0(VALU_DEP_2) | instskip(SKIP_2) | instid1(VALU_DEP_1)
	v_rcp_f32_e32 v6, v5
	s_waitcnt_depctr 0xfff
	v_fma_f32 v10, -v5, v6, 1.0
	v_fmac_f32_e32 v6, v10, v6
	s_delay_alu instid0(VALU_DEP_1) | instskip(NEXT) | instid1(VALU_DEP_1)
	v_mul_f32_e32 v10, v11, v6
	v_fma_f32 v12, -v5, v10, v11
	s_delay_alu instid0(VALU_DEP_1) | instskip(NEXT) | instid1(VALU_DEP_1)
	v_fmac_f32_e32 v10, v12, v6
	v_fma_f32 v5, -v5, v10, v11
	s_delay_alu instid0(VALU_DEP_1) | instskip(NEXT) | instid1(VALU_DEP_1)
	v_div_fmas_f32 v5, v5, v6, v10
	v_div_fixup_f32 v5, v5, v3, v4
	s_delay_alu instid0(VALU_DEP_1) | instskip(NEXT) | instid1(VALU_DEP_1)
	v_fmac_f32_e32 v3, v4, v5
	v_div_scale_f32 v4, null, v3, v3, 1.0
	v_div_scale_f32 v11, vcc_lo, 1.0, v3, 1.0
	s_delay_alu instid0(VALU_DEP_2) | instskip(SKIP_2) | instid1(VALU_DEP_1)
	v_rcp_f32_e32 v6, v4
	s_waitcnt_depctr 0xfff
	v_fma_f32 v10, -v4, v6, 1.0
	v_fmac_f32_e32 v6, v10, v6
	s_delay_alu instid0(VALU_DEP_1) | instskip(NEXT) | instid1(VALU_DEP_1)
	v_mul_f32_e32 v10, v11, v6
	v_fma_f32 v12, -v4, v10, v11
	s_delay_alu instid0(VALU_DEP_1) | instskip(NEXT) | instid1(VALU_DEP_1)
	v_fmac_f32_e32 v10, v12, v6
	v_fma_f32 v4, -v4, v10, v11
	s_delay_alu instid0(VALU_DEP_1) | instskip(SKIP_2) | instid1(VALU_DEP_3)
	v_div_fmas_f32 v4, v4, v6, v10
	v_fma_f32 v6, v2, v5, v1
	v_fma_f32 v1, -v1, v5, v2
	v_div_fixup_f32 v3, v4, v3, 1.0
	s_delay_alu instid0(VALU_DEP_1) | instskip(NEXT) | instid1(VALU_DEP_3)
	v_mul_f32_e32 v5, v6, v3
	v_mul_f32_e32 v6, v1, v3
	s_branch .LBB177_103
.LBB177_110:
	s_mov_b32 s4, 0
.LBB177_111:
	s_delay_alu instid0(SALU_CYCLE_1)
	s_and_not1_b32 vcc_lo, exec_lo, s4
	s_cbranch_vccnz .LBB177_143
; %bb.112:
	s_and_not1_b32 vcc_lo, exec_lo, s1
	s_mov_b32 s5, s30
	s_cbranch_vccnz .LBB177_134
; %bb.113:
	v_lshlrev_b32_e32 v13, 3, v0
	s_mul_i32 s1, s11, 0x208
	s_mov_b32 s4, s30
	s_addk_i32 s1, 0xf7f0
	s_delay_alu instid0(VALU_DEP_1) | instskip(NEXT) | instid1(VALU_DEP_1)
	v_lshl_or_b32 v1, s11, 9, v13
	v_add_nc_u32_e32 v14, 0x7c00, v1
.LBB177_114:                            ; =>This Loop Header: Depth=1
                                        ;     Child Loop BB177_115 Depth 2
	s_lshl_b32 s5, s4, 6
	s_add_i32 s9, s4, -1
	v_or_b32_e32 v1, s5, v0
	s_add_i32 s10, s5, 0xffffff80
	s_addk_i32 s5, 0xff40
	v_or_b32_e32 v2, s10, v0
	v_or_b32_e32 v5, s5, v0
	v_lshlrev_b32_e32 v3, 3, v1
	v_lshl_or_b32 v4, s9, 9, v13
	v_mov_b32_e32 v15, v14
	v_lshlrev_b32_e32 v9, 3, v2
	v_lshlrev_b32_e32 v10, 3, v5
	ds_load_b64 v[1:2], v3 offset:32768
	ds_load_b64 v[11:12], v4 offset:32768
	;; [unrolled: 1-line block ×4, first 2 shown]
	s_cmp_le_i32 s30, s4
	s_mov_b32 s14, s1
	s_mov_b32 s15, s30
	s_cbranch_scc1 .LBB177_116
.LBB177_115:                            ;   Parent Loop BB177_114 Depth=1
                                        ; =>  This Inner Loop Header: Depth=2
	v_mov_b32_e32 v32, s14
	ds_load_2addr_stride64_b64 v[16:19], v15 offset1:1
	v_add_nc_u32_e32 v15, 0xfffffc00, v15
	s_add_i32 s15, s15, -2
	s_add_i32 s14, s14, -16
	ds_load_2addr_b64 v[20:23], v32 offset0:192 offset1:193
	ds_load_2addr_b64 v[24:27], v32 offset0:128 offset1:129
	;; [unrolled: 1-line block ×3, first 2 shown]
	ds_load_2addr_b64 v[32:35], v32 offset1:1
	s_cmp_le_i32 s15, s4
	s_waitcnt lgkmcnt(3)
	v_dual_mul_f32 v37, v22, v19 :: v_dual_mul_f32 v42, v20, v17
	s_waitcnt lgkmcnt(2)
	v_dual_mul_f32 v38, v27, v19 :: v_dual_mul_f32 v43, v25, v17
	;; [unrolled: 2-line block ×4, first 2 shown]
	v_dual_mul_f32 v36, v23, v19 :: v_dual_mul_f32 v41, v21, v17
	s_delay_alu instid0(VALU_DEP_3) | instskip(SKIP_1) | instid1(VALU_DEP_4)
	v_fmac_f32_e32 v27, v26, v19
	v_mul_f32_e32 v35, v35, v18
	v_fmac_f32_e32 v25, v24, v17
	v_dual_mul_f32 v39, v31, v19 :: v_dual_fmac_f32 v42, v21, v16
	s_delay_alu instid0(VALU_DEP_4) | instskip(SKIP_2) | instid1(VALU_DEP_4)
	v_dual_sub_f32 v12, v12, v27 :: v_dual_fmac_f32 v37, v23, v18
	v_fma_f32 v22, v22, v18, -v36
	v_fma_f32 v23, v26, v18, -v38
	;; [unrolled: 1-line block ×3, first 2 shown]
	s_delay_alu instid0(VALU_DEP_4) | instskip(SKIP_4) | instid1(VALU_DEP_4)
	v_dual_sub_f32 v12, v12, v25 :: v_dual_mul_f32 v31, v31, v18
	v_sub_f32_e32 v2, v2, v37
	v_fma_f32 v18, v34, v18, -v40
	v_fmac_f32_e32 v35, v34, v19
	v_mul_f32_e32 v45, v33, v17
	v_dual_mul_f32 v33, v33, v16 :: v_dual_sub_f32 v2, v2, v42
	v_fmac_f32_e32 v31, v30, v19
	v_mul_f32_e32 v29, v29, v16
	v_fma_f32 v19, v20, v16, -v41
	v_fma_f32 v20, v24, v16, -v43
	;; [unrolled: 1-line block ×3, first 2 shown]
	v_sub_f32_e32 v8, v8, v31
	v_fmac_f32_e32 v29, v28, v17
	v_fmac_f32_e32 v33, v32, v17
	v_sub_f32_e32 v11, v11, v23
	v_sub_f32_e32 v7, v7, v26
	v_dual_sub_f32 v5, v5, v18 :: v_dual_sub_f32 v6, v6, v35
	v_fma_f32 v16, v32, v16, -v45
	v_sub_f32_e32 v1, v1, v22
	v_sub_f32_e32 v11, v11, v20
	;; [unrolled: 1-line block ×4, first 2 shown]
	s_delay_alu instid0(VALU_DEP_4)
	v_dual_sub_f32 v8, v8, v29 :: v_dual_sub_f32 v1, v1, v19
	v_sub_f32_e32 v5, v5, v16
	s_cbranch_scc0 .LBB177_115
.LBB177_116:                            ;   in Loop: Header=BB177_114 Depth=1
	s_mul_i32 s14, s4, 0x208
	s_delay_alu instid0(SALU_CYCLE_1)
	v_dual_mov_b32 v3, s14 :: v_dual_add_nc_u32 v18, 0x8000, v3
	v_add_nc_u32_e32 v17, 0x8000, v4
	v_add_nc_u32_e32 v16, 0x8000, v9
	;; [unrolled: 1-line block ×3, first 2 shown]
	ds_load_b64 v[3:4], v3
	s_waitcnt lgkmcnt(0)
	v_cmp_gt_f32_e32 vcc_lo, 0, v3
	v_cndmask_b32_e64 v9, v3, -v3, vcc_lo
	v_cmp_gt_f32_e32 vcc_lo, 0, v4
	v_cndmask_b32_e64 v10, v4, -v4, vcc_lo
	s_delay_alu instid0(VALU_DEP_1)
	v_cmp_ngt_f32_e32 vcc_lo, v9, v10
	s_cbranch_vccz .LBB177_118
; %bb.117:                              ;   in Loop: Header=BB177_114 Depth=1
	v_div_scale_f32 v9, null, v4, v4, v3
	v_div_scale_f32 v20, vcc_lo, v3, v4, v3
	s_delay_alu instid0(VALU_DEP_2) | instskip(SKIP_2) | instid1(VALU_DEP_1)
	v_rcp_f32_e32 v10, v9
	s_waitcnt_depctr 0xfff
	v_fma_f32 v19, -v9, v10, 1.0
	v_fmac_f32_e32 v10, v19, v10
	s_delay_alu instid0(VALU_DEP_1) | instskip(NEXT) | instid1(VALU_DEP_1)
	v_mul_f32_e32 v19, v20, v10
	v_fma_f32 v21, -v9, v19, v20
	s_delay_alu instid0(VALU_DEP_1) | instskip(NEXT) | instid1(VALU_DEP_1)
	v_fmac_f32_e32 v19, v21, v10
	v_fma_f32 v9, -v9, v19, v20
	s_delay_alu instid0(VALU_DEP_1) | instskip(NEXT) | instid1(VALU_DEP_1)
	v_div_fmas_f32 v9, v9, v10, v19
	v_div_fixup_f32 v9, v9, v4, v3
	s_delay_alu instid0(VALU_DEP_1) | instskip(NEXT) | instid1(VALU_DEP_1)
	v_fma_f32 v10, v3, v9, v4
	v_div_scale_f32 v19, null, v10, v10, 1.0
	v_div_scale_f32 v22, vcc_lo, 1.0, v10, 1.0
	s_delay_alu instid0(VALU_DEP_2) | instskip(SKIP_2) | instid1(VALU_DEP_1)
	v_rcp_f32_e32 v20, v19
	s_waitcnt_depctr 0xfff
	v_fma_f32 v21, -v19, v20, 1.0
	v_fmac_f32_e32 v20, v21, v20
	s_delay_alu instid0(VALU_DEP_1) | instskip(NEXT) | instid1(VALU_DEP_1)
	v_mul_f32_e32 v21, v22, v20
	v_fma_f32 v23, -v19, v21, v22
	s_delay_alu instid0(VALU_DEP_1) | instskip(NEXT) | instid1(VALU_DEP_1)
	v_fmac_f32_e32 v21, v23, v20
	v_fma_f32 v19, -v19, v21, v22
	s_delay_alu instid0(VALU_DEP_1) | instskip(SKIP_1) | instid1(VALU_DEP_2)
	v_div_fmas_f32 v19, v19, v20, v21
	v_fma_f32 v20, v1, v9, v2
	v_div_fixup_f32 v10, v19, v10, 1.0
	v_fma_f32 v19, v2, v9, -v1
	s_delay_alu instid0(VALU_DEP_2) | instskip(NEXT) | instid1(VALU_DEP_2)
	v_mul_f32_e32 v9, v20, v10
	v_mul_f32_e32 v10, v19, v10
	s_cbranch_execz .LBB177_119
	s_branch .LBB177_120
.LBB177_118:                            ;   in Loop: Header=BB177_114 Depth=1
                                        ; implicit-def: $vgpr10
.LBB177_119:                            ;   in Loop: Header=BB177_114 Depth=1
	v_div_scale_f32 v9, null, v3, v3, v4
	v_div_scale_f32 v20, vcc_lo, v4, v3, v4
	s_delay_alu instid0(VALU_DEP_2) | instskip(SKIP_2) | instid1(VALU_DEP_1)
	v_rcp_f32_e32 v10, v9
	s_waitcnt_depctr 0xfff
	v_fma_f32 v19, -v9, v10, 1.0
	v_fmac_f32_e32 v10, v19, v10
	s_delay_alu instid0(VALU_DEP_1) | instskip(NEXT) | instid1(VALU_DEP_1)
	v_mul_f32_e32 v19, v20, v10
	v_fma_f32 v21, -v9, v19, v20
	s_delay_alu instid0(VALU_DEP_1) | instskip(NEXT) | instid1(VALU_DEP_1)
	v_fmac_f32_e32 v19, v21, v10
	v_fma_f32 v9, -v9, v19, v20
	s_delay_alu instid0(VALU_DEP_1) | instskip(NEXT) | instid1(VALU_DEP_1)
	v_div_fmas_f32 v9, v9, v10, v19
	v_div_fixup_f32 v9, v9, v3, v4
	s_delay_alu instid0(VALU_DEP_1) | instskip(NEXT) | instid1(VALU_DEP_1)
	v_fmac_f32_e32 v3, v4, v9
	v_div_scale_f32 v4, null, v3, v3, 1.0
	v_div_scale_f32 v20, vcc_lo, 1.0, v3, 1.0
	s_delay_alu instid0(VALU_DEP_2) | instskip(SKIP_2) | instid1(VALU_DEP_1)
	v_rcp_f32_e32 v10, v4
	s_waitcnt_depctr 0xfff
	v_fma_f32 v19, -v4, v10, 1.0
	v_fmac_f32_e32 v10, v19, v10
	s_delay_alu instid0(VALU_DEP_1) | instskip(NEXT) | instid1(VALU_DEP_1)
	v_mul_f32_e32 v19, v20, v10
	v_fma_f32 v21, -v4, v19, v20
	s_delay_alu instid0(VALU_DEP_1) | instskip(NEXT) | instid1(VALU_DEP_1)
	v_fmac_f32_e32 v19, v21, v10
	v_fma_f32 v4, -v4, v19, v20
	s_delay_alu instid0(VALU_DEP_1) | instskip(SKIP_2) | instid1(VALU_DEP_3)
	v_div_fmas_f32 v4, v4, v10, v19
	v_fma_f32 v10, v2, v9, v1
	v_fma_f32 v1, -v1, v9, v2
	v_div_fixup_f32 v3, v4, v3, 1.0
	s_delay_alu instid0(VALU_DEP_1) | instskip(NEXT) | instid1(VALU_DEP_3)
	v_mul_f32_e32 v9, v10, v3
	v_mul_f32_e32 v10, v1, v3
.LBB177_120:                            ;   in Loop: Header=BB177_114 Depth=1
	s_addk_i32 s14, 0xfdf8
	ds_store_b64 v18, v[9:10]
	v_mov_b32_e32 v1, s14
	ds_load_2addr_b64 v[1:4], v1 offset1:1
	s_waitcnt lgkmcnt(0)
	v_cmp_gt_f32_e32 vcc_lo, 0, v1
	v_mul_f32_e32 v19, v10, v4
	v_mul_f32_e32 v4, v9, v4
	v_cndmask_b32_e64 v20, v1, -v1, vcc_lo
	v_cmp_gt_f32_e32 vcc_lo, 0, v2
	s_delay_alu instid0(VALU_DEP_4) | instskip(NEXT) | instid1(VALU_DEP_4)
	v_fma_f32 v19, v9, v3, -v19
	v_fmac_f32_e32 v4, v10, v3
	v_cndmask_b32_e64 v21, v2, -v2, vcc_lo
	s_delay_alu instid0(VALU_DEP_2) | instskip(NEXT) | instid1(VALU_DEP_2)
	v_dual_sub_f32 v3, v11, v19 :: v_dual_sub_f32 v4, v12, v4
	v_cmp_ngt_f32_e32 vcc_lo, v20, v21
	s_cbranch_vccz .LBB177_122
; %bb.121:                              ;   in Loop: Header=BB177_114 Depth=1
	v_div_scale_f32 v11, null, v2, v2, v1
	v_div_scale_f32 v19, vcc_lo, v1, v2, v1
	s_delay_alu instid0(VALU_DEP_2) | instskip(SKIP_2) | instid1(VALU_DEP_1)
	v_rcp_f32_e32 v12, v11
	s_waitcnt_depctr 0xfff
	v_fma_f32 v18, -v11, v12, 1.0
	v_fmac_f32_e32 v12, v18, v12
	s_delay_alu instid0(VALU_DEP_1) | instskip(NEXT) | instid1(VALU_DEP_1)
	v_mul_f32_e32 v18, v19, v12
	v_fma_f32 v20, -v11, v18, v19
	s_delay_alu instid0(VALU_DEP_1) | instskip(NEXT) | instid1(VALU_DEP_1)
	v_fmac_f32_e32 v18, v20, v12
	v_fma_f32 v11, -v11, v18, v19
	s_delay_alu instid0(VALU_DEP_1) | instskip(NEXT) | instid1(VALU_DEP_1)
	v_div_fmas_f32 v11, v11, v12, v18
	v_div_fixup_f32 v11, v11, v2, v1
	s_delay_alu instid0(VALU_DEP_1) | instskip(NEXT) | instid1(VALU_DEP_1)
	v_fma_f32 v12, v1, v11, v2
	v_div_scale_f32 v18, null, v12, v12, 1.0
	v_div_scale_f32 v21, vcc_lo, 1.0, v12, 1.0
	s_delay_alu instid0(VALU_DEP_2) | instskip(SKIP_2) | instid1(VALU_DEP_1)
	v_rcp_f32_e32 v19, v18
	s_waitcnt_depctr 0xfff
	v_fma_f32 v20, -v18, v19, 1.0
	v_fmac_f32_e32 v19, v20, v19
	s_delay_alu instid0(VALU_DEP_1) | instskip(NEXT) | instid1(VALU_DEP_1)
	v_mul_f32_e32 v20, v21, v19
	v_fma_f32 v22, -v18, v20, v21
	s_delay_alu instid0(VALU_DEP_1) | instskip(NEXT) | instid1(VALU_DEP_1)
	v_fmac_f32_e32 v20, v22, v19
	v_fma_f32 v18, -v18, v20, v21
	s_delay_alu instid0(VALU_DEP_1) | instskip(SKIP_1) | instid1(VALU_DEP_2)
	v_div_fmas_f32 v18, v18, v19, v20
	v_fma_f32 v19, v11, v3, v4
	v_div_fixup_f32 v12, v18, v12, 1.0
	v_fma_f32 v18, v11, v4, -v3
	s_delay_alu instid0(VALU_DEP_2) | instskip(NEXT) | instid1(VALU_DEP_2)
	v_mul_f32_e32 v11, v19, v12
	v_mul_f32_e32 v12, v18, v12
	s_cbranch_execz .LBB177_123
	s_branch .LBB177_124
.LBB177_122:                            ;   in Loop: Header=BB177_114 Depth=1
                                        ; implicit-def: $vgpr12
.LBB177_123:                            ;   in Loop: Header=BB177_114 Depth=1
	v_div_scale_f32 v11, null, v1, v1, v2
	v_div_scale_f32 v19, vcc_lo, v2, v1, v2
	s_delay_alu instid0(VALU_DEP_2) | instskip(SKIP_2) | instid1(VALU_DEP_1)
	v_rcp_f32_e32 v12, v11
	s_waitcnt_depctr 0xfff
	v_fma_f32 v18, -v11, v12, 1.0
	v_fmac_f32_e32 v12, v18, v12
	s_delay_alu instid0(VALU_DEP_1) | instskip(NEXT) | instid1(VALU_DEP_1)
	v_mul_f32_e32 v18, v19, v12
	v_fma_f32 v20, -v11, v18, v19
	s_delay_alu instid0(VALU_DEP_1) | instskip(NEXT) | instid1(VALU_DEP_1)
	v_fmac_f32_e32 v18, v20, v12
	v_fma_f32 v11, -v11, v18, v19
	s_delay_alu instid0(VALU_DEP_1) | instskip(NEXT) | instid1(VALU_DEP_1)
	v_div_fmas_f32 v11, v11, v12, v18
	v_div_fixup_f32 v11, v11, v1, v2
	s_delay_alu instid0(VALU_DEP_1) | instskip(NEXT) | instid1(VALU_DEP_1)
	v_fmac_f32_e32 v1, v2, v11
	v_div_scale_f32 v2, null, v1, v1, 1.0
	v_div_scale_f32 v19, vcc_lo, 1.0, v1, 1.0
	s_delay_alu instid0(VALU_DEP_2) | instskip(SKIP_2) | instid1(VALU_DEP_1)
	v_rcp_f32_e32 v12, v2
	s_waitcnt_depctr 0xfff
	v_fma_f32 v18, -v2, v12, 1.0
	v_fmac_f32_e32 v12, v18, v12
	s_delay_alu instid0(VALU_DEP_1) | instskip(NEXT) | instid1(VALU_DEP_1)
	v_mul_f32_e32 v18, v19, v12
	v_fma_f32 v20, -v2, v18, v19
	s_delay_alu instid0(VALU_DEP_1) | instskip(NEXT) | instid1(VALU_DEP_1)
	v_fmac_f32_e32 v18, v20, v12
	v_fma_f32 v2, -v2, v18, v19
	s_delay_alu instid0(VALU_DEP_1) | instskip(SKIP_1) | instid1(VALU_DEP_2)
	v_div_fmas_f32 v2, v2, v12, v18
	v_fma_f32 v12, v11, v4, v3
	v_div_fixup_f32 v1, v2, v1, 1.0
	v_fma_f32 v2, -v11, v3, v4
	s_delay_alu instid0(VALU_DEP_2) | instskip(NEXT) | instid1(VALU_DEP_2)
	v_mul_f32_e32 v11, v12, v1
	v_mul_f32_e32 v12, v2, v1
.LBB177_124:                            ;   in Loop: Header=BB177_114 Depth=1
	s_add_i32 s10, s10, s4
	s_delay_alu instid0(SALU_CYCLE_1) | instskip(SKIP_1) | instid1(SALU_CYCLE_1)
	s_lshl_b32 s15, s10, 3
	s_add_i32 s10, s14, 0xfffffdf8
	v_dual_mov_b32 v1, s15 :: v_dual_mov_b32 v2, s10
	ds_load_b64 v[18:19], v1
	ds_load_2addr_b64 v[1:4], v2 offset1:1
	ds_store_b64 v17, v[11:12]
	s_waitcnt lgkmcnt(1)
	v_dual_mul_f32 v20, v10, v19 :: v_dual_mul_f32 v21, v12, v4
	v_cmp_gt_f32_e32 vcc_lo, 0, v1
	v_dual_mul_f32 v19, v9, v19 :: v_dual_mul_f32 v4, v11, v4
	s_delay_alu instid0(VALU_DEP_3) | instskip(NEXT) | instid1(VALU_DEP_4)
	v_fma_f32 v20, v9, v18, -v20
	v_fma_f32 v21, v11, v3, -v21
	v_cndmask_b32_e64 v22, v1, -v1, vcc_lo
	v_cmp_gt_f32_e32 vcc_lo, 0, v2
	v_dual_fmac_f32 v19, v10, v18 :: v_dual_fmac_f32 v4, v12, v3
	v_sub_f32_e32 v3, v7, v20
	v_cndmask_b32_e64 v18, v2, -v2, vcc_lo
	s_delay_alu instid0(VALU_DEP_3) | instskip(NEXT) | instid1(VALU_DEP_3)
	v_sub_f32_e32 v7, v8, v19
	v_sub_f32_e32 v3, v3, v21
	s_delay_alu instid0(VALU_DEP_3) | instskip(NEXT) | instid1(VALU_DEP_3)
	v_cmp_ngt_f32_e32 vcc_lo, v22, v18
	v_sub_f32_e32 v4, v7, v4
	s_cbranch_vccz .LBB177_126
; %bb.125:                              ;   in Loop: Header=BB177_114 Depth=1
	v_div_scale_f32 v7, null, v2, v2, v1
	v_div_scale_f32 v18, vcc_lo, v1, v2, v1
	s_delay_alu instid0(VALU_DEP_2) | instskip(SKIP_2) | instid1(VALU_DEP_1)
	v_rcp_f32_e32 v8, v7
	s_waitcnt_depctr 0xfff
	v_fma_f32 v17, -v7, v8, 1.0
	v_fmac_f32_e32 v8, v17, v8
	s_delay_alu instid0(VALU_DEP_1) | instskip(NEXT) | instid1(VALU_DEP_1)
	v_mul_f32_e32 v17, v18, v8
	v_fma_f32 v19, -v7, v17, v18
	s_delay_alu instid0(VALU_DEP_1) | instskip(NEXT) | instid1(VALU_DEP_1)
	v_fmac_f32_e32 v17, v19, v8
	v_fma_f32 v7, -v7, v17, v18
	s_delay_alu instid0(VALU_DEP_1) | instskip(NEXT) | instid1(VALU_DEP_1)
	v_div_fmas_f32 v7, v7, v8, v17
	v_div_fixup_f32 v7, v7, v2, v1
	s_delay_alu instid0(VALU_DEP_1) | instskip(NEXT) | instid1(VALU_DEP_1)
	v_fma_f32 v8, v1, v7, v2
	v_div_scale_f32 v17, null, v8, v8, 1.0
	v_div_scale_f32 v20, vcc_lo, 1.0, v8, 1.0
	s_delay_alu instid0(VALU_DEP_2) | instskip(SKIP_2) | instid1(VALU_DEP_1)
	v_rcp_f32_e32 v18, v17
	s_waitcnt_depctr 0xfff
	v_fma_f32 v19, -v17, v18, 1.0
	v_fmac_f32_e32 v18, v19, v18
	s_delay_alu instid0(VALU_DEP_1) | instskip(NEXT) | instid1(VALU_DEP_1)
	v_mul_f32_e32 v19, v20, v18
	v_fma_f32 v21, -v17, v19, v20
	s_delay_alu instid0(VALU_DEP_1) | instskip(NEXT) | instid1(VALU_DEP_1)
	v_fmac_f32_e32 v19, v21, v18
	v_fma_f32 v17, -v17, v19, v20
	s_delay_alu instid0(VALU_DEP_1) | instskip(SKIP_1) | instid1(VALU_DEP_2)
	v_div_fmas_f32 v17, v17, v18, v19
	v_fma_f32 v18, v7, v3, v4
	v_div_fixup_f32 v8, v17, v8, 1.0
	v_fma_f32 v17, v7, v4, -v3
	s_delay_alu instid0(VALU_DEP_2) | instskip(NEXT) | instid1(VALU_DEP_2)
	v_mul_f32_e32 v7, v18, v8
	v_mul_f32_e32 v8, v17, v8
	s_cbranch_execz .LBB177_127
	s_branch .LBB177_128
.LBB177_126:                            ;   in Loop: Header=BB177_114 Depth=1
                                        ; implicit-def: $vgpr8
.LBB177_127:                            ;   in Loop: Header=BB177_114 Depth=1
	v_div_scale_f32 v7, null, v1, v1, v2
	v_div_scale_f32 v18, vcc_lo, v2, v1, v2
	s_delay_alu instid0(VALU_DEP_2) | instskip(SKIP_2) | instid1(VALU_DEP_1)
	v_rcp_f32_e32 v8, v7
	s_waitcnt_depctr 0xfff
	v_fma_f32 v17, -v7, v8, 1.0
	v_fmac_f32_e32 v8, v17, v8
	s_delay_alu instid0(VALU_DEP_1) | instskip(NEXT) | instid1(VALU_DEP_1)
	v_mul_f32_e32 v17, v18, v8
	v_fma_f32 v19, -v7, v17, v18
	s_delay_alu instid0(VALU_DEP_1) | instskip(NEXT) | instid1(VALU_DEP_1)
	v_fmac_f32_e32 v17, v19, v8
	v_fma_f32 v7, -v7, v17, v18
	s_delay_alu instid0(VALU_DEP_1) | instskip(NEXT) | instid1(VALU_DEP_1)
	v_div_fmas_f32 v7, v7, v8, v17
	v_div_fixup_f32 v7, v7, v1, v2
	s_delay_alu instid0(VALU_DEP_1) | instskip(NEXT) | instid1(VALU_DEP_1)
	v_fmac_f32_e32 v1, v2, v7
	v_div_scale_f32 v2, null, v1, v1, 1.0
	v_div_scale_f32 v18, vcc_lo, 1.0, v1, 1.0
	s_delay_alu instid0(VALU_DEP_2) | instskip(SKIP_2) | instid1(VALU_DEP_1)
	v_rcp_f32_e32 v8, v2
	s_waitcnt_depctr 0xfff
	v_fma_f32 v17, -v2, v8, 1.0
	v_fmac_f32_e32 v8, v17, v8
	s_delay_alu instid0(VALU_DEP_1) | instskip(NEXT) | instid1(VALU_DEP_1)
	v_mul_f32_e32 v17, v18, v8
	v_fma_f32 v19, -v2, v17, v18
	s_delay_alu instid0(VALU_DEP_1) | instskip(NEXT) | instid1(VALU_DEP_1)
	v_fmac_f32_e32 v17, v19, v8
	v_fma_f32 v2, -v2, v17, v18
	s_delay_alu instid0(VALU_DEP_1) | instskip(SKIP_1) | instid1(VALU_DEP_2)
	v_div_fmas_f32 v2, v2, v8, v17
	v_fma_f32 v8, v7, v4, v3
	v_div_fixup_f32 v1, v2, v1, 1.0
	v_fma_f32 v2, -v7, v3, v4
	s_delay_alu instid0(VALU_DEP_2) | instskip(NEXT) | instid1(VALU_DEP_2)
	v_mul_f32_e32 v7, v8, v1
	v_mul_f32_e32 v8, v2, v1
.LBB177_128:                            ;   in Loop: Header=BB177_114 Depth=1
	s_add_i32 s5, s5, s9
	s_delay_alu instid0(SALU_CYCLE_1) | instskip(NEXT) | instid1(SALU_CYCLE_1)
	s_lshl_b32 s5, s5, 3
	v_mov_b32_e32 v1, s5
	s_add_i32 s5, s10, 0xfffffdf8
	s_delay_alu instid0(SALU_CYCLE_1)
	v_mov_b32_e32 v2, s5
	ds_load_2addr_b64 v[17:20], v1 offset1:1
	ds_load_2addr_b64 v[1:4], v2 offset1:1
	ds_store_b64 v16, v[7:8]
	s_waitcnt lgkmcnt(2)
	v_dual_mul_f32 v21, v10, v20 :: v_dual_mul_f32 v22, v12, v18
	v_mul_f32_e32 v20, v9, v20
	s_waitcnt lgkmcnt(1)
	v_dual_mul_f32 v18, v11, v18 :: v_dual_mul_f32 v23, v8, v4
	s_delay_alu instid0(VALU_DEP_3) | instskip(SKIP_3) | instid1(VALU_DEP_4)
	v_fma_f32 v9, v9, v19, -v21
	v_mul_f32_e32 v4, v7, v4
	v_fma_f32 v11, v11, v17, -v22
	v_cmp_gt_f32_e32 vcc_lo, 0, v1
	v_sub_f32_e32 v5, v5, v9
	v_fmac_f32_e32 v18, v12, v17
	v_fma_f32 v12, v7, v3, -v23
	v_fmac_f32_e32 v4, v8, v3
	s_delay_alu instid0(VALU_DEP_4) | instskip(SKIP_3) | instid1(VALU_DEP_4)
	v_sub_f32_e32 v3, v5, v11
	v_fmac_f32_e32 v20, v10, v19
	v_cndmask_b32_e64 v10, v1, -v1, vcc_lo
	v_cmp_gt_f32_e32 vcc_lo, 0, v2
	v_sub_f32_e32 v5, v3, v12
	s_delay_alu instid0(VALU_DEP_4) | instskip(SKIP_1) | instid1(VALU_DEP_2)
	v_sub_f32_e32 v6, v6, v20
	v_cndmask_b32_e64 v9, v2, -v2, vcc_lo
	v_sub_f32_e32 v6, v6, v18
	s_delay_alu instid0(VALU_DEP_2) | instskip(NEXT) | instid1(VALU_DEP_2)
	v_cmp_ngt_f32_e32 vcc_lo, v10, v9
	v_sub_f32_e32 v6, v6, v4
	s_cbranch_vccz .LBB177_130
; %bb.129:                              ;   in Loop: Header=BB177_114 Depth=1
	v_div_scale_f32 v3, null, v2, v2, v1
	v_div_scale_f32 v8, vcc_lo, v1, v2, v1
	s_delay_alu instid0(VALU_DEP_2) | instskip(SKIP_2) | instid1(VALU_DEP_1)
	v_rcp_f32_e32 v4, v3
	s_waitcnt_depctr 0xfff
	v_fma_f32 v7, -v3, v4, 1.0
	v_fmac_f32_e32 v4, v7, v4
	s_delay_alu instid0(VALU_DEP_1) | instskip(NEXT) | instid1(VALU_DEP_1)
	v_mul_f32_e32 v7, v8, v4
	v_fma_f32 v9, -v3, v7, v8
	s_delay_alu instid0(VALU_DEP_1) | instskip(NEXT) | instid1(VALU_DEP_1)
	v_fmac_f32_e32 v7, v9, v4
	v_fma_f32 v3, -v3, v7, v8
	s_delay_alu instid0(VALU_DEP_1) | instskip(NEXT) | instid1(VALU_DEP_1)
	v_div_fmas_f32 v3, v3, v4, v7
	v_div_fixup_f32 v3, v3, v2, v1
	s_delay_alu instid0(VALU_DEP_1) | instskip(NEXT) | instid1(VALU_DEP_1)
	v_fma_f32 v4, v1, v3, v2
	v_div_scale_f32 v7, null, v4, v4, 1.0
	v_div_scale_f32 v10, vcc_lo, 1.0, v4, 1.0
	s_delay_alu instid0(VALU_DEP_2) | instskip(SKIP_2) | instid1(VALU_DEP_1)
	v_rcp_f32_e32 v8, v7
	s_waitcnt_depctr 0xfff
	v_fma_f32 v9, -v7, v8, 1.0
	v_fmac_f32_e32 v8, v9, v8
	s_delay_alu instid0(VALU_DEP_1) | instskip(NEXT) | instid1(VALU_DEP_1)
	v_mul_f32_e32 v9, v10, v8
	v_fma_f32 v11, -v7, v9, v10
	s_delay_alu instid0(VALU_DEP_1) | instskip(NEXT) | instid1(VALU_DEP_1)
	v_fmac_f32_e32 v9, v11, v8
	v_fma_f32 v7, -v7, v9, v10
	s_delay_alu instid0(VALU_DEP_1) | instskip(SKIP_1) | instid1(VALU_DEP_2)
	v_div_fmas_f32 v7, v7, v8, v9
	v_fma_f32 v8, v3, v5, v6
	v_div_fixup_f32 v4, v7, v4, 1.0
	v_fma_f32 v7, v3, v6, -v5
	s_delay_alu instid0(VALU_DEP_2) | instskip(NEXT) | instid1(VALU_DEP_2)
	v_mul_f32_e32 v3, v8, v4
	v_mul_f32_e32 v4, v7, v4
	s_cbranch_execz .LBB177_131
	s_branch .LBB177_132
.LBB177_130:                            ;   in Loop: Header=BB177_114 Depth=1
                                        ; implicit-def: $vgpr4
.LBB177_131:                            ;   in Loop: Header=BB177_114 Depth=1
	v_div_scale_f32 v3, null, v1, v1, v2
	v_div_scale_f32 v8, vcc_lo, v2, v1, v2
	s_delay_alu instid0(VALU_DEP_2) | instskip(SKIP_2) | instid1(VALU_DEP_1)
	v_rcp_f32_e32 v4, v3
	s_waitcnt_depctr 0xfff
	v_fma_f32 v7, -v3, v4, 1.0
	v_fmac_f32_e32 v4, v7, v4
	s_delay_alu instid0(VALU_DEP_1) | instskip(NEXT) | instid1(VALU_DEP_1)
	v_mul_f32_e32 v7, v8, v4
	v_fma_f32 v9, -v3, v7, v8
	s_delay_alu instid0(VALU_DEP_1) | instskip(NEXT) | instid1(VALU_DEP_1)
	v_fmac_f32_e32 v7, v9, v4
	v_fma_f32 v3, -v3, v7, v8
	s_delay_alu instid0(VALU_DEP_1) | instskip(NEXT) | instid1(VALU_DEP_1)
	v_div_fmas_f32 v3, v3, v4, v7
	v_div_fixup_f32 v3, v3, v1, v2
	s_delay_alu instid0(VALU_DEP_1) | instskip(NEXT) | instid1(VALU_DEP_1)
	v_fmac_f32_e32 v1, v2, v3
	v_div_scale_f32 v2, null, v1, v1, 1.0
	v_div_scale_f32 v8, vcc_lo, 1.0, v1, 1.0
	s_delay_alu instid0(VALU_DEP_2) | instskip(SKIP_2) | instid1(VALU_DEP_1)
	v_rcp_f32_e32 v4, v2
	s_waitcnt_depctr 0xfff
	v_fma_f32 v7, -v2, v4, 1.0
	v_fmac_f32_e32 v4, v7, v4
	s_delay_alu instid0(VALU_DEP_1) | instskip(NEXT) | instid1(VALU_DEP_1)
	v_mul_f32_e32 v7, v8, v4
	v_fma_f32 v9, -v2, v7, v8
	s_delay_alu instid0(VALU_DEP_1) | instskip(NEXT) | instid1(VALU_DEP_1)
	v_fmac_f32_e32 v7, v9, v4
	v_fma_f32 v2, -v2, v7, v8
	s_delay_alu instid0(VALU_DEP_1) | instskip(SKIP_1) | instid1(VALU_DEP_2)
	v_div_fmas_f32 v2, v2, v4, v7
	v_fma_f32 v4, v3, v6, v5
	v_div_fixup_f32 v1, v2, v1, 1.0
	v_fma_f32 v2, -v3, v5, v6
	s_delay_alu instid0(VALU_DEP_2) | instskip(NEXT) | instid1(VALU_DEP_2)
	v_mul_f32_e32 v3, v4, v1
	v_mul_f32_e32 v4, v2, v1
.LBB177_132:                            ;   in Loop: Header=BB177_114 Depth=1
	s_add_i32 s5, s4, -4
	s_addk_i32 s1, 0xf800
	s_cmp_lt_i32 s4, 7
	ds_store_b64 v15, v[3:4]
	s_cbranch_scc1 .LBB177_134
; %bb.133:                              ;   in Loop: Header=BB177_114 Depth=1
	s_mov_b32 s4, s5
	s_branch .LBB177_114
.LBB177_134:
	s_cmp_lt_i32 s5, 0
	s_cbranch_scc1 .LBB177_143
; %bb.135:
	v_lshlrev_b32_e32 v7, 3, v0
	s_lshl_b32 s1, s5, 9
	s_lshl_b32 s4, s11, 3
	s_delay_alu instid0(SALU_CYCLE_1) | instskip(NEXT) | instid1(VALU_DEP_1)
	s_add_i32 s1, s1, s4
	v_lshl_or_b32 v1, s11, 9, v7
	s_add_i32 s1, s1, -8
	s_delay_alu instid0(VALU_DEP_1)
	v_add_nc_u32_e32 v8, 0x7e00, v1
	s_branch .LBB177_137
.LBB177_136:                            ;   in Loop: Header=BB177_137 Depth=1
	s_add_i32 s4, s5, -1
	s_addk_i32 s1, 0xfe00
	s_cmp_lt_i32 s5, 1
	s_mov_b32 s5, s4
	ds_store_b64 v9, v[5:6]
	s_cbranch_scc1 .LBB177_143
.LBB177_137:                            ; =>This Loop Header: Depth=1
                                        ;     Child Loop BB177_138 Depth 2
	v_lshl_or_b32 v3, s5, 9, v7
	s_delay_alu instid0(VALU_DEP_2)
	v_mov_b32_e32 v4, v8
	s_cmp_le_i32 s30, s5
	s_mov_b32 s4, s1
	s_mov_b32 s9, s30
	ds_load_b64 v[1:2], v3 offset:32768
	s_cbranch_scc1 .LBB177_139
	.p2align	6
.LBB177_138:                            ;   Parent Loop BB177_137 Depth=1
                                        ; =>  This Inner Loop Header: Depth=2
	v_mov_b32_e32 v9, s4
	s_add_i32 s9, s9, -1
	s_add_i32 s4, s4, -8
	s_cmp_le_i32 s9, s5
	ds_load_b64 v[5:6], v4
	ds_load_b64 v[9:10], v9
	s_waitcnt lgkmcnt(0)
	v_dual_mul_f32 v11, v10, v6 :: v_dual_add_nc_u32 v4, 0xfffffe00, v4
	v_mul_f32_e32 v6, v9, v6
	s_delay_alu instid0(VALU_DEP_2) | instskip(NEXT) | instid1(VALU_DEP_2)
	v_fma_f32 v9, v9, v5, -v11
	v_fmac_f32_e32 v6, v10, v5
	s_delay_alu instid0(VALU_DEP_1)
	v_dual_sub_f32 v1, v1, v9 :: v_dual_sub_f32 v2, v2, v6
	s_cbranch_scc0 .LBB177_138
.LBB177_139:                            ;   in Loop: Header=BB177_137 Depth=1
	s_mul_i32 s4, s5, 0x208
	v_add_nc_u32_e32 v9, 0x8000, v3
	v_mov_b32_e32 v3, s4
	ds_load_b64 v[3:4], v3
	s_waitcnt lgkmcnt(0)
	v_cmp_gt_f32_e32 vcc_lo, 0, v3
	v_cndmask_b32_e64 v5, v3, -v3, vcc_lo
	v_cmp_gt_f32_e32 vcc_lo, 0, v4
	v_cndmask_b32_e64 v6, v4, -v4, vcc_lo
	s_delay_alu instid0(VALU_DEP_1)
	v_cmp_ngt_f32_e32 vcc_lo, v5, v6
	s_cbranch_vccz .LBB177_141
; %bb.140:                              ;   in Loop: Header=BB177_137 Depth=1
	v_div_scale_f32 v5, null, v4, v4, v3
	v_div_scale_f32 v11, vcc_lo, v3, v4, v3
	s_delay_alu instid0(VALU_DEP_2) | instskip(SKIP_2) | instid1(VALU_DEP_1)
	v_rcp_f32_e32 v6, v5
	s_waitcnt_depctr 0xfff
	v_fma_f32 v10, -v5, v6, 1.0
	v_fmac_f32_e32 v6, v10, v6
	s_delay_alu instid0(VALU_DEP_1) | instskip(NEXT) | instid1(VALU_DEP_1)
	v_mul_f32_e32 v10, v11, v6
	v_fma_f32 v12, -v5, v10, v11
	s_delay_alu instid0(VALU_DEP_1) | instskip(NEXT) | instid1(VALU_DEP_1)
	v_fmac_f32_e32 v10, v12, v6
	v_fma_f32 v5, -v5, v10, v11
	s_delay_alu instid0(VALU_DEP_1) | instskip(NEXT) | instid1(VALU_DEP_1)
	v_div_fmas_f32 v5, v5, v6, v10
	v_div_fixup_f32 v5, v5, v4, v3
	s_delay_alu instid0(VALU_DEP_1) | instskip(NEXT) | instid1(VALU_DEP_1)
	v_fma_f32 v6, v3, v5, v4
	v_div_scale_f32 v10, null, v6, v6, 1.0
	v_div_scale_f32 v13, vcc_lo, 1.0, v6, 1.0
	s_delay_alu instid0(VALU_DEP_2) | instskip(SKIP_2) | instid1(VALU_DEP_1)
	v_rcp_f32_e32 v11, v10
	s_waitcnt_depctr 0xfff
	v_fma_f32 v12, -v10, v11, 1.0
	v_fmac_f32_e32 v11, v12, v11
	s_delay_alu instid0(VALU_DEP_1) | instskip(NEXT) | instid1(VALU_DEP_1)
	v_mul_f32_e32 v12, v13, v11
	v_fma_f32 v14, -v10, v12, v13
	s_delay_alu instid0(VALU_DEP_1) | instskip(NEXT) | instid1(VALU_DEP_1)
	v_fmac_f32_e32 v12, v14, v11
	v_fma_f32 v10, -v10, v12, v13
	s_delay_alu instid0(VALU_DEP_1) | instskip(SKIP_1) | instid1(VALU_DEP_2)
	v_div_fmas_f32 v10, v10, v11, v12
	v_fma_f32 v11, v1, v5, v2
	v_div_fixup_f32 v6, v10, v6, 1.0
	v_fma_f32 v10, v2, v5, -v1
	s_delay_alu instid0(VALU_DEP_2) | instskip(NEXT) | instid1(VALU_DEP_2)
	v_mul_f32_e32 v5, v11, v6
	v_mul_f32_e32 v6, v10, v6
	s_cbranch_execnz .LBB177_136
	s_branch .LBB177_142
.LBB177_141:                            ;   in Loop: Header=BB177_137 Depth=1
                                        ; implicit-def: $vgpr5
.LBB177_142:                            ;   in Loop: Header=BB177_137 Depth=1
	v_div_scale_f32 v5, null, v3, v3, v4
	v_div_scale_f32 v11, vcc_lo, v4, v3, v4
	s_delay_alu instid0(VALU_DEP_2) | instskip(SKIP_2) | instid1(VALU_DEP_1)
	v_rcp_f32_e32 v6, v5
	s_waitcnt_depctr 0xfff
	v_fma_f32 v10, -v5, v6, 1.0
	v_fmac_f32_e32 v6, v10, v6
	s_delay_alu instid0(VALU_DEP_1) | instskip(NEXT) | instid1(VALU_DEP_1)
	v_mul_f32_e32 v10, v11, v6
	v_fma_f32 v12, -v5, v10, v11
	s_delay_alu instid0(VALU_DEP_1) | instskip(NEXT) | instid1(VALU_DEP_1)
	v_fmac_f32_e32 v10, v12, v6
	v_fma_f32 v5, -v5, v10, v11
	s_delay_alu instid0(VALU_DEP_1) | instskip(NEXT) | instid1(VALU_DEP_1)
	v_div_fmas_f32 v5, v5, v6, v10
	v_div_fixup_f32 v5, v5, v3, v4
	s_delay_alu instid0(VALU_DEP_1) | instskip(NEXT) | instid1(VALU_DEP_1)
	v_fmac_f32_e32 v3, v4, v5
	v_div_scale_f32 v4, null, v3, v3, 1.0
	v_div_scale_f32 v11, vcc_lo, 1.0, v3, 1.0
	s_delay_alu instid0(VALU_DEP_2) | instskip(SKIP_2) | instid1(VALU_DEP_1)
	v_rcp_f32_e32 v6, v4
	s_waitcnt_depctr 0xfff
	v_fma_f32 v10, -v4, v6, 1.0
	v_fmac_f32_e32 v6, v10, v6
	s_delay_alu instid0(VALU_DEP_1) | instskip(NEXT) | instid1(VALU_DEP_1)
	v_mul_f32_e32 v10, v11, v6
	v_fma_f32 v12, -v4, v10, v11
	s_delay_alu instid0(VALU_DEP_1) | instskip(NEXT) | instid1(VALU_DEP_1)
	v_fmac_f32_e32 v10, v12, v6
	v_fma_f32 v4, -v4, v10, v11
	s_delay_alu instid0(VALU_DEP_1) | instskip(SKIP_2) | instid1(VALU_DEP_3)
	v_div_fmas_f32 v4, v4, v6, v10
	v_fma_f32 v6, v2, v5, v1
	v_fma_f32 v1, -v1, v5, v2
	v_div_fixup_f32 v3, v4, v3, 1.0
	s_delay_alu instid0(VALU_DEP_1) | instskip(NEXT) | instid1(VALU_DEP_3)
	v_mul_f32_e32 v5, v6, v3
	v_mul_f32_e32 v6, v1, v3
	s_branch .LBB177_136
.LBB177_143:
	s_mov_b32 s9, 0
.LBB177_144:
	s_delay_alu instid0(SALU_CYCLE_1)
	s_and_not1_b32 vcc_lo, exec_lo, s9
	s_cbranch_vccnz .LBB177_183
; %bb.145:
	s_cmp_lt_i32 s8, 4
	s_mov_b32 s5, 0
	s_cbranch_scc1 .LBB177_168
; %bb.146:
	v_lshl_or_b32 v13, v0, 3, 0x8000
	s_mov_b32 s1, 0
	s_mov_b32 s4, 0
.LBB177_147:                            ; =>This Loop Header: Depth=1
                                        ;     Child Loop BB177_149 Depth 2
	s_delay_alu instid0(SALU_CYCLE_1) | instskip(NEXT) | instid1(SALU_CYCLE_1)
	s_lshl_b32 s5, s4, 6
	s_or_b32 s10, s5, 64
	v_or_b32_e32 v1, s5, v0
	s_or_b32 s9, s5, 0x80
	v_or_b32_e32 v2, s10, v0
	;; [unrolled: 2-line block ×3, first 2 shown]
	v_or_b32_e32 v6, s5, v0
	v_lshlrev_b32_e32 v3, 3, v1
	v_lshlrev_b32_e32 v4, 3, v2
	s_cmp_eq_u32 s4, 0
	v_lshlrev_b32_e32 v9, 3, v5
	v_lshlrev_b32_e32 v10, 3, v6
	ds_load_b64 v[1:2], v3 offset:32768
	ds_load_b64 v[11:12], v4 offset:32768
	;; [unrolled: 1-line block ×4, first 2 shown]
	s_cbranch_scc1 .LBB177_150
; %bb.148:                              ;   in Loop: Header=BB177_147 Depth=1
	v_mov_b32_e32 v14, v13
	s_mov_b32 s14, 0
	s_mov_b32 s15, s1
.LBB177_149:                            ;   Parent Loop BB177_147 Depth=1
                                        ; =>  This Inner Loop Header: Depth=2
	s_delay_alu instid0(SALU_CYCLE_1)
	v_mov_b32_e32 v31, s15
	ds_load_2addr_stride64_b64 v[15:18], v14 offset1:1
	v_add_nc_u32_e32 v14, 0x400, v14
	s_add_i32 s14, s14, 2
	s_add_i32 s15, s15, 16
	ds_load_b128 v[19:22], v31
	ds_load_b128 v[23:26], v31 offset:512
	ds_load_b128 v[27:30], v31 offset:1024
	;; [unrolled: 1-line block ×3, first 2 shown]
	s_cmp_ge_u32 s14, s4
	s_waitcnt lgkmcnt(3)
	v_dual_mul_f32 v35, v20, v16 :: v_dual_mul_f32 v40, v22, v18
	v_dual_mul_f32 v36, v19, v16 :: v_dual_mul_f32 v41, v21, v18
	s_waitcnt lgkmcnt(2)
	v_dual_mul_f32 v37, v24, v16 :: v_dual_mul_f32 v42, v26, v18
	s_waitcnt lgkmcnt(1)
	v_dual_mul_f32 v24, v24, v15 :: v_dual_mul_f32 v43, v30, v18
	v_dual_mul_f32 v38, v28, v16 :: v_dual_fmac_f32 v41, v22, v17
	s_waitcnt lgkmcnt(0)
	v_dual_mul_f32 v39, v32, v16 :: v_dual_mul_f32 v26, v26, v17
	v_fma_f32 v19, v19, v15, -v35
	v_mul_f32_e32 v30, v30, v17
	v_fmac_f32_e32 v36, v20, v15
	v_fma_f32 v20, v23, v15, -v37
	v_mul_f32_e32 v28, v28, v15
	v_fmac_f32_e32 v24, v23, v16
	v_fma_f32 v23, v27, v15, -v38
	v_dual_mul_f32 v44, v34, v18 :: v_dual_sub_f32 v1, v1, v19
	v_mul_f32_e32 v32, v32, v15
	v_fma_f32 v15, v31, v15, -v39
	v_mul_f32_e32 v34, v34, v17
	v_fma_f32 v22, v29, v17, -v43
	v_sub_f32_e32 v11, v11, v20
	s_delay_alu instid0(VALU_DEP_4)
	v_dual_fmac_f32 v28, v27, v16 :: v_dual_sub_f32 v5, v5, v15
	v_fmac_f32_e32 v32, v31, v16
	v_fma_f32 v16, v21, v17, -v40
	v_fma_f32 v21, v25, v17, -v42
	v_sub_f32_e32 v7, v7, v23
	v_fma_f32 v17, v33, v17, -v44
	v_fmac_f32_e32 v26, v25, v18
	v_fmac_f32_e32 v30, v29, v18
	;; [unrolled: 1-line block ×3, first 2 shown]
	v_sub_f32_e32 v8, v8, v28
	v_dual_sub_f32 v6, v6, v32 :: v_dual_sub_f32 v11, v11, v21
	v_dual_sub_f32 v2, v2, v36 :: v_dual_sub_f32 v7, v7, v22
	;; [unrolled: 1-line block ×3, first 2 shown]
	s_delay_alu instid0(VALU_DEP_2) | instskip(SKIP_2) | instid1(VALU_DEP_4)
	v_dual_sub_f32 v1, v1, v16 :: v_dual_sub_f32 v2, v2, v41
	v_sub_f32_e32 v8, v8, v30
	v_sub_f32_e32 v6, v6, v34
	;; [unrolled: 1-line block ×3, first 2 shown]
	s_cbranch_scc0 .LBB177_149
.LBB177_150:                            ;   in Loop: Header=BB177_147 Depth=1
	s_mul_i32 s14, s4, 0x208
	v_add_nc_u32_e32 v17, 0x8000, v3
	v_dual_mov_b32 v3, s14 :: v_dual_add_nc_u32 v16, 0x8000, v4
	v_add_nc_u32_e32 v15, 0x8000, v9
	v_add_nc_u32_e32 v14, 0x8000, v10
	ds_load_b64 v[3:4], v3
	s_waitcnt lgkmcnt(0)
	v_cmp_gt_f32_e32 vcc_lo, 0, v3
	v_cndmask_b32_e64 v9, v3, -v3, vcc_lo
	v_cmp_gt_f32_e32 vcc_lo, 0, v4
	v_cndmask_b32_e64 v10, v4, -v4, vcc_lo
	s_delay_alu instid0(VALU_DEP_1)
	v_cmp_ngt_f32_e32 vcc_lo, v9, v10
	s_cbranch_vccz .LBB177_152
; %bb.151:                              ;   in Loop: Header=BB177_147 Depth=1
	v_div_scale_f32 v9, null, v4, v4, v3
	v_div_scale_f32 v19, vcc_lo, v3, v4, v3
	s_delay_alu instid0(VALU_DEP_2) | instskip(SKIP_2) | instid1(VALU_DEP_1)
	v_rcp_f32_e32 v10, v9
	s_waitcnt_depctr 0xfff
	v_fma_f32 v18, -v9, v10, 1.0
	v_fmac_f32_e32 v10, v18, v10
	s_delay_alu instid0(VALU_DEP_1) | instskip(NEXT) | instid1(VALU_DEP_1)
	v_mul_f32_e32 v18, v19, v10
	v_fma_f32 v20, -v9, v18, v19
	s_delay_alu instid0(VALU_DEP_1) | instskip(NEXT) | instid1(VALU_DEP_1)
	v_fmac_f32_e32 v18, v20, v10
	v_fma_f32 v9, -v9, v18, v19
	s_delay_alu instid0(VALU_DEP_1) | instskip(NEXT) | instid1(VALU_DEP_1)
	v_div_fmas_f32 v9, v9, v10, v18
	v_div_fixup_f32 v9, v9, v4, v3
	s_delay_alu instid0(VALU_DEP_1) | instskip(NEXT) | instid1(VALU_DEP_1)
	v_fma_f32 v10, v3, v9, v4
	v_div_scale_f32 v18, null, v10, v10, 1.0
	v_div_scale_f32 v21, vcc_lo, 1.0, v10, 1.0
	s_delay_alu instid0(VALU_DEP_2) | instskip(SKIP_2) | instid1(VALU_DEP_1)
	v_rcp_f32_e32 v19, v18
	s_waitcnt_depctr 0xfff
	v_fma_f32 v20, -v18, v19, 1.0
	v_fmac_f32_e32 v19, v20, v19
	s_delay_alu instid0(VALU_DEP_1) | instskip(NEXT) | instid1(VALU_DEP_1)
	v_mul_f32_e32 v20, v21, v19
	v_fma_f32 v22, -v18, v20, v21
	s_delay_alu instid0(VALU_DEP_1) | instskip(NEXT) | instid1(VALU_DEP_1)
	v_fmac_f32_e32 v20, v22, v19
	v_fma_f32 v18, -v18, v20, v21
	s_delay_alu instid0(VALU_DEP_1) | instskip(SKIP_1) | instid1(VALU_DEP_2)
	v_div_fmas_f32 v18, v18, v19, v20
	v_fma_f32 v19, v1, v9, v2
	v_div_fixup_f32 v10, v18, v10, 1.0
	v_fma_f32 v18, v2, v9, -v1
	s_delay_alu instid0(VALU_DEP_2) | instskip(NEXT) | instid1(VALU_DEP_2)
	v_mul_f32_e32 v9, v19, v10
	v_mul_f32_e32 v10, v18, v10
	s_cbranch_execz .LBB177_153
	s_branch .LBB177_154
.LBB177_152:                            ;   in Loop: Header=BB177_147 Depth=1
                                        ; implicit-def: $vgpr10
.LBB177_153:                            ;   in Loop: Header=BB177_147 Depth=1
	v_div_scale_f32 v9, null, v3, v3, v4
	v_div_scale_f32 v19, vcc_lo, v4, v3, v4
	s_delay_alu instid0(VALU_DEP_2) | instskip(SKIP_2) | instid1(VALU_DEP_1)
	v_rcp_f32_e32 v10, v9
	s_waitcnt_depctr 0xfff
	v_fma_f32 v18, -v9, v10, 1.0
	v_fmac_f32_e32 v10, v18, v10
	s_delay_alu instid0(VALU_DEP_1) | instskip(NEXT) | instid1(VALU_DEP_1)
	v_mul_f32_e32 v18, v19, v10
	v_fma_f32 v20, -v9, v18, v19
	s_delay_alu instid0(VALU_DEP_1) | instskip(NEXT) | instid1(VALU_DEP_1)
	v_fmac_f32_e32 v18, v20, v10
	v_fma_f32 v9, -v9, v18, v19
	s_delay_alu instid0(VALU_DEP_1) | instskip(NEXT) | instid1(VALU_DEP_1)
	v_div_fmas_f32 v9, v9, v10, v18
	v_div_fixup_f32 v9, v9, v3, v4
	s_delay_alu instid0(VALU_DEP_1) | instskip(NEXT) | instid1(VALU_DEP_1)
	v_fmac_f32_e32 v3, v4, v9
	v_div_scale_f32 v4, null, v3, v3, 1.0
	v_div_scale_f32 v19, vcc_lo, 1.0, v3, 1.0
	s_delay_alu instid0(VALU_DEP_2) | instskip(SKIP_2) | instid1(VALU_DEP_1)
	v_rcp_f32_e32 v10, v4
	s_waitcnt_depctr 0xfff
	v_fma_f32 v18, -v4, v10, 1.0
	v_fmac_f32_e32 v10, v18, v10
	s_delay_alu instid0(VALU_DEP_1) | instskip(NEXT) | instid1(VALU_DEP_1)
	v_mul_f32_e32 v18, v19, v10
	v_fma_f32 v20, -v4, v18, v19
	s_delay_alu instid0(VALU_DEP_1) | instskip(NEXT) | instid1(VALU_DEP_1)
	v_fmac_f32_e32 v18, v20, v10
	v_fma_f32 v4, -v4, v18, v19
	s_delay_alu instid0(VALU_DEP_1) | instskip(SKIP_2) | instid1(VALU_DEP_3)
	v_div_fmas_f32 v4, v4, v10, v18
	v_fma_f32 v10, v2, v9, v1
	v_fma_f32 v1, -v1, v9, v2
	v_div_fixup_f32 v3, v4, v3, 1.0
	s_delay_alu instid0(VALU_DEP_1) | instskip(NEXT) | instid1(VALU_DEP_3)
	v_mul_f32_e32 v9, v10, v3
	v_mul_f32_e32 v10, v1, v3
.LBB177_154:                            ;   in Loop: Header=BB177_147 Depth=1
	s_add_i32 s10, s10, s4
	ds_store_b64 v17, v[9:10]
	s_lshl_b32 s10, s10, 3
	s_delay_alu instid0(SALU_CYCLE_1)
	v_mov_b32_e32 v1, s10
	ds_load_b128 v[1:4], v1
	s_waitcnt lgkmcnt(0)
	v_mul_f32_e32 v18, v10, v2
	v_cmp_gt_f32_e32 vcc_lo, 0, v3
	v_mul_f32_e32 v2, v9, v2
	s_delay_alu instid0(VALU_DEP_3) | instskip(SKIP_2) | instid1(VALU_DEP_3)
	v_fma_f32 v18, v9, v1, -v18
	v_cndmask_b32_e64 v19, v3, -v3, vcc_lo
	v_cmp_gt_f32_e32 vcc_lo, 0, v4
	v_dual_fmac_f32 v2, v10, v1 :: v_dual_sub_f32 v1, v11, v18
	v_cndmask_b32_e64 v20, v4, -v4, vcc_lo
	s_delay_alu instid0(VALU_DEP_2) | instskip(NEXT) | instid1(VALU_DEP_2)
	v_sub_f32_e32 v2, v12, v2
	v_cmp_ngt_f32_e32 vcc_lo, v19, v20
	s_cbranch_vccz .LBB177_156
; %bb.155:                              ;   in Loop: Header=BB177_147 Depth=1
	v_div_scale_f32 v11, null, v4, v4, v3
	v_div_scale_f32 v18, vcc_lo, v3, v4, v3
	s_delay_alu instid0(VALU_DEP_2) | instskip(SKIP_2) | instid1(VALU_DEP_1)
	v_rcp_f32_e32 v12, v11
	s_waitcnt_depctr 0xfff
	v_fma_f32 v17, -v11, v12, 1.0
	v_fmac_f32_e32 v12, v17, v12
	s_delay_alu instid0(VALU_DEP_1) | instskip(NEXT) | instid1(VALU_DEP_1)
	v_mul_f32_e32 v17, v18, v12
	v_fma_f32 v19, -v11, v17, v18
	s_delay_alu instid0(VALU_DEP_1) | instskip(NEXT) | instid1(VALU_DEP_1)
	v_fmac_f32_e32 v17, v19, v12
	v_fma_f32 v11, -v11, v17, v18
	s_delay_alu instid0(VALU_DEP_1) | instskip(NEXT) | instid1(VALU_DEP_1)
	v_div_fmas_f32 v11, v11, v12, v17
	v_div_fixup_f32 v11, v11, v4, v3
	s_delay_alu instid0(VALU_DEP_1) | instskip(NEXT) | instid1(VALU_DEP_1)
	v_fma_f32 v12, v3, v11, v4
	v_div_scale_f32 v17, null, v12, v12, 1.0
	v_div_scale_f32 v20, vcc_lo, 1.0, v12, 1.0
	s_delay_alu instid0(VALU_DEP_2) | instskip(SKIP_2) | instid1(VALU_DEP_1)
	v_rcp_f32_e32 v18, v17
	s_waitcnt_depctr 0xfff
	v_fma_f32 v19, -v17, v18, 1.0
	v_fmac_f32_e32 v18, v19, v18
	s_delay_alu instid0(VALU_DEP_1) | instskip(NEXT) | instid1(VALU_DEP_1)
	v_mul_f32_e32 v19, v20, v18
	v_fma_f32 v21, -v17, v19, v20
	s_delay_alu instid0(VALU_DEP_1) | instskip(NEXT) | instid1(VALU_DEP_1)
	v_fmac_f32_e32 v19, v21, v18
	v_fma_f32 v17, -v17, v19, v20
	s_delay_alu instid0(VALU_DEP_1) | instskip(SKIP_1) | instid1(VALU_DEP_2)
	v_div_fmas_f32 v17, v17, v18, v19
	v_fma_f32 v18, v11, v1, v2
	v_div_fixup_f32 v12, v17, v12, 1.0
	v_fma_f32 v17, v11, v2, -v1
	s_delay_alu instid0(VALU_DEP_2) | instskip(NEXT) | instid1(VALU_DEP_2)
	v_mul_f32_e32 v11, v18, v12
	v_mul_f32_e32 v12, v17, v12
	s_cbranch_execz .LBB177_157
	s_branch .LBB177_158
.LBB177_156:                            ;   in Loop: Header=BB177_147 Depth=1
                                        ; implicit-def: $vgpr12
.LBB177_157:                            ;   in Loop: Header=BB177_147 Depth=1
	v_div_scale_f32 v11, null, v3, v3, v4
	v_div_scale_f32 v18, vcc_lo, v4, v3, v4
	s_delay_alu instid0(VALU_DEP_2) | instskip(SKIP_2) | instid1(VALU_DEP_1)
	v_rcp_f32_e32 v12, v11
	s_waitcnt_depctr 0xfff
	v_fma_f32 v17, -v11, v12, 1.0
	v_fmac_f32_e32 v12, v17, v12
	s_delay_alu instid0(VALU_DEP_1) | instskip(NEXT) | instid1(VALU_DEP_1)
	v_mul_f32_e32 v17, v18, v12
	v_fma_f32 v19, -v11, v17, v18
	s_delay_alu instid0(VALU_DEP_1) | instskip(NEXT) | instid1(VALU_DEP_1)
	v_fmac_f32_e32 v17, v19, v12
	v_fma_f32 v11, -v11, v17, v18
	s_delay_alu instid0(VALU_DEP_1) | instskip(NEXT) | instid1(VALU_DEP_1)
	v_div_fmas_f32 v11, v11, v12, v17
	v_div_fixup_f32 v11, v11, v3, v4
	s_delay_alu instid0(VALU_DEP_1) | instskip(NEXT) | instid1(VALU_DEP_1)
	v_fmac_f32_e32 v3, v4, v11
	v_div_scale_f32 v4, null, v3, v3, 1.0
	v_div_scale_f32 v18, vcc_lo, 1.0, v3, 1.0
	s_delay_alu instid0(VALU_DEP_2) | instskip(SKIP_2) | instid1(VALU_DEP_1)
	v_rcp_f32_e32 v12, v4
	s_waitcnt_depctr 0xfff
	v_fma_f32 v17, -v4, v12, 1.0
	v_fmac_f32_e32 v12, v17, v12
	s_delay_alu instid0(VALU_DEP_1) | instskip(NEXT) | instid1(VALU_DEP_1)
	v_mul_f32_e32 v17, v18, v12
	v_fma_f32 v19, -v4, v17, v18
	s_delay_alu instid0(VALU_DEP_1) | instskip(NEXT) | instid1(VALU_DEP_1)
	v_fmac_f32_e32 v17, v19, v12
	v_fma_f32 v4, -v4, v17, v18
	s_delay_alu instid0(VALU_DEP_1) | instskip(SKIP_2) | instid1(VALU_DEP_3)
	v_div_fmas_f32 v4, v4, v12, v17
	v_fma_f32 v12, v11, v2, v1
	v_fma_f32 v1, -v11, v1, v2
	v_div_fixup_f32 v3, v4, v3, 1.0
	s_delay_alu instid0(VALU_DEP_1) | instskip(NEXT) | instid1(VALU_DEP_3)
	v_mul_f32_e32 v11, v12, v3
	v_mul_f32_e32 v12, v1, v3
.LBB177_158:                            ;   in Loop: Header=BB177_147 Depth=1
	s_add_i32 s9, s9, s4
	v_mov_b32_e32 v2, s14
	s_lshl_b32 s9, s9, 3
	s_delay_alu instid0(SALU_CYCLE_1)
	v_mov_b32_e32 v1, s9
	ds_load_b128 v[17:20], v1
	ds_load_b64 v[1:2], v2 offset:1040
	ds_store_b64 v16, v[11:12]
	s_waitcnt lgkmcnt(2)
	v_mul_f32_e32 v3, v10, v18
	s_waitcnt lgkmcnt(1)
	v_cmp_gt_f32_e32 vcc_lo, 0, v1
	v_mul_f32_e32 v4, v9, v18
	v_mul_f32_e32 v18, v12, v20
	;; [unrolled: 1-line block ×3, first 2 shown]
	v_fma_f32 v3, v9, v17, -v3
	v_cndmask_b32_e64 v21, v1, -v1, vcc_lo
	v_cmp_gt_f32_e32 vcc_lo, 0, v2
	v_fma_f32 v18, v11, v19, -v18
	v_fmac_f32_e32 v20, v12, v19
	v_dual_sub_f32 v3, v7, v3 :: v_dual_fmac_f32 v4, v10, v17
	v_cndmask_b32_e64 v17, v2, -v2, vcc_lo
	s_delay_alu instid0(VALU_DEP_2) | instskip(NEXT) | instid1(VALU_DEP_2)
	v_dual_sub_f32 v3, v3, v18 :: v_dual_sub_f32 v4, v8, v4
	v_cmp_ngt_f32_e32 vcc_lo, v21, v17
	s_delay_alu instid0(VALU_DEP_2)
	v_sub_f32_e32 v4, v4, v20
	s_cbranch_vccz .LBB177_160
; %bb.159:                              ;   in Loop: Header=BB177_147 Depth=1
	v_div_scale_f32 v7, null, v2, v2, v1
	v_div_scale_f32 v17, vcc_lo, v1, v2, v1
	s_delay_alu instid0(VALU_DEP_2) | instskip(SKIP_2) | instid1(VALU_DEP_1)
	v_rcp_f32_e32 v8, v7
	s_waitcnt_depctr 0xfff
	v_fma_f32 v16, -v7, v8, 1.0
	v_fmac_f32_e32 v8, v16, v8
	s_delay_alu instid0(VALU_DEP_1) | instskip(NEXT) | instid1(VALU_DEP_1)
	v_mul_f32_e32 v16, v17, v8
	v_fma_f32 v18, -v7, v16, v17
	s_delay_alu instid0(VALU_DEP_1) | instskip(NEXT) | instid1(VALU_DEP_1)
	v_fmac_f32_e32 v16, v18, v8
	v_fma_f32 v7, -v7, v16, v17
	s_delay_alu instid0(VALU_DEP_1) | instskip(NEXT) | instid1(VALU_DEP_1)
	v_div_fmas_f32 v7, v7, v8, v16
	v_div_fixup_f32 v7, v7, v2, v1
	s_delay_alu instid0(VALU_DEP_1) | instskip(NEXT) | instid1(VALU_DEP_1)
	v_fma_f32 v8, v1, v7, v2
	v_div_scale_f32 v16, null, v8, v8, 1.0
	v_div_scale_f32 v19, vcc_lo, 1.0, v8, 1.0
	s_delay_alu instid0(VALU_DEP_2) | instskip(SKIP_2) | instid1(VALU_DEP_1)
	v_rcp_f32_e32 v17, v16
	s_waitcnt_depctr 0xfff
	v_fma_f32 v18, -v16, v17, 1.0
	v_fmac_f32_e32 v17, v18, v17
	s_delay_alu instid0(VALU_DEP_1) | instskip(NEXT) | instid1(VALU_DEP_1)
	v_mul_f32_e32 v18, v19, v17
	v_fma_f32 v20, -v16, v18, v19
	s_delay_alu instid0(VALU_DEP_1) | instskip(NEXT) | instid1(VALU_DEP_1)
	v_fmac_f32_e32 v18, v20, v17
	v_fma_f32 v16, -v16, v18, v19
	s_delay_alu instid0(VALU_DEP_1) | instskip(SKIP_1) | instid1(VALU_DEP_2)
	v_div_fmas_f32 v16, v16, v17, v18
	v_fma_f32 v17, v7, v3, v4
	v_div_fixup_f32 v8, v16, v8, 1.0
	v_fma_f32 v16, v7, v4, -v3
	s_delay_alu instid0(VALU_DEP_2) | instskip(NEXT) | instid1(VALU_DEP_2)
	v_mul_f32_e32 v7, v17, v8
	v_mul_f32_e32 v8, v16, v8
	s_cbranch_execz .LBB177_161
	s_branch .LBB177_162
.LBB177_160:                            ;   in Loop: Header=BB177_147 Depth=1
                                        ; implicit-def: $vgpr8
.LBB177_161:                            ;   in Loop: Header=BB177_147 Depth=1
	v_div_scale_f32 v7, null, v1, v1, v2
	v_div_scale_f32 v17, vcc_lo, v2, v1, v2
	s_delay_alu instid0(VALU_DEP_2) | instskip(SKIP_2) | instid1(VALU_DEP_1)
	v_rcp_f32_e32 v8, v7
	s_waitcnt_depctr 0xfff
	v_fma_f32 v16, -v7, v8, 1.0
	v_fmac_f32_e32 v8, v16, v8
	s_delay_alu instid0(VALU_DEP_1) | instskip(NEXT) | instid1(VALU_DEP_1)
	v_mul_f32_e32 v16, v17, v8
	v_fma_f32 v18, -v7, v16, v17
	s_delay_alu instid0(VALU_DEP_1) | instskip(NEXT) | instid1(VALU_DEP_1)
	v_fmac_f32_e32 v16, v18, v8
	v_fma_f32 v7, -v7, v16, v17
	s_delay_alu instid0(VALU_DEP_1) | instskip(NEXT) | instid1(VALU_DEP_1)
	v_div_fmas_f32 v7, v7, v8, v16
	v_div_fixup_f32 v7, v7, v1, v2
	s_delay_alu instid0(VALU_DEP_1) | instskip(NEXT) | instid1(VALU_DEP_1)
	v_fmac_f32_e32 v1, v2, v7
	v_div_scale_f32 v2, null, v1, v1, 1.0
	v_div_scale_f32 v17, vcc_lo, 1.0, v1, 1.0
	s_delay_alu instid0(VALU_DEP_2) | instskip(SKIP_2) | instid1(VALU_DEP_1)
	v_rcp_f32_e32 v8, v2
	s_waitcnt_depctr 0xfff
	v_fma_f32 v16, -v2, v8, 1.0
	v_fmac_f32_e32 v8, v16, v8
	s_delay_alu instid0(VALU_DEP_1) | instskip(NEXT) | instid1(VALU_DEP_1)
	v_mul_f32_e32 v16, v17, v8
	v_fma_f32 v18, -v2, v16, v17
	s_delay_alu instid0(VALU_DEP_1) | instskip(NEXT) | instid1(VALU_DEP_1)
	v_fmac_f32_e32 v16, v18, v8
	v_fma_f32 v2, -v2, v16, v17
	s_delay_alu instid0(VALU_DEP_1) | instskip(SKIP_1) | instid1(VALU_DEP_2)
	v_div_fmas_f32 v2, v2, v8, v16
	v_fma_f32 v8, v7, v4, v3
	v_div_fixup_f32 v1, v2, v1, 1.0
	v_fma_f32 v2, -v7, v3, v4
	s_delay_alu instid0(VALU_DEP_2) | instskip(NEXT) | instid1(VALU_DEP_2)
	v_mul_f32_e32 v7, v8, v1
	v_mul_f32_e32 v8, v2, v1
.LBB177_162:                            ;   in Loop: Header=BB177_147 Depth=1
	s_add_i32 s5, s5, s4
	s_delay_alu instid0(SALU_CYCLE_1) | instskip(NEXT) | instid1(SALU_CYCLE_1)
	s_lshl_b32 s5, s5, 3
	v_mov_b32_e32 v1, s5
	ds_load_b128 v[16:19], v1
	ds_load_b128 v[1:4], v1 offset:16
	ds_store_b64 v15, v[7:8]
	s_waitcnt lgkmcnt(2)
	v_mul_f32_e32 v20, v10, v17
	s_waitcnt lgkmcnt(1)
	v_dual_mul_f32 v17, v9, v17 :: v_dual_mul_f32 v22, v8, v2
	v_dual_mul_f32 v21, v12, v19 :: v_dual_mul_f32 v2, v7, v2
	v_cmp_gt_f32_e32 vcc_lo, 0, v3
	v_fma_f32 v9, v9, v16, -v20
	s_delay_alu instid0(VALU_DEP_3) | instskip(SKIP_2) | instid1(VALU_DEP_3)
	v_dual_fmac_f32 v17, v10, v16 :: v_dual_fmac_f32 v2, v8, v1
	v_mul_f32_e32 v19, v11, v19
	v_cndmask_b32_e64 v10, v3, -v3, vcc_lo
	v_sub_f32_e32 v6, v6, v17
	v_cmp_gt_f32_e32 vcc_lo, 0, v4
	v_fma_f32 v11, v11, v18, -v21
	v_fmac_f32_e32 v19, v12, v18
	v_sub_f32_e32 v5, v5, v9
	v_fma_f32 v12, v7, v1, -v22
	v_cndmask_b32_e64 v9, v4, -v4, vcc_lo
	s_delay_alu instid0(VALU_DEP_4) | instskip(NEXT) | instid1(VALU_DEP_4)
	v_sub_f32_e32 v6, v6, v19
	v_sub_f32_e32 v1, v5, v11
	s_delay_alu instid0(VALU_DEP_3) | instskip(NEXT) | instid1(VALU_DEP_2)
	v_cmp_ngt_f32_e32 vcc_lo, v10, v9
	v_dual_sub_f32 v6, v6, v2 :: v_dual_sub_f32 v5, v1, v12
	s_cbranch_vccz .LBB177_164
; %bb.163:                              ;   in Loop: Header=BB177_147 Depth=1
	v_div_scale_f32 v1, null, v4, v4, v3
	v_div_scale_f32 v8, vcc_lo, v3, v4, v3
	s_delay_alu instid0(VALU_DEP_2) | instskip(SKIP_2) | instid1(VALU_DEP_1)
	v_rcp_f32_e32 v2, v1
	s_waitcnt_depctr 0xfff
	v_fma_f32 v7, -v1, v2, 1.0
	v_fmac_f32_e32 v2, v7, v2
	s_delay_alu instid0(VALU_DEP_1) | instskip(NEXT) | instid1(VALU_DEP_1)
	v_mul_f32_e32 v7, v8, v2
	v_fma_f32 v9, -v1, v7, v8
	s_delay_alu instid0(VALU_DEP_1) | instskip(NEXT) | instid1(VALU_DEP_1)
	v_fmac_f32_e32 v7, v9, v2
	v_fma_f32 v1, -v1, v7, v8
	s_delay_alu instid0(VALU_DEP_1) | instskip(NEXT) | instid1(VALU_DEP_1)
	v_div_fmas_f32 v1, v1, v2, v7
	v_div_fixup_f32 v1, v1, v4, v3
	s_delay_alu instid0(VALU_DEP_1) | instskip(NEXT) | instid1(VALU_DEP_1)
	v_fma_f32 v2, v3, v1, v4
	v_div_scale_f32 v7, null, v2, v2, 1.0
	v_div_scale_f32 v10, vcc_lo, 1.0, v2, 1.0
	s_delay_alu instid0(VALU_DEP_2) | instskip(SKIP_2) | instid1(VALU_DEP_1)
	v_rcp_f32_e32 v8, v7
	s_waitcnt_depctr 0xfff
	v_fma_f32 v9, -v7, v8, 1.0
	v_fmac_f32_e32 v8, v9, v8
	s_delay_alu instid0(VALU_DEP_1) | instskip(NEXT) | instid1(VALU_DEP_1)
	v_mul_f32_e32 v9, v10, v8
	v_fma_f32 v11, -v7, v9, v10
	s_delay_alu instid0(VALU_DEP_1) | instskip(NEXT) | instid1(VALU_DEP_1)
	v_fmac_f32_e32 v9, v11, v8
	v_fma_f32 v7, -v7, v9, v10
	s_delay_alu instid0(VALU_DEP_1) | instskip(SKIP_1) | instid1(VALU_DEP_2)
	v_div_fmas_f32 v7, v7, v8, v9
	v_fma_f32 v8, v1, v5, v6
	v_div_fixup_f32 v2, v7, v2, 1.0
	v_fma_f32 v7, v1, v6, -v5
	s_delay_alu instid0(VALU_DEP_2) | instskip(NEXT) | instid1(VALU_DEP_2)
	v_mul_f32_e32 v1, v8, v2
	v_mul_f32_e32 v2, v7, v2
	s_cbranch_execz .LBB177_165
	s_branch .LBB177_166
.LBB177_164:                            ;   in Loop: Header=BB177_147 Depth=1
                                        ; implicit-def: $vgpr2
.LBB177_165:                            ;   in Loop: Header=BB177_147 Depth=1
	v_div_scale_f32 v1, null, v3, v3, v4
	v_div_scale_f32 v8, vcc_lo, v4, v3, v4
	s_delay_alu instid0(VALU_DEP_2) | instskip(SKIP_2) | instid1(VALU_DEP_1)
	v_rcp_f32_e32 v2, v1
	s_waitcnt_depctr 0xfff
	v_fma_f32 v7, -v1, v2, 1.0
	v_fmac_f32_e32 v2, v7, v2
	s_delay_alu instid0(VALU_DEP_1) | instskip(NEXT) | instid1(VALU_DEP_1)
	v_mul_f32_e32 v7, v8, v2
	v_fma_f32 v9, -v1, v7, v8
	s_delay_alu instid0(VALU_DEP_1) | instskip(NEXT) | instid1(VALU_DEP_1)
	v_fmac_f32_e32 v7, v9, v2
	v_fma_f32 v1, -v1, v7, v8
	s_delay_alu instid0(VALU_DEP_1) | instskip(NEXT) | instid1(VALU_DEP_1)
	v_div_fmas_f32 v1, v1, v2, v7
	v_div_fixup_f32 v1, v1, v3, v4
	s_delay_alu instid0(VALU_DEP_1) | instskip(NEXT) | instid1(VALU_DEP_1)
	v_fmac_f32_e32 v3, v4, v1
	v_div_scale_f32 v2, null, v3, v3, 1.0
	v_div_scale_f32 v8, vcc_lo, 1.0, v3, 1.0
	s_delay_alu instid0(VALU_DEP_2) | instskip(SKIP_2) | instid1(VALU_DEP_1)
	v_rcp_f32_e32 v4, v2
	s_waitcnt_depctr 0xfff
	v_fma_f32 v7, -v2, v4, 1.0
	v_fmac_f32_e32 v4, v7, v4
	s_delay_alu instid0(VALU_DEP_1) | instskip(NEXT) | instid1(VALU_DEP_1)
	v_mul_f32_e32 v7, v8, v4
	v_fma_f32 v9, -v2, v7, v8
	s_delay_alu instid0(VALU_DEP_1) | instskip(NEXT) | instid1(VALU_DEP_1)
	v_fmac_f32_e32 v7, v9, v4
	v_fma_f32 v2, -v2, v7, v8
	s_delay_alu instid0(VALU_DEP_1) | instskip(SKIP_1) | instid1(VALU_DEP_2)
	v_div_fmas_f32 v2, v2, v4, v7
	v_fma_f32 v4, v1, v6, v5
	v_div_fixup_f32 v2, v2, v3, 1.0
	v_fma_f32 v3, -v1, v5, v6
	s_delay_alu instid0(VALU_DEP_2) | instskip(NEXT) | instid1(VALU_DEP_2)
	v_mul_f32_e32 v1, v4, v2
	v_mul_f32_e32 v2, v3, v2
.LBB177_166:                            ;   in Loop: Header=BB177_147 Depth=1
	s_add_i32 s5, s4, 4
	s_add_i32 s4, s4, 7
	s_addk_i32 s1, 0x800
	s_cmp_ge_i32 s4, s11
	ds_store_b64 v14, v[1:2]
	s_cbranch_scc1 .LBB177_168
; %bb.167:                              ;   in Loop: Header=BB177_147 Depth=1
	s_mov_b32 s4, s5
	s_branch .LBB177_147
.LBB177_168:
	s_cmp_ge_i32 s5, s11
	s_cbranch_scc1 .LBB177_183
; %bb.169:
	v_lshl_or_b32 v7, v0, 3, 0x8000
	v_lshlrev_b32_e32 v8, 3, v0
	s_add_i32 s1, s5, -1
	s_lshl_b32 s4, s5, 9
	s_mov_b32 s9, 0
	s_mov_b32 s10, s5
	s_branch .LBB177_171
.LBB177_170:                            ;   in Loop: Header=BB177_171 Depth=1
	v_add_nc_u16 v1, s10, 1
	s_add_i32 s5, s5, 1
	s_add_i32 s9, s9, 1
	s_addk_i32 s4, 0x200
	s_cmp_ge_i32 s5, s11
	v_readfirstlane_b32 s10, v1
	ds_store_b64 v9, v[5:6]
	s_cbranch_scc1 .LBB177_183
.LBB177_171:                            ; =>This Loop Header: Depth=1
                                        ;     Child Loop BB177_174 Depth 2
                                        ;     Child Loop BB177_178 Depth 2
	v_lshl_or_b32 v3, s5, 9, v8
	s_cmp_eq_u32 s5, 0
	ds_load_b64 v[1:2], v3 offset:32768
	s_cbranch_scc1 .LBB177_179
; %bb.172:                              ;   in Loop: Header=BB177_171 Depth=1
	s_add_i32 s14, s1, s9
	s_delay_alu instid0(SALU_CYCLE_1)
	s_cmp_lt_u32 s14, 7
	s_cbranch_scc1 .LBB177_176
; %bb.173:                              ;   in Loop: Header=BB177_171 Depth=1
	v_mov_b32_e32 v4, v7
	s_and_b32 s14, s5, -8
	s_mov_b32 s15, 0
	s_mov_b32 s16, s4
.LBB177_174:                            ;   Parent Loop BB177_171 Depth=1
                                        ; =>  This Inner Loop Header: Depth=2
	s_delay_alu instid0(SALU_CYCLE_1)
	v_mov_b32_e32 v5, s16
	ds_load_2addr_stride64_b64 v[9:12], v4 offset1:1
	ds_load_2addr_stride64_b64 v[13:16], v4 offset0:2 offset1:3
	ds_load_2addr_stride64_b64 v[17:20], v4 offset0:4 offset1:5
	;; [unrolled: 1-line block ×3, first 2 shown]
	ds_load_b128 v[25:28], v5
	ds_load_b128 v[29:32], v5 offset:16
	ds_load_b128 v[33:36], v5 offset:32
	;; [unrolled: 1-line block ×3, first 2 shown]
	v_add_nc_u32_e32 v4, 0x1000, v4
	s_add_i32 s15, s15, 8
	s_add_i32 s16, s16, 64
	s_cmp_eq_u32 s14, s15
	s_waitcnt lgkmcnt(3)
	v_mul_f32_e32 v6, v25, v10
	v_dual_mul_f32 v5, v26, v10 :: v_dual_mul_f32 v10, v28, v12
	s_waitcnt lgkmcnt(2)
	v_dual_mul_f32 v12, v27, v12 :: v_dual_mul_f32 v41, v30, v14
	s_waitcnt lgkmcnt(1)
	v_dual_mul_f32 v42, v32, v16 :: v_dual_mul_f32 v43, v34, v18
	v_fma_f32 v5, v25, v9, -v5
	v_mul_f32_e32 v16, v31, v16
	v_fma_f32 v10, v27, v11, -v10
	v_mul_f32_e32 v14, v29, v14
	v_mul_f32_e32 v18, v33, v18
	v_sub_f32_e32 v1, v1, v5
	v_dual_mul_f32 v5, v35, v20 :: v_dual_fmac_f32 v6, v26, v9
	s_delay_alu instid0(VALU_DEP_4) | instskip(NEXT) | instid1(VALU_DEP_3)
	v_dual_mul_f32 v9, v36, v20 :: v_dual_fmac_f32 v14, v30, v13
	v_sub_f32_e32 v1, v1, v10
	s_delay_alu instid0(VALU_DEP_3) | instskip(SKIP_4) | instid1(VALU_DEP_4)
	v_dual_fmac_f32 v5, v36, v19 :: v_dual_sub_f32 v2, v2, v6
	v_fma_f32 v6, v29, v13, -v41
	v_fmac_f32_e32 v12, v28, v11
	v_fma_f32 v11, v31, v15, -v42
	v_fma_f32 v9, v35, v19, -v9
	v_sub_f32_e32 v1, v1, v6
	s_waitcnt lgkmcnt(0)
	v_mul_f32_e32 v6, v37, v22
	s_delay_alu instid0(VALU_DEP_2) | instskip(SKIP_2) | instid1(VALU_DEP_2)
	v_dual_sub_f32 v1, v1, v11 :: v_dual_sub_f32 v2, v2, v12
	v_fma_f32 v12, v33, v17, -v43
	v_dual_mul_f32 v10, v38, v22 :: v_dual_mul_f32 v11, v40, v24
	v_dual_fmac_f32 v6, v38, v21 :: v_dual_sub_f32 v1, v1, v12
	v_fmac_f32_e32 v16, v32, v15
	s_delay_alu instid0(VALU_DEP_3) | instskip(NEXT) | instid1(VALU_DEP_3)
	v_fma_f32 v10, v37, v21, -v10
	v_dual_mul_f32 v12, v39, v24 :: v_dual_sub_f32 v1, v1, v9
	v_fmac_f32_e32 v18, v34, v17
	s_delay_alu instid0(VALU_DEP_2) | instskip(SKIP_1) | instid1(VALU_DEP_1)
	v_dual_fmac_f32 v12, v40, v23 :: v_dual_sub_f32 v1, v1, v10
	v_sub_f32_e32 v2, v2, v14
	v_sub_f32_e32 v2, v2, v16
	s_delay_alu instid0(VALU_DEP_1) | instskip(NEXT) | instid1(VALU_DEP_1)
	v_sub_f32_e32 v2, v2, v18
	v_sub_f32_e32 v2, v2, v5
	v_fma_f32 v5, v39, v23, -v11
	s_delay_alu instid0(VALU_DEP_1) | instskip(NEXT) | instid1(VALU_DEP_1)
	v_dual_sub_f32 v2, v2, v6 :: v_dual_sub_f32 v1, v1, v5
	v_sub_f32_e32 v2, v2, v12
	s_cbranch_scc0 .LBB177_174
; %bb.175:                              ;   in Loop: Header=BB177_171 Depth=1
	s_and_b32 s15, s5, 7
	s_delay_alu instid0(SALU_CYCLE_1)
	s_cmp_eq_u32 s15, 0
	s_cbranch_scc0 .LBB177_177
	s_branch .LBB177_179
.LBB177_176:                            ;   in Loop: Header=BB177_171 Depth=1
	s_mov_b32 s14, 0
	s_and_b32 s15, s5, 7
	s_delay_alu instid0(SALU_CYCLE_1)
	s_cmp_eq_u32 s15, 0
	s_cbranch_scc1 .LBB177_179
.LBB177_177:                            ;   in Loop: Header=BB177_171 Depth=1
	v_lshl_add_u32 v4, s14, 9, v7
	s_and_b32 s15, s10, 7
	s_lshl_b32 s14, s14, 3
	.p2align	6
.LBB177_178:                            ;   Parent Loop BB177_171 Depth=1
                                        ; =>  This Inner Loop Header: Depth=2
	s_delay_alu instid0(SALU_CYCLE_1)
	s_add_i32 s16, s4, s14
	s_add_i32 s15, s15, -1
	v_mov_b32_e32 v9, s16
	s_add_i32 s14, s14, 8
	s_cmp_lg_u32 s15, 0
	ds_load_b64 v[5:6], v4
	ds_load_b64 v[9:10], v9
	s_waitcnt lgkmcnt(0)
	v_dual_mul_f32 v11, v10, v6 :: v_dual_add_nc_u32 v4, 0x200, v4
	v_mul_f32_e32 v6, v9, v6
	s_delay_alu instid0(VALU_DEP_2) | instskip(NEXT) | instid1(VALU_DEP_2)
	v_fma_f32 v9, v9, v5, -v11
	v_fmac_f32_e32 v6, v10, v5
	s_delay_alu instid0(VALU_DEP_1)
	v_dual_sub_f32 v1, v1, v9 :: v_dual_sub_f32 v2, v2, v6
	s_cbranch_scc1 .LBB177_178
.LBB177_179:                            ;   in Loop: Header=BB177_171 Depth=1
	s_mul_i32 s14, s5, 0x208
	v_add_nc_u32_e32 v9, 0x8000, v3
	v_mov_b32_e32 v3, s14
	ds_load_b64 v[3:4], v3
	s_waitcnt lgkmcnt(0)
	v_cmp_gt_f32_e32 vcc_lo, 0, v3
	v_cndmask_b32_e64 v5, v3, -v3, vcc_lo
	v_cmp_gt_f32_e32 vcc_lo, 0, v4
	v_cndmask_b32_e64 v6, v4, -v4, vcc_lo
	s_delay_alu instid0(VALU_DEP_1)
	v_cmp_ngt_f32_e32 vcc_lo, v5, v6
	s_cbranch_vccz .LBB177_181
; %bb.180:                              ;   in Loop: Header=BB177_171 Depth=1
	v_div_scale_f32 v5, null, v4, v4, v3
	v_div_scale_f32 v11, vcc_lo, v3, v4, v3
	s_delay_alu instid0(VALU_DEP_2) | instskip(SKIP_2) | instid1(VALU_DEP_1)
	v_rcp_f32_e32 v6, v5
	s_waitcnt_depctr 0xfff
	v_fma_f32 v10, -v5, v6, 1.0
	v_fmac_f32_e32 v6, v10, v6
	s_delay_alu instid0(VALU_DEP_1) | instskip(NEXT) | instid1(VALU_DEP_1)
	v_mul_f32_e32 v10, v11, v6
	v_fma_f32 v12, -v5, v10, v11
	s_delay_alu instid0(VALU_DEP_1) | instskip(NEXT) | instid1(VALU_DEP_1)
	v_fmac_f32_e32 v10, v12, v6
	v_fma_f32 v5, -v5, v10, v11
	s_delay_alu instid0(VALU_DEP_1) | instskip(NEXT) | instid1(VALU_DEP_1)
	v_div_fmas_f32 v5, v5, v6, v10
	v_div_fixup_f32 v5, v5, v4, v3
	s_delay_alu instid0(VALU_DEP_1) | instskip(NEXT) | instid1(VALU_DEP_1)
	v_fma_f32 v6, v3, v5, v4
	v_div_scale_f32 v10, null, v6, v6, 1.0
	v_div_scale_f32 v13, vcc_lo, 1.0, v6, 1.0
	s_delay_alu instid0(VALU_DEP_2) | instskip(SKIP_2) | instid1(VALU_DEP_1)
	v_rcp_f32_e32 v11, v10
	s_waitcnt_depctr 0xfff
	v_fma_f32 v12, -v10, v11, 1.0
	v_fmac_f32_e32 v11, v12, v11
	s_delay_alu instid0(VALU_DEP_1) | instskip(NEXT) | instid1(VALU_DEP_1)
	v_mul_f32_e32 v12, v13, v11
	v_fma_f32 v14, -v10, v12, v13
	s_delay_alu instid0(VALU_DEP_1) | instskip(NEXT) | instid1(VALU_DEP_1)
	v_fmac_f32_e32 v12, v14, v11
	v_fma_f32 v10, -v10, v12, v13
	s_delay_alu instid0(VALU_DEP_1) | instskip(SKIP_1) | instid1(VALU_DEP_2)
	v_div_fmas_f32 v10, v10, v11, v12
	v_fma_f32 v11, v1, v5, v2
	v_div_fixup_f32 v6, v10, v6, 1.0
	v_fma_f32 v10, v2, v5, -v1
	s_delay_alu instid0(VALU_DEP_2) | instskip(NEXT) | instid1(VALU_DEP_2)
	v_mul_f32_e32 v5, v11, v6
	v_mul_f32_e32 v6, v10, v6
	s_cbranch_execnz .LBB177_170
	s_branch .LBB177_182
.LBB177_181:                            ;   in Loop: Header=BB177_171 Depth=1
                                        ; implicit-def: $vgpr5
.LBB177_182:                            ;   in Loop: Header=BB177_171 Depth=1
	v_div_scale_f32 v5, null, v3, v3, v4
	v_div_scale_f32 v11, vcc_lo, v4, v3, v4
	s_delay_alu instid0(VALU_DEP_2) | instskip(SKIP_2) | instid1(VALU_DEP_1)
	v_rcp_f32_e32 v6, v5
	s_waitcnt_depctr 0xfff
	v_fma_f32 v10, -v5, v6, 1.0
	v_fmac_f32_e32 v6, v10, v6
	s_delay_alu instid0(VALU_DEP_1) | instskip(NEXT) | instid1(VALU_DEP_1)
	v_mul_f32_e32 v10, v11, v6
	v_fma_f32 v12, -v5, v10, v11
	s_delay_alu instid0(VALU_DEP_1) | instskip(NEXT) | instid1(VALU_DEP_1)
	v_fmac_f32_e32 v10, v12, v6
	v_fma_f32 v5, -v5, v10, v11
	s_delay_alu instid0(VALU_DEP_1) | instskip(NEXT) | instid1(VALU_DEP_1)
	v_div_fmas_f32 v5, v5, v6, v10
	v_div_fixup_f32 v5, v5, v3, v4
	s_delay_alu instid0(VALU_DEP_1) | instskip(NEXT) | instid1(VALU_DEP_1)
	v_fmac_f32_e32 v3, v4, v5
	v_div_scale_f32 v4, null, v3, v3, 1.0
	v_div_scale_f32 v11, vcc_lo, 1.0, v3, 1.0
	s_delay_alu instid0(VALU_DEP_2) | instskip(SKIP_2) | instid1(VALU_DEP_1)
	v_rcp_f32_e32 v6, v4
	s_waitcnt_depctr 0xfff
	v_fma_f32 v10, -v4, v6, 1.0
	v_fmac_f32_e32 v6, v10, v6
	s_delay_alu instid0(VALU_DEP_1) | instskip(NEXT) | instid1(VALU_DEP_1)
	v_mul_f32_e32 v10, v11, v6
	v_fma_f32 v12, -v4, v10, v11
	s_delay_alu instid0(VALU_DEP_1) | instskip(NEXT) | instid1(VALU_DEP_1)
	v_fmac_f32_e32 v10, v12, v6
	v_fma_f32 v4, -v4, v10, v11
	s_delay_alu instid0(VALU_DEP_1) | instskip(SKIP_2) | instid1(VALU_DEP_3)
	v_div_fmas_f32 v4, v4, v6, v10
	v_fma_f32 v6, v2, v5, v1
	v_fma_f32 v1, -v1, v5, v2
	v_div_fixup_f32 v3, v4, v3, 1.0
	s_delay_alu instid0(VALU_DEP_1) | instskip(NEXT) | instid1(VALU_DEP_3)
	v_mul_f32_e32 v5, v6, v3
	v_mul_f32_e32 v6, v1, v3
	s_branch .LBB177_170
.LBB177_183:
	s_and_saveexec_b32 s1, s20
	s_cbranch_execz .LBB177_190
; %bb.184:
	v_lshlrev_b32_e32 v3, 3, v0
	s_ashr_i32 s1, s0, 31
	s_cmp_lt_u32 s8, 4
	s_mov_b32 s9, 0
	s_cbranch_scc1 .LBB177_187
; %bb.185:
	v_add_co_u32 v1, s4, s18, v3
	s_delay_alu instid0(VALU_DEP_1)
	v_add_co_ci_u32_e64 v2, null, s19, 0, s4
	v_lshl_or_b32 v0, v0, 3, 0x8000
	s_and_b32 s9, s8, 0x7ffffffc
	s_mul_hi_i32 s16, s0, 24
	s_mul_i32 s17, s0, 24
	s_lshl_b64 s[4:5], s[0:1], 5
	s_lshl_b64 s[10:11], s[0:1], 4
	;; [unrolled: 1-line block ×3, first 2 shown]
	s_mov_b32 s18, 0
	.p2align	6
.LBB177_186:                            ; =>This Inner Loop Header: Depth=1
	ds_load_2addr_stride64_b64 v[4:7], v0 offset1:1
	ds_load_2addr_stride64_b64 v[8:11], v0 offset0:2 offset1:3
	v_add_co_u32 v12, vcc_lo, v1, s14
	v_add_co_ci_u32_e32 v13, vcc_lo, s15, v2, vcc_lo
	v_add_co_u32 v14, vcc_lo, v1, s10
	v_add_co_ci_u32_e32 v15, vcc_lo, s11, v2, vcc_lo
	;; [unrolled: 2-line block ×3, first 2 shown]
	v_add_nc_u32_e32 v0, 0x800, v0
	s_add_i32 s18, s18, 4
	s_delay_alu instid0(SALU_CYCLE_1)
	s_cmp_lg_u32 s9, s18
	s_waitcnt lgkmcnt(1)
	global_store_b64 v[1:2], v[4:5], off
	v_add_co_u32 v1, vcc_lo, v1, s4
	v_add_co_ci_u32_e32 v2, vcc_lo, s5, v2, vcc_lo
	global_store_b64 v[12:13], v[6:7], off
	s_waitcnt lgkmcnt(0)
	s_clause 0x1
	global_store_b64 v[14:15], v[8:9], off
	global_store_b64 v[16:17], v[10:11], off
	s_cbranch_scc1 .LBB177_186
.LBB177_187:
	s_and_b32 s4, s8, 3
	s_delay_alu instid0(SALU_CYCLE_1)
	s_cmp_eq_u32 s4, 0
	s_cbranch_scc1 .LBB177_190
; %bb.188:
	s_mul_hi_i32 s11, s0, s9
	s_mul_i32 s10, s0, s9
	v_lshl_or_b32 v2, s9, 9, v3
	s_lshl_b64 s[10:11], s[10:11], 3
	s_delay_alu instid0(SALU_CYCLE_1)
	s_add_u32 s5, s10, s6
	s_addc_u32 s6, s11, s7
	s_add_u32 s5, s5, s12
	s_addc_u32 s6, s6, s13
	;; [unrolled: 2-line block ×3, first 2 shown]
	v_add_co_u32 v0, s2, s2, v3
	s_delay_alu instid0(VALU_DEP_1)
	v_add_co_ci_u32_e64 v1, null, s3, 0, s2
	v_add_nc_u32_e32 v2, 0x8000, v2
	s_lshl_b64 s[0:1], s[0:1], 3
.LBB177_189:                            ; =>This Inner Loop Header: Depth=1
	ds_load_b64 v[3:4], v2
	v_add_nc_u32_e32 v2, 0x200, v2
	s_add_i32 s4, s4, -1
	s_delay_alu instid0(SALU_CYCLE_1)
	s_cmp_lg_u32 s4, 0
	s_waitcnt lgkmcnt(0)
	global_store_b64 v[0:1], v[3:4], off
	v_add_co_u32 v0, vcc_lo, v0, s0
	v_add_co_ci_u32_e32 v1, vcc_lo, s1, v1, vcc_lo
	s_cbranch_scc1 .LBB177_189
.LBB177_190:
	s_nop 0
	s_sendmsg sendmsg(MSG_DEALLOC_VGPRS)
	s_endpgm
	.section	.rodata,"a",@progbits
	.p2align	6, 0x0
	.amdhsa_kernel _ZL31rocblas_trsm_small_right_deviceI19rocblas_complex_numIfES1_PKPKS1_PKPS1_Li64EEv13rocblas_fill_18rocblas_operation_17rocblas_diagonal_iiT0_T1_lilT2_lili
		.amdhsa_group_segment_fixed_size 65536
		.amdhsa_private_segment_fixed_size 0
		.amdhsa_kernarg_size 360
		.amdhsa_user_sgpr_count 14
		.amdhsa_user_sgpr_dispatch_ptr 0
		.amdhsa_user_sgpr_queue_ptr 0
		.amdhsa_user_sgpr_kernarg_segment_ptr 1
		.amdhsa_user_sgpr_dispatch_id 0
		.amdhsa_user_sgpr_private_segment_size 0
		.amdhsa_wavefront_size32 1
		.amdhsa_uses_dynamic_stack 0
		.amdhsa_enable_private_segment 0
		.amdhsa_system_sgpr_workgroup_id_x 1
		.amdhsa_system_sgpr_workgroup_id_y 0
		.amdhsa_system_sgpr_workgroup_id_z 1
		.amdhsa_system_sgpr_workgroup_info 0
		.amdhsa_system_vgpr_workitem_id 0
		.amdhsa_next_free_vgpr 46
		.amdhsa_next_free_sgpr 36
		.amdhsa_reserve_vcc 1
		.amdhsa_float_round_mode_32 0
		.amdhsa_float_round_mode_16_64 0
		.amdhsa_float_denorm_mode_32 3
		.amdhsa_float_denorm_mode_16_64 3
		.amdhsa_dx10_clamp 1
		.amdhsa_ieee_mode 1
		.amdhsa_fp16_overflow 0
		.amdhsa_workgroup_processor_mode 1
		.amdhsa_memory_ordered 1
		.amdhsa_forward_progress 0
		.amdhsa_shared_vgpr_count 0
		.amdhsa_exception_fp_ieee_invalid_op 0
		.amdhsa_exception_fp_denorm_src 0
		.amdhsa_exception_fp_ieee_div_zero 0
		.amdhsa_exception_fp_ieee_overflow 0
		.amdhsa_exception_fp_ieee_underflow 0
		.amdhsa_exception_fp_ieee_inexact 0
		.amdhsa_exception_int_div_zero 0
	.end_amdhsa_kernel
	.section	.text._ZL31rocblas_trsm_small_right_deviceI19rocblas_complex_numIfES1_PKPKS1_PKPS1_Li64EEv13rocblas_fill_18rocblas_operation_17rocblas_diagonal_iiT0_T1_lilT2_lili,"axG",@progbits,_ZL31rocblas_trsm_small_right_deviceI19rocblas_complex_numIfES1_PKPKS1_PKPS1_Li64EEv13rocblas_fill_18rocblas_operation_17rocblas_diagonal_iiT0_T1_lilT2_lili,comdat
.Lfunc_end177:
	.size	_ZL31rocblas_trsm_small_right_deviceI19rocblas_complex_numIfES1_PKPKS1_PKPS1_Li64EEv13rocblas_fill_18rocblas_operation_17rocblas_diagonal_iiT0_T1_lilT2_lili, .Lfunc_end177-_ZL31rocblas_trsm_small_right_deviceI19rocblas_complex_numIfES1_PKPKS1_PKPS1_Li64EEv13rocblas_fill_18rocblas_operation_17rocblas_diagonal_iiT0_T1_lilT2_lili
                                        ; -- End function
	.section	.AMDGPU.csdata,"",@progbits
; Kernel info:
; codeLenInByte = 17256
; NumSgprs: 38
; NumVgprs: 46
; ScratchSize: 0
; MemoryBound: 0
; FloatMode: 240
; IeeeMode: 1
; LDSByteSize: 65536 bytes/workgroup (compile time only)
; SGPRBlocks: 4
; VGPRBlocks: 5
; NumSGPRsForWavesPerEU: 38
; NumVGPRsForWavesPerEU: 46
; Occupancy: 1
; WaveLimiterHint : 0
; COMPUTE_PGM_RSRC2:SCRATCH_EN: 0
; COMPUTE_PGM_RSRC2:USER_SGPR: 14
; COMPUTE_PGM_RSRC2:TRAP_HANDLER: 0
; COMPUTE_PGM_RSRC2:TGID_X_EN: 1
; COMPUTE_PGM_RSRC2:TGID_Y_EN: 0
; COMPUTE_PGM_RSRC2:TGID_Z_EN: 1
; COMPUTE_PGM_RSRC2:TIDIG_COMP_CNT: 0
	.section	.text._ZL39rocblas_trsm_block_forward_substitutionI19rocblas_complex_numIfES1_PKPKS1_PKPS1_Lb0ELb0ELb0EEv18rocblas_operation_llT0_T1_lllT2_lllib,"axG",@progbits,_ZL39rocblas_trsm_block_forward_substitutionI19rocblas_complex_numIfES1_PKPKS1_PKPS1_Lb0ELb0ELb0EEv18rocblas_operation_llT0_T1_lllT2_lllib,comdat
	.globl	_ZL39rocblas_trsm_block_forward_substitutionI19rocblas_complex_numIfES1_PKPKS1_PKPS1_Lb0ELb0ELb0EEv18rocblas_operation_llT0_T1_lllT2_lllib ; -- Begin function _ZL39rocblas_trsm_block_forward_substitutionI19rocblas_complex_numIfES1_PKPKS1_PKPS1_Lb0ELb0ELb0EEv18rocblas_operation_llT0_T1_lllT2_lllib
	.p2align	8
	.type	_ZL39rocblas_trsm_block_forward_substitutionI19rocblas_complex_numIfES1_PKPKS1_PKPS1_Lb0ELb0ELb0EEv18rocblas_operation_llT0_T1_lllT2_lllib,@function
_ZL39rocblas_trsm_block_forward_substitutionI19rocblas_complex_numIfES1_PKPKS1_PKPS1_Lb0ELb0ELb0EEv18rocblas_operation_llT0_T1_lllT2_lllib: ; @_ZL39rocblas_trsm_block_forward_substitutionI19rocblas_complex_numIfES1_PKPKS1_PKPS1_Lb0ELb0ELb0EEv18rocblas_operation_llT0_T1_lllT2_lllib
; %bb.0:
	s_clause 0x1
	s_load_b32 s8, s[0:1], 0x64
	s_load_b128 s[4:7], s[0:1], 0x20
	s_mov_b32 s2, s15
	s_mov_b32 s3, 0
	s_clause 0x2
	s_load_b32 s22, s[0:1], 0x74
	s_load_b64 s[18:19], s[0:1], 0x50
	s_load_b64 s[12:13], s[0:1], 0x30
	v_and_b32_e32 v1, 0x3ff, v0
	v_bfe_u32 v0, v0, 10, 10
	s_waitcnt lgkmcnt(0)
	s_bitcmp1_b32 s8, 0
	s_cselect_b32 s8, -1, 0
	s_lshl_b64 s[16:17], s[2:3], 3
	s_xor_b32 s15, s8, -1
	s_add_u32 s2, s4, s16
	s_addc_u32 s3, s5, s17
	s_lshl_b64 s[4:5], s[6:7], 3
	s_load_b64 s[2:3], s[2:3], 0x0
	s_load_b128 s[8:11], s[0:1], 0x40
	s_waitcnt lgkmcnt(0)
	s_add_u32 s2, s2, s4
	s_addc_u32 s3, s3, s5
	s_add_u32 s16, s8, s16
	s_addc_u32 s17, s9, s17
	s_clause 0x1
	s_load_b128 s[4:7], s[0:1], 0x8
	s_load_b64 s[8:9], s[0:1], 0x18
	s_load_b64 s[16:17], s[16:17], 0x0
	s_add_u32 s20, s0, 0x68
	s_addc_u32 s21, s1, 0
	s_and_b32 vcc_lo, exec_lo, s15
	s_lshr_b32 s24, s22, 16
	s_cbranch_vccnz .LBB178_15
; %bb.1:
	s_waitcnt lgkmcnt(0)
	v_cmp_lt_i64_e64 s22, s[4:5], 1
	s_lshl_b32 s23, s24, 3
	s_delay_alu instid0(VALU_DEP_1)
	s_and_b32 vcc_lo, exec_lo, s22
	s_add_i32 s22, s23, 0
	s_cbranch_vccnz .LBB178_14
; %bb.2:
	v_mad_u64_u32 v[3:4], null, v1, s12, 0
	v_mov_b32_e32 v11, v0
	s_delay_alu instid0(VALU_DEP_2) | instskip(NEXT) | instid1(VALU_DEP_1)
	v_mov_b32_e32 v2, v4
	v_mad_u64_u32 v[4:5], null, v1, s13, v[2:3]
	v_dual_mov_b32 v2, 0 :: v_dual_lshlrev_b32 v5, 3, v1
	s_delay_alu instid0(VALU_DEP_1) | instskip(NEXT) | instid1(VALU_DEP_3)
	v_add_co_u32 v9, s2, s2, v5
	v_lshlrev_b64 v[3:4], 3, v[3:4]
	v_add_co_ci_u32_e64 v10, null, s3, 0, s2
	s_delay_alu instid0(VALU_DEP_4) | instskip(SKIP_1) | instid1(VALU_DEP_4)
	v_cmp_le_u64_e32 vcc_lo, s[4:5], v[1:2]
	v_add_nc_u32_e32 v8, s22, v5
	v_add_co_u32 v2, s2, v9, v3
	s_delay_alu instid0(VALU_DEP_1)
	v_add_co_ci_u32_e64 v3, s2, v10, v4, s2
	s_xor_b32 s23, vcc_lo, -1
	s_mov_b32 s2, s24
	s_branch .LBB178_6
.LBB178_3:                              ;   in Loop: Header=BB178_6 Depth=1
	s_or_b32 exec_lo, exec_lo, s26
	s_load_b32 s26, s[20:21], 0xc
	s_waitcnt lgkmcnt(0)
	s_and_b32 s26, s26, 0xffff
	s_delay_alu instid0(SALU_CYCLE_1) | instskip(NEXT) | instid1(VALU_DEP_1)
	v_mul_u32_u24_e32 v4, s26, v1
	v_lshl_add_u32 v4, v4, 3, v8
	ds_store_b64 v4, v[6:7]
.LBB178_4:                              ;   in Loop: Header=BB178_6 Depth=1
	s_or_b32 exec_lo, exec_lo, s25
.LBB178_5:                              ;   in Loop: Header=BB178_6 Depth=1
	s_delay_alu instid0(SALU_CYCLE_1) | instskip(SKIP_4) | instid1(VALU_DEP_1)
	s_or_b32 exec_lo, exec_lo, s3
	s_ashr_i32 s3, s2, 31
	v_add_nc_u32_e32 v11, s24, v11
	v_cmp_ge_i64_e64 s3, s[2:3], s[4:5]
	s_add_i32 s2, s2, s24
	s_and_b32 vcc_lo, exec_lo, s3
	s_cbranch_vccnz .LBB178_14
.LBB178_6:                              ; =>This Inner Loop Header: Depth=1
	v_cmp_gt_i32_e32 vcc_lo, v1, v11
	s_and_b32 s3, s23, vcc_lo
	s_delay_alu instid0(SALU_CYCLE_1) | instskip(NEXT) | instid1(SALU_CYCLE_1)
	s_and_saveexec_b32 s25, s3
	s_xor_b32 s3, exec_lo, s25
	s_cbranch_execz .LBB178_8
; %bb.7:                                ;   in Loop: Header=BB178_6 Depth=1
	v_ashrrev_i32_e32 v6, 31, v11
	v_mul_lo_u32 v7, v11, s13
	v_mad_u64_u32 v[4:5], null, v11, s12, 0
	s_load_b32 s25, s[20:21], 0xc
	s_delay_alu instid0(VALU_DEP_3) | instskip(NEXT) | instid1(VALU_DEP_1)
	v_mul_lo_u32 v6, v6, s12
	v_add3_u32 v5, v5, v7, v6
	s_delay_alu instid0(VALU_DEP_1) | instskip(SKIP_2) | instid1(VALU_DEP_1)
	v_lshlrev_b64 v[4:5], 3, v[4:5]
	s_waitcnt lgkmcnt(0)
	s_and_b32 s25, s25, 0xffff
	v_add_co_u32 v4, vcc_lo, v9, v4
	s_delay_alu instid0(VALU_DEP_2)
	v_add_co_ci_u32_e32 v5, vcc_lo, v10, v5, vcc_lo
	v_mul_lo_u32 v6, v11, s25
	global_load_b64 v[4:5], v[4:5], off
	v_lshl_add_u32 v6, v6, 3, v8
	s_waitcnt vmcnt(0)
	ds_store_b64 v6, v[4:5]
.LBB178_8:                              ;   in Loop: Header=BB178_6 Depth=1
	s_and_not1_saveexec_b32 s3, s3
	s_cbranch_execz .LBB178_5
; %bb.9:                                ;   in Loop: Header=BB178_6 Depth=1
	v_cmp_eq_u32_e32 vcc_lo, v1, v11
	s_and_b32 s26, s23, vcc_lo
	s_delay_alu instid0(SALU_CYCLE_1)
	s_and_saveexec_b32 s25, s26
	s_cbranch_execz .LBB178_4
; %bb.10:                               ;   in Loop: Header=BB178_6 Depth=1
	global_load_b64 v[4:5], v[2:3], off
	s_waitcnt vmcnt(0)
	v_cmp_gt_f32_e32 vcc_lo, 0, v4
	v_cndmask_b32_e64 v6, v4, -v4, vcc_lo
	v_cmp_gt_f32_e32 vcc_lo, 0, v5
	v_cndmask_b32_e64 v7, v5, -v5, vcc_lo
	s_delay_alu instid0(VALU_DEP_1) | instskip(SKIP_1) | instid1(SALU_CYCLE_1)
	v_cmp_ngt_f32_e32 vcc_lo, v6, v7
                                        ; implicit-def: $vgpr6
	s_and_saveexec_b32 s26, vcc_lo
	s_xor_b32 s26, exec_lo, s26
	s_cbranch_execz .LBB178_12
; %bb.11:                               ;   in Loop: Header=BB178_6 Depth=1
	v_div_scale_f32 v6, null, v5, v5, v4
	v_div_scale_f32 v13, vcc_lo, v4, v5, v4
	s_delay_alu instid0(VALU_DEP_2) | instskip(SKIP_2) | instid1(VALU_DEP_1)
	v_rcp_f32_e32 v7, v6
	s_waitcnt_depctr 0xfff
	v_fma_f32 v12, -v6, v7, 1.0
	v_fmac_f32_e32 v7, v12, v7
	s_delay_alu instid0(VALU_DEP_1) | instskip(NEXT) | instid1(VALU_DEP_1)
	v_mul_f32_e32 v12, v13, v7
	v_fma_f32 v14, -v6, v12, v13
	s_delay_alu instid0(VALU_DEP_1) | instskip(NEXT) | instid1(VALU_DEP_1)
	v_fmac_f32_e32 v12, v14, v7
	v_fma_f32 v6, -v6, v12, v13
	s_delay_alu instid0(VALU_DEP_1) | instskip(NEXT) | instid1(VALU_DEP_1)
	v_div_fmas_f32 v6, v6, v7, v12
	v_div_fixup_f32 v6, v6, v5, v4
	s_delay_alu instid0(VALU_DEP_1) | instskip(NEXT) | instid1(VALU_DEP_1)
	v_fmac_f32_e32 v5, v4, v6
	v_div_scale_f32 v4, null, v5, v5, 1.0
	v_div_scale_f32 v13, vcc_lo, 1.0, v5, 1.0
	s_delay_alu instid0(VALU_DEP_2) | instskip(SKIP_2) | instid1(VALU_DEP_1)
	v_rcp_f32_e32 v7, v4
	s_waitcnt_depctr 0xfff
	v_fma_f32 v12, -v4, v7, 1.0
	v_fmac_f32_e32 v7, v12, v7
	s_delay_alu instid0(VALU_DEP_1) | instskip(NEXT) | instid1(VALU_DEP_1)
	v_mul_f32_e32 v12, v13, v7
	v_fma_f32 v14, -v4, v12, v13
	s_delay_alu instid0(VALU_DEP_1) | instskip(NEXT) | instid1(VALU_DEP_1)
	v_fmac_f32_e32 v12, v14, v7
	v_fma_f32 v4, -v4, v12, v13
	s_delay_alu instid0(VALU_DEP_1) | instskip(NEXT) | instid1(VALU_DEP_1)
	v_div_fmas_f32 v4, v4, v7, v12
	v_div_fixup_f32 v4, v4, v5, 1.0
	s_delay_alu instid0(VALU_DEP_1)
	v_mul_f32_e32 v6, v6, v4
	v_xor_b32_e32 v7, 0x80000000, v4
                                        ; implicit-def: $vgpr4_vgpr5
.LBB178_12:                             ;   in Loop: Header=BB178_6 Depth=1
	s_and_not1_saveexec_b32 s26, s26
	s_cbranch_execz .LBB178_3
; %bb.13:                               ;   in Loop: Header=BB178_6 Depth=1
	v_div_scale_f32 v6, null, v4, v4, v5
	v_div_scale_f32 v13, vcc_lo, v5, v4, v5
	s_delay_alu instid0(VALU_DEP_2) | instskip(SKIP_2) | instid1(VALU_DEP_1)
	v_rcp_f32_e32 v7, v6
	s_waitcnt_depctr 0xfff
	v_fma_f32 v12, -v6, v7, 1.0
	v_fmac_f32_e32 v7, v12, v7
	s_delay_alu instid0(VALU_DEP_1) | instskip(NEXT) | instid1(VALU_DEP_1)
	v_mul_f32_e32 v12, v13, v7
	v_fma_f32 v14, -v6, v12, v13
	s_delay_alu instid0(VALU_DEP_1) | instskip(NEXT) | instid1(VALU_DEP_1)
	v_fmac_f32_e32 v12, v14, v7
	v_fma_f32 v6, -v6, v12, v13
	s_delay_alu instid0(VALU_DEP_1) | instskip(NEXT) | instid1(VALU_DEP_1)
	v_div_fmas_f32 v6, v6, v7, v12
	v_div_fixup_f32 v7, v6, v4, v5
	s_delay_alu instid0(VALU_DEP_1) | instskip(NEXT) | instid1(VALU_DEP_1)
	v_fmac_f32_e32 v4, v5, v7
	v_div_scale_f32 v5, null, v4, v4, 1.0
	s_delay_alu instid0(VALU_DEP_1) | instskip(SKIP_2) | instid1(VALU_DEP_1)
	v_rcp_f32_e32 v6, v5
	s_waitcnt_depctr 0xfff
	v_fma_f32 v12, -v5, v6, 1.0
	v_fmac_f32_e32 v6, v12, v6
	v_div_scale_f32 v12, vcc_lo, 1.0, v4, 1.0
	s_delay_alu instid0(VALU_DEP_1) | instskip(NEXT) | instid1(VALU_DEP_1)
	v_mul_f32_e32 v13, v12, v6
	v_fma_f32 v14, -v5, v13, v12
	s_delay_alu instid0(VALU_DEP_1) | instskip(NEXT) | instid1(VALU_DEP_1)
	v_fmac_f32_e32 v13, v14, v6
	v_fma_f32 v5, -v5, v13, v12
	s_delay_alu instid0(VALU_DEP_1) | instskip(NEXT) | instid1(VALU_DEP_1)
	v_div_fmas_f32 v5, v5, v6, v13
	v_div_fixup_f32 v6, v5, v4, 1.0
	s_delay_alu instid0(VALU_DEP_1)
	v_mul_f32_e64 v7, v7, -v6
	s_branch .LBB178_3
.LBB178_14:
	s_load_b32 s12, s[20:21], 0xc
	s_mov_b64 s[2:3], src_shared_base
	s_mov_b32 s13, 0
	s_mov_b32 s23, s3
	s_delay_alu instid0(SALU_CYCLE_1)
	s_mov_b64 s[2:3], s[22:23]
	s_waitcnt lgkmcnt(0)
	s_and_b32 s12, s12, 0xffff
.LBB178_15:
	v_mad_u64_u32 v[3:4], null, s14, s24, v[0:1]
	v_mov_b32_e32 v4, 0
	s_waitcnt lgkmcnt(0)
	s_delay_alu instid0(VALU_DEP_1)
	v_cmp_gt_i64_e32 vcc_lo, s[6:7], v[3:4]
	s_and_saveexec_b32 s6, vcc_lo
	s_cbranch_execz .LBB178_43
; %bb.16:
	v_mov_b32_e32 v2, v4
	s_delay_alu instid0(VALU_DEP_1)
	v_cmp_gt_i64_e32 vcc_lo, s[4:5], v[1:2]
	s_and_b32 exec_lo, exec_lo, vcc_lo
	s_cbranch_execz .LBB178_43
; %bb.17:
	v_mad_u64_u32 v[4:5], null, v3, s18, 0
	s_lshl_b64 s[6:7], s[10:11], 3
	s_delay_alu instid0(SALU_CYCLE_1) | instskip(SKIP_1) | instid1(VALU_DEP_1)
	s_add_u32 s6, s16, s6
	s_addc_u32 s7, s17, s7
	v_mad_u64_u32 v[6:7], null, v3, s19, v[5:6]
	v_lshlrev_b32_e32 v7, 3, v1
	s_delay_alu instid0(VALU_DEP_2) | instskip(NEXT) | instid1(VALU_DEP_1)
	v_mov_b32_e32 v5, v6
	v_lshlrev_b64 v[3:4], 3, v[4:5]
	s_delay_alu instid0(VALU_DEP_1) | instskip(NEXT) | instid1(VALU_DEP_2)
	v_add_co_u32 v3, vcc_lo, s6, v3
	v_add_co_ci_u32_e32 v4, vcc_lo, s7, v4, vcc_lo
	v_cmp_lt_u64_e64 s6, s[4:5], 2
	s_delay_alu instid0(VALU_DEP_3) | instskip(NEXT) | instid1(VALU_DEP_3)
	v_add_co_u32 v3, vcc_lo, v3, v7
	v_add_co_ci_u32_e32 v4, vcc_lo, 0, v4, vcc_lo
	s_add_u32 s4, s4, -1
	s_addc_u32 s5, s5, -1
	s_delay_alu instid0(VALU_DEP_3) | instskip(SKIP_3) | instid1(VALU_DEP_1)
	s_and_b32 vcc_lo, exec_lo, s6
	global_load_b64 v[8:9], v[3:4], off
	s_waitcnt vmcnt(0)
	v_mul_f32_e32 v6, s8, v9
	v_dual_mul_f32 v5, s9, v9 :: v_dual_fmac_f32 v6, s9, v8
	s_delay_alu instid0(VALU_DEP_1)
	v_fma_f32 v5, s8, v8, -v5
	s_cbranch_vccnz .LBB178_34
; %bb.18:
	v_mad_u64_u32 v[8:9], null, v1, s12, v[1:2]
	s_load_b32 s0, s[0:1], 0x0
	v_add_co_u32 v7, s1, s2, v7
	v_lshl_add_u32 v0, v0, 3, 0
	s_mov_b64 s[6:7], 0
	s_delay_alu instid0(VALU_DEP_3) | instskip(NEXT) | instid1(VALU_DEP_1)
	v_mad_u64_u32 v[10:11], null, v1, s13, v[9:10]
	v_mov_b32_e32 v9, v10
	s_delay_alu instid0(VALU_DEP_1) | instskip(SKIP_4) | instid1(VALU_DEP_2)
	v_lshlrev_b64 v[9:10], 3, v[8:9]
	v_add_co_ci_u32_e64 v8, null, s3, 0, s1
	s_waitcnt lgkmcnt(0)
	s_cmpk_lg_i32 s0, 0x71
	s_cselect_b32 s8, -1, 0
	v_add_co_u32 v9, vcc_lo, s2, v9
	v_add_co_ci_u32_e32 v10, vcc_lo, s3, v10, vcc_lo
	s_lshl_b64 s[0:1], s[12:13], 3
	s_branch .LBB178_21
.LBB178_19:                             ;   in Loop: Header=BB178_21 Depth=1
	ds_load_b64 v[13:14], v0
	s_waitcnt vmcnt(0) lgkmcnt(0)
	v_mul_f32_e32 v15, v14, v12
	v_mul_f32_e32 v14, v14, v11
	s_delay_alu instid0(VALU_DEP_2) | instskip(NEXT) | instid1(VALU_DEP_2)
	v_fma_f32 v11, v13, v11, -v15
	v_fmac_f32_e32 v14, v13, v12
	s_delay_alu instid0(VALU_DEP_1)
	v_dual_sub_f32 v5, v5, v11 :: v_dual_sub_f32 v6, v6, v14
.LBB178_20:                             ;   in Loop: Header=BB178_21 Depth=1
	s_or_b32 exec_lo, exec_lo, s9
	v_add_co_u32 v7, vcc_lo, v7, s0
	s_add_u32 s6, s6, 1
	v_add_co_ci_u32_e32 v8, vcc_lo, s1, v8, vcc_lo
	s_addc_u32 s7, s7, 0
	s_delay_alu instid0(SALU_CYCLE_1)
	s_cmp_eq_u64 s[4:5], s[6:7]
	s_cbranch_scc1 .LBB178_34
.LBB178_21:                             ; =>This Inner Loop Header: Depth=1
	s_mov_b32 s9, exec_lo
	s_barrier
	buffer_gl0_inv
	v_cmpx_eq_u64_e64 s[6:7], v[1:2]
	s_cbranch_execz .LBB178_29
; %bb.22:                               ;   in Loop: Header=BB178_21 Depth=1
	flat_load_b64 v[11:12], v[9:10]
	s_and_not1_b32 vcc_lo, exec_lo, s15
	s_cbranch_vccnz .LBB178_28
; %bb.23:                               ;   in Loop: Header=BB178_21 Depth=1
	s_waitcnt vmcnt(0) lgkmcnt(0)
	v_cmp_gt_f32_e32 vcc_lo, 0, v11
	s_mov_b32 s10, exec_lo
	v_cndmask_b32_e64 v13, v11, -v11, vcc_lo
	v_cmp_gt_f32_e32 vcc_lo, 0, v12
	v_cndmask_b32_e64 v14, v12, -v12, vcc_lo
	s_delay_alu instid0(VALU_DEP_1)
	v_cmpx_ngt_f32_e32 v13, v14
	s_xor_b32 s10, exec_lo, s10
	s_cbranch_execz .LBB178_25
; %bb.24:                               ;   in Loop: Header=BB178_21 Depth=1
	v_div_scale_f32 v13, null, v12, v12, v11
	v_div_scale_f32 v16, vcc_lo, v11, v12, v11
	s_delay_alu instid0(VALU_DEP_2) | instskip(SKIP_2) | instid1(VALU_DEP_1)
	v_rcp_f32_e32 v14, v13
	s_waitcnt_depctr 0xfff
	v_fma_f32 v15, -v13, v14, 1.0
	v_fmac_f32_e32 v14, v15, v14
	s_delay_alu instid0(VALU_DEP_1) | instskip(NEXT) | instid1(VALU_DEP_1)
	v_mul_f32_e32 v15, v16, v14
	v_fma_f32 v17, -v13, v15, v16
	s_delay_alu instid0(VALU_DEP_1) | instskip(NEXT) | instid1(VALU_DEP_1)
	v_fmac_f32_e32 v15, v17, v14
	v_fma_f32 v13, -v13, v15, v16
	s_delay_alu instid0(VALU_DEP_1) | instskip(NEXT) | instid1(VALU_DEP_1)
	v_div_fmas_f32 v13, v13, v14, v15
	v_div_fixup_f32 v13, v13, v12, v11
	s_delay_alu instid0(VALU_DEP_1) | instskip(NEXT) | instid1(VALU_DEP_1)
	v_fmac_f32_e32 v12, v11, v13
	v_div_scale_f32 v11, null, v12, v12, 1.0
	v_div_scale_f32 v16, vcc_lo, 1.0, v12, 1.0
	s_delay_alu instid0(VALU_DEP_2) | instskip(SKIP_2) | instid1(VALU_DEP_1)
	v_rcp_f32_e32 v14, v11
	s_waitcnt_depctr 0xfff
	v_fma_f32 v15, -v11, v14, 1.0
	v_fmac_f32_e32 v14, v15, v14
	s_delay_alu instid0(VALU_DEP_1) | instskip(NEXT) | instid1(VALU_DEP_1)
	v_mul_f32_e32 v15, v16, v14
	v_fma_f32 v17, -v11, v15, v16
	s_delay_alu instid0(VALU_DEP_1) | instskip(NEXT) | instid1(VALU_DEP_1)
	v_fmac_f32_e32 v15, v17, v14
	v_fma_f32 v11, -v11, v15, v16
	s_delay_alu instid0(VALU_DEP_1) | instskip(NEXT) | instid1(VALU_DEP_1)
	v_div_fmas_f32 v11, v11, v14, v15
	v_div_fixup_f32 v12, v11, v12, 1.0
	s_delay_alu instid0(VALU_DEP_1)
	v_mul_f32_e32 v11, v13, v12
	v_xor_b32_e32 v12, 0x80000000, v12
.LBB178_25:                             ;   in Loop: Header=BB178_21 Depth=1
	s_and_not1_saveexec_b32 s10, s10
	s_cbranch_execz .LBB178_27
; %bb.26:                               ;   in Loop: Header=BB178_21 Depth=1
	s_delay_alu instid0(VALU_DEP_1) | instskip(SKIP_1) | instid1(VALU_DEP_2)
	v_div_scale_f32 v13, null, v11, v11, v12
	v_div_scale_f32 v16, vcc_lo, v12, v11, v12
	v_rcp_f32_e32 v14, v13
	s_waitcnt_depctr 0xfff
	v_fma_f32 v15, -v13, v14, 1.0
	s_delay_alu instid0(VALU_DEP_1) | instskip(NEXT) | instid1(VALU_DEP_1)
	v_fmac_f32_e32 v14, v15, v14
	v_mul_f32_e32 v15, v16, v14
	s_delay_alu instid0(VALU_DEP_1) | instskip(NEXT) | instid1(VALU_DEP_1)
	v_fma_f32 v17, -v13, v15, v16
	v_fmac_f32_e32 v15, v17, v14
	s_delay_alu instid0(VALU_DEP_1) | instskip(NEXT) | instid1(VALU_DEP_1)
	v_fma_f32 v13, -v13, v15, v16
	v_div_fmas_f32 v13, v13, v14, v15
	s_delay_alu instid0(VALU_DEP_1) | instskip(NEXT) | instid1(VALU_DEP_1)
	v_div_fixup_f32 v13, v13, v11, v12
	v_fmac_f32_e32 v11, v12, v13
	s_delay_alu instid0(VALU_DEP_1) | instskip(NEXT) | instid1(VALU_DEP_1)
	v_div_scale_f32 v12, null, v11, v11, 1.0
	v_rcp_f32_e32 v14, v12
	s_waitcnt_depctr 0xfff
	v_fma_f32 v15, -v12, v14, 1.0
	s_delay_alu instid0(VALU_DEP_1) | instskip(SKIP_1) | instid1(VALU_DEP_1)
	v_fmac_f32_e32 v14, v15, v14
	v_div_scale_f32 v15, vcc_lo, 1.0, v11, 1.0
	v_mul_f32_e32 v16, v15, v14
	s_delay_alu instid0(VALU_DEP_1) | instskip(NEXT) | instid1(VALU_DEP_1)
	v_fma_f32 v17, -v12, v16, v15
	v_fmac_f32_e32 v16, v17, v14
	s_delay_alu instid0(VALU_DEP_1) | instskip(NEXT) | instid1(VALU_DEP_1)
	v_fma_f32 v12, -v12, v16, v15
	v_div_fmas_f32 v12, v12, v14, v16
	s_delay_alu instid0(VALU_DEP_1) | instskip(NEXT) | instid1(VALU_DEP_1)
	v_div_fixup_f32 v11, v12, v11, 1.0
	v_mul_f32_e64 v12, v13, -v11
.LBB178_27:                             ;   in Loop: Header=BB178_21 Depth=1
	s_or_b32 exec_lo, exec_lo, s10
.LBB178_28:                             ;   in Loop: Header=BB178_21 Depth=1
	s_waitcnt vmcnt(0) lgkmcnt(0)
	s_delay_alu instid0(VALU_DEP_1) | instskip(SKIP_1) | instid1(VALU_DEP_2)
	v_mul_f32_e32 v13, v5, v12
	v_mul_f32_e32 v12, v6, v12
	v_fmac_f32_e32 v13, v6, v11
	s_delay_alu instid0(VALU_DEP_2) | instskip(NEXT) | instid1(VALU_DEP_1)
	v_fma_f32 v12, v5, v11, -v12
	v_dual_mov_b32 v6, v13 :: v_dual_mov_b32 v5, v12
	ds_store_b64 v0, v[12:13]
.LBB178_29:                             ;   in Loop: Header=BB178_21 Depth=1
	s_or_b32 exec_lo, exec_lo, s9
	s_delay_alu instid0(SALU_CYCLE_1)
	s_mov_b32 s9, exec_lo
	s_waitcnt lgkmcnt(0)
	s_barrier
	buffer_gl0_inv
	v_cmpx_lt_u64_e64 s[6:7], v[1:2]
	s_cbranch_execz .LBB178_20
; %bb.30:                               ;   in Loop: Header=BB178_21 Depth=1
	s_and_b32 vcc_lo, exec_lo, s8
	s_cbranch_vccz .LBB178_32
; %bb.31:                               ;   in Loop: Header=BB178_21 Depth=1
	flat_load_b64 v[11:12], v[7:8]
	s_cbranch_execnz .LBB178_19
	s_branch .LBB178_33
.LBB178_32:                             ;   in Loop: Header=BB178_21 Depth=1
                                        ; implicit-def: $vgpr11
.LBB178_33:                             ;   in Loop: Header=BB178_21 Depth=1
	s_waitcnt vmcnt(0) lgkmcnt(0)
	flat_load_b64 v[11:12], v[7:8]
	s_waitcnt vmcnt(0) lgkmcnt(0)
	v_xor_b32_e32 v12, 0x80000000, v12
	s_branch .LBB178_19
.LBB178_34:
	s_mov_b32 s0, exec_lo
	v_cmpx_eq_u64_e64 s[4:5], v[1:2]
	s_cbranch_execz .LBB178_42
; %bb.35:
	v_mad_u64_u32 v[7:8], null, v1, s12, v[1:2]
	s_delay_alu instid0(VALU_DEP_1) | instskip(NEXT) | instid1(VALU_DEP_1)
	v_mov_b32_e32 v0, v8
	v_mad_u64_u32 v[8:9], null, v1, s13, v[0:1]
	s_delay_alu instid0(VALU_DEP_1) | instskip(NEXT) | instid1(VALU_DEP_1)
	v_lshlrev_b64 v[0:1], 3, v[7:8]
	v_add_co_u32 v0, vcc_lo, s2, v0
	s_delay_alu instid0(VALU_DEP_2)
	v_add_co_ci_u32_e32 v1, vcc_lo, s3, v1, vcc_lo
	s_and_not1_b32 vcc_lo, exec_lo, s15
	flat_load_b64 v[0:1], v[0:1]
	s_cbranch_vccnz .LBB178_41
; %bb.36:
	s_waitcnt vmcnt(0) lgkmcnt(0)
	v_cmp_gt_f32_e32 vcc_lo, 0, v0
	s_mov_b32 s1, exec_lo
	v_cndmask_b32_e64 v2, v0, -v0, vcc_lo
	v_cmp_gt_f32_e32 vcc_lo, 0, v1
	v_cndmask_b32_e64 v7, v1, -v1, vcc_lo
	s_delay_alu instid0(VALU_DEP_1)
	v_cmpx_ngt_f32_e32 v2, v7
	s_xor_b32 s1, exec_lo, s1
	s_cbranch_execz .LBB178_38
; %bb.37:
	v_div_scale_f32 v2, null, v1, v1, v0
	v_div_scale_f32 v9, vcc_lo, v0, v1, v0
	s_delay_alu instid0(VALU_DEP_2) | instskip(SKIP_2) | instid1(VALU_DEP_1)
	v_rcp_f32_e32 v7, v2
	s_waitcnt_depctr 0xfff
	v_fma_f32 v8, -v2, v7, 1.0
	v_fmac_f32_e32 v7, v8, v7
	s_delay_alu instid0(VALU_DEP_1) | instskip(NEXT) | instid1(VALU_DEP_1)
	v_mul_f32_e32 v8, v9, v7
	v_fma_f32 v10, -v2, v8, v9
	s_delay_alu instid0(VALU_DEP_1) | instskip(NEXT) | instid1(VALU_DEP_1)
	v_fmac_f32_e32 v8, v10, v7
	v_fma_f32 v2, -v2, v8, v9
	s_delay_alu instid0(VALU_DEP_1) | instskip(NEXT) | instid1(VALU_DEP_1)
	v_div_fmas_f32 v2, v2, v7, v8
	v_div_fixup_f32 v2, v2, v1, v0
	s_delay_alu instid0(VALU_DEP_1) | instskip(NEXT) | instid1(VALU_DEP_1)
	v_fmac_f32_e32 v1, v0, v2
	v_div_scale_f32 v0, null, v1, v1, 1.0
	v_div_scale_f32 v9, vcc_lo, 1.0, v1, 1.0
	s_delay_alu instid0(VALU_DEP_2) | instskip(SKIP_2) | instid1(VALU_DEP_1)
	v_rcp_f32_e32 v7, v0
	s_waitcnt_depctr 0xfff
	v_fma_f32 v8, -v0, v7, 1.0
	v_fmac_f32_e32 v7, v8, v7
	s_delay_alu instid0(VALU_DEP_1) | instskip(NEXT) | instid1(VALU_DEP_1)
	v_mul_f32_e32 v8, v9, v7
	v_fma_f32 v10, -v0, v8, v9
	s_delay_alu instid0(VALU_DEP_1) | instskip(NEXT) | instid1(VALU_DEP_1)
	v_fmac_f32_e32 v8, v10, v7
	v_fma_f32 v0, -v0, v8, v9
	s_delay_alu instid0(VALU_DEP_1) | instskip(NEXT) | instid1(VALU_DEP_1)
	v_div_fmas_f32 v0, v0, v7, v8
	v_div_fixup_f32 v1, v0, v1, 1.0
	s_delay_alu instid0(VALU_DEP_1)
	v_mul_f32_e32 v0, v2, v1
	v_xor_b32_e32 v1, 0x80000000, v1
.LBB178_38:
	s_and_not1_saveexec_b32 s1, s1
	s_cbranch_execz .LBB178_40
; %bb.39:
	s_delay_alu instid0(VALU_DEP_1) | instskip(SKIP_1) | instid1(VALU_DEP_2)
	v_div_scale_f32 v2, null, v0, v0, v1
	v_div_scale_f32 v9, vcc_lo, v1, v0, v1
	v_rcp_f32_e32 v7, v2
	s_waitcnt_depctr 0xfff
	v_fma_f32 v8, -v2, v7, 1.0
	s_delay_alu instid0(VALU_DEP_1) | instskip(NEXT) | instid1(VALU_DEP_1)
	v_fmac_f32_e32 v7, v8, v7
	v_mul_f32_e32 v8, v9, v7
	s_delay_alu instid0(VALU_DEP_1) | instskip(NEXT) | instid1(VALU_DEP_1)
	v_fma_f32 v10, -v2, v8, v9
	v_fmac_f32_e32 v8, v10, v7
	s_delay_alu instid0(VALU_DEP_1) | instskip(NEXT) | instid1(VALU_DEP_1)
	v_fma_f32 v2, -v2, v8, v9
	v_div_fmas_f32 v2, v2, v7, v8
	s_delay_alu instid0(VALU_DEP_1) | instskip(NEXT) | instid1(VALU_DEP_1)
	v_div_fixup_f32 v2, v2, v0, v1
	v_fmac_f32_e32 v0, v1, v2
	s_delay_alu instid0(VALU_DEP_1) | instskip(NEXT) | instid1(VALU_DEP_1)
	v_div_scale_f32 v1, null, v0, v0, 1.0
	v_rcp_f32_e32 v7, v1
	s_waitcnt_depctr 0xfff
	v_fma_f32 v8, -v1, v7, 1.0
	s_delay_alu instid0(VALU_DEP_1) | instskip(SKIP_1) | instid1(VALU_DEP_1)
	v_fmac_f32_e32 v7, v8, v7
	v_div_scale_f32 v8, vcc_lo, 1.0, v0, 1.0
	v_mul_f32_e32 v9, v8, v7
	s_delay_alu instid0(VALU_DEP_1) | instskip(NEXT) | instid1(VALU_DEP_1)
	v_fma_f32 v10, -v1, v9, v8
	v_fmac_f32_e32 v9, v10, v7
	s_delay_alu instid0(VALU_DEP_1) | instskip(NEXT) | instid1(VALU_DEP_1)
	v_fma_f32 v1, -v1, v9, v8
	v_div_fmas_f32 v1, v1, v7, v9
	s_delay_alu instid0(VALU_DEP_1) | instskip(NEXT) | instid1(VALU_DEP_1)
	v_div_fixup_f32 v0, v1, v0, 1.0
	v_mul_f32_e64 v1, v2, -v0
.LBB178_40:
	s_or_b32 exec_lo, exec_lo, s1
.LBB178_41:
	s_waitcnt vmcnt(0) lgkmcnt(0)
	s_delay_alu instid0(VALU_DEP_1) | instskip(SKIP_1) | instid1(VALU_DEP_2)
	v_mul_f32_e32 v2, v6, v1
	v_mul_f32_e32 v6, v6, v0
	v_fma_f32 v0, v5, v0, -v2
	s_delay_alu instid0(VALU_DEP_1)
	v_dual_fmac_f32 v6, v5, v1 :: v_dual_mov_b32 v5, v0
.LBB178_42:
	s_or_b32 exec_lo, exec_lo, s0
	global_store_b64 v[3:4], v[5:6], off
.LBB178_43:
	s_nop 0
	s_sendmsg sendmsg(MSG_DEALLOC_VGPRS)
	s_endpgm
	.section	.rodata,"a",@progbits
	.p2align	6, 0x0
	.amdhsa_kernel _ZL39rocblas_trsm_block_forward_substitutionI19rocblas_complex_numIfES1_PKPKS1_PKPS1_Lb0ELb0ELb0EEv18rocblas_operation_llT0_T1_lllT2_lllib
		.amdhsa_group_segment_fixed_size 0
		.amdhsa_private_segment_fixed_size 0
		.amdhsa_kernarg_size 360
		.amdhsa_user_sgpr_count 13
		.amdhsa_user_sgpr_dispatch_ptr 0
		.amdhsa_user_sgpr_queue_ptr 0
		.amdhsa_user_sgpr_kernarg_segment_ptr 1
		.amdhsa_user_sgpr_dispatch_id 0
		.amdhsa_user_sgpr_private_segment_size 0
		.amdhsa_wavefront_size32 1
		.amdhsa_uses_dynamic_stack 0
		.amdhsa_enable_private_segment 0
		.amdhsa_system_sgpr_workgroup_id_x 1
		.amdhsa_system_sgpr_workgroup_id_y 1
		.amdhsa_system_sgpr_workgroup_id_z 1
		.amdhsa_system_sgpr_workgroup_info 0
		.amdhsa_system_vgpr_workitem_id 1
		.amdhsa_next_free_vgpr 18
		.amdhsa_next_free_sgpr 27
		.amdhsa_reserve_vcc 1
		.amdhsa_float_round_mode_32 0
		.amdhsa_float_round_mode_16_64 0
		.amdhsa_float_denorm_mode_32 3
		.amdhsa_float_denorm_mode_16_64 3
		.amdhsa_dx10_clamp 1
		.amdhsa_ieee_mode 1
		.amdhsa_fp16_overflow 0
		.amdhsa_workgroup_processor_mode 1
		.amdhsa_memory_ordered 1
		.amdhsa_forward_progress 0
		.amdhsa_shared_vgpr_count 0
		.amdhsa_exception_fp_ieee_invalid_op 0
		.amdhsa_exception_fp_denorm_src 0
		.amdhsa_exception_fp_ieee_div_zero 0
		.amdhsa_exception_fp_ieee_overflow 0
		.amdhsa_exception_fp_ieee_underflow 0
		.amdhsa_exception_fp_ieee_inexact 0
		.amdhsa_exception_int_div_zero 0
	.end_amdhsa_kernel
	.section	.text._ZL39rocblas_trsm_block_forward_substitutionI19rocblas_complex_numIfES1_PKPKS1_PKPS1_Lb0ELb0ELb0EEv18rocblas_operation_llT0_T1_lllT2_lllib,"axG",@progbits,_ZL39rocblas_trsm_block_forward_substitutionI19rocblas_complex_numIfES1_PKPKS1_PKPS1_Lb0ELb0ELb0EEv18rocblas_operation_llT0_T1_lllT2_lllib,comdat
.Lfunc_end178:
	.size	_ZL39rocblas_trsm_block_forward_substitutionI19rocblas_complex_numIfES1_PKPKS1_PKPS1_Lb0ELb0ELb0EEv18rocblas_operation_llT0_T1_lllT2_lllib, .Lfunc_end178-_ZL39rocblas_trsm_block_forward_substitutionI19rocblas_complex_numIfES1_PKPKS1_PKPS1_Lb0ELb0ELb0EEv18rocblas_operation_llT0_T1_lllT2_lllib
                                        ; -- End function
	.section	.AMDGPU.csdata,"",@progbits
; Kernel info:
; codeLenInByte = 2776
; NumSgprs: 29
; NumVgprs: 18
; ScratchSize: 0
; MemoryBound: 0
; FloatMode: 240
; IeeeMode: 1
; LDSByteSize: 0 bytes/workgroup (compile time only)
; SGPRBlocks: 3
; VGPRBlocks: 2
; NumSGPRsForWavesPerEU: 29
; NumVGPRsForWavesPerEU: 18
; Occupancy: 16
; WaveLimiterHint : 1
; COMPUTE_PGM_RSRC2:SCRATCH_EN: 0
; COMPUTE_PGM_RSRC2:USER_SGPR: 13
; COMPUTE_PGM_RSRC2:TRAP_HANDLER: 0
; COMPUTE_PGM_RSRC2:TGID_X_EN: 1
; COMPUTE_PGM_RSRC2:TGID_Y_EN: 1
; COMPUTE_PGM_RSRC2:TGID_Z_EN: 1
; COMPUTE_PGM_RSRC2:TIDIG_COMP_CNT: 1
	.section	.text._ZL40rocblas_trsm_block_backward_substitutionI19rocblas_complex_numIfES1_PKPKS1_PKPS1_Lb0ELb0ELb0EEv18rocblas_operation_llT0_T1_lllT2_lllib,"axG",@progbits,_ZL40rocblas_trsm_block_backward_substitutionI19rocblas_complex_numIfES1_PKPKS1_PKPS1_Lb0ELb0ELb0EEv18rocblas_operation_llT0_T1_lllT2_lllib,comdat
	.globl	_ZL40rocblas_trsm_block_backward_substitutionI19rocblas_complex_numIfES1_PKPKS1_PKPS1_Lb0ELb0ELb0EEv18rocblas_operation_llT0_T1_lllT2_lllib ; -- Begin function _ZL40rocblas_trsm_block_backward_substitutionI19rocblas_complex_numIfES1_PKPKS1_PKPS1_Lb0ELb0ELb0EEv18rocblas_operation_llT0_T1_lllT2_lllib
	.p2align	8
	.type	_ZL40rocblas_trsm_block_backward_substitutionI19rocblas_complex_numIfES1_PKPKS1_PKPS1_Lb0ELb0ELb0EEv18rocblas_operation_llT0_T1_lllT2_lllib,@function
_ZL40rocblas_trsm_block_backward_substitutionI19rocblas_complex_numIfES1_PKPKS1_PKPS1_Lb0ELb0ELb0EEv18rocblas_operation_llT0_T1_lllT2_lllib: ; @_ZL40rocblas_trsm_block_backward_substitutionI19rocblas_complex_numIfES1_PKPKS1_PKPS1_Lb0ELb0ELb0EEv18rocblas_operation_llT0_T1_lllT2_lllib
; %bb.0:
	s_clause 0x1
	s_load_b32 s8, s[0:1], 0x64
	s_load_b128 s[4:7], s[0:1], 0x20
	s_mov_b32 s2, s15
	s_mov_b32 s3, 0
	s_clause 0x2
	s_load_b32 s24, s[0:1], 0x74
	s_load_b64 s[20:21], s[0:1], 0x50
	s_load_b64 s[26:27], s[0:1], 0x30
	v_and_b32_e32 v1, 0x3ff, v0
	v_bfe_u32 v0, v0, 10, 10
	s_waitcnt lgkmcnt(0)
	s_bitcmp1_b32 s8, 0
	s_cselect_b32 s8, -1, 0
	s_lshl_b64 s[12:13], s[2:3], 3
	s_xor_b32 s15, s8, -1
	s_add_u32 s2, s4, s12
	s_addc_u32 s3, s5, s13
	s_lshl_b64 s[4:5], s[6:7], 3
	s_load_b64 s[2:3], s[2:3], 0x0
	s_load_b128 s[8:11], s[0:1], 0x40
	s_waitcnt lgkmcnt(0)
	s_add_u32 s2, s2, s4
	s_addc_u32 s3, s3, s5
	s_add_u32 s8, s8, s12
	s_addc_u32 s9, s9, s13
	s_clause 0x1
	s_load_b128 s[4:7], s[0:1], 0x8
	s_load_b64 s[16:17], s[0:1], 0x18
	s_load_b64 s[18:19], s[8:9], 0x0
	s_add_u32 s22, s0, 0x68
	s_addc_u32 s23, s1, 0
	s_lshr_b32 s28, s24, 16
	s_and_b32 vcc_lo, exec_lo, s15
	s_mov_b64 s[12:13], 1
	s_cbranch_vccnz .LBB179_15
; %bb.1:
	s_waitcnt lgkmcnt(0)
	v_cmp_lt_i64_e64 s8, s[4:5], 1
	s_lshl_b32 s9, s28, 3
	s_delay_alu instid0(SALU_CYCLE_1) | instskip(NEXT) | instid1(VALU_DEP_1)
	s_add_i32 s24, s9, 0
	s_and_b32 vcc_lo, exec_lo, s8
	s_mov_b64 s[8:9], 1
	s_cbranch_vccnz .LBB179_16
; %bb.2:
	v_mad_u64_u32 v[3:4], null, v1, s26, 0
	s_mov_b32 s12, s28
	s_delay_alu instid0(VALU_DEP_1) | instskip(NEXT) | instid1(VALU_DEP_1)
	v_mov_b32_e32 v2, v4
	v_mad_u64_u32 v[4:5], null, v1, s27, v[2:3]
	v_dual_mov_b32 v2, 0 :: v_dual_lshlrev_b32 v5, 3, v1
	s_delay_alu instid0(VALU_DEP_1) | instskip(NEXT) | instid1(VALU_DEP_3)
	v_add_nc_u32_e32 v9, s24, v5
	v_lshlrev_b64 v[3:4], 3, v[3:4]
	s_delay_alu instid0(VALU_DEP_3) | instskip(NEXT) | instid1(VALU_DEP_2)
	v_cmp_le_u64_e64 s25, s[4:5], v[1:2]
	v_add_co_u32 v10, vcc_lo, s2, v3
	s_delay_alu instid0(VALU_DEP_3) | instskip(SKIP_1) | instid1(VALU_DEP_3)
	v_add_co_ci_u32_e32 v11, vcc_lo, s3, v4, vcc_lo
	v_cmp_gt_u64_e64 s2, s[4:5], v[1:2]
	v_add_co_u32 v2, vcc_lo, v10, v5
	s_delay_alu instid0(VALU_DEP_3)
	v_add_co_ci_u32_e32 v3, vcc_lo, 0, v11, vcc_lo
	v_mov_b32_e32 v4, v0
	s_xor_b32 s26, s25, -1
	s_branch .LBB179_5
.LBB179_3:                              ;   in Loop: Header=BB179_5 Depth=1
	s_or_b32 exec_lo, exec_lo, s13
	s_load_b32 s13, s[22:23], 0xc
	s_waitcnt lgkmcnt(0)
	s_and_b32 s13, s13, 0xffff
	s_delay_alu instid0(SALU_CYCLE_1) | instskip(NEXT) | instid1(VALU_DEP_1)
	v_mul_u32_u24_e32 v5, s13, v1
	v_lshl_add_u32 v5, v5, 3, v9
	ds_store_b64 v5, v[7:8]
.LBB179_4:                              ;   in Loop: Header=BB179_5 Depth=1
	s_or_b32 exec_lo, exec_lo, s3
	s_ashr_i32 s13, s12, 31
	v_add_nc_u32_e32 v4, s28, v4
	v_cmp_ge_i64_e64 s3, s[12:13], s[4:5]
	s_add_i32 s12, s12, s28
	s_delay_alu instid0(VALU_DEP_1)
	s_and_b32 vcc_lo, exec_lo, s3
	s_cbranch_vccnz .LBB179_16
.LBB179_5:                              ; =>This Inner Loop Header: Depth=1
	s_mov_b32 s27, s25
	s_and_saveexec_b32 s13, s2
	s_cbranch_execz .LBB179_9
; %bb.6:                                ;   in Loop: Header=BB179_5 Depth=1
	v_ashrrev_i32_e32 v5, 31, v4
	v_cmp_lt_i32_e64 s3, v1, v4
	s_mov_b32 s27, -1
	s_delay_alu instid0(VALU_DEP_2) | instskip(NEXT) | instid1(VALU_DEP_2)
	v_cmp_gt_i64_e32 vcc_lo, s[4:5], v[4:5]
	s_and_b32 s29, s3, vcc_lo
	s_delay_alu instid0(SALU_CYCLE_1)
	s_and_saveexec_b32 s3, s29
	s_cbranch_execz .LBB179_8
; %bb.7:                                ;   in Loop: Header=BB179_5 Depth=1
	v_lshlrev_b64 v[5:6], 3, v[4:5]
	s_load_b32 s27, s[22:23], 0xc
	s_delay_alu instid0(VALU_DEP_1) | instskip(NEXT) | instid1(VALU_DEP_2)
	v_add_co_u32 v5, vcc_lo, v10, v5
	v_add_co_ci_u32_e32 v6, vcc_lo, v11, v6, vcc_lo
	global_load_b64 v[5:6], v[5:6], off
	s_waitcnt lgkmcnt(0)
	s_and_b32 s27, s27, 0xffff
	s_delay_alu instid0(SALU_CYCLE_1) | instskip(SKIP_1) | instid1(VALU_DEP_1)
	v_mul_lo_u32 v7, v4, s27
	s_xor_b32 s27, exec_lo, -1
	v_lshl_add_u32 v7, v7, 3, v9
	s_waitcnt vmcnt(0)
	ds_store_b64 v7, v[5:6]
.LBB179_8:                              ;   in Loop: Header=BB179_5 Depth=1
	s_or_b32 exec_lo, exec_lo, s3
	s_delay_alu instid0(SALU_CYCLE_1) | instskip(SKIP_1) | instid1(SALU_CYCLE_1)
	s_and_not1_b32 s3, s25, exec_lo
	s_and_b32 s27, s27, exec_lo
	s_or_b32 s27, s3, s27
.LBB179_9:                              ;   in Loop: Header=BB179_5 Depth=1
	s_or_b32 exec_lo, exec_lo, s13
	s_and_saveexec_b32 s3, s27
	s_cbranch_execz .LBB179_4
; %bb.10:                               ;   in Loop: Header=BB179_5 Depth=1
	v_cmp_eq_u32_e32 vcc_lo, v1, v4
	s_and_b32 s13, s26, vcc_lo
	s_delay_alu instid0(SALU_CYCLE_1)
	s_and_b32 exec_lo, exec_lo, s13
	s_cbranch_execz .LBB179_4
; %bb.11:                               ;   in Loop: Header=BB179_5 Depth=1
	global_load_b64 v[5:6], v[2:3], off
	s_waitcnt vmcnt(0)
	v_cmp_gt_f32_e32 vcc_lo, 0, v5
	v_cndmask_b32_e64 v7, v5, -v5, vcc_lo
	v_cmp_gt_f32_e32 vcc_lo, 0, v6
	v_cndmask_b32_e64 v8, v6, -v6, vcc_lo
	s_delay_alu instid0(VALU_DEP_1) | instskip(SKIP_1) | instid1(SALU_CYCLE_1)
	v_cmp_ngt_f32_e32 vcc_lo, v7, v8
                                        ; implicit-def: $vgpr7
	s_and_saveexec_b32 s13, vcc_lo
	s_xor_b32 s13, exec_lo, s13
	s_cbranch_execz .LBB179_13
; %bb.12:                               ;   in Loop: Header=BB179_5 Depth=1
	v_div_scale_f32 v7, null, v6, v6, v5
	v_div_scale_f32 v13, vcc_lo, v5, v6, v5
	s_delay_alu instid0(VALU_DEP_2) | instskip(SKIP_2) | instid1(VALU_DEP_1)
	v_rcp_f32_e32 v8, v7
	s_waitcnt_depctr 0xfff
	v_fma_f32 v12, -v7, v8, 1.0
	v_fmac_f32_e32 v8, v12, v8
	s_delay_alu instid0(VALU_DEP_1) | instskip(NEXT) | instid1(VALU_DEP_1)
	v_mul_f32_e32 v12, v13, v8
	v_fma_f32 v14, -v7, v12, v13
	s_delay_alu instid0(VALU_DEP_1) | instskip(NEXT) | instid1(VALU_DEP_1)
	v_fmac_f32_e32 v12, v14, v8
	v_fma_f32 v7, -v7, v12, v13
	s_delay_alu instid0(VALU_DEP_1) | instskip(NEXT) | instid1(VALU_DEP_1)
	v_div_fmas_f32 v7, v7, v8, v12
	v_div_fixup_f32 v7, v7, v6, v5
	s_delay_alu instid0(VALU_DEP_1) | instskip(NEXT) | instid1(VALU_DEP_1)
	v_fmac_f32_e32 v6, v5, v7
	v_div_scale_f32 v5, null, v6, v6, 1.0
	v_div_scale_f32 v13, vcc_lo, 1.0, v6, 1.0
	s_delay_alu instid0(VALU_DEP_2) | instskip(SKIP_2) | instid1(VALU_DEP_1)
	v_rcp_f32_e32 v8, v5
	s_waitcnt_depctr 0xfff
	v_fma_f32 v12, -v5, v8, 1.0
	v_fmac_f32_e32 v8, v12, v8
	s_delay_alu instid0(VALU_DEP_1) | instskip(NEXT) | instid1(VALU_DEP_1)
	v_mul_f32_e32 v12, v13, v8
	v_fma_f32 v14, -v5, v12, v13
	s_delay_alu instid0(VALU_DEP_1) | instskip(NEXT) | instid1(VALU_DEP_1)
	v_fmac_f32_e32 v12, v14, v8
	v_fma_f32 v5, -v5, v12, v13
	s_delay_alu instid0(VALU_DEP_1) | instskip(NEXT) | instid1(VALU_DEP_1)
	v_div_fmas_f32 v5, v5, v8, v12
	v_div_fixup_f32 v5, v5, v6, 1.0
	s_delay_alu instid0(VALU_DEP_1)
	v_mul_f32_e32 v7, v7, v5
	v_xor_b32_e32 v8, 0x80000000, v5
                                        ; implicit-def: $vgpr5_vgpr6
.LBB179_13:                             ;   in Loop: Header=BB179_5 Depth=1
	s_and_not1_saveexec_b32 s13, s13
	s_cbranch_execz .LBB179_3
; %bb.14:                               ;   in Loop: Header=BB179_5 Depth=1
	v_div_scale_f32 v7, null, v5, v5, v6
	v_div_scale_f32 v13, vcc_lo, v6, v5, v6
	s_delay_alu instid0(VALU_DEP_2) | instskip(SKIP_2) | instid1(VALU_DEP_1)
	v_rcp_f32_e32 v8, v7
	s_waitcnt_depctr 0xfff
	v_fma_f32 v12, -v7, v8, 1.0
	v_fmac_f32_e32 v8, v12, v8
	s_delay_alu instid0(VALU_DEP_1) | instskip(NEXT) | instid1(VALU_DEP_1)
	v_mul_f32_e32 v12, v13, v8
	v_fma_f32 v14, -v7, v12, v13
	s_delay_alu instid0(VALU_DEP_1) | instskip(NEXT) | instid1(VALU_DEP_1)
	v_fmac_f32_e32 v12, v14, v8
	v_fma_f32 v7, -v7, v12, v13
	s_delay_alu instid0(VALU_DEP_1) | instskip(NEXT) | instid1(VALU_DEP_1)
	v_div_fmas_f32 v7, v7, v8, v12
	v_div_fixup_f32 v8, v7, v5, v6
	s_delay_alu instid0(VALU_DEP_1) | instskip(NEXT) | instid1(VALU_DEP_1)
	v_fmac_f32_e32 v5, v6, v8
	v_div_scale_f32 v6, null, v5, v5, 1.0
	s_delay_alu instid0(VALU_DEP_1) | instskip(SKIP_2) | instid1(VALU_DEP_1)
	v_rcp_f32_e32 v7, v6
	s_waitcnt_depctr 0xfff
	v_fma_f32 v12, -v6, v7, 1.0
	v_fmac_f32_e32 v7, v12, v7
	v_div_scale_f32 v12, vcc_lo, 1.0, v5, 1.0
	s_delay_alu instid0(VALU_DEP_1) | instskip(NEXT) | instid1(VALU_DEP_1)
	v_mul_f32_e32 v13, v12, v7
	v_fma_f32 v14, -v6, v13, v12
	s_delay_alu instid0(VALU_DEP_1) | instskip(NEXT) | instid1(VALU_DEP_1)
	v_fmac_f32_e32 v13, v14, v7
	v_fma_f32 v6, -v6, v13, v12
	s_delay_alu instid0(VALU_DEP_1) | instskip(NEXT) | instid1(VALU_DEP_1)
	v_div_fmas_f32 v6, v6, v7, v13
	v_div_fixup_f32 v7, v6, v5, 1.0
	s_delay_alu instid0(VALU_DEP_1)
	v_mul_f32_e64 v8, v8, -v7
	s_branch .LBB179_3
.LBB179_15:
	s_mov_b64 s[8:9], s[26:27]
	s_branch .LBB179_17
.LBB179_16:
	s_load_b32 s12, s[22:23], 0xc
	s_mov_b64 s[2:3], src_shared_base
	s_mov_b32 s13, 0
	s_mov_b32 s25, s3
	s_delay_alu instid0(SALU_CYCLE_1)
	s_mov_b64 s[2:3], s[24:25]
	s_waitcnt lgkmcnt(0)
	s_and_b32 s12, s12, 0xffff
.LBB179_17:
	v_mad_u64_u32 v[3:4], null, s14, s28, v[0:1]
	v_mov_b32_e32 v4, 0
	s_waitcnt lgkmcnt(0)
	s_delay_alu instid0(VALU_DEP_1)
	v_cmp_gt_i64_e32 vcc_lo, s[6:7], v[3:4]
	s_and_saveexec_b32 s6, vcc_lo
	s_cbranch_execz .LBB179_46
; %bb.18:
	v_mov_b32_e32 v2, v4
	s_delay_alu instid0(VALU_DEP_1)
	v_cmp_gt_i64_e32 vcc_lo, s[4:5], v[1:2]
	s_and_b32 exec_lo, exec_lo, vcc_lo
	s_cbranch_execz .LBB179_46
; %bb.19:
	v_mad_u64_u32 v[5:6], null, v1, s20, 0
	s_lshl_b64 s[6:7], s[10:11], 3
	v_lshlrev_b64 v[3:4], 3, v[3:4]
	s_add_u32 s6, s18, s6
	s_addc_u32 s7, s19, s7
	s_delay_alu instid0(VALU_DEP_2) | instskip(NEXT) | instid1(VALU_DEP_1)
	v_mad_u64_u32 v[7:8], null, v1, s21, v[6:7]
	v_mov_b32_e32 v6, v7
	s_delay_alu instid0(VALU_DEP_1) | instskip(NEXT) | instid1(VALU_DEP_1)
	v_lshlrev_b64 v[5:6], 3, v[5:6]
	v_add_co_u32 v5, vcc_lo, s6, v5
	s_delay_alu instid0(VALU_DEP_2) | instskip(SKIP_1) | instid1(VALU_DEP_3)
	v_add_co_ci_u32_e32 v6, vcc_lo, s7, v6, vcc_lo
	v_cmp_lt_u64_e64 s6, s[4:5], 2
	v_add_co_u32 v3, vcc_lo, v5, v3
	s_delay_alu instid0(VALU_DEP_3) | instskip(NEXT) | instid1(VALU_DEP_3)
	v_add_co_ci_u32_e32 v4, vcc_lo, v6, v4, vcc_lo
	s_and_b32 vcc_lo, exec_lo, s6
	global_load_b64 v[7:8], v[3:4], off
	s_waitcnt vmcnt(0)
	v_mul_f32_e32 v5, s17, v8
	v_mul_f32_e32 v6, s16, v8
	s_delay_alu instid0(VALU_DEP_2) | instskip(NEXT) | instid1(VALU_DEP_2)
	v_fma_f32 v5, s16, v7, -v5
	v_fmac_f32_e32 v6, s17, v7
	s_cbranch_vccnz .LBB179_37
; %bb.20:
	s_load_b32 s0, s[0:1], 0x0
	v_mad_u64_u32 v[7:8], null, s8, v1, 0
	v_lshl_add_u32 v0, v0, 3, 0
	s_waitcnt lgkmcnt(0)
	s_cmpk_lg_i32 s0, 0x71
	s_cselect_b32 s6, -1, 0
	s_add_u32 s0, s12, s8
	s_addc_u32 s1, s13, s9
	v_mad_u64_u32 v[9:10], null, s0, v1, 0
	s_add_u32 s0, s4, -1
	s_delay_alu instid0(SALU_CYCLE_1) | instskip(NEXT) | instid1(VALU_DEP_1)
	s_mul_i32 s4, s12, s0
	v_mad_u64_u32 v[11:12], null, s9, v1, v[8:9]
	s_delay_alu instid0(VALU_DEP_1) | instskip(NEXT) | instid1(VALU_DEP_3)
	v_mov_b32_e32 v8, v11
	v_mad_u64_u32 v[11:12], null, s1, v1, v[10:11]
	s_addc_u32 s1, s5, -1
	s_mul_hi_u32 s5, s12, s0
	s_mul_i32 s7, s12, s1
	v_lshlrev_b64 v[7:8], 3, v[7:8]
	s_add_i32 s5, s5, s7
	s_delay_alu instid0(VALU_DEP_2) | instskip(SKIP_1) | instid1(SALU_CYCLE_1)
	v_mov_b32_e32 v10, v11
	s_lshl_b64 s[4:5], s[4:5], 3
	s_add_u32 s4, s2, s4
	s_addc_u32 s5, s3, s5
	s_delay_alu instid0(VALU_DEP_1) | instskip(SKIP_3) | instid1(VALU_DEP_3)
	v_lshlrev_b64 v[9:10], 3, v[9:10]
	v_add_co_u32 v7, vcc_lo, s4, v7
	v_add_co_ci_u32_e32 v8, vcc_lo, s5, v8, vcc_lo
	s_lshl_b32 s7, s12, 3
	v_add_co_u32 v9, vcc_lo, s2, v9
	s_delay_alu instid0(VALU_DEP_4)
	v_add_co_ci_u32_e32 v10, vcc_lo, s3, v10, vcc_lo
	s_sub_u32 s7, 0, s7
	s_subb_u32 s10, 0, 0
.LBB179_21:                             ; =>This Inner Loop Header: Depth=1
	s_mov_b32 s4, exec_lo
	s_barrier
	buffer_gl0_inv
	v_cmpx_eq_u64_e64 s[0:1], v[1:2]
	s_cbranch_execz .LBB179_29
; %bb.22:                               ;   in Loop: Header=BB179_21 Depth=1
	flat_load_b64 v[11:12], v[9:10]
	s_and_not1_b32 vcc_lo, exec_lo, s15
	s_cbranch_vccnz .LBB179_28
; %bb.23:                               ;   in Loop: Header=BB179_21 Depth=1
	s_waitcnt vmcnt(0) lgkmcnt(0)
	v_cmp_gt_f32_e32 vcc_lo, 0, v11
	s_mov_b32 s5, exec_lo
	v_cndmask_b32_e64 v13, v11, -v11, vcc_lo
	v_cmp_gt_f32_e32 vcc_lo, 0, v12
	v_cndmask_b32_e64 v14, v12, -v12, vcc_lo
	s_delay_alu instid0(VALU_DEP_1)
	v_cmpx_ngt_f32_e32 v13, v14
	s_xor_b32 s5, exec_lo, s5
	s_cbranch_execz .LBB179_25
; %bb.24:                               ;   in Loop: Header=BB179_21 Depth=1
	v_div_scale_f32 v13, null, v12, v12, v11
	v_div_scale_f32 v16, vcc_lo, v11, v12, v11
	s_delay_alu instid0(VALU_DEP_2) | instskip(SKIP_2) | instid1(VALU_DEP_1)
	v_rcp_f32_e32 v14, v13
	s_waitcnt_depctr 0xfff
	v_fma_f32 v15, -v13, v14, 1.0
	v_fmac_f32_e32 v14, v15, v14
	s_delay_alu instid0(VALU_DEP_1) | instskip(NEXT) | instid1(VALU_DEP_1)
	v_mul_f32_e32 v15, v16, v14
	v_fma_f32 v17, -v13, v15, v16
	s_delay_alu instid0(VALU_DEP_1) | instskip(NEXT) | instid1(VALU_DEP_1)
	v_fmac_f32_e32 v15, v17, v14
	v_fma_f32 v13, -v13, v15, v16
	s_delay_alu instid0(VALU_DEP_1) | instskip(NEXT) | instid1(VALU_DEP_1)
	v_div_fmas_f32 v13, v13, v14, v15
	v_div_fixup_f32 v13, v13, v12, v11
	s_delay_alu instid0(VALU_DEP_1) | instskip(NEXT) | instid1(VALU_DEP_1)
	v_fmac_f32_e32 v12, v11, v13
	v_div_scale_f32 v11, null, v12, v12, 1.0
	v_div_scale_f32 v16, vcc_lo, 1.0, v12, 1.0
	s_delay_alu instid0(VALU_DEP_2) | instskip(SKIP_2) | instid1(VALU_DEP_1)
	v_rcp_f32_e32 v14, v11
	s_waitcnt_depctr 0xfff
	v_fma_f32 v15, -v11, v14, 1.0
	v_fmac_f32_e32 v14, v15, v14
	s_delay_alu instid0(VALU_DEP_1) | instskip(NEXT) | instid1(VALU_DEP_1)
	v_mul_f32_e32 v15, v16, v14
	v_fma_f32 v17, -v11, v15, v16
	s_delay_alu instid0(VALU_DEP_1) | instskip(NEXT) | instid1(VALU_DEP_1)
	v_fmac_f32_e32 v15, v17, v14
	v_fma_f32 v11, -v11, v15, v16
	s_delay_alu instid0(VALU_DEP_1) | instskip(NEXT) | instid1(VALU_DEP_1)
	v_div_fmas_f32 v11, v11, v14, v15
	v_div_fixup_f32 v12, v11, v12, 1.0
	s_delay_alu instid0(VALU_DEP_1)
	v_mul_f32_e32 v11, v13, v12
	v_xor_b32_e32 v12, 0x80000000, v12
.LBB179_25:                             ;   in Loop: Header=BB179_21 Depth=1
	s_and_not1_saveexec_b32 s5, s5
	s_cbranch_execz .LBB179_27
; %bb.26:                               ;   in Loop: Header=BB179_21 Depth=1
	s_delay_alu instid0(VALU_DEP_1) | instskip(SKIP_1) | instid1(VALU_DEP_2)
	v_div_scale_f32 v13, null, v11, v11, v12
	v_div_scale_f32 v16, vcc_lo, v12, v11, v12
	v_rcp_f32_e32 v14, v13
	s_waitcnt_depctr 0xfff
	v_fma_f32 v15, -v13, v14, 1.0
	s_delay_alu instid0(VALU_DEP_1) | instskip(NEXT) | instid1(VALU_DEP_1)
	v_fmac_f32_e32 v14, v15, v14
	v_mul_f32_e32 v15, v16, v14
	s_delay_alu instid0(VALU_DEP_1) | instskip(NEXT) | instid1(VALU_DEP_1)
	v_fma_f32 v17, -v13, v15, v16
	v_fmac_f32_e32 v15, v17, v14
	s_delay_alu instid0(VALU_DEP_1) | instskip(NEXT) | instid1(VALU_DEP_1)
	v_fma_f32 v13, -v13, v15, v16
	v_div_fmas_f32 v13, v13, v14, v15
	s_delay_alu instid0(VALU_DEP_1) | instskip(NEXT) | instid1(VALU_DEP_1)
	v_div_fixup_f32 v13, v13, v11, v12
	v_fmac_f32_e32 v11, v12, v13
	s_delay_alu instid0(VALU_DEP_1) | instskip(NEXT) | instid1(VALU_DEP_1)
	v_div_scale_f32 v12, null, v11, v11, 1.0
	v_rcp_f32_e32 v14, v12
	s_waitcnt_depctr 0xfff
	v_fma_f32 v15, -v12, v14, 1.0
	s_delay_alu instid0(VALU_DEP_1) | instskip(SKIP_1) | instid1(VALU_DEP_1)
	v_fmac_f32_e32 v14, v15, v14
	v_div_scale_f32 v15, vcc_lo, 1.0, v11, 1.0
	v_mul_f32_e32 v16, v15, v14
	s_delay_alu instid0(VALU_DEP_1) | instskip(NEXT) | instid1(VALU_DEP_1)
	v_fma_f32 v17, -v12, v16, v15
	v_fmac_f32_e32 v16, v17, v14
	s_delay_alu instid0(VALU_DEP_1) | instskip(NEXT) | instid1(VALU_DEP_1)
	v_fma_f32 v12, -v12, v16, v15
	v_div_fmas_f32 v12, v12, v14, v16
	s_delay_alu instid0(VALU_DEP_1) | instskip(NEXT) | instid1(VALU_DEP_1)
	v_div_fixup_f32 v11, v12, v11, 1.0
	v_mul_f32_e64 v12, v13, -v11
.LBB179_27:                             ;   in Loop: Header=BB179_21 Depth=1
	s_or_b32 exec_lo, exec_lo, s5
.LBB179_28:                             ;   in Loop: Header=BB179_21 Depth=1
	s_waitcnt vmcnt(0) lgkmcnt(0)
	s_delay_alu instid0(VALU_DEP_1) | instskip(SKIP_1) | instid1(VALU_DEP_2)
	v_mul_f32_e32 v13, v5, v12
	v_mul_f32_e32 v12, v6, v12
	v_fmac_f32_e32 v13, v6, v11
	s_delay_alu instid0(VALU_DEP_2) | instskip(NEXT) | instid1(VALU_DEP_1)
	v_fma_f32 v12, v5, v11, -v12
	v_dual_mov_b32 v6, v13 :: v_dual_mov_b32 v5, v12
	ds_store_b64 v0, v[12:13]
.LBB179_29:                             ;   in Loop: Header=BB179_21 Depth=1
	s_or_b32 exec_lo, exec_lo, s4
	s_delay_alu instid0(SALU_CYCLE_1)
	s_mov_b32 s4, exec_lo
	s_waitcnt lgkmcnt(0)
	s_barrier
	buffer_gl0_inv
	v_cmpx_gt_i64_e64 s[0:1], v[1:2]
	s_cbranch_execz .LBB179_35
; %bb.30:                               ;   in Loop: Header=BB179_21 Depth=1
	s_and_b32 vcc_lo, exec_lo, s6
	s_cbranch_vccz .LBB179_32
; %bb.31:                               ;   in Loop: Header=BB179_21 Depth=1
	flat_load_b64 v[11:12], v[7:8]
	s_cbranch_execz .LBB179_33
	s_branch .LBB179_34
.LBB179_32:                             ;   in Loop: Header=BB179_21 Depth=1
                                        ; implicit-def: $vgpr11
.LBB179_33:                             ;   in Loop: Header=BB179_21 Depth=1
	s_waitcnt vmcnt(0) lgkmcnt(0)
	flat_load_b64 v[11:12], v[7:8]
	s_waitcnt vmcnt(0) lgkmcnt(0)
	v_xor_b32_e32 v12, 0x80000000, v12
.LBB179_34:                             ;   in Loop: Header=BB179_21 Depth=1
	ds_load_b64 v[13:14], v0
	s_waitcnt vmcnt(0) lgkmcnt(0)
	v_mul_f32_e32 v15, v14, v12
	v_mul_f32_e32 v14, v14, v11
	s_delay_alu instid0(VALU_DEP_2) | instskip(NEXT) | instid1(VALU_DEP_2)
	v_fma_f32 v11, v13, v11, -v15
	v_fmac_f32_e32 v14, v13, v12
	s_delay_alu instid0(VALU_DEP_1)
	v_dual_sub_f32 v5, v5, v11 :: v_dual_sub_f32 v6, v6, v14
.LBB179_35:                             ;   in Loop: Header=BB179_21 Depth=1
	s_or_b32 exec_lo, exec_lo, s4
	s_add_u32 s4, s0, -1
	s_addc_u32 s5, s1, -1
	s_add_u32 s0, s0, 1
	s_addc_u32 s1, s1, 0
	v_add_co_u32 v7, vcc_lo, v7, s7
	v_cmp_lt_u64_e64 s0, s[0:1], 3
	v_add_co_ci_u32_e32 v8, vcc_lo, s10, v8, vcc_lo
	s_delay_alu instid0(VALU_DEP_2)
	s_and_b32 vcc_lo, exec_lo, s0
	s_cbranch_vccnz .LBB179_37
; %bb.36:                               ;   in Loop: Header=BB179_21 Depth=1
	s_mov_b64 s[0:1], s[4:5]
	s_branch .LBB179_21
.LBB179_37:
	s_mov_b32 s0, exec_lo
	v_cmpx_eq_u32_e32 0, v1
	s_cbranch_execz .LBB179_45
; %bb.38:
	s_add_u32 s1, s12, s8
	s_delay_alu instid0(SALU_CYCLE_1) | instskip(SKIP_1) | instid1(VALU_DEP_1)
	v_mad_u64_u32 v[7:8], null, s1, v1, 0
	s_addc_u32 s1, s13, s9
	v_mov_b32_e32 v0, v8
	s_delay_alu instid0(VALU_DEP_1) | instskip(NEXT) | instid1(VALU_DEP_1)
	v_mad_u64_u32 v[8:9], null, s1, v1, v[0:1]
	v_lshlrev_b64 v[0:1], 3, v[7:8]
	s_delay_alu instid0(VALU_DEP_1) | instskip(NEXT) | instid1(VALU_DEP_2)
	v_add_co_u32 v0, vcc_lo, s2, v0
	v_add_co_ci_u32_e32 v1, vcc_lo, s3, v1, vcc_lo
	s_and_not1_b32 vcc_lo, exec_lo, s15
	flat_load_b64 v[0:1], v[0:1]
	s_cbranch_vccnz .LBB179_44
; %bb.39:
	s_waitcnt vmcnt(0) lgkmcnt(0)
	v_cmp_gt_f32_e32 vcc_lo, 0, v0
	s_mov_b32 s1, exec_lo
	v_cndmask_b32_e64 v2, v0, -v0, vcc_lo
	v_cmp_gt_f32_e32 vcc_lo, 0, v1
	v_cndmask_b32_e64 v7, v1, -v1, vcc_lo
	s_delay_alu instid0(VALU_DEP_1)
	v_cmpx_ngt_f32_e32 v2, v7
	s_xor_b32 s1, exec_lo, s1
	s_cbranch_execz .LBB179_41
; %bb.40:
	v_div_scale_f32 v2, null, v1, v1, v0
	v_div_scale_f32 v9, vcc_lo, v0, v1, v0
	s_delay_alu instid0(VALU_DEP_2) | instskip(SKIP_2) | instid1(VALU_DEP_1)
	v_rcp_f32_e32 v7, v2
	s_waitcnt_depctr 0xfff
	v_fma_f32 v8, -v2, v7, 1.0
	v_fmac_f32_e32 v7, v8, v7
	s_delay_alu instid0(VALU_DEP_1) | instskip(NEXT) | instid1(VALU_DEP_1)
	v_mul_f32_e32 v8, v9, v7
	v_fma_f32 v10, -v2, v8, v9
	s_delay_alu instid0(VALU_DEP_1) | instskip(NEXT) | instid1(VALU_DEP_1)
	v_fmac_f32_e32 v8, v10, v7
	v_fma_f32 v2, -v2, v8, v9
	s_delay_alu instid0(VALU_DEP_1) | instskip(NEXT) | instid1(VALU_DEP_1)
	v_div_fmas_f32 v2, v2, v7, v8
	v_div_fixup_f32 v2, v2, v1, v0
	s_delay_alu instid0(VALU_DEP_1) | instskip(NEXT) | instid1(VALU_DEP_1)
	v_fmac_f32_e32 v1, v0, v2
	v_div_scale_f32 v0, null, v1, v1, 1.0
	v_div_scale_f32 v9, vcc_lo, 1.0, v1, 1.0
	s_delay_alu instid0(VALU_DEP_2) | instskip(SKIP_2) | instid1(VALU_DEP_1)
	v_rcp_f32_e32 v7, v0
	s_waitcnt_depctr 0xfff
	v_fma_f32 v8, -v0, v7, 1.0
	v_fmac_f32_e32 v7, v8, v7
	s_delay_alu instid0(VALU_DEP_1) | instskip(NEXT) | instid1(VALU_DEP_1)
	v_mul_f32_e32 v8, v9, v7
	v_fma_f32 v10, -v0, v8, v9
	s_delay_alu instid0(VALU_DEP_1) | instskip(NEXT) | instid1(VALU_DEP_1)
	v_fmac_f32_e32 v8, v10, v7
	v_fma_f32 v0, -v0, v8, v9
	s_delay_alu instid0(VALU_DEP_1) | instskip(NEXT) | instid1(VALU_DEP_1)
	v_div_fmas_f32 v0, v0, v7, v8
	v_div_fixup_f32 v1, v0, v1, 1.0
	s_delay_alu instid0(VALU_DEP_1)
	v_mul_f32_e32 v0, v2, v1
	v_xor_b32_e32 v1, 0x80000000, v1
.LBB179_41:
	s_and_not1_saveexec_b32 s1, s1
	s_cbranch_execz .LBB179_43
; %bb.42:
	s_delay_alu instid0(VALU_DEP_1) | instskip(SKIP_1) | instid1(VALU_DEP_2)
	v_div_scale_f32 v2, null, v0, v0, v1
	v_div_scale_f32 v9, vcc_lo, v1, v0, v1
	v_rcp_f32_e32 v7, v2
	s_waitcnt_depctr 0xfff
	v_fma_f32 v8, -v2, v7, 1.0
	s_delay_alu instid0(VALU_DEP_1) | instskip(NEXT) | instid1(VALU_DEP_1)
	v_fmac_f32_e32 v7, v8, v7
	v_mul_f32_e32 v8, v9, v7
	s_delay_alu instid0(VALU_DEP_1) | instskip(NEXT) | instid1(VALU_DEP_1)
	v_fma_f32 v10, -v2, v8, v9
	v_fmac_f32_e32 v8, v10, v7
	s_delay_alu instid0(VALU_DEP_1) | instskip(NEXT) | instid1(VALU_DEP_1)
	v_fma_f32 v2, -v2, v8, v9
	v_div_fmas_f32 v2, v2, v7, v8
	s_delay_alu instid0(VALU_DEP_1) | instskip(NEXT) | instid1(VALU_DEP_1)
	v_div_fixup_f32 v2, v2, v0, v1
	v_fmac_f32_e32 v0, v1, v2
	s_delay_alu instid0(VALU_DEP_1) | instskip(NEXT) | instid1(VALU_DEP_1)
	v_div_scale_f32 v1, null, v0, v0, 1.0
	v_rcp_f32_e32 v7, v1
	s_waitcnt_depctr 0xfff
	v_fma_f32 v8, -v1, v7, 1.0
	s_delay_alu instid0(VALU_DEP_1) | instskip(SKIP_1) | instid1(VALU_DEP_1)
	v_fmac_f32_e32 v7, v8, v7
	v_div_scale_f32 v8, vcc_lo, 1.0, v0, 1.0
	v_mul_f32_e32 v9, v8, v7
	s_delay_alu instid0(VALU_DEP_1) | instskip(NEXT) | instid1(VALU_DEP_1)
	v_fma_f32 v10, -v1, v9, v8
	v_fmac_f32_e32 v9, v10, v7
	s_delay_alu instid0(VALU_DEP_1) | instskip(NEXT) | instid1(VALU_DEP_1)
	v_fma_f32 v1, -v1, v9, v8
	v_div_fmas_f32 v1, v1, v7, v9
	s_delay_alu instid0(VALU_DEP_1) | instskip(NEXT) | instid1(VALU_DEP_1)
	v_div_fixup_f32 v0, v1, v0, 1.0
	v_mul_f32_e64 v1, v2, -v0
.LBB179_43:
	s_or_b32 exec_lo, exec_lo, s1
.LBB179_44:
	s_waitcnt vmcnt(0) lgkmcnt(0)
	s_delay_alu instid0(VALU_DEP_1) | instskip(SKIP_1) | instid1(VALU_DEP_2)
	v_mul_f32_e32 v2, v6, v1
	v_mul_f32_e32 v6, v6, v0
	v_fma_f32 v0, v5, v0, -v2
	s_delay_alu instid0(VALU_DEP_1)
	v_dual_fmac_f32 v6, v5, v1 :: v_dual_mov_b32 v5, v0
.LBB179_45:
	s_or_b32 exec_lo, exec_lo, s0
	global_store_b64 v[3:4], v[5:6], off
.LBB179_46:
	s_nop 0
	s_sendmsg sendmsg(MSG_DEALLOC_VGPRS)
	s_endpgm
	.section	.rodata,"a",@progbits
	.p2align	6, 0x0
	.amdhsa_kernel _ZL40rocblas_trsm_block_backward_substitutionI19rocblas_complex_numIfES1_PKPKS1_PKPS1_Lb0ELb0ELb0EEv18rocblas_operation_llT0_T1_lllT2_lllib
		.amdhsa_group_segment_fixed_size 0
		.amdhsa_private_segment_fixed_size 0
		.amdhsa_kernarg_size 360
		.amdhsa_user_sgpr_count 13
		.amdhsa_user_sgpr_dispatch_ptr 0
		.amdhsa_user_sgpr_queue_ptr 0
		.amdhsa_user_sgpr_kernarg_segment_ptr 1
		.amdhsa_user_sgpr_dispatch_id 0
		.amdhsa_user_sgpr_private_segment_size 0
		.amdhsa_wavefront_size32 1
		.amdhsa_uses_dynamic_stack 0
		.amdhsa_enable_private_segment 0
		.amdhsa_system_sgpr_workgroup_id_x 1
		.amdhsa_system_sgpr_workgroup_id_y 1
		.amdhsa_system_sgpr_workgroup_id_z 1
		.amdhsa_system_sgpr_workgroup_info 0
		.amdhsa_system_vgpr_workitem_id 1
		.amdhsa_next_free_vgpr 18
		.amdhsa_next_free_sgpr 30
		.amdhsa_reserve_vcc 1
		.amdhsa_float_round_mode_32 0
		.amdhsa_float_round_mode_16_64 0
		.amdhsa_float_denorm_mode_32 3
		.amdhsa_float_denorm_mode_16_64 3
		.amdhsa_dx10_clamp 1
		.amdhsa_ieee_mode 1
		.amdhsa_fp16_overflow 0
		.amdhsa_workgroup_processor_mode 1
		.amdhsa_memory_ordered 1
		.amdhsa_forward_progress 0
		.amdhsa_shared_vgpr_count 0
		.amdhsa_exception_fp_ieee_invalid_op 0
		.amdhsa_exception_fp_denorm_src 0
		.amdhsa_exception_fp_ieee_div_zero 0
		.amdhsa_exception_fp_ieee_overflow 0
		.amdhsa_exception_fp_ieee_underflow 0
		.amdhsa_exception_fp_ieee_inexact 0
		.amdhsa_exception_int_div_zero 0
	.end_amdhsa_kernel
	.section	.text._ZL40rocblas_trsm_block_backward_substitutionI19rocblas_complex_numIfES1_PKPKS1_PKPS1_Lb0ELb0ELb0EEv18rocblas_operation_llT0_T1_lllT2_lllib,"axG",@progbits,_ZL40rocblas_trsm_block_backward_substitutionI19rocblas_complex_numIfES1_PKPKS1_PKPS1_Lb0ELb0ELb0EEv18rocblas_operation_llT0_T1_lllT2_lllib,comdat
.Lfunc_end179:
	.size	_ZL40rocblas_trsm_block_backward_substitutionI19rocblas_complex_numIfES1_PKPKS1_PKPS1_Lb0ELb0ELb0EEv18rocblas_operation_llT0_T1_lllT2_lllib, .Lfunc_end179-_ZL40rocblas_trsm_block_backward_substitutionI19rocblas_complex_numIfES1_PKPKS1_PKPS1_Lb0ELb0ELb0EEv18rocblas_operation_llT0_T1_lllT2_lllib
                                        ; -- End function
	.section	.AMDGPU.csdata,"",@progbits
; Kernel info:
; codeLenInByte = 2908
; NumSgprs: 32
; NumVgprs: 18
; ScratchSize: 0
; MemoryBound: 0
; FloatMode: 240
; IeeeMode: 1
; LDSByteSize: 0 bytes/workgroup (compile time only)
; SGPRBlocks: 3
; VGPRBlocks: 2
; NumSGPRsForWavesPerEU: 32
; NumVGPRsForWavesPerEU: 18
; Occupancy: 16
; WaveLimiterHint : 1
; COMPUTE_PGM_RSRC2:SCRATCH_EN: 0
; COMPUTE_PGM_RSRC2:USER_SGPR: 13
; COMPUTE_PGM_RSRC2:TRAP_HANDLER: 0
; COMPUTE_PGM_RSRC2:TGID_X_EN: 1
; COMPUTE_PGM_RSRC2:TGID_Y_EN: 1
; COMPUTE_PGM_RSRC2:TGID_Z_EN: 1
; COMPUTE_PGM_RSRC2:TIDIG_COMP_CNT: 1
	.section	.text._ZL39rocblas_trsm_block_forward_substitutionI19rocblas_complex_numIfES1_PKPKS1_PKPS1_Lb0ELb0ELb1EEv18rocblas_operation_llT0_T1_lllT2_lllib,"axG",@progbits,_ZL39rocblas_trsm_block_forward_substitutionI19rocblas_complex_numIfES1_PKPKS1_PKPS1_Lb0ELb0ELb1EEv18rocblas_operation_llT0_T1_lllT2_lllib,comdat
	.globl	_ZL39rocblas_trsm_block_forward_substitutionI19rocblas_complex_numIfES1_PKPKS1_PKPS1_Lb0ELb0ELb1EEv18rocblas_operation_llT0_T1_lllT2_lllib ; -- Begin function _ZL39rocblas_trsm_block_forward_substitutionI19rocblas_complex_numIfES1_PKPKS1_PKPS1_Lb0ELb0ELb1EEv18rocblas_operation_llT0_T1_lllT2_lllib
	.p2align	8
	.type	_ZL39rocblas_trsm_block_forward_substitutionI19rocblas_complex_numIfES1_PKPKS1_PKPS1_Lb0ELb0ELb1EEv18rocblas_operation_llT0_T1_lllT2_lllib,@function
_ZL39rocblas_trsm_block_forward_substitutionI19rocblas_complex_numIfES1_PKPKS1_PKPS1_Lb0ELb0ELb1EEv18rocblas_operation_llT0_T1_lllT2_lllib: ; @_ZL39rocblas_trsm_block_forward_substitutionI19rocblas_complex_numIfES1_PKPKS1_PKPS1_Lb0ELb0ELb1EEv18rocblas_operation_llT0_T1_lllT2_lllib
; %bb.0:
	s_clause 0x1
	s_load_b128 s[4:7], s[0:1], 0x20
	s_load_b64 s[12:13], s[0:1], 0x30
	s_mov_b32 s2, s15
	s_mov_b32 s3, 0
	v_and_b32_e32 v1, 0x3ff, v0
	s_lshl_b64 s[2:3], s[2:3], 3
	v_bfe_u32 v0, v0, 10, 10
	s_waitcnt lgkmcnt(0)
	s_add_u32 s4, s4, s2
	s_addc_u32 s5, s5, s3
	s_lshl_b64 s[6:7], s[6:7], 3
	s_load_b64 s[4:5], s[4:5], 0x0
	s_clause 0x3
	s_load_b128 s[8:11], s[0:1], 0x40
	s_load_b64 s[16:17], s[0:1], 0x50
	s_load_b32 s15, s[0:1], 0x64
	s_load_b32 s24, s[0:1], 0x74
	s_waitcnt lgkmcnt(0)
	s_add_u32 s20, s4, s6
	s_addc_u32 s21, s5, s7
	s_add_u32 s2, s8, s2
	s_addc_u32 s3, s9, s3
	s_clause 0x1
	s_load_b128 s[4:7], s[0:1], 0x8
	s_load_b64 s[8:9], s[0:1], 0x18
	s_load_b64 s[18:19], s[2:3], 0x0
	s_add_u32 s22, s0, 0x68
	s_addc_u32 s23, s1, 0
	s_lshr_b32 s3, s24, 16
	s_bitcmp0_b32 s15, 0
	s_cbranch_scc1 .LBB180_7
; %bb.1:
	s_waitcnt lgkmcnt(0)
	v_cmp_lt_i64_e64 s2, s[4:5], 1
	s_lshl_b32 s15, s3, 3
	s_delay_alu instid0(SALU_CYCLE_1) | instskip(NEXT) | instid1(VALU_DEP_1)
	s_add_i32 s24, s15, 0
	s_and_b32 vcc_lo, exec_lo, s2
	s_cbranch_vccnz .LBB180_6
; %bb.2:
	v_lshlrev_b32_e32 v4, 3, v1
	s_delay_alu instid0(VALU_DEP_1) | instskip(NEXT) | instid1(VALU_DEP_1)
	v_dual_mov_b32 v2, 0 :: v_dual_add_nc_u32 v3, s24, v4
	v_cmp_gt_u64_e64 s2, s[4:5], v[1:2]
	v_add_co_u32 v2, s15, s20, v4
	s_delay_alu instid0(VALU_DEP_1)
	v_add_co_ci_u32_e64 v4, null, s21, 0, s15
	s_mov_b32 s20, 0
	s_set_inst_prefetch_distance 0x1
	s_branch .LBB180_4
	.p2align	6
.LBB180_3:                              ;   in Loop: Header=BB180_4 Depth=1
	s_or_b32 exec_lo, exec_lo, s15
	s_add_i32 s20, s20, s3
	s_delay_alu instid0(SALU_CYCLE_1) | instskip(NEXT) | instid1(SALU_CYCLE_1)
	s_ashr_i32 s21, s20, 31
	v_cmp_ge_i64_e64 s15, s[20:21], s[4:5]
	s_delay_alu instid0(VALU_DEP_1)
	s_and_b32 vcc_lo, exec_lo, s15
	s_cbranch_vccnz .LBB180_6
.LBB180_4:                              ; =>This Inner Loop Header: Depth=1
	v_add_nc_u32_e32 v5, s20, v0
	s_delay_alu instid0(VALU_DEP_1) | instskip(SKIP_1) | instid1(SALU_CYCLE_1)
	v_cmp_gt_i32_e32 vcc_lo, v1, v5
	s_and_b32 s21, s2, vcc_lo
	s_and_saveexec_b32 s15, s21
	s_cbranch_execz .LBB180_3
; %bb.5:                                ;   in Loop: Header=BB180_4 Depth=1
	v_ashrrev_i32_e32 v8, 31, v5
	v_mul_lo_u32 v9, v5, s13
	v_mad_u64_u32 v[6:7], null, v5, s12, 0
	s_load_b32 s21, s[22:23], 0xc
	s_delay_alu instid0(VALU_DEP_3) | instskip(NEXT) | instid1(VALU_DEP_1)
	v_mul_lo_u32 v8, v8, s12
	v_add3_u32 v7, v7, v9, v8
	s_delay_alu instid0(VALU_DEP_1) | instskip(SKIP_2) | instid1(VALU_DEP_1)
	v_lshlrev_b64 v[6:7], 3, v[6:7]
	s_waitcnt lgkmcnt(0)
	s_and_b32 s21, s21, 0xffff
	v_add_co_u32 v6, vcc_lo, v2, v6
	s_delay_alu instid0(VALU_DEP_2)
	v_add_co_ci_u32_e32 v7, vcc_lo, v4, v7, vcc_lo
	v_mul_lo_u32 v5, v5, s21
	global_load_b64 v[6:7], v[6:7], off
	v_lshl_add_u32 v5, v5, 3, v3
	s_waitcnt vmcnt(0)
	ds_store_b64 v5, v[6:7]
	s_branch .LBB180_3
.LBB180_6:
	s_set_inst_prefetch_distance 0x2
	s_load_b32 s2, s[22:23], 0xc
	s_mov_b64 s[20:21], src_shared_base
	s_mov_b32 s13, 0
	s_mov_b32 s25, s21
	s_delay_alu instid0(SALU_CYCLE_1)
	s_mov_b64 s[20:21], s[24:25]
	s_waitcnt lgkmcnt(0)
	s_and_b32 s12, s2, 0xffff
.LBB180_7:
	v_mad_u64_u32 v[3:4], null, s14, s3, v[0:1]
	v_mov_b32_e32 v4, 0
	s_mov_b32 s2, exec_lo
	s_waitcnt lgkmcnt(0)
	s_delay_alu instid0(VALU_DEP_1)
	v_cmpx_gt_i64_e64 s[6:7], v[3:4]
	s_cbranch_execz .LBB180_21
; %bb.8:
	v_mov_b32_e32 v2, v4
	s_delay_alu instid0(VALU_DEP_1)
	v_cmp_gt_i64_e32 vcc_lo, s[4:5], v[1:2]
	s_and_b32 exec_lo, exec_lo, vcc_lo
	s_cbranch_execz .LBB180_21
; %bb.9:
	v_mad_u64_u32 v[4:5], null, v3, s16, 0
	s_lshl_b64 s[2:3], s[10:11], 3
	s_delay_alu instid0(SALU_CYCLE_1) | instskip(SKIP_1) | instid1(VALU_DEP_1)
	s_add_u32 s2, s18, s2
	s_addc_u32 s3, s19, s3
	v_mad_u64_u32 v[6:7], null, v3, s17, v[5:6]
	v_lshlrev_b32_e32 v7, 3, v1
	s_delay_alu instid0(VALU_DEP_2) | instskip(NEXT) | instid1(VALU_DEP_1)
	v_mov_b32_e32 v5, v6
	v_lshlrev_b64 v[3:4], 3, v[4:5]
	s_delay_alu instid0(VALU_DEP_1) | instskip(NEXT) | instid1(VALU_DEP_2)
	v_add_co_u32 v3, vcc_lo, s2, v3
	v_add_co_ci_u32_e32 v4, vcc_lo, s3, v4, vcc_lo
	v_cmp_lt_u64_e64 s2, s[4:5], 2
	s_delay_alu instid0(VALU_DEP_3) | instskip(NEXT) | instid1(VALU_DEP_3)
	v_add_co_u32 v3, vcc_lo, v3, v7
	v_add_co_ci_u32_e32 v4, vcc_lo, 0, v4, vcc_lo
	s_delay_alu instid0(VALU_DEP_3) | instskip(SKIP_3) | instid1(VALU_DEP_1)
	s_and_b32 vcc_lo, exec_lo, s2
	global_load_b64 v[8:9], v[3:4], off
	s_waitcnt vmcnt(0)
	v_mul_f32_e32 v6, s8, v9
	v_dual_mul_f32 v5, s9, v9 :: v_dual_fmac_f32 v6, s9, v8
	s_delay_alu instid0(VALU_DEP_1)
	v_fma_f32 v5, s8, v8, -v5
	s_cbranch_vccnz .LBB180_20
; %bb.10:
	s_load_b32 s0, s[0:1], 0x0
	v_lshl_add_u32 v0, v0, 3, 0
	s_waitcnt lgkmcnt(0)
	s_cmpk_lg_i32 s0, 0x71
	v_add_co_u32 v7, s0, s20, v7
	s_delay_alu instid0(VALU_DEP_1)
	v_add_co_ci_u32_e64 v8, null, s21, 0, s0
	s_cselect_b32 s6, -1, 0
	s_add_u32 s0, s4, -1
	s_addc_u32 s1, s5, -1
	s_lshl_b64 s[2:3], s[12:13], 3
	s_mov_b64 s[4:5], 0
	s_set_inst_prefetch_distance 0x1
	s_branch .LBB180_13
	.p2align	6
.LBB180_11:                             ;   in Loop: Header=BB180_13 Depth=1
	ds_load_b64 v[11:12], v0
	s_waitcnt vmcnt(0) lgkmcnt(0)
	v_mul_f32_e32 v13, v12, v10
	v_mul_f32_e32 v12, v12, v9
	s_delay_alu instid0(VALU_DEP_1) | instskip(NEXT) | instid1(VALU_DEP_1)
	v_fmac_f32_e32 v12, v11, v10
	v_sub_f32_e32 v6, v6, v12
	s_delay_alu instid0(VALU_DEP_4) | instskip(NEXT) | instid1(VALU_DEP_1)
	v_fma_f32 v9, v11, v9, -v13
	v_sub_f32_e32 v5, v5, v9
.LBB180_12:                             ;   in Loop: Header=BB180_13 Depth=1
	s_or_b32 exec_lo, exec_lo, s7
	v_add_co_u32 v7, vcc_lo, v7, s2
	s_add_u32 s4, s4, 1
	v_add_co_ci_u32_e32 v8, vcc_lo, s3, v8, vcc_lo
	s_addc_u32 s5, s5, 0
	s_delay_alu instid0(SALU_CYCLE_1)
	s_cmp_eq_u64 s[0:1], s[4:5]
	s_cbranch_scc1 .LBB180_20
.LBB180_13:                             ; =>This Inner Loop Header: Depth=1
	s_mov_b32 s7, exec_lo
	s_barrier
	buffer_gl0_inv
	v_cmpx_eq_u64_e64 s[4:5], v[1:2]
	s_cbranch_execz .LBB180_15
; %bb.14:                               ;   in Loop: Header=BB180_13 Depth=1
	ds_store_b64 v0, v[5:6]
.LBB180_15:                             ;   in Loop: Header=BB180_13 Depth=1
	s_or_b32 exec_lo, exec_lo, s7
	s_delay_alu instid0(SALU_CYCLE_1)
	s_mov_b32 s7, exec_lo
	s_waitcnt lgkmcnt(0)
	s_barrier
	buffer_gl0_inv
	v_cmpx_lt_u64_e64 s[4:5], v[1:2]
	s_cbranch_execz .LBB180_12
; %bb.16:                               ;   in Loop: Header=BB180_13 Depth=1
	s_and_b32 vcc_lo, exec_lo, s6
	s_cbranch_vccz .LBB180_18
; %bb.17:                               ;   in Loop: Header=BB180_13 Depth=1
	flat_load_b64 v[9:10], v[7:8]
	s_cbranch_execnz .LBB180_11
	s_branch .LBB180_19
.LBB180_18:                             ;   in Loop: Header=BB180_13 Depth=1
                                        ; implicit-def: $vgpr9
.LBB180_19:                             ;   in Loop: Header=BB180_13 Depth=1
	s_waitcnt vmcnt(0) lgkmcnt(0)
	flat_load_b64 v[9:10], v[7:8]
	s_waitcnt vmcnt(0) lgkmcnt(0)
	v_xor_b32_e32 v10, 0x80000000, v10
	s_branch .LBB180_11
.LBB180_20:
	s_set_inst_prefetch_distance 0x2
	global_store_b64 v[3:4], v[5:6], off
.LBB180_21:
	s_nop 0
	s_sendmsg sendmsg(MSG_DEALLOC_VGPRS)
	s_endpgm
	.section	.rodata,"a",@progbits
	.p2align	6, 0x0
	.amdhsa_kernel _ZL39rocblas_trsm_block_forward_substitutionI19rocblas_complex_numIfES1_PKPKS1_PKPS1_Lb0ELb0ELb1EEv18rocblas_operation_llT0_T1_lllT2_lllib
		.amdhsa_group_segment_fixed_size 0
		.amdhsa_private_segment_fixed_size 0
		.amdhsa_kernarg_size 360
		.amdhsa_user_sgpr_count 13
		.amdhsa_user_sgpr_dispatch_ptr 0
		.amdhsa_user_sgpr_queue_ptr 0
		.amdhsa_user_sgpr_kernarg_segment_ptr 1
		.amdhsa_user_sgpr_dispatch_id 0
		.amdhsa_user_sgpr_private_segment_size 0
		.amdhsa_wavefront_size32 1
		.amdhsa_uses_dynamic_stack 0
		.amdhsa_enable_private_segment 0
		.amdhsa_system_sgpr_workgroup_id_x 1
		.amdhsa_system_sgpr_workgroup_id_y 1
		.amdhsa_system_sgpr_workgroup_id_z 1
		.amdhsa_system_sgpr_workgroup_info 0
		.amdhsa_system_vgpr_workitem_id 1
		.amdhsa_next_free_vgpr 14
		.amdhsa_next_free_sgpr 26
		.amdhsa_reserve_vcc 1
		.amdhsa_float_round_mode_32 0
		.amdhsa_float_round_mode_16_64 0
		.amdhsa_float_denorm_mode_32 3
		.amdhsa_float_denorm_mode_16_64 3
		.amdhsa_dx10_clamp 1
		.amdhsa_ieee_mode 1
		.amdhsa_fp16_overflow 0
		.amdhsa_workgroup_processor_mode 1
		.amdhsa_memory_ordered 1
		.amdhsa_forward_progress 0
		.amdhsa_shared_vgpr_count 0
		.amdhsa_exception_fp_ieee_invalid_op 0
		.amdhsa_exception_fp_denorm_src 0
		.amdhsa_exception_fp_ieee_div_zero 0
		.amdhsa_exception_fp_ieee_overflow 0
		.amdhsa_exception_fp_ieee_underflow 0
		.amdhsa_exception_fp_ieee_inexact 0
		.amdhsa_exception_int_div_zero 0
	.end_amdhsa_kernel
	.section	.text._ZL39rocblas_trsm_block_forward_substitutionI19rocblas_complex_numIfES1_PKPKS1_PKPS1_Lb0ELb0ELb1EEv18rocblas_operation_llT0_T1_lllT2_lllib,"axG",@progbits,_ZL39rocblas_trsm_block_forward_substitutionI19rocblas_complex_numIfES1_PKPKS1_PKPS1_Lb0ELb0ELb1EEv18rocblas_operation_llT0_T1_lllT2_lllib,comdat
.Lfunc_end180:
	.size	_ZL39rocblas_trsm_block_forward_substitutionI19rocblas_complex_numIfES1_PKPKS1_PKPS1_Lb0ELb0ELb1EEv18rocblas_operation_llT0_T1_lllT2_lllib, .Lfunc_end180-_ZL39rocblas_trsm_block_forward_substitutionI19rocblas_complex_numIfES1_PKPKS1_PKPS1_Lb0ELb0ELb1EEv18rocblas_operation_llT0_T1_lllT2_lllib
                                        ; -- End function
	.section	.AMDGPU.csdata,"",@progbits
; Kernel info:
; codeLenInByte = 1004
; NumSgprs: 28
; NumVgprs: 14
; ScratchSize: 0
; MemoryBound: 0
; FloatMode: 240
; IeeeMode: 1
; LDSByteSize: 0 bytes/workgroup (compile time only)
; SGPRBlocks: 3
; VGPRBlocks: 1
; NumSGPRsForWavesPerEU: 28
; NumVGPRsForWavesPerEU: 14
; Occupancy: 16
; WaveLimiterHint : 1
; COMPUTE_PGM_RSRC2:SCRATCH_EN: 0
; COMPUTE_PGM_RSRC2:USER_SGPR: 13
; COMPUTE_PGM_RSRC2:TRAP_HANDLER: 0
; COMPUTE_PGM_RSRC2:TGID_X_EN: 1
; COMPUTE_PGM_RSRC2:TGID_Y_EN: 1
; COMPUTE_PGM_RSRC2:TGID_Z_EN: 1
; COMPUTE_PGM_RSRC2:TIDIG_COMP_CNT: 1
	.section	.text._ZL40rocblas_trsm_block_backward_substitutionI19rocblas_complex_numIfES1_PKPKS1_PKPS1_Lb0ELb0ELb1EEv18rocblas_operation_llT0_T1_lllT2_lllib,"axG",@progbits,_ZL40rocblas_trsm_block_backward_substitutionI19rocblas_complex_numIfES1_PKPKS1_PKPS1_Lb0ELb0ELb1EEv18rocblas_operation_llT0_T1_lllT2_lllib,comdat
	.globl	_ZL40rocblas_trsm_block_backward_substitutionI19rocblas_complex_numIfES1_PKPKS1_PKPS1_Lb0ELb0ELb1EEv18rocblas_operation_llT0_T1_lllT2_lllib ; -- Begin function _ZL40rocblas_trsm_block_backward_substitutionI19rocblas_complex_numIfES1_PKPKS1_PKPS1_Lb0ELb0ELb1EEv18rocblas_operation_llT0_T1_lllT2_lllib
	.p2align	8
	.type	_ZL40rocblas_trsm_block_backward_substitutionI19rocblas_complex_numIfES1_PKPKS1_PKPS1_Lb0ELb0ELb1EEv18rocblas_operation_llT0_T1_lllT2_lllib,@function
_ZL40rocblas_trsm_block_backward_substitutionI19rocblas_complex_numIfES1_PKPKS1_PKPS1_Lb0ELb0ELb1EEv18rocblas_operation_llT0_T1_lllT2_lllib: ; @_ZL40rocblas_trsm_block_backward_substitutionI19rocblas_complex_numIfES1_PKPKS1_PKPS1_Lb0ELb0ELb1EEv18rocblas_operation_llT0_T1_lllT2_lllib
; %bb.0:
	s_clause 0x1
	s_load_b128 s[4:7], s[0:1], 0x20
	s_load_b64 s[26:27], s[0:1], 0x30
	s_mov_b32 s2, s15
	s_mov_b32 s3, 0
	v_and_b32_e32 v1, 0x3ff, v0
	s_lshl_b64 s[2:3], s[2:3], 3
	v_bfe_u32 v0, v0, 10, 10
	s_waitcnt lgkmcnt(0)
	s_add_u32 s4, s4, s2
	s_addc_u32 s5, s5, s3
	s_lshl_b64 s[6:7], s[6:7], 3
	s_load_b64 s[4:5], s[4:5], 0x0
	s_clause 0x3
	s_load_b128 s[8:11], s[0:1], 0x40
	s_load_b64 s[12:13], s[0:1], 0x50
	s_load_b32 s16, s[0:1], 0x64
	s_load_b32 s15, s[0:1], 0x74
	s_waitcnt lgkmcnt(0)
	s_add_u32 s20, s4, s6
	s_addc_u32 s21, s5, s7
	s_add_u32 s2, s8, s2
	s_addc_u32 s3, s9, s3
	s_clause 0x1
	s_load_b128 s[4:7], s[0:1], 0x8
	s_load_b64 s[8:9], s[0:1], 0x18
	s_load_b64 s[18:19], s[2:3], 0x0
	s_add_u32 s22, s0, 0x68
	s_addc_u32 s23, s1, 0
	s_lshr_b32 s15, s15, 16
	s_bitcmp0_b32 s16, 0
	s_mov_b64 s[2:3], 1
	s_cbranch_scc1 .LBB181_6
; %bb.1:
	s_waitcnt lgkmcnt(0)
	v_cmp_lt_i64_e64 s2, s[4:5], 1
	s_lshl_b32 s3, s15, 3
	s_mov_b64 s[16:17], 1
	s_add_i32 s24, s3, 0
	s_delay_alu instid0(VALU_DEP_1)
	s_and_b32 vcc_lo, exec_lo, s2
	s_cbranch_vccnz .LBB181_7
; %bb.2:
	v_mad_u64_u32 v[3:4], null, v1, s26, 0
	s_delay_alu instid0(VALU_DEP_1) | instskip(NEXT) | instid1(VALU_DEP_1)
	v_mov_b32_e32 v2, v4
	v_mad_u64_u32 v[4:5], null, v1, s27, v[2:3]
	v_mov_b32_e32 v2, 0
	s_delay_alu instid0(VALU_DEP_1) | instskip(NEXT) | instid1(VALU_DEP_3)
	v_cmp_gt_u64_e64 s2, s[4:5], v[1:2]
	v_lshlrev_b64 v[5:6], 3, v[3:4]
	v_lshl_add_u32 v4, v1, 3, s24
	s_delay_alu instid0(VALU_DEP_2) | instskip(NEXT) | instid1(VALU_DEP_3)
	v_add_co_u32 v5, vcc_lo, s20, v5
	v_add_co_ci_u32_e32 v6, vcc_lo, s21, v6, vcc_lo
	s_mov_b32 s20, 0
	s_set_inst_prefetch_distance 0x1
	s_branch .LBB181_4
	.p2align	6
.LBB181_3:                              ;   in Loop: Header=BB181_4 Depth=1
	s_or_b32 exec_lo, exec_lo, s3
	s_add_i32 s20, s20, s15
	s_delay_alu instid0(SALU_CYCLE_1) | instskip(NEXT) | instid1(SALU_CYCLE_1)
	s_ashr_i32 s21, s20, 31
	v_cmp_ge_i64_e64 s3, s[20:21], s[4:5]
	s_delay_alu instid0(VALU_DEP_1)
	s_and_b32 vcc_lo, exec_lo, s3
	s_cbranch_vccnz .LBB181_7
.LBB181_4:                              ; =>This Inner Loop Header: Depth=1
	v_add_nc_u32_e32 v2, s20, v0
	s_delay_alu instid0(VALU_DEP_1) | instskip(SKIP_1) | instid1(VALU_DEP_2)
	v_ashrrev_i32_e32 v3, 31, v2
	v_cmp_lt_i32_e64 s3, v1, v2
	v_cmp_gt_i64_e32 vcc_lo, s[4:5], v[2:3]
	s_delay_alu instid0(VALU_DEP_2) | instskip(NEXT) | instid1(SALU_CYCLE_1)
	s_and_b32 s3, s3, vcc_lo
	s_and_b32 s21, s2, s3
	s_delay_alu instid0(SALU_CYCLE_1)
	s_and_saveexec_b32 s3, s21
	s_cbranch_execz .LBB181_3
; %bb.5:                                ;   in Loop: Header=BB181_4 Depth=1
	v_lshlrev_b64 v[7:8], 3, v[2:3]
	s_load_b32 s21, s[22:23], 0xc
	s_delay_alu instid0(VALU_DEP_1) | instskip(NEXT) | instid1(VALU_DEP_2)
	v_add_co_u32 v7, vcc_lo, v5, v7
	v_add_co_ci_u32_e32 v8, vcc_lo, v6, v8, vcc_lo
	global_load_b64 v[7:8], v[7:8], off
	s_waitcnt lgkmcnt(0)
	s_and_b32 s21, s21, 0xffff
	s_delay_alu instid0(SALU_CYCLE_1) | instskip(NEXT) | instid1(VALU_DEP_1)
	v_mul_lo_u32 v2, v2, s21
	v_lshl_add_u32 v2, v2, 3, v4
	s_waitcnt vmcnt(0)
	ds_store_b64 v2, v[7:8]
	s_branch .LBB181_3
.LBB181_6:
	s_mov_b64 s[16:17], s[26:27]
	s_branch .LBB181_8
.LBB181_7:
	s_set_inst_prefetch_distance 0x2
	s_load_b32 s20, s[22:23], 0xc
	s_mov_b64 s[2:3], src_shared_base
	s_delay_alu instid0(SALU_CYCLE_1)
	s_mov_b32 s25, s3
	s_waitcnt lgkmcnt(0)
	s_and_b32 s2, s20, 0xffff
	s_mov_b64 s[20:21], s[24:25]
.LBB181_8:
	v_mad_u64_u32 v[3:4], null, s14, s15, v[0:1]
	v_mov_b32_e32 v4, 0
	s_mov_b32 s3, exec_lo
	s_waitcnt lgkmcnt(0)
	s_delay_alu instid0(VALU_DEP_1)
	v_cmpx_gt_i64_e64 s[6:7], v[3:4]
	s_cbranch_execz .LBB181_23
; %bb.9:
	v_mov_b32_e32 v2, v4
	s_delay_alu instid0(VALU_DEP_1)
	v_cmp_gt_i64_e32 vcc_lo, s[4:5], v[1:2]
	s_and_b32 exec_lo, exec_lo, vcc_lo
	s_cbranch_execz .LBB181_23
; %bb.10:
	v_mad_u64_u32 v[5:6], null, v1, s12, 0
	s_lshl_b64 s[6:7], s[10:11], 3
	v_lshlrev_b64 v[3:4], 3, v[3:4]
	s_add_u32 s3, s18, s6
	s_addc_u32 s6, s19, s7
	s_delay_alu instid0(VALU_DEP_2) | instskip(NEXT) | instid1(VALU_DEP_1)
	v_mad_u64_u32 v[7:8], null, v1, s13, v[6:7]
	v_mov_b32_e32 v6, v7
	s_delay_alu instid0(VALU_DEP_1) | instskip(NEXT) | instid1(VALU_DEP_1)
	v_lshlrev_b64 v[5:6], 3, v[5:6]
	v_add_co_u32 v5, vcc_lo, s3, v5
	s_delay_alu instid0(VALU_DEP_2) | instskip(SKIP_1) | instid1(VALU_DEP_3)
	v_add_co_ci_u32_e32 v6, vcc_lo, s6, v6, vcc_lo
	v_cmp_lt_u64_e64 s3, s[4:5], 2
	v_add_co_u32 v3, vcc_lo, v5, v3
	s_delay_alu instid0(VALU_DEP_3) | instskip(NEXT) | instid1(VALU_DEP_3)
	v_add_co_ci_u32_e32 v4, vcc_lo, v6, v4, vcc_lo
	s_and_b32 vcc_lo, exec_lo, s3
	global_load_b64 v[7:8], v[3:4], off
	s_waitcnt vmcnt(0)
	v_mul_f32_e32 v5, s9, v8
	v_mul_f32_e32 v6, s8, v8
	s_delay_alu instid0(VALU_DEP_2) | instskip(NEXT) | instid1(VALU_DEP_2)
	v_fma_f32 v5, s8, v7, -v5
	v_fmac_f32_e32 v6, s9, v7
	s_cbranch_vccnz .LBB181_22
; %bb.11:
	s_load_b32 s0, s[0:1], 0x0
	v_mad_u64_u32 v[7:8], null, s16, v1, 0
	v_lshl_add_u32 v0, v0, 3, 0
	s_delay_alu instid0(VALU_DEP_2) | instskip(NEXT) | instid1(VALU_DEP_1)
	v_mad_u64_u32 v[9:10], null, s17, v1, v[8:9]
	v_mov_b32_e32 v8, v9
	s_waitcnt lgkmcnt(0)
	s_cmpk_lg_i32 s0, 0x71
	s_delay_alu instid0(VALU_DEP_1)
	v_lshlrev_b64 v[7:8], 3, v[7:8]
	s_cselect_b32 s6, -1, 0
	s_add_u32 s0, s4, -1
	s_addc_u32 s1, s5, -1
	s_mul_hi_u32 s3, s2, s0
	s_mul_i32 s5, s2, s1
	s_mul_i32 s4, s2, s0
	s_add_i32 s5, s3, s5
	s_delay_alu instid0(SALU_CYCLE_1) | instskip(NEXT) | instid1(SALU_CYCLE_1)
	s_lshl_b64 s[4:5], s[4:5], 3
	s_add_u32 s3, s20, s4
	s_addc_u32 s4, s21, s5
	v_add_co_u32 v7, vcc_lo, s3, v7
	v_add_co_ci_u32_e32 v8, vcc_lo, s4, v8, vcc_lo
	s_lshl_b32 s2, s2, 3
	s_delay_alu instid0(SALU_CYCLE_1)
	s_sub_u32 s4, 0, s2
	s_subb_u32 s5, 0, 0
.LBB181_12:                             ; =>This Inner Loop Header: Depth=1
	s_mov_b32 s2, exec_lo
	s_barrier
	buffer_gl0_inv
	v_cmpx_eq_u64_e64 s[0:1], v[1:2]
	s_cbranch_execz .LBB181_14
; %bb.13:                               ;   in Loop: Header=BB181_12 Depth=1
	ds_store_b64 v0, v[5:6]
.LBB181_14:                             ;   in Loop: Header=BB181_12 Depth=1
	s_or_b32 exec_lo, exec_lo, s2
	s_delay_alu instid0(SALU_CYCLE_1)
	s_mov_b32 s2, exec_lo
	s_waitcnt lgkmcnt(0)
	s_barrier
	buffer_gl0_inv
	v_cmpx_gt_i64_e64 s[0:1], v[1:2]
	s_cbranch_execz .LBB181_20
; %bb.15:                               ;   in Loop: Header=BB181_12 Depth=1
	s_and_b32 vcc_lo, exec_lo, s6
	s_cbranch_vccz .LBB181_17
; %bb.16:                               ;   in Loop: Header=BB181_12 Depth=1
	flat_load_b64 v[9:10], v[7:8]
	s_cbranch_execz .LBB181_18
	s_branch .LBB181_19
.LBB181_17:                             ;   in Loop: Header=BB181_12 Depth=1
                                        ; implicit-def: $vgpr9
.LBB181_18:                             ;   in Loop: Header=BB181_12 Depth=1
	s_waitcnt vmcnt(0) lgkmcnt(0)
	flat_load_b64 v[9:10], v[7:8]
	s_waitcnt vmcnt(0) lgkmcnt(0)
	v_xor_b32_e32 v10, 0x80000000, v10
.LBB181_19:                             ;   in Loop: Header=BB181_12 Depth=1
	ds_load_b64 v[11:12], v0
	s_waitcnt vmcnt(0) lgkmcnt(0)
	v_mul_f32_e32 v13, v12, v10
	v_mul_f32_e32 v12, v12, v9
	s_delay_alu instid0(VALU_DEP_1) | instskip(NEXT) | instid1(VALU_DEP_1)
	v_fmac_f32_e32 v12, v11, v10
	v_sub_f32_e32 v6, v6, v12
	s_delay_alu instid0(VALU_DEP_4) | instskip(NEXT) | instid1(VALU_DEP_1)
	v_fma_f32 v9, v11, v9, -v13
	v_sub_f32_e32 v5, v5, v9
.LBB181_20:                             ;   in Loop: Header=BB181_12 Depth=1
	s_or_b32 exec_lo, exec_lo, s2
	s_add_u32 s2, s0, -1
	s_addc_u32 s3, s1, -1
	s_add_u32 s0, s0, 1
	s_addc_u32 s1, s1, 0
	v_add_co_u32 v7, vcc_lo, v7, s4
	v_cmp_lt_u64_e64 s0, s[0:1], 3
	v_add_co_ci_u32_e32 v8, vcc_lo, s5, v8, vcc_lo
	s_delay_alu instid0(VALU_DEP_2)
	s_and_b32 vcc_lo, exec_lo, s0
	s_cbranch_vccnz .LBB181_22
; %bb.21:                               ;   in Loop: Header=BB181_12 Depth=1
	s_mov_b64 s[0:1], s[2:3]
	s_branch .LBB181_12
.LBB181_22:
	global_store_b64 v[3:4], v[5:6], off
.LBB181_23:
	s_nop 0
	s_sendmsg sendmsg(MSG_DEALLOC_VGPRS)
	s_endpgm
	.section	.rodata,"a",@progbits
	.p2align	6, 0x0
	.amdhsa_kernel _ZL40rocblas_trsm_block_backward_substitutionI19rocblas_complex_numIfES1_PKPKS1_PKPS1_Lb0ELb0ELb1EEv18rocblas_operation_llT0_T1_lllT2_lllib
		.amdhsa_group_segment_fixed_size 0
		.amdhsa_private_segment_fixed_size 0
		.amdhsa_kernarg_size 360
		.amdhsa_user_sgpr_count 13
		.amdhsa_user_sgpr_dispatch_ptr 0
		.amdhsa_user_sgpr_queue_ptr 0
		.amdhsa_user_sgpr_kernarg_segment_ptr 1
		.amdhsa_user_sgpr_dispatch_id 0
		.amdhsa_user_sgpr_private_segment_size 0
		.amdhsa_wavefront_size32 1
		.amdhsa_uses_dynamic_stack 0
		.amdhsa_enable_private_segment 0
		.amdhsa_system_sgpr_workgroup_id_x 1
		.amdhsa_system_sgpr_workgroup_id_y 1
		.amdhsa_system_sgpr_workgroup_id_z 1
		.amdhsa_system_sgpr_workgroup_info 0
		.amdhsa_system_vgpr_workitem_id 1
		.amdhsa_next_free_vgpr 14
		.amdhsa_next_free_sgpr 28
		.amdhsa_reserve_vcc 1
		.amdhsa_float_round_mode_32 0
		.amdhsa_float_round_mode_16_64 0
		.amdhsa_float_denorm_mode_32 3
		.amdhsa_float_denorm_mode_16_64 3
		.amdhsa_dx10_clamp 1
		.amdhsa_ieee_mode 1
		.amdhsa_fp16_overflow 0
		.amdhsa_workgroup_processor_mode 1
		.amdhsa_memory_ordered 1
		.amdhsa_forward_progress 0
		.amdhsa_shared_vgpr_count 0
		.amdhsa_exception_fp_ieee_invalid_op 0
		.amdhsa_exception_fp_denorm_src 0
		.amdhsa_exception_fp_ieee_div_zero 0
		.amdhsa_exception_fp_ieee_overflow 0
		.amdhsa_exception_fp_ieee_underflow 0
		.amdhsa_exception_fp_ieee_inexact 0
		.amdhsa_exception_int_div_zero 0
	.end_amdhsa_kernel
	.section	.text._ZL40rocblas_trsm_block_backward_substitutionI19rocblas_complex_numIfES1_PKPKS1_PKPS1_Lb0ELb0ELb1EEv18rocblas_operation_llT0_T1_lllT2_lllib,"axG",@progbits,_ZL40rocblas_trsm_block_backward_substitutionI19rocblas_complex_numIfES1_PKPKS1_PKPS1_Lb0ELb0ELb1EEv18rocblas_operation_llT0_T1_lllT2_lllib,comdat
.Lfunc_end181:
	.size	_ZL40rocblas_trsm_block_backward_substitutionI19rocblas_complex_numIfES1_PKPKS1_PKPS1_Lb0ELb0ELb1EEv18rocblas_operation_llT0_T1_lllT2_lllib, .Lfunc_end181-_ZL40rocblas_trsm_block_backward_substitutionI19rocblas_complex_numIfES1_PKPKS1_PKPS1_Lb0ELb0ELb1EEv18rocblas_operation_llT0_T1_lllT2_lllib
                                        ; -- End function
	.section	.AMDGPU.csdata,"",@progbits
; Kernel info:
; codeLenInByte = 1104
; NumSgprs: 30
; NumVgprs: 14
; ScratchSize: 0
; MemoryBound: 0
; FloatMode: 240
; IeeeMode: 1
; LDSByteSize: 0 bytes/workgroup (compile time only)
; SGPRBlocks: 3
; VGPRBlocks: 1
; NumSGPRsForWavesPerEU: 30
; NumVGPRsForWavesPerEU: 14
; Occupancy: 16
; WaveLimiterHint : 1
; COMPUTE_PGM_RSRC2:SCRATCH_EN: 0
; COMPUTE_PGM_RSRC2:USER_SGPR: 13
; COMPUTE_PGM_RSRC2:TRAP_HANDLER: 0
; COMPUTE_PGM_RSRC2:TGID_X_EN: 1
; COMPUTE_PGM_RSRC2:TGID_Y_EN: 1
; COMPUTE_PGM_RSRC2:TGID_Z_EN: 1
; COMPUTE_PGM_RSRC2:TIDIG_COMP_CNT: 1
	.section	.text._ZL39rocblas_trsm_block_forward_substitutionI19rocblas_complex_numIfES1_PKPKS1_PKPS1_Lb0ELb1ELb0EEv18rocblas_operation_llT0_T1_lllT2_lllib,"axG",@progbits,_ZL39rocblas_trsm_block_forward_substitutionI19rocblas_complex_numIfES1_PKPKS1_PKPS1_Lb0ELb1ELb0EEv18rocblas_operation_llT0_T1_lllT2_lllib,comdat
	.globl	_ZL39rocblas_trsm_block_forward_substitutionI19rocblas_complex_numIfES1_PKPKS1_PKPS1_Lb0ELb1ELb0EEv18rocblas_operation_llT0_T1_lllT2_lllib ; -- Begin function _ZL39rocblas_trsm_block_forward_substitutionI19rocblas_complex_numIfES1_PKPKS1_PKPS1_Lb0ELb1ELb0EEv18rocblas_operation_llT0_T1_lllT2_lllib
	.p2align	8
	.type	_ZL39rocblas_trsm_block_forward_substitutionI19rocblas_complex_numIfES1_PKPKS1_PKPS1_Lb0ELb1ELb0EEv18rocblas_operation_llT0_T1_lllT2_lllib,@function
_ZL39rocblas_trsm_block_forward_substitutionI19rocblas_complex_numIfES1_PKPKS1_PKPS1_Lb0ELb1ELb0EEv18rocblas_operation_llT0_T1_lllT2_lllib: ; @_ZL39rocblas_trsm_block_forward_substitutionI19rocblas_complex_numIfES1_PKPKS1_PKPS1_Lb0ELb1ELb0EEv18rocblas_operation_llT0_T1_lllT2_lllib
; %bb.0:
	s_clause 0x1
	s_load_b32 s8, s[0:1], 0x64
	s_load_b128 s[4:7], s[0:1], 0x20
	s_mov_b32 s2, s15
	s_mov_b32 s3, 0
	s_clause 0x2
	s_load_b32 s22, s[0:1], 0x74
	s_load_b64 s[18:19], s[0:1], 0x50
	s_load_b64 s[12:13], s[0:1], 0x30
	v_and_b32_e32 v1, 0x3ff, v0
	v_bfe_u32 v0, v0, 10, 10
	s_waitcnt lgkmcnt(0)
	s_bitcmp1_b32 s8, 0
	s_cselect_b32 s8, -1, 0
	s_lshl_b64 s[16:17], s[2:3], 3
	s_xor_b32 s15, s8, -1
	s_add_u32 s2, s4, s16
	s_addc_u32 s3, s5, s17
	s_lshl_b64 s[4:5], s[6:7], 3
	s_load_b64 s[2:3], s[2:3], 0x0
	s_load_b128 s[8:11], s[0:1], 0x40
	s_waitcnt lgkmcnt(0)
	s_add_u32 s2, s2, s4
	s_addc_u32 s3, s3, s5
	s_add_u32 s16, s8, s16
	s_addc_u32 s17, s9, s17
	s_clause 0x1
	s_load_b128 s[4:7], s[0:1], 0x8
	s_load_b64 s[8:9], s[0:1], 0x18
	s_load_b64 s[16:17], s[16:17], 0x0
	s_add_u32 s20, s0, 0x68
	s_addc_u32 s21, s1, 0
	s_and_b32 vcc_lo, exec_lo, s15
	s_lshr_b32 s24, s22, 16
	s_cbranch_vccnz .LBB182_15
; %bb.1:
	s_waitcnt lgkmcnt(0)
	v_cmp_lt_i64_e64 s22, s[4:5], 1
	s_lshl_b32 s23, s24, 3
	s_delay_alu instid0(VALU_DEP_1)
	s_and_b32 vcc_lo, exec_lo, s22
	s_add_i32 s22, s23, 0
	s_cbranch_vccnz .LBB182_14
; %bb.2:
	v_mad_u64_u32 v[3:4], null, v1, s12, 0
	v_mov_b32_e32 v11, v0
	s_delay_alu instid0(VALU_DEP_2) | instskip(NEXT) | instid1(VALU_DEP_1)
	v_mov_b32_e32 v2, v4
	v_mad_u64_u32 v[4:5], null, v1, s13, v[2:3]
	v_dual_mov_b32 v2, 0 :: v_dual_lshlrev_b32 v5, 3, v1
	s_delay_alu instid0(VALU_DEP_1) | instskip(NEXT) | instid1(VALU_DEP_3)
	v_add_co_u32 v9, s2, s2, v5
	v_lshlrev_b64 v[3:4], 3, v[3:4]
	v_add_co_ci_u32_e64 v10, null, s3, 0, s2
	s_delay_alu instid0(VALU_DEP_4) | instskip(SKIP_1) | instid1(VALU_DEP_4)
	v_cmp_le_u64_e32 vcc_lo, s[4:5], v[1:2]
	v_add_nc_u32_e32 v8, s22, v5
	v_add_co_u32 v2, s2, v9, v3
	s_delay_alu instid0(VALU_DEP_1)
	v_add_co_ci_u32_e64 v3, s2, v10, v4, s2
	s_xor_b32 s23, vcc_lo, -1
	s_mov_b32 s2, s24
	s_branch .LBB182_6
.LBB182_3:                              ;   in Loop: Header=BB182_6 Depth=1
	s_or_b32 exec_lo, exec_lo, s26
	s_load_b32 s26, s[20:21], 0xc
	s_waitcnt lgkmcnt(0)
	s_and_b32 s26, s26, 0xffff
	s_delay_alu instid0(SALU_CYCLE_1) | instskip(NEXT) | instid1(VALU_DEP_1)
	v_mul_u32_u24_e32 v4, s26, v1
	v_lshl_add_u32 v4, v4, 3, v8
	ds_store_b64 v4, v[6:7]
.LBB182_4:                              ;   in Loop: Header=BB182_6 Depth=1
	s_or_b32 exec_lo, exec_lo, s25
.LBB182_5:                              ;   in Loop: Header=BB182_6 Depth=1
	s_delay_alu instid0(SALU_CYCLE_1) | instskip(SKIP_4) | instid1(VALU_DEP_1)
	s_or_b32 exec_lo, exec_lo, s3
	s_ashr_i32 s3, s2, 31
	v_add_nc_u32_e32 v11, s24, v11
	v_cmp_ge_i64_e64 s3, s[2:3], s[4:5]
	s_add_i32 s2, s2, s24
	s_and_b32 vcc_lo, exec_lo, s3
	s_cbranch_vccnz .LBB182_14
.LBB182_6:                              ; =>This Inner Loop Header: Depth=1
	v_cmp_gt_i32_e32 vcc_lo, v1, v11
	s_and_b32 s3, s23, vcc_lo
	s_delay_alu instid0(SALU_CYCLE_1) | instskip(NEXT) | instid1(SALU_CYCLE_1)
	s_and_saveexec_b32 s25, s3
	s_xor_b32 s3, exec_lo, s25
	s_cbranch_execz .LBB182_8
; %bb.7:                                ;   in Loop: Header=BB182_6 Depth=1
	v_ashrrev_i32_e32 v6, 31, v11
	v_mul_lo_u32 v7, v11, s13
	v_mad_u64_u32 v[4:5], null, v11, s12, 0
	s_load_b32 s25, s[20:21], 0xc
	s_delay_alu instid0(VALU_DEP_3) | instskip(NEXT) | instid1(VALU_DEP_1)
	v_mul_lo_u32 v6, v6, s12
	v_add3_u32 v5, v5, v7, v6
	s_delay_alu instid0(VALU_DEP_1) | instskip(SKIP_2) | instid1(VALU_DEP_1)
	v_lshlrev_b64 v[4:5], 3, v[4:5]
	s_waitcnt lgkmcnt(0)
	s_and_b32 s25, s25, 0xffff
	v_add_co_u32 v4, vcc_lo, v9, v4
	s_delay_alu instid0(VALU_DEP_2)
	v_add_co_ci_u32_e32 v5, vcc_lo, v10, v5, vcc_lo
	v_mul_lo_u32 v6, v11, s25
	global_load_b64 v[4:5], v[4:5], off
	v_lshl_add_u32 v6, v6, 3, v8
	s_waitcnt vmcnt(0)
	ds_store_b64 v6, v[4:5]
.LBB182_8:                              ;   in Loop: Header=BB182_6 Depth=1
	s_and_not1_saveexec_b32 s3, s3
	s_cbranch_execz .LBB182_5
; %bb.9:                                ;   in Loop: Header=BB182_6 Depth=1
	v_cmp_eq_u32_e32 vcc_lo, v1, v11
	s_and_b32 s26, s23, vcc_lo
	s_delay_alu instid0(SALU_CYCLE_1)
	s_and_saveexec_b32 s25, s26
	s_cbranch_execz .LBB182_4
; %bb.10:                               ;   in Loop: Header=BB182_6 Depth=1
	global_load_b64 v[4:5], v[2:3], off
	s_waitcnt vmcnt(0)
	v_cmp_gt_f32_e32 vcc_lo, 0, v4
	v_cndmask_b32_e64 v6, v4, -v4, vcc_lo
	v_cmp_gt_f32_e32 vcc_lo, 0, v5
	v_cndmask_b32_e64 v7, v5, -v5, vcc_lo
	s_delay_alu instid0(VALU_DEP_1) | instskip(SKIP_1) | instid1(SALU_CYCLE_1)
	v_cmp_ngt_f32_e32 vcc_lo, v6, v7
                                        ; implicit-def: $vgpr6
	s_and_saveexec_b32 s26, vcc_lo
	s_xor_b32 s26, exec_lo, s26
	s_cbranch_execz .LBB182_12
; %bb.11:                               ;   in Loop: Header=BB182_6 Depth=1
	v_div_scale_f32 v6, null, v5, v5, v4
	v_div_scale_f32 v13, vcc_lo, v4, v5, v4
	s_delay_alu instid0(VALU_DEP_2) | instskip(SKIP_2) | instid1(VALU_DEP_1)
	v_rcp_f32_e32 v7, v6
	s_waitcnt_depctr 0xfff
	v_fma_f32 v12, -v6, v7, 1.0
	v_fmac_f32_e32 v7, v12, v7
	s_delay_alu instid0(VALU_DEP_1) | instskip(NEXT) | instid1(VALU_DEP_1)
	v_mul_f32_e32 v12, v13, v7
	v_fma_f32 v14, -v6, v12, v13
	s_delay_alu instid0(VALU_DEP_1) | instskip(NEXT) | instid1(VALU_DEP_1)
	v_fmac_f32_e32 v12, v14, v7
	v_fma_f32 v6, -v6, v12, v13
	s_delay_alu instid0(VALU_DEP_1) | instskip(NEXT) | instid1(VALU_DEP_1)
	v_div_fmas_f32 v6, v6, v7, v12
	v_div_fixup_f32 v6, v6, v5, v4
	s_delay_alu instid0(VALU_DEP_1) | instskip(NEXT) | instid1(VALU_DEP_1)
	v_fmac_f32_e32 v5, v4, v6
	v_div_scale_f32 v4, null, v5, v5, 1.0
	v_div_scale_f32 v13, vcc_lo, 1.0, v5, 1.0
	s_delay_alu instid0(VALU_DEP_2) | instskip(SKIP_2) | instid1(VALU_DEP_1)
	v_rcp_f32_e32 v7, v4
	s_waitcnt_depctr 0xfff
	v_fma_f32 v12, -v4, v7, 1.0
	v_fmac_f32_e32 v7, v12, v7
	s_delay_alu instid0(VALU_DEP_1) | instskip(NEXT) | instid1(VALU_DEP_1)
	v_mul_f32_e32 v12, v13, v7
	v_fma_f32 v14, -v4, v12, v13
	s_delay_alu instid0(VALU_DEP_1) | instskip(NEXT) | instid1(VALU_DEP_1)
	v_fmac_f32_e32 v12, v14, v7
	v_fma_f32 v4, -v4, v12, v13
	s_delay_alu instid0(VALU_DEP_1) | instskip(NEXT) | instid1(VALU_DEP_1)
	v_div_fmas_f32 v4, v4, v7, v12
	v_div_fixup_f32 v4, v4, v5, 1.0
	s_delay_alu instid0(VALU_DEP_1)
	v_mul_f32_e32 v6, v6, v4
	v_xor_b32_e32 v7, 0x80000000, v4
                                        ; implicit-def: $vgpr4_vgpr5
.LBB182_12:                             ;   in Loop: Header=BB182_6 Depth=1
	s_and_not1_saveexec_b32 s26, s26
	s_cbranch_execz .LBB182_3
; %bb.13:                               ;   in Loop: Header=BB182_6 Depth=1
	v_div_scale_f32 v6, null, v4, v4, v5
	v_div_scale_f32 v13, vcc_lo, v5, v4, v5
	s_delay_alu instid0(VALU_DEP_2) | instskip(SKIP_2) | instid1(VALU_DEP_1)
	v_rcp_f32_e32 v7, v6
	s_waitcnt_depctr 0xfff
	v_fma_f32 v12, -v6, v7, 1.0
	v_fmac_f32_e32 v7, v12, v7
	s_delay_alu instid0(VALU_DEP_1) | instskip(NEXT) | instid1(VALU_DEP_1)
	v_mul_f32_e32 v12, v13, v7
	v_fma_f32 v14, -v6, v12, v13
	s_delay_alu instid0(VALU_DEP_1) | instskip(NEXT) | instid1(VALU_DEP_1)
	v_fmac_f32_e32 v12, v14, v7
	v_fma_f32 v6, -v6, v12, v13
	s_delay_alu instid0(VALU_DEP_1) | instskip(NEXT) | instid1(VALU_DEP_1)
	v_div_fmas_f32 v6, v6, v7, v12
	v_div_fixup_f32 v7, v6, v4, v5
	s_delay_alu instid0(VALU_DEP_1) | instskip(NEXT) | instid1(VALU_DEP_1)
	v_fmac_f32_e32 v4, v5, v7
	v_div_scale_f32 v5, null, v4, v4, 1.0
	s_delay_alu instid0(VALU_DEP_1) | instskip(SKIP_2) | instid1(VALU_DEP_1)
	v_rcp_f32_e32 v6, v5
	s_waitcnt_depctr 0xfff
	v_fma_f32 v12, -v5, v6, 1.0
	v_fmac_f32_e32 v6, v12, v6
	v_div_scale_f32 v12, vcc_lo, 1.0, v4, 1.0
	s_delay_alu instid0(VALU_DEP_1) | instskip(NEXT) | instid1(VALU_DEP_1)
	v_mul_f32_e32 v13, v12, v6
	v_fma_f32 v14, -v5, v13, v12
	s_delay_alu instid0(VALU_DEP_1) | instskip(NEXT) | instid1(VALU_DEP_1)
	v_fmac_f32_e32 v13, v14, v6
	v_fma_f32 v5, -v5, v13, v12
	s_delay_alu instid0(VALU_DEP_1) | instskip(NEXT) | instid1(VALU_DEP_1)
	v_div_fmas_f32 v5, v5, v6, v13
	v_div_fixup_f32 v6, v5, v4, 1.0
	s_delay_alu instid0(VALU_DEP_1)
	v_mul_f32_e64 v7, v7, -v6
	s_branch .LBB182_3
.LBB182_14:
	s_load_b32 s12, s[20:21], 0xc
	s_mov_b64 s[2:3], src_shared_base
	s_mov_b32 s13, 0
	s_mov_b32 s23, s3
	s_delay_alu instid0(SALU_CYCLE_1)
	s_mov_b64 s[2:3], s[22:23]
	s_waitcnt lgkmcnt(0)
	s_and_b32 s12, s12, 0xffff
.LBB182_15:
	v_mad_u64_u32 v[3:4], null, s14, s24, v[0:1]
	v_mov_b32_e32 v4, 0
	s_waitcnt lgkmcnt(0)
	s_delay_alu instid0(VALU_DEP_1)
	v_cmp_gt_i64_e32 vcc_lo, s[6:7], v[3:4]
	s_and_saveexec_b32 s6, vcc_lo
	s_cbranch_execz .LBB182_43
; %bb.16:
	v_mov_b32_e32 v2, v4
	s_delay_alu instid0(VALU_DEP_1)
	v_cmp_gt_i64_e32 vcc_lo, s[4:5], v[1:2]
	s_and_b32 exec_lo, exec_lo, vcc_lo
	s_cbranch_execz .LBB182_43
; %bb.17:
	v_mad_u64_u32 v[5:6], null, v1, s18, 0
	s_lshl_b64 s[6:7], s[10:11], 3
	v_lshlrev_b64 v[3:4], 3, v[3:4]
	s_add_u32 s6, s16, s6
	s_addc_u32 s7, s17, s7
	s_delay_alu instid0(VALU_DEP_2) | instskip(NEXT) | instid1(VALU_DEP_1)
	v_mad_u64_u32 v[7:8], null, v1, s19, v[6:7]
	v_mov_b32_e32 v6, v7
	s_delay_alu instid0(VALU_DEP_1) | instskip(NEXT) | instid1(VALU_DEP_1)
	v_lshlrev_b64 v[5:6], 3, v[5:6]
	v_add_co_u32 v5, vcc_lo, s6, v5
	s_delay_alu instid0(VALU_DEP_2) | instskip(SKIP_1) | instid1(VALU_DEP_3)
	v_add_co_ci_u32_e32 v6, vcc_lo, s7, v6, vcc_lo
	v_cmp_lt_u64_e64 s6, s[4:5], 2
	v_add_co_u32 v3, vcc_lo, v5, v3
	s_delay_alu instid0(VALU_DEP_3) | instskip(SKIP_2) | instid1(VALU_DEP_3)
	v_add_co_ci_u32_e32 v4, vcc_lo, v6, v4, vcc_lo
	s_add_u32 s4, s4, -1
	s_addc_u32 s5, s5, -1
	s_and_b32 vcc_lo, exec_lo, s6
	global_load_b64 v[7:8], v[3:4], off
	s_waitcnt vmcnt(0)
	v_mul_f32_e32 v5, s9, v8
	v_mul_f32_e32 v6, s8, v8
	s_delay_alu instid0(VALU_DEP_2) | instskip(NEXT) | instid1(VALU_DEP_2)
	v_fma_f32 v5, s8, v7, -v5
	v_fmac_f32_e32 v6, s9, v7
	s_cbranch_vccnz .LBB182_34
; %bb.18:
	v_mad_u64_u32 v[7:8], null, v1, s12, v[1:2]
	s_load_b32 s0, s[0:1], 0x0
	v_lshl_add_u32 v0, v0, 3, 0
	s_mov_b64 s[6:7], 0
	v_lshlrev_b32_e32 v11, 3, v1
	s_delay_alu instid0(VALU_DEP_3) | instskip(NEXT) | instid1(VALU_DEP_1)
	v_mad_u64_u32 v[9:10], null, v1, s13, v[8:9]
	v_mov_b32_e32 v8, v9
	s_delay_alu instid0(VALU_DEP_1) | instskip(NEXT) | instid1(VALU_DEP_4)
	v_lshlrev_b64 v[9:10], 3, v[7:8]
	v_add_co_u32 v7, s1, s2, v11
	s_delay_alu instid0(VALU_DEP_1) | instskip(SKIP_2) | instid1(VALU_DEP_3)
	v_add_co_ci_u32_e64 v8, null, s3, 0, s1
	s_waitcnt lgkmcnt(0)
	s_cmpk_lg_i32 s0, 0x71
	v_add_co_u32 v9, vcc_lo, s2, v9
	v_add_co_ci_u32_e32 v10, vcc_lo, s3, v10, vcc_lo
	s_cselect_b32 s8, -1, 0
	s_lshl_b64 s[0:1], s[12:13], 3
	s_branch .LBB182_21
.LBB182_19:                             ;   in Loop: Header=BB182_21 Depth=1
	ds_load_b64 v[13:14], v0
	s_waitcnt vmcnt(0) lgkmcnt(0)
	v_mul_f32_e32 v15, v14, v12
	v_mul_f32_e32 v14, v14, v11
	s_delay_alu instid0(VALU_DEP_2) | instskip(NEXT) | instid1(VALU_DEP_2)
	v_fma_f32 v11, v13, v11, -v15
	v_fmac_f32_e32 v14, v13, v12
	s_delay_alu instid0(VALU_DEP_1)
	v_dual_sub_f32 v5, v5, v11 :: v_dual_sub_f32 v6, v6, v14
.LBB182_20:                             ;   in Loop: Header=BB182_21 Depth=1
	s_or_b32 exec_lo, exec_lo, s9
	v_add_co_u32 v7, vcc_lo, v7, s0
	s_add_u32 s6, s6, 1
	v_add_co_ci_u32_e32 v8, vcc_lo, s1, v8, vcc_lo
	s_addc_u32 s7, s7, 0
	s_delay_alu instid0(SALU_CYCLE_1)
	s_cmp_eq_u64 s[4:5], s[6:7]
	s_cbranch_scc1 .LBB182_34
.LBB182_21:                             ; =>This Inner Loop Header: Depth=1
	s_mov_b32 s9, exec_lo
	s_barrier
	buffer_gl0_inv
	v_cmpx_eq_u64_e64 s[6:7], v[1:2]
	s_cbranch_execz .LBB182_29
; %bb.22:                               ;   in Loop: Header=BB182_21 Depth=1
	flat_load_b64 v[11:12], v[9:10]
	s_and_not1_b32 vcc_lo, exec_lo, s15
	s_cbranch_vccnz .LBB182_28
; %bb.23:                               ;   in Loop: Header=BB182_21 Depth=1
	s_waitcnt vmcnt(0) lgkmcnt(0)
	v_cmp_gt_f32_e32 vcc_lo, 0, v11
	s_mov_b32 s10, exec_lo
	v_cndmask_b32_e64 v13, v11, -v11, vcc_lo
	v_cmp_gt_f32_e32 vcc_lo, 0, v12
	v_cndmask_b32_e64 v14, v12, -v12, vcc_lo
	s_delay_alu instid0(VALU_DEP_1)
	v_cmpx_ngt_f32_e32 v13, v14
	s_xor_b32 s10, exec_lo, s10
	s_cbranch_execz .LBB182_25
; %bb.24:                               ;   in Loop: Header=BB182_21 Depth=1
	v_div_scale_f32 v13, null, v12, v12, v11
	v_div_scale_f32 v16, vcc_lo, v11, v12, v11
	s_delay_alu instid0(VALU_DEP_2) | instskip(SKIP_2) | instid1(VALU_DEP_1)
	v_rcp_f32_e32 v14, v13
	s_waitcnt_depctr 0xfff
	v_fma_f32 v15, -v13, v14, 1.0
	v_fmac_f32_e32 v14, v15, v14
	s_delay_alu instid0(VALU_DEP_1) | instskip(NEXT) | instid1(VALU_DEP_1)
	v_mul_f32_e32 v15, v16, v14
	v_fma_f32 v17, -v13, v15, v16
	s_delay_alu instid0(VALU_DEP_1) | instskip(NEXT) | instid1(VALU_DEP_1)
	v_fmac_f32_e32 v15, v17, v14
	v_fma_f32 v13, -v13, v15, v16
	s_delay_alu instid0(VALU_DEP_1) | instskip(NEXT) | instid1(VALU_DEP_1)
	v_div_fmas_f32 v13, v13, v14, v15
	v_div_fixup_f32 v13, v13, v12, v11
	s_delay_alu instid0(VALU_DEP_1) | instskip(NEXT) | instid1(VALU_DEP_1)
	v_fmac_f32_e32 v12, v11, v13
	v_div_scale_f32 v11, null, v12, v12, 1.0
	v_div_scale_f32 v16, vcc_lo, 1.0, v12, 1.0
	s_delay_alu instid0(VALU_DEP_2) | instskip(SKIP_2) | instid1(VALU_DEP_1)
	v_rcp_f32_e32 v14, v11
	s_waitcnt_depctr 0xfff
	v_fma_f32 v15, -v11, v14, 1.0
	v_fmac_f32_e32 v14, v15, v14
	s_delay_alu instid0(VALU_DEP_1) | instskip(NEXT) | instid1(VALU_DEP_1)
	v_mul_f32_e32 v15, v16, v14
	v_fma_f32 v17, -v11, v15, v16
	s_delay_alu instid0(VALU_DEP_1) | instskip(NEXT) | instid1(VALU_DEP_1)
	v_fmac_f32_e32 v15, v17, v14
	v_fma_f32 v11, -v11, v15, v16
	s_delay_alu instid0(VALU_DEP_1) | instskip(NEXT) | instid1(VALU_DEP_1)
	v_div_fmas_f32 v11, v11, v14, v15
	v_div_fixup_f32 v12, v11, v12, 1.0
	s_delay_alu instid0(VALU_DEP_1)
	v_mul_f32_e32 v11, v13, v12
	v_xor_b32_e32 v12, 0x80000000, v12
.LBB182_25:                             ;   in Loop: Header=BB182_21 Depth=1
	s_and_not1_saveexec_b32 s10, s10
	s_cbranch_execz .LBB182_27
; %bb.26:                               ;   in Loop: Header=BB182_21 Depth=1
	s_delay_alu instid0(VALU_DEP_1) | instskip(SKIP_1) | instid1(VALU_DEP_2)
	v_div_scale_f32 v13, null, v11, v11, v12
	v_div_scale_f32 v16, vcc_lo, v12, v11, v12
	v_rcp_f32_e32 v14, v13
	s_waitcnt_depctr 0xfff
	v_fma_f32 v15, -v13, v14, 1.0
	s_delay_alu instid0(VALU_DEP_1) | instskip(NEXT) | instid1(VALU_DEP_1)
	v_fmac_f32_e32 v14, v15, v14
	v_mul_f32_e32 v15, v16, v14
	s_delay_alu instid0(VALU_DEP_1) | instskip(NEXT) | instid1(VALU_DEP_1)
	v_fma_f32 v17, -v13, v15, v16
	v_fmac_f32_e32 v15, v17, v14
	s_delay_alu instid0(VALU_DEP_1) | instskip(NEXT) | instid1(VALU_DEP_1)
	v_fma_f32 v13, -v13, v15, v16
	v_div_fmas_f32 v13, v13, v14, v15
	s_delay_alu instid0(VALU_DEP_1) | instskip(NEXT) | instid1(VALU_DEP_1)
	v_div_fixup_f32 v13, v13, v11, v12
	v_fmac_f32_e32 v11, v12, v13
	s_delay_alu instid0(VALU_DEP_1) | instskip(NEXT) | instid1(VALU_DEP_1)
	v_div_scale_f32 v12, null, v11, v11, 1.0
	v_rcp_f32_e32 v14, v12
	s_waitcnt_depctr 0xfff
	v_fma_f32 v15, -v12, v14, 1.0
	s_delay_alu instid0(VALU_DEP_1) | instskip(SKIP_1) | instid1(VALU_DEP_1)
	v_fmac_f32_e32 v14, v15, v14
	v_div_scale_f32 v15, vcc_lo, 1.0, v11, 1.0
	v_mul_f32_e32 v16, v15, v14
	s_delay_alu instid0(VALU_DEP_1) | instskip(NEXT) | instid1(VALU_DEP_1)
	v_fma_f32 v17, -v12, v16, v15
	v_fmac_f32_e32 v16, v17, v14
	s_delay_alu instid0(VALU_DEP_1) | instskip(NEXT) | instid1(VALU_DEP_1)
	v_fma_f32 v12, -v12, v16, v15
	v_div_fmas_f32 v12, v12, v14, v16
	s_delay_alu instid0(VALU_DEP_1) | instskip(NEXT) | instid1(VALU_DEP_1)
	v_div_fixup_f32 v11, v12, v11, 1.0
	v_mul_f32_e64 v12, v13, -v11
.LBB182_27:                             ;   in Loop: Header=BB182_21 Depth=1
	s_or_b32 exec_lo, exec_lo, s10
.LBB182_28:                             ;   in Loop: Header=BB182_21 Depth=1
	s_waitcnt vmcnt(0) lgkmcnt(0)
	s_delay_alu instid0(VALU_DEP_1) | instskip(SKIP_1) | instid1(VALU_DEP_2)
	v_mul_f32_e32 v13, v5, v12
	v_mul_f32_e32 v12, v6, v12
	v_fmac_f32_e32 v13, v6, v11
	s_delay_alu instid0(VALU_DEP_2) | instskip(NEXT) | instid1(VALU_DEP_1)
	v_fma_f32 v12, v5, v11, -v12
	v_dual_mov_b32 v6, v13 :: v_dual_mov_b32 v5, v12
	ds_store_b64 v0, v[12:13]
.LBB182_29:                             ;   in Loop: Header=BB182_21 Depth=1
	s_or_b32 exec_lo, exec_lo, s9
	s_delay_alu instid0(SALU_CYCLE_1)
	s_mov_b32 s9, exec_lo
	s_waitcnt lgkmcnt(0)
	s_barrier
	buffer_gl0_inv
	v_cmpx_lt_u64_e64 s[6:7], v[1:2]
	s_cbranch_execz .LBB182_20
; %bb.30:                               ;   in Loop: Header=BB182_21 Depth=1
	s_and_b32 vcc_lo, exec_lo, s8
	s_cbranch_vccz .LBB182_32
; %bb.31:                               ;   in Loop: Header=BB182_21 Depth=1
	flat_load_b64 v[11:12], v[7:8]
	s_cbranch_execnz .LBB182_19
	s_branch .LBB182_33
.LBB182_32:                             ;   in Loop: Header=BB182_21 Depth=1
                                        ; implicit-def: $vgpr11
.LBB182_33:                             ;   in Loop: Header=BB182_21 Depth=1
	s_waitcnt vmcnt(0) lgkmcnt(0)
	flat_load_b64 v[11:12], v[7:8]
	s_waitcnt vmcnt(0) lgkmcnt(0)
	v_xor_b32_e32 v12, 0x80000000, v12
	s_branch .LBB182_19
.LBB182_34:
	s_mov_b32 s0, exec_lo
	v_cmpx_eq_u64_e64 s[4:5], v[1:2]
	s_cbranch_execz .LBB182_42
; %bb.35:
	v_mad_u64_u32 v[7:8], null, v1, s12, v[1:2]
	s_delay_alu instid0(VALU_DEP_1) | instskip(NEXT) | instid1(VALU_DEP_1)
	v_mov_b32_e32 v0, v8
	v_mad_u64_u32 v[8:9], null, v1, s13, v[0:1]
	s_delay_alu instid0(VALU_DEP_1) | instskip(NEXT) | instid1(VALU_DEP_1)
	v_lshlrev_b64 v[0:1], 3, v[7:8]
	v_add_co_u32 v0, vcc_lo, s2, v0
	s_delay_alu instid0(VALU_DEP_2)
	v_add_co_ci_u32_e32 v1, vcc_lo, s3, v1, vcc_lo
	s_and_not1_b32 vcc_lo, exec_lo, s15
	flat_load_b64 v[0:1], v[0:1]
	s_cbranch_vccnz .LBB182_41
; %bb.36:
	s_waitcnt vmcnt(0) lgkmcnt(0)
	v_cmp_gt_f32_e32 vcc_lo, 0, v0
	s_mov_b32 s1, exec_lo
	v_cndmask_b32_e64 v2, v0, -v0, vcc_lo
	v_cmp_gt_f32_e32 vcc_lo, 0, v1
	v_cndmask_b32_e64 v7, v1, -v1, vcc_lo
	s_delay_alu instid0(VALU_DEP_1)
	v_cmpx_ngt_f32_e32 v2, v7
	s_xor_b32 s1, exec_lo, s1
	s_cbranch_execz .LBB182_38
; %bb.37:
	v_div_scale_f32 v2, null, v1, v1, v0
	v_div_scale_f32 v9, vcc_lo, v0, v1, v0
	s_delay_alu instid0(VALU_DEP_2) | instskip(SKIP_2) | instid1(VALU_DEP_1)
	v_rcp_f32_e32 v7, v2
	s_waitcnt_depctr 0xfff
	v_fma_f32 v8, -v2, v7, 1.0
	v_fmac_f32_e32 v7, v8, v7
	s_delay_alu instid0(VALU_DEP_1) | instskip(NEXT) | instid1(VALU_DEP_1)
	v_mul_f32_e32 v8, v9, v7
	v_fma_f32 v10, -v2, v8, v9
	s_delay_alu instid0(VALU_DEP_1) | instskip(NEXT) | instid1(VALU_DEP_1)
	v_fmac_f32_e32 v8, v10, v7
	v_fma_f32 v2, -v2, v8, v9
	s_delay_alu instid0(VALU_DEP_1) | instskip(NEXT) | instid1(VALU_DEP_1)
	v_div_fmas_f32 v2, v2, v7, v8
	v_div_fixup_f32 v2, v2, v1, v0
	s_delay_alu instid0(VALU_DEP_1) | instskip(NEXT) | instid1(VALU_DEP_1)
	v_fmac_f32_e32 v1, v0, v2
	v_div_scale_f32 v0, null, v1, v1, 1.0
	v_div_scale_f32 v9, vcc_lo, 1.0, v1, 1.0
	s_delay_alu instid0(VALU_DEP_2) | instskip(SKIP_2) | instid1(VALU_DEP_1)
	v_rcp_f32_e32 v7, v0
	s_waitcnt_depctr 0xfff
	v_fma_f32 v8, -v0, v7, 1.0
	v_fmac_f32_e32 v7, v8, v7
	s_delay_alu instid0(VALU_DEP_1) | instskip(NEXT) | instid1(VALU_DEP_1)
	v_mul_f32_e32 v8, v9, v7
	v_fma_f32 v10, -v0, v8, v9
	s_delay_alu instid0(VALU_DEP_1) | instskip(NEXT) | instid1(VALU_DEP_1)
	v_fmac_f32_e32 v8, v10, v7
	v_fma_f32 v0, -v0, v8, v9
	s_delay_alu instid0(VALU_DEP_1) | instskip(NEXT) | instid1(VALU_DEP_1)
	v_div_fmas_f32 v0, v0, v7, v8
	v_div_fixup_f32 v1, v0, v1, 1.0
	s_delay_alu instid0(VALU_DEP_1)
	v_mul_f32_e32 v0, v2, v1
	v_xor_b32_e32 v1, 0x80000000, v1
.LBB182_38:
	s_and_not1_saveexec_b32 s1, s1
	s_cbranch_execz .LBB182_40
; %bb.39:
	s_delay_alu instid0(VALU_DEP_1) | instskip(SKIP_1) | instid1(VALU_DEP_2)
	v_div_scale_f32 v2, null, v0, v0, v1
	v_div_scale_f32 v9, vcc_lo, v1, v0, v1
	v_rcp_f32_e32 v7, v2
	s_waitcnt_depctr 0xfff
	v_fma_f32 v8, -v2, v7, 1.0
	s_delay_alu instid0(VALU_DEP_1) | instskip(NEXT) | instid1(VALU_DEP_1)
	v_fmac_f32_e32 v7, v8, v7
	v_mul_f32_e32 v8, v9, v7
	s_delay_alu instid0(VALU_DEP_1) | instskip(NEXT) | instid1(VALU_DEP_1)
	v_fma_f32 v10, -v2, v8, v9
	v_fmac_f32_e32 v8, v10, v7
	s_delay_alu instid0(VALU_DEP_1) | instskip(NEXT) | instid1(VALU_DEP_1)
	v_fma_f32 v2, -v2, v8, v9
	v_div_fmas_f32 v2, v2, v7, v8
	s_delay_alu instid0(VALU_DEP_1) | instskip(NEXT) | instid1(VALU_DEP_1)
	v_div_fixup_f32 v2, v2, v0, v1
	v_fmac_f32_e32 v0, v1, v2
	s_delay_alu instid0(VALU_DEP_1) | instskip(NEXT) | instid1(VALU_DEP_1)
	v_div_scale_f32 v1, null, v0, v0, 1.0
	v_rcp_f32_e32 v7, v1
	s_waitcnt_depctr 0xfff
	v_fma_f32 v8, -v1, v7, 1.0
	s_delay_alu instid0(VALU_DEP_1) | instskip(SKIP_1) | instid1(VALU_DEP_1)
	v_fmac_f32_e32 v7, v8, v7
	v_div_scale_f32 v8, vcc_lo, 1.0, v0, 1.0
	v_mul_f32_e32 v9, v8, v7
	s_delay_alu instid0(VALU_DEP_1) | instskip(NEXT) | instid1(VALU_DEP_1)
	v_fma_f32 v10, -v1, v9, v8
	v_fmac_f32_e32 v9, v10, v7
	s_delay_alu instid0(VALU_DEP_1) | instskip(NEXT) | instid1(VALU_DEP_1)
	v_fma_f32 v1, -v1, v9, v8
	v_div_fmas_f32 v1, v1, v7, v9
	s_delay_alu instid0(VALU_DEP_1) | instskip(NEXT) | instid1(VALU_DEP_1)
	v_div_fixup_f32 v0, v1, v0, 1.0
	v_mul_f32_e64 v1, v2, -v0
.LBB182_40:
	s_or_b32 exec_lo, exec_lo, s1
.LBB182_41:
	s_waitcnt vmcnt(0) lgkmcnt(0)
	s_delay_alu instid0(VALU_DEP_1) | instskip(SKIP_1) | instid1(VALU_DEP_2)
	v_mul_f32_e32 v2, v6, v1
	v_mul_f32_e32 v6, v6, v0
	v_fma_f32 v0, v5, v0, -v2
	s_delay_alu instid0(VALU_DEP_1)
	v_dual_fmac_f32 v6, v5, v1 :: v_dual_mov_b32 v5, v0
.LBB182_42:
	s_or_b32 exec_lo, exec_lo, s0
	global_store_b64 v[3:4], v[5:6], off
.LBB182_43:
	s_nop 0
	s_sendmsg sendmsg(MSG_DEALLOC_VGPRS)
	s_endpgm
	.section	.rodata,"a",@progbits
	.p2align	6, 0x0
	.amdhsa_kernel _ZL39rocblas_trsm_block_forward_substitutionI19rocblas_complex_numIfES1_PKPKS1_PKPS1_Lb0ELb1ELb0EEv18rocblas_operation_llT0_T1_lllT2_lllib
		.amdhsa_group_segment_fixed_size 0
		.amdhsa_private_segment_fixed_size 0
		.amdhsa_kernarg_size 360
		.amdhsa_user_sgpr_count 13
		.amdhsa_user_sgpr_dispatch_ptr 0
		.amdhsa_user_sgpr_queue_ptr 0
		.amdhsa_user_sgpr_kernarg_segment_ptr 1
		.amdhsa_user_sgpr_dispatch_id 0
		.amdhsa_user_sgpr_private_segment_size 0
		.amdhsa_wavefront_size32 1
		.amdhsa_uses_dynamic_stack 0
		.amdhsa_enable_private_segment 0
		.amdhsa_system_sgpr_workgroup_id_x 1
		.amdhsa_system_sgpr_workgroup_id_y 1
		.amdhsa_system_sgpr_workgroup_id_z 1
		.amdhsa_system_sgpr_workgroup_info 0
		.amdhsa_system_vgpr_workitem_id 1
		.amdhsa_next_free_vgpr 18
		.amdhsa_next_free_sgpr 27
		.amdhsa_reserve_vcc 1
		.amdhsa_float_round_mode_32 0
		.amdhsa_float_round_mode_16_64 0
		.amdhsa_float_denorm_mode_32 3
		.amdhsa_float_denorm_mode_16_64 3
		.amdhsa_dx10_clamp 1
		.amdhsa_ieee_mode 1
		.amdhsa_fp16_overflow 0
		.amdhsa_workgroup_processor_mode 1
		.amdhsa_memory_ordered 1
		.amdhsa_forward_progress 0
		.amdhsa_shared_vgpr_count 0
		.amdhsa_exception_fp_ieee_invalid_op 0
		.amdhsa_exception_fp_denorm_src 0
		.amdhsa_exception_fp_ieee_div_zero 0
		.amdhsa_exception_fp_ieee_overflow 0
		.amdhsa_exception_fp_ieee_underflow 0
		.amdhsa_exception_fp_ieee_inexact 0
		.amdhsa_exception_int_div_zero 0
	.end_amdhsa_kernel
	.section	.text._ZL39rocblas_trsm_block_forward_substitutionI19rocblas_complex_numIfES1_PKPKS1_PKPS1_Lb0ELb1ELb0EEv18rocblas_operation_llT0_T1_lllT2_lllib,"axG",@progbits,_ZL39rocblas_trsm_block_forward_substitutionI19rocblas_complex_numIfES1_PKPKS1_PKPS1_Lb0ELb1ELb0EEv18rocblas_operation_llT0_T1_lllT2_lllib,comdat
.Lfunc_end182:
	.size	_ZL39rocblas_trsm_block_forward_substitutionI19rocblas_complex_numIfES1_PKPKS1_PKPS1_Lb0ELb1ELb0EEv18rocblas_operation_llT0_T1_lllT2_lllib, .Lfunc_end182-_ZL39rocblas_trsm_block_forward_substitutionI19rocblas_complex_numIfES1_PKPKS1_PKPS1_Lb0ELb1ELb0EEv18rocblas_operation_llT0_T1_lllT2_lllib
                                        ; -- End function
	.section	.AMDGPU.csdata,"",@progbits
; Kernel info:
; codeLenInByte = 2784
; NumSgprs: 29
; NumVgprs: 18
; ScratchSize: 0
; MemoryBound: 0
; FloatMode: 240
; IeeeMode: 1
; LDSByteSize: 0 bytes/workgroup (compile time only)
; SGPRBlocks: 3
; VGPRBlocks: 2
; NumSGPRsForWavesPerEU: 29
; NumVGPRsForWavesPerEU: 18
; Occupancy: 16
; WaveLimiterHint : 1
; COMPUTE_PGM_RSRC2:SCRATCH_EN: 0
; COMPUTE_PGM_RSRC2:USER_SGPR: 13
; COMPUTE_PGM_RSRC2:TRAP_HANDLER: 0
; COMPUTE_PGM_RSRC2:TGID_X_EN: 1
; COMPUTE_PGM_RSRC2:TGID_Y_EN: 1
; COMPUTE_PGM_RSRC2:TGID_Z_EN: 1
; COMPUTE_PGM_RSRC2:TIDIG_COMP_CNT: 1
	.section	.text._ZL40rocblas_trsm_block_backward_substitutionI19rocblas_complex_numIfES1_PKPKS1_PKPS1_Lb0ELb1ELb0EEv18rocblas_operation_llT0_T1_lllT2_lllib,"axG",@progbits,_ZL40rocblas_trsm_block_backward_substitutionI19rocblas_complex_numIfES1_PKPKS1_PKPS1_Lb0ELb1ELb0EEv18rocblas_operation_llT0_T1_lllT2_lllib,comdat
	.globl	_ZL40rocblas_trsm_block_backward_substitutionI19rocblas_complex_numIfES1_PKPKS1_PKPS1_Lb0ELb1ELb0EEv18rocblas_operation_llT0_T1_lllT2_lllib ; -- Begin function _ZL40rocblas_trsm_block_backward_substitutionI19rocblas_complex_numIfES1_PKPKS1_PKPS1_Lb0ELb1ELb0EEv18rocblas_operation_llT0_T1_lllT2_lllib
	.p2align	8
	.type	_ZL40rocblas_trsm_block_backward_substitutionI19rocblas_complex_numIfES1_PKPKS1_PKPS1_Lb0ELb1ELb0EEv18rocblas_operation_llT0_T1_lllT2_lllib,@function
_ZL40rocblas_trsm_block_backward_substitutionI19rocblas_complex_numIfES1_PKPKS1_PKPS1_Lb0ELb1ELb0EEv18rocblas_operation_llT0_T1_lllT2_lllib: ; @_ZL40rocblas_trsm_block_backward_substitutionI19rocblas_complex_numIfES1_PKPKS1_PKPS1_Lb0ELb1ELb0EEv18rocblas_operation_llT0_T1_lllT2_lllib
; %bb.0:
	s_clause 0x1
	s_load_b32 s8, s[0:1], 0x64
	s_load_b128 s[4:7], s[0:1], 0x20
	s_mov_b32 s2, s15
	s_mov_b32 s3, 0
	s_clause 0x2
	s_load_b32 s24, s[0:1], 0x74
	s_load_b64 s[20:21], s[0:1], 0x50
	s_load_b64 s[26:27], s[0:1], 0x30
	v_and_b32_e32 v1, 0x3ff, v0
	v_bfe_u32 v0, v0, 10, 10
	s_waitcnt lgkmcnt(0)
	s_bitcmp1_b32 s8, 0
	s_cselect_b32 s8, -1, 0
	s_lshl_b64 s[12:13], s[2:3], 3
	s_xor_b32 s15, s8, -1
	s_add_u32 s2, s4, s12
	s_addc_u32 s3, s5, s13
	s_lshl_b64 s[4:5], s[6:7], 3
	s_load_b64 s[2:3], s[2:3], 0x0
	s_load_b128 s[8:11], s[0:1], 0x40
	s_waitcnt lgkmcnt(0)
	s_add_u32 s2, s2, s4
	s_addc_u32 s3, s3, s5
	s_add_u32 s8, s8, s12
	s_addc_u32 s9, s9, s13
	s_clause 0x1
	s_load_b128 s[4:7], s[0:1], 0x8
	s_load_b64 s[16:17], s[0:1], 0x18
	s_load_b64 s[18:19], s[8:9], 0x0
	s_add_u32 s22, s0, 0x68
	s_addc_u32 s23, s1, 0
	s_lshr_b32 s28, s24, 16
	s_and_b32 vcc_lo, exec_lo, s15
	s_mov_b64 s[12:13], 1
	s_cbranch_vccnz .LBB183_15
; %bb.1:
	s_waitcnt lgkmcnt(0)
	v_cmp_lt_i64_e64 s8, s[4:5], 1
	s_lshl_b32 s9, s28, 3
	s_delay_alu instid0(SALU_CYCLE_1) | instskip(NEXT) | instid1(VALU_DEP_1)
	s_add_i32 s24, s9, 0
	s_and_b32 vcc_lo, exec_lo, s8
	s_mov_b64 s[8:9], 1
	s_cbranch_vccnz .LBB183_16
; %bb.2:
	v_mad_u64_u32 v[3:4], null, v1, s26, 0
	s_mov_b32 s12, s28
	s_delay_alu instid0(VALU_DEP_1) | instskip(NEXT) | instid1(VALU_DEP_1)
	v_mov_b32_e32 v2, v4
	v_mad_u64_u32 v[4:5], null, v1, s27, v[2:3]
	v_dual_mov_b32 v2, 0 :: v_dual_lshlrev_b32 v5, 3, v1
	s_delay_alu instid0(VALU_DEP_1) | instskip(NEXT) | instid1(VALU_DEP_3)
	v_add_nc_u32_e32 v9, s24, v5
	v_lshlrev_b64 v[3:4], 3, v[3:4]
	s_delay_alu instid0(VALU_DEP_3) | instskip(NEXT) | instid1(VALU_DEP_2)
	v_cmp_le_u64_e64 s25, s[4:5], v[1:2]
	v_add_co_u32 v10, vcc_lo, s2, v3
	s_delay_alu instid0(VALU_DEP_3) | instskip(SKIP_1) | instid1(VALU_DEP_3)
	v_add_co_ci_u32_e32 v11, vcc_lo, s3, v4, vcc_lo
	v_cmp_gt_u64_e64 s2, s[4:5], v[1:2]
	v_add_co_u32 v2, vcc_lo, v10, v5
	s_delay_alu instid0(VALU_DEP_3)
	v_add_co_ci_u32_e32 v3, vcc_lo, 0, v11, vcc_lo
	v_mov_b32_e32 v4, v0
	s_xor_b32 s26, s25, -1
	s_branch .LBB183_5
.LBB183_3:                              ;   in Loop: Header=BB183_5 Depth=1
	s_or_b32 exec_lo, exec_lo, s13
	s_load_b32 s13, s[22:23], 0xc
	s_waitcnt lgkmcnt(0)
	s_and_b32 s13, s13, 0xffff
	s_delay_alu instid0(SALU_CYCLE_1) | instskip(NEXT) | instid1(VALU_DEP_1)
	v_mul_u32_u24_e32 v5, s13, v1
	v_lshl_add_u32 v5, v5, 3, v9
	ds_store_b64 v5, v[7:8]
.LBB183_4:                              ;   in Loop: Header=BB183_5 Depth=1
	s_or_b32 exec_lo, exec_lo, s3
	s_ashr_i32 s13, s12, 31
	v_add_nc_u32_e32 v4, s28, v4
	v_cmp_ge_i64_e64 s3, s[12:13], s[4:5]
	s_add_i32 s12, s12, s28
	s_delay_alu instid0(VALU_DEP_1)
	s_and_b32 vcc_lo, exec_lo, s3
	s_cbranch_vccnz .LBB183_16
.LBB183_5:                              ; =>This Inner Loop Header: Depth=1
	s_mov_b32 s27, s25
	s_and_saveexec_b32 s13, s2
	s_cbranch_execz .LBB183_9
; %bb.6:                                ;   in Loop: Header=BB183_5 Depth=1
	v_ashrrev_i32_e32 v5, 31, v4
	v_cmp_lt_i32_e64 s3, v1, v4
	s_mov_b32 s27, -1
	s_delay_alu instid0(VALU_DEP_2) | instskip(NEXT) | instid1(VALU_DEP_2)
	v_cmp_gt_i64_e32 vcc_lo, s[4:5], v[4:5]
	s_and_b32 s29, s3, vcc_lo
	s_delay_alu instid0(SALU_CYCLE_1)
	s_and_saveexec_b32 s3, s29
	s_cbranch_execz .LBB183_8
; %bb.7:                                ;   in Loop: Header=BB183_5 Depth=1
	v_lshlrev_b64 v[5:6], 3, v[4:5]
	s_load_b32 s27, s[22:23], 0xc
	s_delay_alu instid0(VALU_DEP_1) | instskip(NEXT) | instid1(VALU_DEP_2)
	v_add_co_u32 v5, vcc_lo, v10, v5
	v_add_co_ci_u32_e32 v6, vcc_lo, v11, v6, vcc_lo
	global_load_b64 v[5:6], v[5:6], off
	s_waitcnt lgkmcnt(0)
	s_and_b32 s27, s27, 0xffff
	s_delay_alu instid0(SALU_CYCLE_1) | instskip(SKIP_1) | instid1(VALU_DEP_1)
	v_mul_lo_u32 v7, v4, s27
	s_xor_b32 s27, exec_lo, -1
	v_lshl_add_u32 v7, v7, 3, v9
	s_waitcnt vmcnt(0)
	ds_store_b64 v7, v[5:6]
.LBB183_8:                              ;   in Loop: Header=BB183_5 Depth=1
	s_or_b32 exec_lo, exec_lo, s3
	s_delay_alu instid0(SALU_CYCLE_1) | instskip(SKIP_1) | instid1(SALU_CYCLE_1)
	s_and_not1_b32 s3, s25, exec_lo
	s_and_b32 s27, s27, exec_lo
	s_or_b32 s27, s3, s27
.LBB183_9:                              ;   in Loop: Header=BB183_5 Depth=1
	s_or_b32 exec_lo, exec_lo, s13
	s_and_saveexec_b32 s3, s27
	s_cbranch_execz .LBB183_4
; %bb.10:                               ;   in Loop: Header=BB183_5 Depth=1
	v_cmp_eq_u32_e32 vcc_lo, v1, v4
	s_and_b32 s13, s26, vcc_lo
	s_delay_alu instid0(SALU_CYCLE_1)
	s_and_b32 exec_lo, exec_lo, s13
	s_cbranch_execz .LBB183_4
; %bb.11:                               ;   in Loop: Header=BB183_5 Depth=1
	global_load_b64 v[5:6], v[2:3], off
	s_waitcnt vmcnt(0)
	v_cmp_gt_f32_e32 vcc_lo, 0, v5
	v_cndmask_b32_e64 v7, v5, -v5, vcc_lo
	v_cmp_gt_f32_e32 vcc_lo, 0, v6
	v_cndmask_b32_e64 v8, v6, -v6, vcc_lo
	s_delay_alu instid0(VALU_DEP_1) | instskip(SKIP_1) | instid1(SALU_CYCLE_1)
	v_cmp_ngt_f32_e32 vcc_lo, v7, v8
                                        ; implicit-def: $vgpr7
	s_and_saveexec_b32 s13, vcc_lo
	s_xor_b32 s13, exec_lo, s13
	s_cbranch_execz .LBB183_13
; %bb.12:                               ;   in Loop: Header=BB183_5 Depth=1
	v_div_scale_f32 v7, null, v6, v6, v5
	v_div_scale_f32 v13, vcc_lo, v5, v6, v5
	s_delay_alu instid0(VALU_DEP_2) | instskip(SKIP_2) | instid1(VALU_DEP_1)
	v_rcp_f32_e32 v8, v7
	s_waitcnt_depctr 0xfff
	v_fma_f32 v12, -v7, v8, 1.0
	v_fmac_f32_e32 v8, v12, v8
	s_delay_alu instid0(VALU_DEP_1) | instskip(NEXT) | instid1(VALU_DEP_1)
	v_mul_f32_e32 v12, v13, v8
	v_fma_f32 v14, -v7, v12, v13
	s_delay_alu instid0(VALU_DEP_1) | instskip(NEXT) | instid1(VALU_DEP_1)
	v_fmac_f32_e32 v12, v14, v8
	v_fma_f32 v7, -v7, v12, v13
	s_delay_alu instid0(VALU_DEP_1) | instskip(NEXT) | instid1(VALU_DEP_1)
	v_div_fmas_f32 v7, v7, v8, v12
	v_div_fixup_f32 v7, v7, v6, v5
	s_delay_alu instid0(VALU_DEP_1) | instskip(NEXT) | instid1(VALU_DEP_1)
	v_fmac_f32_e32 v6, v5, v7
	v_div_scale_f32 v5, null, v6, v6, 1.0
	v_div_scale_f32 v13, vcc_lo, 1.0, v6, 1.0
	s_delay_alu instid0(VALU_DEP_2) | instskip(SKIP_2) | instid1(VALU_DEP_1)
	v_rcp_f32_e32 v8, v5
	s_waitcnt_depctr 0xfff
	v_fma_f32 v12, -v5, v8, 1.0
	v_fmac_f32_e32 v8, v12, v8
	s_delay_alu instid0(VALU_DEP_1) | instskip(NEXT) | instid1(VALU_DEP_1)
	v_mul_f32_e32 v12, v13, v8
	v_fma_f32 v14, -v5, v12, v13
	s_delay_alu instid0(VALU_DEP_1) | instskip(NEXT) | instid1(VALU_DEP_1)
	v_fmac_f32_e32 v12, v14, v8
	v_fma_f32 v5, -v5, v12, v13
	s_delay_alu instid0(VALU_DEP_1) | instskip(NEXT) | instid1(VALU_DEP_1)
	v_div_fmas_f32 v5, v5, v8, v12
	v_div_fixup_f32 v5, v5, v6, 1.0
	s_delay_alu instid0(VALU_DEP_1)
	v_mul_f32_e32 v7, v7, v5
	v_xor_b32_e32 v8, 0x80000000, v5
                                        ; implicit-def: $vgpr5_vgpr6
.LBB183_13:                             ;   in Loop: Header=BB183_5 Depth=1
	s_and_not1_saveexec_b32 s13, s13
	s_cbranch_execz .LBB183_3
; %bb.14:                               ;   in Loop: Header=BB183_5 Depth=1
	v_div_scale_f32 v7, null, v5, v5, v6
	v_div_scale_f32 v13, vcc_lo, v6, v5, v6
	s_delay_alu instid0(VALU_DEP_2) | instskip(SKIP_2) | instid1(VALU_DEP_1)
	v_rcp_f32_e32 v8, v7
	s_waitcnt_depctr 0xfff
	v_fma_f32 v12, -v7, v8, 1.0
	v_fmac_f32_e32 v8, v12, v8
	s_delay_alu instid0(VALU_DEP_1) | instskip(NEXT) | instid1(VALU_DEP_1)
	v_mul_f32_e32 v12, v13, v8
	v_fma_f32 v14, -v7, v12, v13
	s_delay_alu instid0(VALU_DEP_1) | instskip(NEXT) | instid1(VALU_DEP_1)
	v_fmac_f32_e32 v12, v14, v8
	v_fma_f32 v7, -v7, v12, v13
	s_delay_alu instid0(VALU_DEP_1) | instskip(NEXT) | instid1(VALU_DEP_1)
	v_div_fmas_f32 v7, v7, v8, v12
	v_div_fixup_f32 v8, v7, v5, v6
	s_delay_alu instid0(VALU_DEP_1) | instskip(NEXT) | instid1(VALU_DEP_1)
	v_fmac_f32_e32 v5, v6, v8
	v_div_scale_f32 v6, null, v5, v5, 1.0
	s_delay_alu instid0(VALU_DEP_1) | instskip(SKIP_2) | instid1(VALU_DEP_1)
	v_rcp_f32_e32 v7, v6
	s_waitcnt_depctr 0xfff
	v_fma_f32 v12, -v6, v7, 1.0
	v_fmac_f32_e32 v7, v12, v7
	v_div_scale_f32 v12, vcc_lo, 1.0, v5, 1.0
	s_delay_alu instid0(VALU_DEP_1) | instskip(NEXT) | instid1(VALU_DEP_1)
	v_mul_f32_e32 v13, v12, v7
	v_fma_f32 v14, -v6, v13, v12
	s_delay_alu instid0(VALU_DEP_1) | instskip(NEXT) | instid1(VALU_DEP_1)
	v_fmac_f32_e32 v13, v14, v7
	v_fma_f32 v6, -v6, v13, v12
	s_delay_alu instid0(VALU_DEP_1) | instskip(NEXT) | instid1(VALU_DEP_1)
	v_div_fmas_f32 v6, v6, v7, v13
	v_div_fixup_f32 v7, v6, v5, 1.0
	s_delay_alu instid0(VALU_DEP_1)
	v_mul_f32_e64 v8, v8, -v7
	s_branch .LBB183_3
.LBB183_15:
	s_mov_b64 s[8:9], s[26:27]
	s_branch .LBB183_17
.LBB183_16:
	s_load_b32 s12, s[22:23], 0xc
	s_mov_b64 s[2:3], src_shared_base
	s_mov_b32 s13, 0
	s_mov_b32 s25, s3
	s_delay_alu instid0(SALU_CYCLE_1)
	s_mov_b64 s[2:3], s[24:25]
	s_waitcnt lgkmcnt(0)
	s_and_b32 s12, s12, 0xffff
.LBB183_17:
	v_mad_u64_u32 v[3:4], null, s14, s28, v[0:1]
	v_mov_b32_e32 v4, 0
	s_waitcnt lgkmcnt(0)
	s_delay_alu instid0(VALU_DEP_1)
	v_cmp_gt_i64_e32 vcc_lo, s[6:7], v[3:4]
	s_and_saveexec_b32 s6, vcc_lo
	s_cbranch_execz .LBB183_46
; %bb.18:
	v_mov_b32_e32 v2, v4
	s_delay_alu instid0(VALU_DEP_1)
	v_cmp_gt_i64_e32 vcc_lo, s[4:5], v[1:2]
	s_and_b32 exec_lo, exec_lo, vcc_lo
	s_cbranch_execz .LBB183_46
; %bb.19:
	v_mad_u64_u32 v[4:5], null, v3, s20, 0
	s_lshl_b64 s[6:7], s[10:11], 3
	s_delay_alu instid0(SALU_CYCLE_1) | instskip(SKIP_1) | instid1(VALU_DEP_1)
	s_add_u32 s6, s18, s6
	s_addc_u32 s7, s19, s7
	v_mad_u64_u32 v[6:7], null, v3, s21, v[5:6]
	s_delay_alu instid0(VALU_DEP_1) | instskip(NEXT) | instid1(VALU_DEP_1)
	v_mov_b32_e32 v5, v6
	v_lshlrev_b64 v[3:4], 3, v[4:5]
	v_lshlrev_b32_e32 v5, 3, v1
	s_delay_alu instid0(VALU_DEP_2) | instskip(NEXT) | instid1(VALU_DEP_3)
	v_add_co_u32 v3, vcc_lo, s6, v3
	v_add_co_ci_u32_e32 v4, vcc_lo, s7, v4, vcc_lo
	v_cmp_lt_u64_e64 s6, s[4:5], 2
	s_delay_alu instid0(VALU_DEP_3) | instskip(NEXT) | instid1(VALU_DEP_3)
	v_add_co_u32 v3, vcc_lo, v3, v5
	v_add_co_ci_u32_e32 v4, vcc_lo, 0, v4, vcc_lo
	s_delay_alu instid0(VALU_DEP_3) | instskip(SKIP_4) | instid1(VALU_DEP_2)
	s_and_b32 vcc_lo, exec_lo, s6
	global_load_b64 v[7:8], v[3:4], off
	s_waitcnt vmcnt(0)
	v_mul_f32_e32 v5, s17, v8
	v_mul_f32_e32 v6, s16, v8
	v_fma_f32 v5, s16, v7, -v5
	s_delay_alu instid0(VALU_DEP_2)
	v_fmac_f32_e32 v6, s17, v7
	s_cbranch_vccnz .LBB183_37
; %bb.20:
	s_load_b32 s0, s[0:1], 0x0
	v_mad_u64_u32 v[7:8], null, s8, v1, 0
	v_lshl_add_u32 v0, v0, 3, 0
	s_waitcnt lgkmcnt(0)
	s_cmpk_lg_i32 s0, 0x71
	s_cselect_b32 s6, -1, 0
	s_add_u32 s0, s12, s8
	s_addc_u32 s1, s13, s9
	v_mad_u64_u32 v[9:10], null, s0, v1, 0
	s_add_u32 s0, s4, -1
	s_delay_alu instid0(SALU_CYCLE_1) | instskip(NEXT) | instid1(VALU_DEP_1)
	s_mul_i32 s4, s12, s0
	v_mad_u64_u32 v[11:12], null, s9, v1, v[8:9]
	s_delay_alu instid0(VALU_DEP_1) | instskip(NEXT) | instid1(VALU_DEP_3)
	v_mov_b32_e32 v8, v11
	v_mad_u64_u32 v[11:12], null, s1, v1, v[10:11]
	s_addc_u32 s1, s5, -1
	s_mul_hi_u32 s5, s12, s0
	s_mul_i32 s7, s12, s1
	v_lshlrev_b64 v[7:8], 3, v[7:8]
	s_add_i32 s5, s5, s7
	s_delay_alu instid0(VALU_DEP_2) | instskip(SKIP_1) | instid1(SALU_CYCLE_1)
	v_mov_b32_e32 v10, v11
	s_lshl_b64 s[4:5], s[4:5], 3
	s_add_u32 s4, s2, s4
	s_addc_u32 s5, s3, s5
	s_delay_alu instid0(VALU_DEP_1) | instskip(SKIP_3) | instid1(VALU_DEP_3)
	v_lshlrev_b64 v[9:10], 3, v[9:10]
	v_add_co_u32 v7, vcc_lo, s4, v7
	v_add_co_ci_u32_e32 v8, vcc_lo, s5, v8, vcc_lo
	s_lshl_b32 s7, s12, 3
	v_add_co_u32 v9, vcc_lo, s2, v9
	s_delay_alu instid0(VALU_DEP_4)
	v_add_co_ci_u32_e32 v10, vcc_lo, s3, v10, vcc_lo
	s_sub_u32 s7, 0, s7
	s_subb_u32 s10, 0, 0
.LBB183_21:                             ; =>This Inner Loop Header: Depth=1
	s_mov_b32 s4, exec_lo
	s_barrier
	buffer_gl0_inv
	v_cmpx_eq_u64_e64 s[0:1], v[1:2]
	s_cbranch_execz .LBB183_29
; %bb.22:                               ;   in Loop: Header=BB183_21 Depth=1
	flat_load_b64 v[11:12], v[9:10]
	s_and_not1_b32 vcc_lo, exec_lo, s15
	s_cbranch_vccnz .LBB183_28
; %bb.23:                               ;   in Loop: Header=BB183_21 Depth=1
	s_waitcnt vmcnt(0) lgkmcnt(0)
	v_cmp_gt_f32_e32 vcc_lo, 0, v11
	s_mov_b32 s5, exec_lo
	v_cndmask_b32_e64 v13, v11, -v11, vcc_lo
	v_cmp_gt_f32_e32 vcc_lo, 0, v12
	v_cndmask_b32_e64 v14, v12, -v12, vcc_lo
	s_delay_alu instid0(VALU_DEP_1)
	v_cmpx_ngt_f32_e32 v13, v14
	s_xor_b32 s5, exec_lo, s5
	s_cbranch_execz .LBB183_25
; %bb.24:                               ;   in Loop: Header=BB183_21 Depth=1
	v_div_scale_f32 v13, null, v12, v12, v11
	v_div_scale_f32 v16, vcc_lo, v11, v12, v11
	s_delay_alu instid0(VALU_DEP_2) | instskip(SKIP_2) | instid1(VALU_DEP_1)
	v_rcp_f32_e32 v14, v13
	s_waitcnt_depctr 0xfff
	v_fma_f32 v15, -v13, v14, 1.0
	v_fmac_f32_e32 v14, v15, v14
	s_delay_alu instid0(VALU_DEP_1) | instskip(NEXT) | instid1(VALU_DEP_1)
	v_mul_f32_e32 v15, v16, v14
	v_fma_f32 v17, -v13, v15, v16
	s_delay_alu instid0(VALU_DEP_1) | instskip(NEXT) | instid1(VALU_DEP_1)
	v_fmac_f32_e32 v15, v17, v14
	v_fma_f32 v13, -v13, v15, v16
	s_delay_alu instid0(VALU_DEP_1) | instskip(NEXT) | instid1(VALU_DEP_1)
	v_div_fmas_f32 v13, v13, v14, v15
	v_div_fixup_f32 v13, v13, v12, v11
	s_delay_alu instid0(VALU_DEP_1) | instskip(NEXT) | instid1(VALU_DEP_1)
	v_fmac_f32_e32 v12, v11, v13
	v_div_scale_f32 v11, null, v12, v12, 1.0
	v_div_scale_f32 v16, vcc_lo, 1.0, v12, 1.0
	s_delay_alu instid0(VALU_DEP_2) | instskip(SKIP_2) | instid1(VALU_DEP_1)
	v_rcp_f32_e32 v14, v11
	s_waitcnt_depctr 0xfff
	v_fma_f32 v15, -v11, v14, 1.0
	v_fmac_f32_e32 v14, v15, v14
	s_delay_alu instid0(VALU_DEP_1) | instskip(NEXT) | instid1(VALU_DEP_1)
	v_mul_f32_e32 v15, v16, v14
	v_fma_f32 v17, -v11, v15, v16
	s_delay_alu instid0(VALU_DEP_1) | instskip(NEXT) | instid1(VALU_DEP_1)
	v_fmac_f32_e32 v15, v17, v14
	v_fma_f32 v11, -v11, v15, v16
	s_delay_alu instid0(VALU_DEP_1) | instskip(NEXT) | instid1(VALU_DEP_1)
	v_div_fmas_f32 v11, v11, v14, v15
	v_div_fixup_f32 v12, v11, v12, 1.0
	s_delay_alu instid0(VALU_DEP_1)
	v_mul_f32_e32 v11, v13, v12
	v_xor_b32_e32 v12, 0x80000000, v12
.LBB183_25:                             ;   in Loop: Header=BB183_21 Depth=1
	s_and_not1_saveexec_b32 s5, s5
	s_cbranch_execz .LBB183_27
; %bb.26:                               ;   in Loop: Header=BB183_21 Depth=1
	s_delay_alu instid0(VALU_DEP_1) | instskip(SKIP_1) | instid1(VALU_DEP_2)
	v_div_scale_f32 v13, null, v11, v11, v12
	v_div_scale_f32 v16, vcc_lo, v12, v11, v12
	v_rcp_f32_e32 v14, v13
	s_waitcnt_depctr 0xfff
	v_fma_f32 v15, -v13, v14, 1.0
	s_delay_alu instid0(VALU_DEP_1) | instskip(NEXT) | instid1(VALU_DEP_1)
	v_fmac_f32_e32 v14, v15, v14
	v_mul_f32_e32 v15, v16, v14
	s_delay_alu instid0(VALU_DEP_1) | instskip(NEXT) | instid1(VALU_DEP_1)
	v_fma_f32 v17, -v13, v15, v16
	v_fmac_f32_e32 v15, v17, v14
	s_delay_alu instid0(VALU_DEP_1) | instskip(NEXT) | instid1(VALU_DEP_1)
	v_fma_f32 v13, -v13, v15, v16
	v_div_fmas_f32 v13, v13, v14, v15
	s_delay_alu instid0(VALU_DEP_1) | instskip(NEXT) | instid1(VALU_DEP_1)
	v_div_fixup_f32 v13, v13, v11, v12
	v_fmac_f32_e32 v11, v12, v13
	s_delay_alu instid0(VALU_DEP_1) | instskip(NEXT) | instid1(VALU_DEP_1)
	v_div_scale_f32 v12, null, v11, v11, 1.0
	v_rcp_f32_e32 v14, v12
	s_waitcnt_depctr 0xfff
	v_fma_f32 v15, -v12, v14, 1.0
	s_delay_alu instid0(VALU_DEP_1) | instskip(SKIP_1) | instid1(VALU_DEP_1)
	v_fmac_f32_e32 v14, v15, v14
	v_div_scale_f32 v15, vcc_lo, 1.0, v11, 1.0
	v_mul_f32_e32 v16, v15, v14
	s_delay_alu instid0(VALU_DEP_1) | instskip(NEXT) | instid1(VALU_DEP_1)
	v_fma_f32 v17, -v12, v16, v15
	v_fmac_f32_e32 v16, v17, v14
	s_delay_alu instid0(VALU_DEP_1) | instskip(NEXT) | instid1(VALU_DEP_1)
	v_fma_f32 v12, -v12, v16, v15
	v_div_fmas_f32 v12, v12, v14, v16
	s_delay_alu instid0(VALU_DEP_1) | instskip(NEXT) | instid1(VALU_DEP_1)
	v_div_fixup_f32 v11, v12, v11, 1.0
	v_mul_f32_e64 v12, v13, -v11
.LBB183_27:                             ;   in Loop: Header=BB183_21 Depth=1
	s_or_b32 exec_lo, exec_lo, s5
.LBB183_28:                             ;   in Loop: Header=BB183_21 Depth=1
	s_waitcnt vmcnt(0) lgkmcnt(0)
	s_delay_alu instid0(VALU_DEP_1) | instskip(SKIP_1) | instid1(VALU_DEP_2)
	v_mul_f32_e32 v13, v5, v12
	v_mul_f32_e32 v12, v6, v12
	v_fmac_f32_e32 v13, v6, v11
	s_delay_alu instid0(VALU_DEP_2) | instskip(NEXT) | instid1(VALU_DEP_1)
	v_fma_f32 v12, v5, v11, -v12
	v_dual_mov_b32 v6, v13 :: v_dual_mov_b32 v5, v12
	ds_store_b64 v0, v[12:13]
.LBB183_29:                             ;   in Loop: Header=BB183_21 Depth=1
	s_or_b32 exec_lo, exec_lo, s4
	s_delay_alu instid0(SALU_CYCLE_1)
	s_mov_b32 s4, exec_lo
	s_waitcnt lgkmcnt(0)
	s_barrier
	buffer_gl0_inv
	v_cmpx_gt_i64_e64 s[0:1], v[1:2]
	s_cbranch_execz .LBB183_35
; %bb.30:                               ;   in Loop: Header=BB183_21 Depth=1
	s_and_b32 vcc_lo, exec_lo, s6
	s_cbranch_vccz .LBB183_32
; %bb.31:                               ;   in Loop: Header=BB183_21 Depth=1
	flat_load_b64 v[11:12], v[7:8]
	s_cbranch_execz .LBB183_33
	s_branch .LBB183_34
.LBB183_32:                             ;   in Loop: Header=BB183_21 Depth=1
                                        ; implicit-def: $vgpr11
.LBB183_33:                             ;   in Loop: Header=BB183_21 Depth=1
	s_waitcnt vmcnt(0) lgkmcnt(0)
	flat_load_b64 v[11:12], v[7:8]
	s_waitcnt vmcnt(0) lgkmcnt(0)
	v_xor_b32_e32 v12, 0x80000000, v12
.LBB183_34:                             ;   in Loop: Header=BB183_21 Depth=1
	ds_load_b64 v[13:14], v0
	s_waitcnt vmcnt(0) lgkmcnt(0)
	v_mul_f32_e32 v15, v14, v12
	v_mul_f32_e32 v14, v14, v11
	s_delay_alu instid0(VALU_DEP_2) | instskip(NEXT) | instid1(VALU_DEP_2)
	v_fma_f32 v11, v13, v11, -v15
	v_fmac_f32_e32 v14, v13, v12
	s_delay_alu instid0(VALU_DEP_1)
	v_dual_sub_f32 v5, v5, v11 :: v_dual_sub_f32 v6, v6, v14
.LBB183_35:                             ;   in Loop: Header=BB183_21 Depth=1
	s_or_b32 exec_lo, exec_lo, s4
	s_add_u32 s4, s0, -1
	s_addc_u32 s5, s1, -1
	s_add_u32 s0, s0, 1
	s_addc_u32 s1, s1, 0
	v_add_co_u32 v7, vcc_lo, v7, s7
	v_cmp_lt_u64_e64 s0, s[0:1], 3
	v_add_co_ci_u32_e32 v8, vcc_lo, s10, v8, vcc_lo
	s_delay_alu instid0(VALU_DEP_2)
	s_and_b32 vcc_lo, exec_lo, s0
	s_cbranch_vccnz .LBB183_37
; %bb.36:                               ;   in Loop: Header=BB183_21 Depth=1
	s_mov_b64 s[0:1], s[4:5]
	s_branch .LBB183_21
.LBB183_37:
	s_mov_b32 s0, exec_lo
	v_cmpx_eq_u32_e32 0, v1
	s_cbranch_execz .LBB183_45
; %bb.38:
	s_add_u32 s1, s12, s8
	s_delay_alu instid0(SALU_CYCLE_1) | instskip(SKIP_1) | instid1(VALU_DEP_1)
	v_mad_u64_u32 v[7:8], null, s1, v1, 0
	s_addc_u32 s1, s13, s9
	v_mov_b32_e32 v0, v8
	s_delay_alu instid0(VALU_DEP_1) | instskip(NEXT) | instid1(VALU_DEP_1)
	v_mad_u64_u32 v[8:9], null, s1, v1, v[0:1]
	v_lshlrev_b64 v[0:1], 3, v[7:8]
	s_delay_alu instid0(VALU_DEP_1) | instskip(NEXT) | instid1(VALU_DEP_2)
	v_add_co_u32 v0, vcc_lo, s2, v0
	v_add_co_ci_u32_e32 v1, vcc_lo, s3, v1, vcc_lo
	s_and_not1_b32 vcc_lo, exec_lo, s15
	flat_load_b64 v[0:1], v[0:1]
	s_cbranch_vccnz .LBB183_44
; %bb.39:
	s_waitcnt vmcnt(0) lgkmcnt(0)
	v_cmp_gt_f32_e32 vcc_lo, 0, v0
	s_mov_b32 s1, exec_lo
	v_cndmask_b32_e64 v2, v0, -v0, vcc_lo
	v_cmp_gt_f32_e32 vcc_lo, 0, v1
	v_cndmask_b32_e64 v7, v1, -v1, vcc_lo
	s_delay_alu instid0(VALU_DEP_1)
	v_cmpx_ngt_f32_e32 v2, v7
	s_xor_b32 s1, exec_lo, s1
	s_cbranch_execz .LBB183_41
; %bb.40:
	v_div_scale_f32 v2, null, v1, v1, v0
	v_div_scale_f32 v9, vcc_lo, v0, v1, v0
	s_delay_alu instid0(VALU_DEP_2) | instskip(SKIP_2) | instid1(VALU_DEP_1)
	v_rcp_f32_e32 v7, v2
	s_waitcnt_depctr 0xfff
	v_fma_f32 v8, -v2, v7, 1.0
	v_fmac_f32_e32 v7, v8, v7
	s_delay_alu instid0(VALU_DEP_1) | instskip(NEXT) | instid1(VALU_DEP_1)
	v_mul_f32_e32 v8, v9, v7
	v_fma_f32 v10, -v2, v8, v9
	s_delay_alu instid0(VALU_DEP_1) | instskip(NEXT) | instid1(VALU_DEP_1)
	v_fmac_f32_e32 v8, v10, v7
	v_fma_f32 v2, -v2, v8, v9
	s_delay_alu instid0(VALU_DEP_1) | instskip(NEXT) | instid1(VALU_DEP_1)
	v_div_fmas_f32 v2, v2, v7, v8
	v_div_fixup_f32 v2, v2, v1, v0
	s_delay_alu instid0(VALU_DEP_1) | instskip(NEXT) | instid1(VALU_DEP_1)
	v_fmac_f32_e32 v1, v0, v2
	v_div_scale_f32 v0, null, v1, v1, 1.0
	v_div_scale_f32 v9, vcc_lo, 1.0, v1, 1.0
	s_delay_alu instid0(VALU_DEP_2) | instskip(SKIP_2) | instid1(VALU_DEP_1)
	v_rcp_f32_e32 v7, v0
	s_waitcnt_depctr 0xfff
	v_fma_f32 v8, -v0, v7, 1.0
	v_fmac_f32_e32 v7, v8, v7
	s_delay_alu instid0(VALU_DEP_1) | instskip(NEXT) | instid1(VALU_DEP_1)
	v_mul_f32_e32 v8, v9, v7
	v_fma_f32 v10, -v0, v8, v9
	s_delay_alu instid0(VALU_DEP_1) | instskip(NEXT) | instid1(VALU_DEP_1)
	v_fmac_f32_e32 v8, v10, v7
	v_fma_f32 v0, -v0, v8, v9
	s_delay_alu instid0(VALU_DEP_1) | instskip(NEXT) | instid1(VALU_DEP_1)
	v_div_fmas_f32 v0, v0, v7, v8
	v_div_fixup_f32 v1, v0, v1, 1.0
	s_delay_alu instid0(VALU_DEP_1)
	v_mul_f32_e32 v0, v2, v1
	v_xor_b32_e32 v1, 0x80000000, v1
.LBB183_41:
	s_and_not1_saveexec_b32 s1, s1
	s_cbranch_execz .LBB183_43
; %bb.42:
	s_delay_alu instid0(VALU_DEP_1) | instskip(SKIP_1) | instid1(VALU_DEP_2)
	v_div_scale_f32 v2, null, v0, v0, v1
	v_div_scale_f32 v9, vcc_lo, v1, v0, v1
	v_rcp_f32_e32 v7, v2
	s_waitcnt_depctr 0xfff
	v_fma_f32 v8, -v2, v7, 1.0
	s_delay_alu instid0(VALU_DEP_1) | instskip(NEXT) | instid1(VALU_DEP_1)
	v_fmac_f32_e32 v7, v8, v7
	v_mul_f32_e32 v8, v9, v7
	s_delay_alu instid0(VALU_DEP_1) | instskip(NEXT) | instid1(VALU_DEP_1)
	v_fma_f32 v10, -v2, v8, v9
	v_fmac_f32_e32 v8, v10, v7
	s_delay_alu instid0(VALU_DEP_1) | instskip(NEXT) | instid1(VALU_DEP_1)
	v_fma_f32 v2, -v2, v8, v9
	v_div_fmas_f32 v2, v2, v7, v8
	s_delay_alu instid0(VALU_DEP_1) | instskip(NEXT) | instid1(VALU_DEP_1)
	v_div_fixup_f32 v2, v2, v0, v1
	v_fmac_f32_e32 v0, v1, v2
	s_delay_alu instid0(VALU_DEP_1) | instskip(NEXT) | instid1(VALU_DEP_1)
	v_div_scale_f32 v1, null, v0, v0, 1.0
	v_rcp_f32_e32 v7, v1
	s_waitcnt_depctr 0xfff
	v_fma_f32 v8, -v1, v7, 1.0
	s_delay_alu instid0(VALU_DEP_1) | instskip(SKIP_1) | instid1(VALU_DEP_1)
	v_fmac_f32_e32 v7, v8, v7
	v_div_scale_f32 v8, vcc_lo, 1.0, v0, 1.0
	v_mul_f32_e32 v9, v8, v7
	s_delay_alu instid0(VALU_DEP_1) | instskip(NEXT) | instid1(VALU_DEP_1)
	v_fma_f32 v10, -v1, v9, v8
	v_fmac_f32_e32 v9, v10, v7
	s_delay_alu instid0(VALU_DEP_1) | instskip(NEXT) | instid1(VALU_DEP_1)
	v_fma_f32 v1, -v1, v9, v8
	v_div_fmas_f32 v1, v1, v7, v9
	s_delay_alu instid0(VALU_DEP_1) | instskip(NEXT) | instid1(VALU_DEP_1)
	v_div_fixup_f32 v0, v1, v0, 1.0
	v_mul_f32_e64 v1, v2, -v0
.LBB183_43:
	s_or_b32 exec_lo, exec_lo, s1
.LBB183_44:
	s_waitcnt vmcnt(0) lgkmcnt(0)
	s_delay_alu instid0(VALU_DEP_1) | instskip(SKIP_1) | instid1(VALU_DEP_2)
	v_mul_f32_e32 v2, v6, v1
	v_mul_f32_e32 v6, v6, v0
	v_fma_f32 v0, v5, v0, -v2
	s_delay_alu instid0(VALU_DEP_1)
	v_dual_fmac_f32 v6, v5, v1 :: v_dual_mov_b32 v5, v0
.LBB183_45:
	s_or_b32 exec_lo, exec_lo, s0
	global_store_b64 v[3:4], v[5:6], off
.LBB183_46:
	s_nop 0
	s_sendmsg sendmsg(MSG_DEALLOC_VGPRS)
	s_endpgm
	.section	.rodata,"a",@progbits
	.p2align	6, 0x0
	.amdhsa_kernel _ZL40rocblas_trsm_block_backward_substitutionI19rocblas_complex_numIfES1_PKPKS1_PKPS1_Lb0ELb1ELb0EEv18rocblas_operation_llT0_T1_lllT2_lllib
		.amdhsa_group_segment_fixed_size 0
		.amdhsa_private_segment_fixed_size 0
		.amdhsa_kernarg_size 360
		.amdhsa_user_sgpr_count 13
		.amdhsa_user_sgpr_dispatch_ptr 0
		.amdhsa_user_sgpr_queue_ptr 0
		.amdhsa_user_sgpr_kernarg_segment_ptr 1
		.amdhsa_user_sgpr_dispatch_id 0
		.amdhsa_user_sgpr_private_segment_size 0
		.amdhsa_wavefront_size32 1
		.amdhsa_uses_dynamic_stack 0
		.amdhsa_enable_private_segment 0
		.amdhsa_system_sgpr_workgroup_id_x 1
		.amdhsa_system_sgpr_workgroup_id_y 1
		.amdhsa_system_sgpr_workgroup_id_z 1
		.amdhsa_system_sgpr_workgroup_info 0
		.amdhsa_system_vgpr_workitem_id 1
		.amdhsa_next_free_vgpr 18
		.amdhsa_next_free_sgpr 30
		.amdhsa_reserve_vcc 1
		.amdhsa_float_round_mode_32 0
		.amdhsa_float_round_mode_16_64 0
		.amdhsa_float_denorm_mode_32 3
		.amdhsa_float_denorm_mode_16_64 3
		.amdhsa_dx10_clamp 1
		.amdhsa_ieee_mode 1
		.amdhsa_fp16_overflow 0
		.amdhsa_workgroup_processor_mode 1
		.amdhsa_memory_ordered 1
		.amdhsa_forward_progress 0
		.amdhsa_shared_vgpr_count 0
		.amdhsa_exception_fp_ieee_invalid_op 0
		.amdhsa_exception_fp_denorm_src 0
		.amdhsa_exception_fp_ieee_div_zero 0
		.amdhsa_exception_fp_ieee_overflow 0
		.amdhsa_exception_fp_ieee_underflow 0
		.amdhsa_exception_fp_ieee_inexact 0
		.amdhsa_exception_int_div_zero 0
	.end_amdhsa_kernel
	.section	.text._ZL40rocblas_trsm_block_backward_substitutionI19rocblas_complex_numIfES1_PKPKS1_PKPS1_Lb0ELb1ELb0EEv18rocblas_operation_llT0_T1_lllT2_lllib,"axG",@progbits,_ZL40rocblas_trsm_block_backward_substitutionI19rocblas_complex_numIfES1_PKPKS1_PKPS1_Lb0ELb1ELb0EEv18rocblas_operation_llT0_T1_lllT2_lllib,comdat
.Lfunc_end183:
	.size	_ZL40rocblas_trsm_block_backward_substitutionI19rocblas_complex_numIfES1_PKPKS1_PKPS1_Lb0ELb1ELb0EEv18rocblas_operation_llT0_T1_lllT2_lllib, .Lfunc_end183-_ZL40rocblas_trsm_block_backward_substitutionI19rocblas_complex_numIfES1_PKPKS1_PKPS1_Lb0ELb1ELb0EEv18rocblas_operation_llT0_T1_lllT2_lllib
                                        ; -- End function
	.section	.AMDGPU.csdata,"",@progbits
; Kernel info:
; codeLenInByte = 2908
; NumSgprs: 32
; NumVgprs: 18
; ScratchSize: 0
; MemoryBound: 0
; FloatMode: 240
; IeeeMode: 1
; LDSByteSize: 0 bytes/workgroup (compile time only)
; SGPRBlocks: 3
; VGPRBlocks: 2
; NumSGPRsForWavesPerEU: 32
; NumVGPRsForWavesPerEU: 18
; Occupancy: 16
; WaveLimiterHint : 1
; COMPUTE_PGM_RSRC2:SCRATCH_EN: 0
; COMPUTE_PGM_RSRC2:USER_SGPR: 13
; COMPUTE_PGM_RSRC2:TRAP_HANDLER: 0
; COMPUTE_PGM_RSRC2:TGID_X_EN: 1
; COMPUTE_PGM_RSRC2:TGID_Y_EN: 1
; COMPUTE_PGM_RSRC2:TGID_Z_EN: 1
; COMPUTE_PGM_RSRC2:TIDIG_COMP_CNT: 1
	.section	.text._ZL39rocblas_trsm_block_forward_substitutionI19rocblas_complex_numIfES1_PKPKS1_PKPS1_Lb0ELb1ELb1EEv18rocblas_operation_llT0_T1_lllT2_lllib,"axG",@progbits,_ZL39rocblas_trsm_block_forward_substitutionI19rocblas_complex_numIfES1_PKPKS1_PKPS1_Lb0ELb1ELb1EEv18rocblas_operation_llT0_T1_lllT2_lllib,comdat
	.globl	_ZL39rocblas_trsm_block_forward_substitutionI19rocblas_complex_numIfES1_PKPKS1_PKPS1_Lb0ELb1ELb1EEv18rocblas_operation_llT0_T1_lllT2_lllib ; -- Begin function _ZL39rocblas_trsm_block_forward_substitutionI19rocblas_complex_numIfES1_PKPKS1_PKPS1_Lb0ELb1ELb1EEv18rocblas_operation_llT0_T1_lllT2_lllib
	.p2align	8
	.type	_ZL39rocblas_trsm_block_forward_substitutionI19rocblas_complex_numIfES1_PKPKS1_PKPS1_Lb0ELb1ELb1EEv18rocblas_operation_llT0_T1_lllT2_lllib,@function
_ZL39rocblas_trsm_block_forward_substitutionI19rocblas_complex_numIfES1_PKPKS1_PKPS1_Lb0ELb1ELb1EEv18rocblas_operation_llT0_T1_lllT2_lllib: ; @_ZL39rocblas_trsm_block_forward_substitutionI19rocblas_complex_numIfES1_PKPKS1_PKPS1_Lb0ELb1ELb1EEv18rocblas_operation_llT0_T1_lllT2_lllib
; %bb.0:
	s_clause 0x1
	s_load_b128 s[4:7], s[0:1], 0x20
	s_load_b64 s[12:13], s[0:1], 0x30
	s_mov_b32 s2, s15
	s_mov_b32 s3, 0
	v_and_b32_e32 v1, 0x3ff, v0
	s_lshl_b64 s[2:3], s[2:3], 3
	v_bfe_u32 v0, v0, 10, 10
	s_waitcnt lgkmcnt(0)
	s_add_u32 s4, s4, s2
	s_addc_u32 s5, s5, s3
	s_lshl_b64 s[6:7], s[6:7], 3
	s_load_b64 s[4:5], s[4:5], 0x0
	s_clause 0x3
	s_load_b128 s[8:11], s[0:1], 0x40
	s_load_b64 s[16:17], s[0:1], 0x50
	s_load_b32 s15, s[0:1], 0x64
	s_load_b32 s24, s[0:1], 0x74
	s_waitcnt lgkmcnt(0)
	s_add_u32 s20, s4, s6
	s_addc_u32 s21, s5, s7
	s_add_u32 s2, s8, s2
	s_addc_u32 s3, s9, s3
	s_clause 0x1
	s_load_b128 s[4:7], s[0:1], 0x8
	s_load_b64 s[8:9], s[0:1], 0x18
	s_load_b64 s[18:19], s[2:3], 0x0
	s_add_u32 s22, s0, 0x68
	s_addc_u32 s23, s1, 0
	s_lshr_b32 s3, s24, 16
	s_bitcmp0_b32 s15, 0
	s_cbranch_scc1 .LBB184_7
; %bb.1:
	s_waitcnt lgkmcnt(0)
	v_cmp_lt_i64_e64 s2, s[4:5], 1
	s_lshl_b32 s15, s3, 3
	s_delay_alu instid0(SALU_CYCLE_1) | instskip(NEXT) | instid1(VALU_DEP_1)
	s_add_i32 s24, s15, 0
	s_and_b32 vcc_lo, exec_lo, s2
	s_cbranch_vccnz .LBB184_6
; %bb.2:
	v_lshlrev_b32_e32 v4, 3, v1
	s_delay_alu instid0(VALU_DEP_1) | instskip(NEXT) | instid1(VALU_DEP_1)
	v_dual_mov_b32 v2, 0 :: v_dual_add_nc_u32 v3, s24, v4
	v_cmp_gt_u64_e64 s2, s[4:5], v[1:2]
	v_add_co_u32 v2, s15, s20, v4
	s_delay_alu instid0(VALU_DEP_1)
	v_add_co_ci_u32_e64 v4, null, s21, 0, s15
	s_mov_b32 s20, 0
	s_set_inst_prefetch_distance 0x1
	s_branch .LBB184_4
	.p2align	6
.LBB184_3:                              ;   in Loop: Header=BB184_4 Depth=1
	s_or_b32 exec_lo, exec_lo, s15
	s_add_i32 s20, s20, s3
	s_delay_alu instid0(SALU_CYCLE_1) | instskip(NEXT) | instid1(SALU_CYCLE_1)
	s_ashr_i32 s21, s20, 31
	v_cmp_ge_i64_e64 s15, s[20:21], s[4:5]
	s_delay_alu instid0(VALU_DEP_1)
	s_and_b32 vcc_lo, exec_lo, s15
	s_cbranch_vccnz .LBB184_6
.LBB184_4:                              ; =>This Inner Loop Header: Depth=1
	v_add_nc_u32_e32 v5, s20, v0
	s_delay_alu instid0(VALU_DEP_1) | instskip(SKIP_1) | instid1(SALU_CYCLE_1)
	v_cmp_gt_i32_e32 vcc_lo, v1, v5
	s_and_b32 s21, s2, vcc_lo
	s_and_saveexec_b32 s15, s21
	s_cbranch_execz .LBB184_3
; %bb.5:                                ;   in Loop: Header=BB184_4 Depth=1
	v_ashrrev_i32_e32 v8, 31, v5
	v_mul_lo_u32 v9, v5, s13
	v_mad_u64_u32 v[6:7], null, v5, s12, 0
	s_load_b32 s21, s[22:23], 0xc
	s_delay_alu instid0(VALU_DEP_3) | instskip(NEXT) | instid1(VALU_DEP_1)
	v_mul_lo_u32 v8, v8, s12
	v_add3_u32 v7, v7, v9, v8
	s_delay_alu instid0(VALU_DEP_1) | instskip(SKIP_2) | instid1(VALU_DEP_1)
	v_lshlrev_b64 v[6:7], 3, v[6:7]
	s_waitcnt lgkmcnt(0)
	s_and_b32 s21, s21, 0xffff
	v_add_co_u32 v6, vcc_lo, v2, v6
	s_delay_alu instid0(VALU_DEP_2)
	v_add_co_ci_u32_e32 v7, vcc_lo, v4, v7, vcc_lo
	v_mul_lo_u32 v5, v5, s21
	global_load_b64 v[6:7], v[6:7], off
	v_lshl_add_u32 v5, v5, 3, v3
	s_waitcnt vmcnt(0)
	ds_store_b64 v5, v[6:7]
	s_branch .LBB184_3
.LBB184_6:
	s_set_inst_prefetch_distance 0x2
	s_load_b32 s2, s[22:23], 0xc
	s_mov_b64 s[20:21], src_shared_base
	s_mov_b32 s13, 0
	s_mov_b32 s25, s21
	s_delay_alu instid0(SALU_CYCLE_1)
	s_mov_b64 s[20:21], s[24:25]
	s_waitcnt lgkmcnt(0)
	s_and_b32 s12, s2, 0xffff
.LBB184_7:
	v_mad_u64_u32 v[3:4], null, s14, s3, v[0:1]
	v_mov_b32_e32 v4, 0
	s_mov_b32 s2, exec_lo
	s_waitcnt lgkmcnt(0)
	s_delay_alu instid0(VALU_DEP_1)
	v_cmpx_gt_i64_e64 s[6:7], v[3:4]
	s_cbranch_execz .LBB184_21
; %bb.8:
	v_mov_b32_e32 v2, v4
	s_delay_alu instid0(VALU_DEP_1)
	v_cmp_gt_i64_e32 vcc_lo, s[4:5], v[1:2]
	s_and_b32 exec_lo, exec_lo, vcc_lo
	s_cbranch_execz .LBB184_21
; %bb.9:
	v_mad_u64_u32 v[5:6], null, v1, s16, 0
	s_lshl_b64 s[2:3], s[10:11], 3
	v_lshlrev_b64 v[3:4], 3, v[3:4]
	s_add_u32 s2, s18, s2
	s_addc_u32 s3, s19, s3
	s_delay_alu instid0(VALU_DEP_2) | instskip(NEXT) | instid1(VALU_DEP_1)
	v_mad_u64_u32 v[7:8], null, v1, s17, v[6:7]
	v_mov_b32_e32 v6, v7
	s_delay_alu instid0(VALU_DEP_1) | instskip(NEXT) | instid1(VALU_DEP_1)
	v_lshlrev_b64 v[5:6], 3, v[5:6]
	v_add_co_u32 v5, vcc_lo, s2, v5
	s_delay_alu instid0(VALU_DEP_2) | instskip(SKIP_1) | instid1(VALU_DEP_3)
	v_add_co_ci_u32_e32 v6, vcc_lo, s3, v6, vcc_lo
	v_cmp_lt_u64_e64 s2, s[4:5], 2
	v_add_co_u32 v3, vcc_lo, v5, v3
	s_delay_alu instid0(VALU_DEP_3) | instskip(NEXT) | instid1(VALU_DEP_3)
	v_add_co_ci_u32_e32 v4, vcc_lo, v6, v4, vcc_lo
	s_and_b32 vcc_lo, exec_lo, s2
	global_load_b64 v[7:8], v[3:4], off
	s_waitcnt vmcnt(0)
	v_mul_f32_e32 v5, s9, v8
	v_mul_f32_e32 v6, s8, v8
	s_delay_alu instid0(VALU_DEP_2) | instskip(NEXT) | instid1(VALU_DEP_2)
	v_fma_f32 v5, s8, v7, -v5
	v_fmac_f32_e32 v6, s9, v7
	s_cbranch_vccnz .LBB184_20
; %bb.10:
	s_load_b32 s0, s[0:1], 0x0
	v_lshlrev_b32_e32 v7, 3, v1
	v_lshl_add_u32 v0, v0, 3, 0
	s_waitcnt lgkmcnt(0)
	s_cmpk_lg_i32 s0, 0x71
	s_delay_alu instid0(VALU_DEP_2) | instskip(NEXT) | instid1(VALU_DEP_1)
	v_add_co_u32 v7, s0, s20, v7
	v_add_co_ci_u32_e64 v8, null, s21, 0, s0
	s_cselect_b32 s6, -1, 0
	s_add_u32 s0, s4, -1
	s_addc_u32 s1, s5, -1
	s_lshl_b64 s[2:3], s[12:13], 3
	s_mov_b64 s[4:5], 0
	s_set_inst_prefetch_distance 0x1
	s_branch .LBB184_13
	.p2align	6
.LBB184_11:                             ;   in Loop: Header=BB184_13 Depth=1
	ds_load_b64 v[11:12], v0
	s_waitcnt vmcnt(0) lgkmcnt(0)
	v_mul_f32_e32 v13, v12, v10
	v_mul_f32_e32 v12, v12, v9
	s_delay_alu instid0(VALU_DEP_1) | instskip(NEXT) | instid1(VALU_DEP_1)
	v_fmac_f32_e32 v12, v11, v10
	v_sub_f32_e32 v6, v6, v12
	s_delay_alu instid0(VALU_DEP_4) | instskip(NEXT) | instid1(VALU_DEP_1)
	v_fma_f32 v9, v11, v9, -v13
	v_sub_f32_e32 v5, v5, v9
.LBB184_12:                             ;   in Loop: Header=BB184_13 Depth=1
	s_or_b32 exec_lo, exec_lo, s7
	v_add_co_u32 v7, vcc_lo, v7, s2
	s_add_u32 s4, s4, 1
	v_add_co_ci_u32_e32 v8, vcc_lo, s3, v8, vcc_lo
	s_addc_u32 s5, s5, 0
	s_delay_alu instid0(SALU_CYCLE_1)
	s_cmp_eq_u64 s[0:1], s[4:5]
	s_cbranch_scc1 .LBB184_20
.LBB184_13:                             ; =>This Inner Loop Header: Depth=1
	s_mov_b32 s7, exec_lo
	s_barrier
	buffer_gl0_inv
	v_cmpx_eq_u64_e64 s[4:5], v[1:2]
	s_cbranch_execz .LBB184_15
; %bb.14:                               ;   in Loop: Header=BB184_13 Depth=1
	ds_store_b64 v0, v[5:6]
.LBB184_15:                             ;   in Loop: Header=BB184_13 Depth=1
	s_or_b32 exec_lo, exec_lo, s7
	s_delay_alu instid0(SALU_CYCLE_1)
	s_mov_b32 s7, exec_lo
	s_waitcnt lgkmcnt(0)
	s_barrier
	buffer_gl0_inv
	v_cmpx_lt_u64_e64 s[4:5], v[1:2]
	s_cbranch_execz .LBB184_12
; %bb.16:                               ;   in Loop: Header=BB184_13 Depth=1
	s_and_b32 vcc_lo, exec_lo, s6
	s_cbranch_vccz .LBB184_18
; %bb.17:                               ;   in Loop: Header=BB184_13 Depth=1
	flat_load_b64 v[9:10], v[7:8]
	s_cbranch_execnz .LBB184_11
	s_branch .LBB184_19
.LBB184_18:                             ;   in Loop: Header=BB184_13 Depth=1
                                        ; implicit-def: $vgpr9
.LBB184_19:                             ;   in Loop: Header=BB184_13 Depth=1
	s_waitcnt vmcnt(0) lgkmcnt(0)
	flat_load_b64 v[9:10], v[7:8]
	s_waitcnt vmcnt(0) lgkmcnt(0)
	v_xor_b32_e32 v10, 0x80000000, v10
	s_branch .LBB184_11
.LBB184_20:
	s_set_inst_prefetch_distance 0x2
	global_store_b64 v[3:4], v[5:6], off
.LBB184_21:
	s_nop 0
	s_sendmsg sendmsg(MSG_DEALLOC_VGPRS)
	s_endpgm
	.section	.rodata,"a",@progbits
	.p2align	6, 0x0
	.amdhsa_kernel _ZL39rocblas_trsm_block_forward_substitutionI19rocblas_complex_numIfES1_PKPKS1_PKPS1_Lb0ELb1ELb1EEv18rocblas_operation_llT0_T1_lllT2_lllib
		.amdhsa_group_segment_fixed_size 0
		.amdhsa_private_segment_fixed_size 0
		.amdhsa_kernarg_size 360
		.amdhsa_user_sgpr_count 13
		.amdhsa_user_sgpr_dispatch_ptr 0
		.amdhsa_user_sgpr_queue_ptr 0
		.amdhsa_user_sgpr_kernarg_segment_ptr 1
		.amdhsa_user_sgpr_dispatch_id 0
		.amdhsa_user_sgpr_private_segment_size 0
		.amdhsa_wavefront_size32 1
		.amdhsa_uses_dynamic_stack 0
		.amdhsa_enable_private_segment 0
		.amdhsa_system_sgpr_workgroup_id_x 1
		.amdhsa_system_sgpr_workgroup_id_y 1
		.amdhsa_system_sgpr_workgroup_id_z 1
		.amdhsa_system_sgpr_workgroup_info 0
		.amdhsa_system_vgpr_workitem_id 1
		.amdhsa_next_free_vgpr 14
		.amdhsa_next_free_sgpr 26
		.amdhsa_reserve_vcc 1
		.amdhsa_float_round_mode_32 0
		.amdhsa_float_round_mode_16_64 0
		.amdhsa_float_denorm_mode_32 3
		.amdhsa_float_denorm_mode_16_64 3
		.amdhsa_dx10_clamp 1
		.amdhsa_ieee_mode 1
		.amdhsa_fp16_overflow 0
		.amdhsa_workgroup_processor_mode 1
		.amdhsa_memory_ordered 1
		.amdhsa_forward_progress 0
		.amdhsa_shared_vgpr_count 0
		.amdhsa_exception_fp_ieee_invalid_op 0
		.amdhsa_exception_fp_denorm_src 0
		.amdhsa_exception_fp_ieee_div_zero 0
		.amdhsa_exception_fp_ieee_overflow 0
		.amdhsa_exception_fp_ieee_underflow 0
		.amdhsa_exception_fp_ieee_inexact 0
		.amdhsa_exception_int_div_zero 0
	.end_amdhsa_kernel
	.section	.text._ZL39rocblas_trsm_block_forward_substitutionI19rocblas_complex_numIfES1_PKPKS1_PKPS1_Lb0ELb1ELb1EEv18rocblas_operation_llT0_T1_lllT2_lllib,"axG",@progbits,_ZL39rocblas_trsm_block_forward_substitutionI19rocblas_complex_numIfES1_PKPKS1_PKPS1_Lb0ELb1ELb1EEv18rocblas_operation_llT0_T1_lllT2_lllib,comdat
.Lfunc_end184:
	.size	_ZL39rocblas_trsm_block_forward_substitutionI19rocblas_complex_numIfES1_PKPKS1_PKPS1_Lb0ELb1ELb1EEv18rocblas_operation_llT0_T1_lllT2_lllib, .Lfunc_end184-_ZL39rocblas_trsm_block_forward_substitutionI19rocblas_complex_numIfES1_PKPKS1_PKPS1_Lb0ELb1ELb1EEv18rocblas_operation_llT0_T1_lllT2_lllib
                                        ; -- End function
	.section	.AMDGPU.csdata,"",@progbits
; Kernel info:
; codeLenInByte = 1008
; NumSgprs: 28
; NumVgprs: 14
; ScratchSize: 0
; MemoryBound: 0
; FloatMode: 240
; IeeeMode: 1
; LDSByteSize: 0 bytes/workgroup (compile time only)
; SGPRBlocks: 3
; VGPRBlocks: 1
; NumSGPRsForWavesPerEU: 28
; NumVGPRsForWavesPerEU: 14
; Occupancy: 16
; WaveLimiterHint : 1
; COMPUTE_PGM_RSRC2:SCRATCH_EN: 0
; COMPUTE_PGM_RSRC2:USER_SGPR: 13
; COMPUTE_PGM_RSRC2:TRAP_HANDLER: 0
; COMPUTE_PGM_RSRC2:TGID_X_EN: 1
; COMPUTE_PGM_RSRC2:TGID_Y_EN: 1
; COMPUTE_PGM_RSRC2:TGID_Z_EN: 1
; COMPUTE_PGM_RSRC2:TIDIG_COMP_CNT: 1
	.section	.text._ZL40rocblas_trsm_block_backward_substitutionI19rocblas_complex_numIfES1_PKPKS1_PKPS1_Lb0ELb1ELb1EEv18rocblas_operation_llT0_T1_lllT2_lllib,"axG",@progbits,_ZL40rocblas_trsm_block_backward_substitutionI19rocblas_complex_numIfES1_PKPKS1_PKPS1_Lb0ELb1ELb1EEv18rocblas_operation_llT0_T1_lllT2_lllib,comdat
	.globl	_ZL40rocblas_trsm_block_backward_substitutionI19rocblas_complex_numIfES1_PKPKS1_PKPS1_Lb0ELb1ELb1EEv18rocblas_operation_llT0_T1_lllT2_lllib ; -- Begin function _ZL40rocblas_trsm_block_backward_substitutionI19rocblas_complex_numIfES1_PKPKS1_PKPS1_Lb0ELb1ELb1EEv18rocblas_operation_llT0_T1_lllT2_lllib
	.p2align	8
	.type	_ZL40rocblas_trsm_block_backward_substitutionI19rocblas_complex_numIfES1_PKPKS1_PKPS1_Lb0ELb1ELb1EEv18rocblas_operation_llT0_T1_lllT2_lllib,@function
_ZL40rocblas_trsm_block_backward_substitutionI19rocblas_complex_numIfES1_PKPKS1_PKPS1_Lb0ELb1ELb1EEv18rocblas_operation_llT0_T1_lllT2_lllib: ; @_ZL40rocblas_trsm_block_backward_substitutionI19rocblas_complex_numIfES1_PKPKS1_PKPS1_Lb0ELb1ELb1EEv18rocblas_operation_llT0_T1_lllT2_lllib
; %bb.0:
	s_clause 0x1
	s_load_b128 s[4:7], s[0:1], 0x20
	s_load_b64 s[26:27], s[0:1], 0x30
	s_mov_b32 s2, s15
	s_mov_b32 s3, 0
	v_and_b32_e32 v1, 0x3ff, v0
	s_lshl_b64 s[2:3], s[2:3], 3
	v_bfe_u32 v0, v0, 10, 10
	s_waitcnt lgkmcnt(0)
	s_add_u32 s4, s4, s2
	s_addc_u32 s5, s5, s3
	s_lshl_b64 s[6:7], s[6:7], 3
	s_load_b64 s[4:5], s[4:5], 0x0
	s_clause 0x3
	s_load_b128 s[8:11], s[0:1], 0x40
	s_load_b64 s[12:13], s[0:1], 0x50
	s_load_b32 s16, s[0:1], 0x64
	s_load_b32 s15, s[0:1], 0x74
	s_waitcnt lgkmcnt(0)
	s_add_u32 s20, s4, s6
	s_addc_u32 s21, s5, s7
	s_add_u32 s2, s8, s2
	s_addc_u32 s3, s9, s3
	s_clause 0x1
	s_load_b128 s[4:7], s[0:1], 0x8
	s_load_b64 s[8:9], s[0:1], 0x18
	s_load_b64 s[18:19], s[2:3], 0x0
	s_add_u32 s22, s0, 0x68
	s_addc_u32 s23, s1, 0
	s_lshr_b32 s15, s15, 16
	s_bitcmp0_b32 s16, 0
	s_mov_b64 s[2:3], 1
	s_cbranch_scc1 .LBB185_6
; %bb.1:
	s_waitcnt lgkmcnt(0)
	v_cmp_lt_i64_e64 s2, s[4:5], 1
	s_lshl_b32 s3, s15, 3
	s_mov_b64 s[16:17], 1
	s_add_i32 s24, s3, 0
	s_delay_alu instid0(VALU_DEP_1)
	s_and_b32 vcc_lo, exec_lo, s2
	s_cbranch_vccnz .LBB185_7
; %bb.2:
	v_mad_u64_u32 v[3:4], null, v1, s26, 0
	s_delay_alu instid0(VALU_DEP_1) | instskip(NEXT) | instid1(VALU_DEP_1)
	v_mov_b32_e32 v2, v4
	v_mad_u64_u32 v[4:5], null, v1, s27, v[2:3]
	v_mov_b32_e32 v2, 0
	s_delay_alu instid0(VALU_DEP_1) | instskip(NEXT) | instid1(VALU_DEP_3)
	v_cmp_gt_u64_e64 s2, s[4:5], v[1:2]
	v_lshlrev_b64 v[5:6], 3, v[3:4]
	v_lshl_add_u32 v4, v1, 3, s24
	s_delay_alu instid0(VALU_DEP_2) | instskip(NEXT) | instid1(VALU_DEP_3)
	v_add_co_u32 v5, vcc_lo, s20, v5
	v_add_co_ci_u32_e32 v6, vcc_lo, s21, v6, vcc_lo
	s_mov_b32 s20, 0
	s_set_inst_prefetch_distance 0x1
	s_branch .LBB185_4
	.p2align	6
.LBB185_3:                              ;   in Loop: Header=BB185_4 Depth=1
	s_or_b32 exec_lo, exec_lo, s3
	s_add_i32 s20, s20, s15
	s_delay_alu instid0(SALU_CYCLE_1) | instskip(NEXT) | instid1(SALU_CYCLE_1)
	s_ashr_i32 s21, s20, 31
	v_cmp_ge_i64_e64 s3, s[20:21], s[4:5]
	s_delay_alu instid0(VALU_DEP_1)
	s_and_b32 vcc_lo, exec_lo, s3
	s_cbranch_vccnz .LBB185_7
.LBB185_4:                              ; =>This Inner Loop Header: Depth=1
	v_add_nc_u32_e32 v2, s20, v0
	s_delay_alu instid0(VALU_DEP_1) | instskip(SKIP_1) | instid1(VALU_DEP_2)
	v_ashrrev_i32_e32 v3, 31, v2
	v_cmp_lt_i32_e64 s3, v1, v2
	v_cmp_gt_i64_e32 vcc_lo, s[4:5], v[2:3]
	s_delay_alu instid0(VALU_DEP_2) | instskip(NEXT) | instid1(SALU_CYCLE_1)
	s_and_b32 s3, s3, vcc_lo
	s_and_b32 s21, s2, s3
	s_delay_alu instid0(SALU_CYCLE_1)
	s_and_saveexec_b32 s3, s21
	s_cbranch_execz .LBB185_3
; %bb.5:                                ;   in Loop: Header=BB185_4 Depth=1
	v_lshlrev_b64 v[7:8], 3, v[2:3]
	s_load_b32 s21, s[22:23], 0xc
	s_delay_alu instid0(VALU_DEP_1) | instskip(NEXT) | instid1(VALU_DEP_2)
	v_add_co_u32 v7, vcc_lo, v5, v7
	v_add_co_ci_u32_e32 v8, vcc_lo, v6, v8, vcc_lo
	global_load_b64 v[7:8], v[7:8], off
	s_waitcnt lgkmcnt(0)
	s_and_b32 s21, s21, 0xffff
	s_delay_alu instid0(SALU_CYCLE_1) | instskip(NEXT) | instid1(VALU_DEP_1)
	v_mul_lo_u32 v2, v2, s21
	v_lshl_add_u32 v2, v2, 3, v4
	s_waitcnt vmcnt(0)
	ds_store_b64 v2, v[7:8]
	s_branch .LBB185_3
.LBB185_6:
	s_mov_b64 s[16:17], s[26:27]
	s_branch .LBB185_8
.LBB185_7:
	s_set_inst_prefetch_distance 0x2
	s_load_b32 s20, s[22:23], 0xc
	s_mov_b64 s[2:3], src_shared_base
	s_delay_alu instid0(SALU_CYCLE_1)
	s_mov_b32 s25, s3
	s_waitcnt lgkmcnt(0)
	s_and_b32 s2, s20, 0xffff
	s_mov_b64 s[20:21], s[24:25]
.LBB185_8:
	v_mad_u64_u32 v[3:4], null, s14, s15, v[0:1]
	v_mov_b32_e32 v4, 0
	s_mov_b32 s3, exec_lo
	s_waitcnt lgkmcnt(0)
	s_delay_alu instid0(VALU_DEP_1)
	v_cmpx_gt_i64_e64 s[6:7], v[3:4]
	s_cbranch_execz .LBB185_23
; %bb.9:
	v_mov_b32_e32 v2, v4
	s_delay_alu instid0(VALU_DEP_1)
	v_cmp_gt_i64_e32 vcc_lo, s[4:5], v[1:2]
	s_and_b32 exec_lo, exec_lo, vcc_lo
	s_cbranch_execz .LBB185_23
; %bb.10:
	v_mad_u64_u32 v[4:5], null, v3, s12, 0
	s_lshl_b64 s[6:7], s[10:11], 3
	s_delay_alu instid0(SALU_CYCLE_1) | instskip(SKIP_1) | instid1(VALU_DEP_1)
	s_add_u32 s3, s18, s6
	s_addc_u32 s6, s19, s7
	v_mad_u64_u32 v[6:7], null, v3, s13, v[5:6]
	s_delay_alu instid0(VALU_DEP_1) | instskip(NEXT) | instid1(VALU_DEP_1)
	v_mov_b32_e32 v5, v6
	v_lshlrev_b64 v[3:4], 3, v[4:5]
	v_lshlrev_b32_e32 v5, 3, v1
	s_delay_alu instid0(VALU_DEP_2) | instskip(NEXT) | instid1(VALU_DEP_3)
	v_add_co_u32 v3, vcc_lo, s3, v3
	v_add_co_ci_u32_e32 v4, vcc_lo, s6, v4, vcc_lo
	v_cmp_lt_u64_e64 s3, s[4:5], 2
	s_delay_alu instid0(VALU_DEP_3) | instskip(NEXT) | instid1(VALU_DEP_3)
	v_add_co_u32 v3, vcc_lo, v3, v5
	v_add_co_ci_u32_e32 v4, vcc_lo, 0, v4, vcc_lo
	s_delay_alu instid0(VALU_DEP_3) | instskip(SKIP_4) | instid1(VALU_DEP_2)
	s_and_b32 vcc_lo, exec_lo, s3
	global_load_b64 v[7:8], v[3:4], off
	s_waitcnt vmcnt(0)
	v_mul_f32_e32 v5, s9, v8
	v_mul_f32_e32 v6, s8, v8
	v_fma_f32 v5, s8, v7, -v5
	s_delay_alu instid0(VALU_DEP_2)
	v_fmac_f32_e32 v6, s9, v7
	s_cbranch_vccnz .LBB185_22
; %bb.11:
	s_load_b32 s0, s[0:1], 0x0
	v_mad_u64_u32 v[7:8], null, s16, v1, 0
	v_lshl_add_u32 v0, v0, 3, 0
	s_delay_alu instid0(VALU_DEP_2) | instskip(NEXT) | instid1(VALU_DEP_1)
	v_mad_u64_u32 v[9:10], null, s17, v1, v[8:9]
	v_mov_b32_e32 v8, v9
	s_waitcnt lgkmcnt(0)
	s_cmpk_lg_i32 s0, 0x71
	s_delay_alu instid0(VALU_DEP_1)
	v_lshlrev_b64 v[7:8], 3, v[7:8]
	s_cselect_b32 s6, -1, 0
	s_add_u32 s0, s4, -1
	s_addc_u32 s1, s5, -1
	s_mul_hi_u32 s3, s2, s0
	s_mul_i32 s5, s2, s1
	s_mul_i32 s4, s2, s0
	s_add_i32 s5, s3, s5
	s_delay_alu instid0(SALU_CYCLE_1) | instskip(NEXT) | instid1(SALU_CYCLE_1)
	s_lshl_b64 s[4:5], s[4:5], 3
	s_add_u32 s3, s20, s4
	s_addc_u32 s4, s21, s5
	v_add_co_u32 v7, vcc_lo, s3, v7
	v_add_co_ci_u32_e32 v8, vcc_lo, s4, v8, vcc_lo
	s_lshl_b32 s2, s2, 3
	s_delay_alu instid0(SALU_CYCLE_1)
	s_sub_u32 s4, 0, s2
	s_subb_u32 s5, 0, 0
.LBB185_12:                             ; =>This Inner Loop Header: Depth=1
	s_mov_b32 s2, exec_lo
	s_barrier
	buffer_gl0_inv
	v_cmpx_eq_u64_e64 s[0:1], v[1:2]
	s_cbranch_execz .LBB185_14
; %bb.13:                               ;   in Loop: Header=BB185_12 Depth=1
	ds_store_b64 v0, v[5:6]
.LBB185_14:                             ;   in Loop: Header=BB185_12 Depth=1
	s_or_b32 exec_lo, exec_lo, s2
	s_delay_alu instid0(SALU_CYCLE_1)
	s_mov_b32 s2, exec_lo
	s_waitcnt lgkmcnt(0)
	s_barrier
	buffer_gl0_inv
	v_cmpx_gt_i64_e64 s[0:1], v[1:2]
	s_cbranch_execz .LBB185_20
; %bb.15:                               ;   in Loop: Header=BB185_12 Depth=1
	s_and_b32 vcc_lo, exec_lo, s6
	s_cbranch_vccz .LBB185_17
; %bb.16:                               ;   in Loop: Header=BB185_12 Depth=1
	flat_load_b64 v[9:10], v[7:8]
	s_cbranch_execz .LBB185_18
	s_branch .LBB185_19
.LBB185_17:                             ;   in Loop: Header=BB185_12 Depth=1
                                        ; implicit-def: $vgpr9
.LBB185_18:                             ;   in Loop: Header=BB185_12 Depth=1
	s_waitcnt vmcnt(0) lgkmcnt(0)
	flat_load_b64 v[9:10], v[7:8]
	s_waitcnt vmcnt(0) lgkmcnt(0)
	v_xor_b32_e32 v10, 0x80000000, v10
.LBB185_19:                             ;   in Loop: Header=BB185_12 Depth=1
	ds_load_b64 v[11:12], v0
	s_waitcnt vmcnt(0) lgkmcnt(0)
	v_mul_f32_e32 v13, v12, v10
	v_mul_f32_e32 v12, v12, v9
	s_delay_alu instid0(VALU_DEP_1) | instskip(NEXT) | instid1(VALU_DEP_1)
	v_fmac_f32_e32 v12, v11, v10
	v_sub_f32_e32 v6, v6, v12
	s_delay_alu instid0(VALU_DEP_4) | instskip(NEXT) | instid1(VALU_DEP_1)
	v_fma_f32 v9, v11, v9, -v13
	v_sub_f32_e32 v5, v5, v9
.LBB185_20:                             ;   in Loop: Header=BB185_12 Depth=1
	s_or_b32 exec_lo, exec_lo, s2
	s_add_u32 s2, s0, -1
	s_addc_u32 s3, s1, -1
	s_add_u32 s0, s0, 1
	s_addc_u32 s1, s1, 0
	v_add_co_u32 v7, vcc_lo, v7, s4
	v_cmp_lt_u64_e64 s0, s[0:1], 3
	v_add_co_ci_u32_e32 v8, vcc_lo, s5, v8, vcc_lo
	s_delay_alu instid0(VALU_DEP_2)
	s_and_b32 vcc_lo, exec_lo, s0
	s_cbranch_vccnz .LBB185_22
; %bb.21:                               ;   in Loop: Header=BB185_12 Depth=1
	s_mov_b64 s[0:1], s[2:3]
	s_branch .LBB185_12
.LBB185_22:
	global_store_b64 v[3:4], v[5:6], off
.LBB185_23:
	s_nop 0
	s_sendmsg sendmsg(MSG_DEALLOC_VGPRS)
	s_endpgm
	.section	.rodata,"a",@progbits
	.p2align	6, 0x0
	.amdhsa_kernel _ZL40rocblas_trsm_block_backward_substitutionI19rocblas_complex_numIfES1_PKPKS1_PKPS1_Lb0ELb1ELb1EEv18rocblas_operation_llT0_T1_lllT2_lllib
		.amdhsa_group_segment_fixed_size 0
		.amdhsa_private_segment_fixed_size 0
		.amdhsa_kernarg_size 360
		.amdhsa_user_sgpr_count 13
		.amdhsa_user_sgpr_dispatch_ptr 0
		.amdhsa_user_sgpr_queue_ptr 0
		.amdhsa_user_sgpr_kernarg_segment_ptr 1
		.amdhsa_user_sgpr_dispatch_id 0
		.amdhsa_user_sgpr_private_segment_size 0
		.amdhsa_wavefront_size32 1
		.amdhsa_uses_dynamic_stack 0
		.amdhsa_enable_private_segment 0
		.amdhsa_system_sgpr_workgroup_id_x 1
		.amdhsa_system_sgpr_workgroup_id_y 1
		.amdhsa_system_sgpr_workgroup_id_z 1
		.amdhsa_system_sgpr_workgroup_info 0
		.amdhsa_system_vgpr_workitem_id 1
		.amdhsa_next_free_vgpr 14
		.amdhsa_next_free_sgpr 28
		.amdhsa_reserve_vcc 1
		.amdhsa_float_round_mode_32 0
		.amdhsa_float_round_mode_16_64 0
		.amdhsa_float_denorm_mode_32 3
		.amdhsa_float_denorm_mode_16_64 3
		.amdhsa_dx10_clamp 1
		.amdhsa_ieee_mode 1
		.amdhsa_fp16_overflow 0
		.amdhsa_workgroup_processor_mode 1
		.amdhsa_memory_ordered 1
		.amdhsa_forward_progress 0
		.amdhsa_shared_vgpr_count 0
		.amdhsa_exception_fp_ieee_invalid_op 0
		.amdhsa_exception_fp_denorm_src 0
		.amdhsa_exception_fp_ieee_div_zero 0
		.amdhsa_exception_fp_ieee_overflow 0
		.amdhsa_exception_fp_ieee_underflow 0
		.amdhsa_exception_fp_ieee_inexact 0
		.amdhsa_exception_int_div_zero 0
	.end_amdhsa_kernel
	.section	.text._ZL40rocblas_trsm_block_backward_substitutionI19rocblas_complex_numIfES1_PKPKS1_PKPS1_Lb0ELb1ELb1EEv18rocblas_operation_llT0_T1_lllT2_lllib,"axG",@progbits,_ZL40rocblas_trsm_block_backward_substitutionI19rocblas_complex_numIfES1_PKPKS1_PKPS1_Lb0ELb1ELb1EEv18rocblas_operation_llT0_T1_lllT2_lllib,comdat
.Lfunc_end185:
	.size	_ZL40rocblas_trsm_block_backward_substitutionI19rocblas_complex_numIfES1_PKPKS1_PKPS1_Lb0ELb1ELb1EEv18rocblas_operation_llT0_T1_lllT2_lllib, .Lfunc_end185-_ZL40rocblas_trsm_block_backward_substitutionI19rocblas_complex_numIfES1_PKPKS1_PKPS1_Lb0ELb1ELb1EEv18rocblas_operation_llT0_T1_lllT2_lllib
                                        ; -- End function
	.section	.AMDGPU.csdata,"",@progbits
; Kernel info:
; codeLenInByte = 1104
; NumSgprs: 30
; NumVgprs: 14
; ScratchSize: 0
; MemoryBound: 0
; FloatMode: 240
; IeeeMode: 1
; LDSByteSize: 0 bytes/workgroup (compile time only)
; SGPRBlocks: 3
; VGPRBlocks: 1
; NumSGPRsForWavesPerEU: 30
; NumVGPRsForWavesPerEU: 14
; Occupancy: 16
; WaveLimiterHint : 1
; COMPUTE_PGM_RSRC2:SCRATCH_EN: 0
; COMPUTE_PGM_RSRC2:USER_SGPR: 13
; COMPUTE_PGM_RSRC2:TRAP_HANDLER: 0
; COMPUTE_PGM_RSRC2:TGID_X_EN: 1
; COMPUTE_PGM_RSRC2:TGID_Y_EN: 1
; COMPUTE_PGM_RSRC2:TGID_Z_EN: 1
; COMPUTE_PGM_RSRC2:TIDIG_COMP_CNT: 1
	.section	.text._ZL39rocblas_trsm_block_forward_substitutionI19rocblas_complex_numIfES1_PKPKS1_PKPS1_Lb1ELb1ELb0EEv18rocblas_operation_llT0_T1_lllT2_lllib,"axG",@progbits,_ZL39rocblas_trsm_block_forward_substitutionI19rocblas_complex_numIfES1_PKPKS1_PKPS1_Lb1ELb1ELb0EEv18rocblas_operation_llT0_T1_lllT2_lllib,comdat
	.globl	_ZL39rocblas_trsm_block_forward_substitutionI19rocblas_complex_numIfES1_PKPKS1_PKPS1_Lb1ELb1ELb0EEv18rocblas_operation_llT0_T1_lllT2_lllib ; -- Begin function _ZL39rocblas_trsm_block_forward_substitutionI19rocblas_complex_numIfES1_PKPKS1_PKPS1_Lb1ELb1ELb0EEv18rocblas_operation_llT0_T1_lllT2_lllib
	.p2align	8
	.type	_ZL39rocblas_trsm_block_forward_substitutionI19rocblas_complex_numIfES1_PKPKS1_PKPS1_Lb1ELb1ELb0EEv18rocblas_operation_llT0_T1_lllT2_lllib,@function
_ZL39rocblas_trsm_block_forward_substitutionI19rocblas_complex_numIfES1_PKPKS1_PKPS1_Lb1ELb1ELb0EEv18rocblas_operation_llT0_T1_lllT2_lllib: ; @_ZL39rocblas_trsm_block_forward_substitutionI19rocblas_complex_numIfES1_PKPKS1_PKPS1_Lb1ELb1ELb0EEv18rocblas_operation_llT0_T1_lllT2_lllib
; %bb.0:
	s_clause 0x1
	s_load_b32 s8, s[0:1], 0x64
	s_load_b128 s[4:7], s[0:1], 0x20
	s_mov_b32 s2, s15
	s_mov_b32 s3, 0
	s_clause 0x2
	s_load_b32 s24, s[0:1], 0x74
	s_load_b64 s[20:21], s[0:1], 0x50
	s_load_b64 s[26:27], s[0:1], 0x30
	v_and_b32_e32 v1, 0x3ff, v0
	v_bfe_u32 v0, v0, 10, 10
	s_waitcnt lgkmcnt(0)
	s_bitcmp1_b32 s8, 0
	s_cselect_b32 s8, -1, 0
	s_lshl_b64 s[12:13], s[2:3], 3
	s_xor_b32 s15, s8, -1
	s_add_u32 s2, s4, s12
	s_addc_u32 s3, s5, s13
	s_lshl_b64 s[4:5], s[6:7], 3
	s_load_b64 s[2:3], s[2:3], 0x0
	s_load_b128 s[8:11], s[0:1], 0x40
	s_waitcnt lgkmcnt(0)
	s_add_u32 s2, s2, s4
	s_addc_u32 s3, s3, s5
	s_add_u32 s8, s8, s12
	s_addc_u32 s9, s9, s13
	s_clause 0x1
	s_load_b128 s[4:7], s[0:1], 0x8
	s_load_b64 s[16:17], s[0:1], 0x18
	s_load_b64 s[18:19], s[8:9], 0x0
	s_add_u32 s22, s0, 0x68
	s_addc_u32 s23, s1, 0
	s_lshr_b32 s28, s24, 16
	s_and_b32 vcc_lo, exec_lo, s15
	s_mov_b64 s[12:13], 1
	s_cbranch_vccnz .LBB186_14
; %bb.1:
	s_waitcnt lgkmcnt(0)
	v_cmp_lt_i64_e64 s8, s[4:5], 1
	s_lshl_b32 s9, s28, 3
	s_delay_alu instid0(SALU_CYCLE_1) | instskip(NEXT) | instid1(VALU_DEP_1)
	s_add_i32 s24, s9, 0
	s_and_b32 vcc_lo, exec_lo, s8
	s_mov_b64 s[8:9], 1
	s_cbranch_vccnz .LBB186_15
; %bb.2:
	v_mad_u64_u32 v[2:3], null, v1, s26, 0
	s_delay_alu instid0(VALU_DEP_1) | instskip(SKIP_1) | instid1(VALU_DEP_2)
	v_mad_u64_u32 v[4:5], null, v1, s27, v[3:4]
	v_lshlrev_b32_e32 v5, 3, v1
	v_mov_b32_e32 v3, v4
	s_delay_alu instid0(VALU_DEP_1) | instskip(SKIP_1) | instid1(VALU_DEP_2)
	v_lshlrev_b64 v[3:4], 3, v[2:3]
	v_mov_b32_e32 v2, 0
	v_add_co_u32 v10, vcc_lo, s2, v3
	s_delay_alu instid0(VALU_DEP_3) | instskip(NEXT) | instid1(VALU_DEP_3)
	v_add_co_ci_u32_e32 v11, vcc_lo, s3, v4, vcc_lo
	v_cmp_le_u64_e32 vcc_lo, s[4:5], v[1:2]
	v_mov_b32_e32 v4, v0
	s_delay_alu instid0(VALU_DEP_4)
	v_add_co_u32 v2, s2, v10, v5
	v_add_nc_u32_e32 v9, s24, v5
	v_add_co_ci_u32_e64 v3, s2, 0, v11, s2
	s_xor_b32 s12, vcc_lo, -1
	s_mov_b32 s2, s28
	s_branch .LBB186_6
.LBB186_3:                              ;   in Loop: Header=BB186_6 Depth=1
	s_or_b32 exec_lo, exec_lo, s25
	s_load_b32 s25, s[22:23], 0xc
	s_waitcnt lgkmcnt(0)
	s_and_b32 s25, s25, 0xffff
	s_delay_alu instid0(SALU_CYCLE_1) | instskip(NEXT) | instid1(VALU_DEP_1)
	v_mul_u32_u24_e32 v5, s25, v1
	v_lshl_add_u32 v5, v5, 3, v9
	ds_store_b64 v5, v[7:8]
.LBB186_4:                              ;   in Loop: Header=BB186_6 Depth=1
	s_or_b32 exec_lo, exec_lo, s13
.LBB186_5:                              ;   in Loop: Header=BB186_6 Depth=1
	s_delay_alu instid0(SALU_CYCLE_1) | instskip(SKIP_4) | instid1(VALU_DEP_1)
	s_or_b32 exec_lo, exec_lo, s3
	s_ashr_i32 s3, s2, 31
	v_add_nc_u32_e32 v4, s28, v4
	v_cmp_ge_i64_e64 s3, s[2:3], s[4:5]
	s_add_i32 s2, s2, s28
	s_and_b32 vcc_lo, exec_lo, s3
	s_cbranch_vccnz .LBB186_15
.LBB186_6:                              ; =>This Inner Loop Header: Depth=1
	v_cmp_gt_i32_e32 vcc_lo, v1, v4
	s_and_b32 s3, s12, vcc_lo
	s_delay_alu instid0(SALU_CYCLE_1) | instskip(NEXT) | instid1(SALU_CYCLE_1)
	s_and_saveexec_b32 s13, s3
	s_xor_b32 s3, exec_lo, s13
	s_cbranch_execz .LBB186_8
; %bb.7:                                ;   in Loop: Header=BB186_6 Depth=1
	v_ashrrev_i32_e32 v5, 31, v4
	s_load_b32 s13, s[22:23], 0xc
	s_delay_alu instid0(VALU_DEP_1) | instskip(NEXT) | instid1(VALU_DEP_1)
	v_lshlrev_b64 v[5:6], 3, v[4:5]
	v_add_co_u32 v5, vcc_lo, v10, v5
	s_delay_alu instid0(VALU_DEP_2) | instskip(SKIP_3) | instid1(SALU_CYCLE_1)
	v_add_co_ci_u32_e32 v6, vcc_lo, v11, v6, vcc_lo
	global_load_b64 v[5:6], v[5:6], off
	s_waitcnt lgkmcnt(0)
	s_and_b32 s13, s13, 0xffff
	v_mul_lo_u32 v7, v4, s13
	s_delay_alu instid0(VALU_DEP_1)
	v_lshl_add_u32 v7, v7, 3, v9
	s_waitcnt vmcnt(0)
	ds_store_b64 v7, v[5:6]
.LBB186_8:                              ;   in Loop: Header=BB186_6 Depth=1
	s_and_not1_saveexec_b32 s3, s3
	s_cbranch_execz .LBB186_5
; %bb.9:                                ;   in Loop: Header=BB186_6 Depth=1
	v_cmp_eq_u32_e32 vcc_lo, v1, v4
	s_and_b32 s25, s12, vcc_lo
	s_delay_alu instid0(SALU_CYCLE_1)
	s_and_saveexec_b32 s13, s25
	s_cbranch_execz .LBB186_4
; %bb.10:                               ;   in Loop: Header=BB186_6 Depth=1
	global_load_b64 v[5:6], v[2:3], off
	s_waitcnt vmcnt(0)
	v_cmp_gt_f32_e32 vcc_lo, 0, v5
	v_cndmask_b32_e64 v7, v5, -v5, vcc_lo
	v_cmp_gt_f32_e32 vcc_lo, 0, v6
	v_cndmask_b32_e64 v8, v6, -v6, vcc_lo
	s_delay_alu instid0(VALU_DEP_1) | instskip(SKIP_1) | instid1(SALU_CYCLE_1)
	v_cmp_ngt_f32_e32 vcc_lo, v7, v8
                                        ; implicit-def: $vgpr7
	s_and_saveexec_b32 s25, vcc_lo
	s_xor_b32 s25, exec_lo, s25
	s_cbranch_execz .LBB186_12
; %bb.11:                               ;   in Loop: Header=BB186_6 Depth=1
	v_div_scale_f32 v7, null, v6, v6, v5
	v_div_scale_f32 v13, vcc_lo, v5, v6, v5
	s_delay_alu instid0(VALU_DEP_2) | instskip(SKIP_2) | instid1(VALU_DEP_1)
	v_rcp_f32_e32 v8, v7
	s_waitcnt_depctr 0xfff
	v_fma_f32 v12, -v7, v8, 1.0
	v_fmac_f32_e32 v8, v12, v8
	s_delay_alu instid0(VALU_DEP_1) | instskip(NEXT) | instid1(VALU_DEP_1)
	v_mul_f32_e32 v12, v13, v8
	v_fma_f32 v14, -v7, v12, v13
	s_delay_alu instid0(VALU_DEP_1) | instskip(NEXT) | instid1(VALU_DEP_1)
	v_fmac_f32_e32 v12, v14, v8
	v_fma_f32 v7, -v7, v12, v13
	s_delay_alu instid0(VALU_DEP_1) | instskip(NEXT) | instid1(VALU_DEP_1)
	v_div_fmas_f32 v7, v7, v8, v12
	v_div_fixup_f32 v7, v7, v6, v5
	s_delay_alu instid0(VALU_DEP_1) | instskip(NEXT) | instid1(VALU_DEP_1)
	v_fmac_f32_e32 v6, v5, v7
	v_div_scale_f32 v5, null, v6, v6, 1.0
	v_div_scale_f32 v13, vcc_lo, 1.0, v6, 1.0
	s_delay_alu instid0(VALU_DEP_2) | instskip(SKIP_2) | instid1(VALU_DEP_1)
	v_rcp_f32_e32 v8, v5
	s_waitcnt_depctr 0xfff
	v_fma_f32 v12, -v5, v8, 1.0
	v_fmac_f32_e32 v8, v12, v8
	s_delay_alu instid0(VALU_DEP_1) | instskip(NEXT) | instid1(VALU_DEP_1)
	v_mul_f32_e32 v12, v13, v8
	v_fma_f32 v14, -v5, v12, v13
	s_delay_alu instid0(VALU_DEP_1) | instskip(NEXT) | instid1(VALU_DEP_1)
	v_fmac_f32_e32 v12, v14, v8
	v_fma_f32 v5, -v5, v12, v13
	s_delay_alu instid0(VALU_DEP_1) | instskip(NEXT) | instid1(VALU_DEP_1)
	v_div_fmas_f32 v5, v5, v8, v12
	v_div_fixup_f32 v5, v5, v6, 1.0
	s_delay_alu instid0(VALU_DEP_1)
	v_mul_f32_e32 v7, v7, v5
	v_xor_b32_e32 v8, 0x80000000, v5
                                        ; implicit-def: $vgpr5_vgpr6
.LBB186_12:                             ;   in Loop: Header=BB186_6 Depth=1
	s_and_not1_saveexec_b32 s25, s25
	s_cbranch_execz .LBB186_3
; %bb.13:                               ;   in Loop: Header=BB186_6 Depth=1
	v_div_scale_f32 v7, null, v5, v5, v6
	v_div_scale_f32 v13, vcc_lo, v6, v5, v6
	s_delay_alu instid0(VALU_DEP_2) | instskip(SKIP_2) | instid1(VALU_DEP_1)
	v_rcp_f32_e32 v8, v7
	s_waitcnt_depctr 0xfff
	v_fma_f32 v12, -v7, v8, 1.0
	v_fmac_f32_e32 v8, v12, v8
	s_delay_alu instid0(VALU_DEP_1) | instskip(NEXT) | instid1(VALU_DEP_1)
	v_mul_f32_e32 v12, v13, v8
	v_fma_f32 v14, -v7, v12, v13
	s_delay_alu instid0(VALU_DEP_1) | instskip(NEXT) | instid1(VALU_DEP_1)
	v_fmac_f32_e32 v12, v14, v8
	v_fma_f32 v7, -v7, v12, v13
	s_delay_alu instid0(VALU_DEP_1) | instskip(NEXT) | instid1(VALU_DEP_1)
	v_div_fmas_f32 v7, v7, v8, v12
	v_div_fixup_f32 v8, v7, v5, v6
	s_delay_alu instid0(VALU_DEP_1) | instskip(NEXT) | instid1(VALU_DEP_1)
	v_fmac_f32_e32 v5, v6, v8
	v_div_scale_f32 v6, null, v5, v5, 1.0
	s_delay_alu instid0(VALU_DEP_1) | instskip(SKIP_2) | instid1(VALU_DEP_1)
	v_rcp_f32_e32 v7, v6
	s_waitcnt_depctr 0xfff
	v_fma_f32 v12, -v6, v7, 1.0
	v_fmac_f32_e32 v7, v12, v7
	v_div_scale_f32 v12, vcc_lo, 1.0, v5, 1.0
	s_delay_alu instid0(VALU_DEP_1) | instskip(NEXT) | instid1(VALU_DEP_1)
	v_mul_f32_e32 v13, v12, v7
	v_fma_f32 v14, -v6, v13, v12
	s_delay_alu instid0(VALU_DEP_1) | instskip(NEXT) | instid1(VALU_DEP_1)
	v_fmac_f32_e32 v13, v14, v7
	v_fma_f32 v6, -v6, v13, v12
	s_delay_alu instid0(VALU_DEP_1) | instskip(NEXT) | instid1(VALU_DEP_1)
	v_div_fmas_f32 v6, v6, v7, v13
	v_div_fixup_f32 v7, v6, v5, 1.0
	s_delay_alu instid0(VALU_DEP_1)
	v_mul_f32_e64 v8, v8, -v7
	s_branch .LBB186_3
.LBB186_14:
	s_mov_b64 s[8:9], s[26:27]
	s_branch .LBB186_16
.LBB186_15:
	s_load_b32 s12, s[22:23], 0xc
	s_mov_b64 s[2:3], src_shared_base
	s_mov_b32 s13, 0
	s_mov_b32 s25, s3
	s_delay_alu instid0(SALU_CYCLE_1)
	s_mov_b64 s[2:3], s[24:25]
	s_waitcnt lgkmcnt(0)
	s_and_b32 s12, s12, 0xffff
.LBB186_16:
	v_mad_u64_u32 v[3:4], null, s14, s28, v[0:1]
	v_mov_b32_e32 v4, 0
	s_waitcnt lgkmcnt(0)
	s_delay_alu instid0(VALU_DEP_1)
	v_cmp_gt_i64_e32 vcc_lo, s[6:7], v[3:4]
	s_and_saveexec_b32 s6, vcc_lo
	s_cbranch_execz .LBB186_44
; %bb.17:
	v_mov_b32_e32 v2, v4
	s_delay_alu instid0(VALU_DEP_1)
	v_cmp_gt_i64_e32 vcc_lo, s[4:5], v[1:2]
	s_and_b32 exec_lo, exec_lo, vcc_lo
	s_cbranch_execz .LBB186_44
; %bb.18:
	v_mad_u64_u32 v[5:6], null, v1, s20, 0
	s_lshl_b64 s[6:7], s[10:11], 3
	v_lshlrev_b64 v[3:4], 3, v[3:4]
	s_add_u32 s6, s18, s6
	s_addc_u32 s7, s19, s7
	s_delay_alu instid0(VALU_DEP_2) | instskip(NEXT) | instid1(VALU_DEP_1)
	v_mad_u64_u32 v[7:8], null, v1, s21, v[6:7]
	v_mov_b32_e32 v6, v7
	s_delay_alu instid0(VALU_DEP_1) | instskip(NEXT) | instid1(VALU_DEP_1)
	v_lshlrev_b64 v[5:6], 3, v[5:6]
	v_add_co_u32 v5, vcc_lo, s6, v5
	s_delay_alu instid0(VALU_DEP_2) | instskip(SKIP_1) | instid1(VALU_DEP_3)
	v_add_co_ci_u32_e32 v6, vcc_lo, s7, v6, vcc_lo
	v_cmp_lt_u64_e64 s6, s[4:5], 2
	v_add_co_u32 v3, vcc_lo, v5, v3
	s_delay_alu instid0(VALU_DEP_3) | instskip(SKIP_2) | instid1(VALU_DEP_3)
	v_add_co_ci_u32_e32 v4, vcc_lo, v6, v4, vcc_lo
	s_add_u32 s4, s4, -1
	s_addc_u32 s5, s5, -1
	s_and_b32 vcc_lo, exec_lo, s6
	global_load_b64 v[7:8], v[3:4], off
	s_waitcnt vmcnt(0)
	v_mul_f32_e32 v5, s17, v8
	v_mul_f32_e32 v6, s16, v8
	s_delay_alu instid0(VALU_DEP_2) | instskip(NEXT) | instid1(VALU_DEP_2)
	v_fma_f32 v5, s16, v7, -v5
	v_fmac_f32_e32 v6, s17, v7
	s_cbranch_vccnz .LBB186_35
; %bb.19:
	s_load_b32 s0, s[0:1], 0x0
	v_mad_u64_u32 v[7:8], null, s8, v1, 0
	v_lshl_add_u32 v0, v0, 3, 0
	s_waitcnt lgkmcnt(0)
	s_cmpk_lg_i32 s0, 0x71
	s_cselect_b32 s6, -1, 0
	s_add_u32 s0, s12, s8
	s_delay_alu instid0(SALU_CYCLE_1) | instskip(SKIP_2) | instid1(VALU_DEP_1)
	v_mad_u64_u32 v[9:10], null, s0, v1, 0
	s_addc_u32 s0, s13, s9
	s_lshl_b32 s7, s12, 3
	v_mad_u64_u32 v[11:12], null, s9, v1, v[8:9]
	s_delay_alu instid0(VALU_DEP_1) | instskip(SKIP_2) | instid1(VALU_DEP_1)
	v_mad_u64_u32 v[12:13], null, s0, v1, v[10:11]
	v_mov_b32_e32 v8, v11
	s_mov_b64 s[0:1], 0
	v_lshlrev_b64 v[7:8], 3, v[7:8]
	s_delay_alu instid0(VALU_DEP_3) | instskip(NEXT) | instid1(VALU_DEP_2)
	v_mov_b32_e32 v10, v12
	v_add_co_u32 v7, vcc_lo, s2, v7
	s_delay_alu instid0(VALU_DEP_2) | instskip(NEXT) | instid1(VALU_DEP_4)
	v_lshlrev_b64 v[9:10], 3, v[9:10]
	v_add_co_ci_u32_e32 v8, vcc_lo, s3, v8, vcc_lo
	s_delay_alu instid0(VALU_DEP_2) | instskip(NEXT) | instid1(VALU_DEP_3)
	v_add_co_u32 v9, vcc_lo, s2, v9
	v_add_co_ci_u32_e32 v10, vcc_lo, s3, v10, vcc_lo
	s_branch .LBB186_22
.LBB186_20:                             ;   in Loop: Header=BB186_22 Depth=1
	ds_load_b64 v[13:14], v0
	s_waitcnt vmcnt(0) lgkmcnt(0)
	v_mul_f32_e32 v15, v14, v12
	v_mul_f32_e32 v14, v14, v11
	s_delay_alu instid0(VALU_DEP_2) | instskip(NEXT) | instid1(VALU_DEP_2)
	v_fma_f32 v11, v13, v11, -v15
	v_fmac_f32_e32 v14, v13, v12
	s_delay_alu instid0(VALU_DEP_1)
	v_dual_sub_f32 v5, v5, v11 :: v_dual_sub_f32 v6, v6, v14
.LBB186_21:                             ;   in Loop: Header=BB186_22 Depth=1
	s_or_b32 exec_lo, exec_lo, s10
	v_add_co_u32 v7, vcc_lo, v7, s7
	s_add_u32 s0, s0, 1
	v_add_co_ci_u32_e32 v8, vcc_lo, 0, v8, vcc_lo
	s_addc_u32 s1, s1, 0
	s_delay_alu instid0(SALU_CYCLE_1)
	s_cmp_eq_u64 s[4:5], s[0:1]
	s_cbranch_scc1 .LBB186_35
.LBB186_22:                             ; =>This Inner Loop Header: Depth=1
	s_mov_b32 s10, exec_lo
	s_barrier
	buffer_gl0_inv
	v_cmpx_eq_u64_e64 s[0:1], v[1:2]
	s_cbranch_execz .LBB186_30
; %bb.23:                               ;   in Loop: Header=BB186_22 Depth=1
	flat_load_b64 v[11:12], v[9:10]
	s_and_not1_b32 vcc_lo, exec_lo, s15
	s_cbranch_vccnz .LBB186_29
; %bb.24:                               ;   in Loop: Header=BB186_22 Depth=1
	s_waitcnt vmcnt(0) lgkmcnt(0)
	v_cmp_gt_f32_e32 vcc_lo, 0, v11
	s_mov_b32 s11, exec_lo
	v_cndmask_b32_e64 v13, v11, -v11, vcc_lo
	v_cmp_gt_f32_e32 vcc_lo, 0, v12
	v_cndmask_b32_e64 v14, v12, -v12, vcc_lo
	s_delay_alu instid0(VALU_DEP_1)
	v_cmpx_ngt_f32_e32 v13, v14
	s_xor_b32 s11, exec_lo, s11
	s_cbranch_execz .LBB186_26
; %bb.25:                               ;   in Loop: Header=BB186_22 Depth=1
	v_div_scale_f32 v13, null, v12, v12, v11
	v_div_scale_f32 v16, vcc_lo, v11, v12, v11
	s_delay_alu instid0(VALU_DEP_2) | instskip(SKIP_2) | instid1(VALU_DEP_1)
	v_rcp_f32_e32 v14, v13
	s_waitcnt_depctr 0xfff
	v_fma_f32 v15, -v13, v14, 1.0
	v_fmac_f32_e32 v14, v15, v14
	s_delay_alu instid0(VALU_DEP_1) | instskip(NEXT) | instid1(VALU_DEP_1)
	v_mul_f32_e32 v15, v16, v14
	v_fma_f32 v17, -v13, v15, v16
	s_delay_alu instid0(VALU_DEP_1) | instskip(NEXT) | instid1(VALU_DEP_1)
	v_fmac_f32_e32 v15, v17, v14
	v_fma_f32 v13, -v13, v15, v16
	s_delay_alu instid0(VALU_DEP_1) | instskip(NEXT) | instid1(VALU_DEP_1)
	v_div_fmas_f32 v13, v13, v14, v15
	v_div_fixup_f32 v13, v13, v12, v11
	s_delay_alu instid0(VALU_DEP_1) | instskip(NEXT) | instid1(VALU_DEP_1)
	v_fmac_f32_e32 v12, v11, v13
	v_div_scale_f32 v11, null, v12, v12, 1.0
	v_div_scale_f32 v16, vcc_lo, 1.0, v12, 1.0
	s_delay_alu instid0(VALU_DEP_2) | instskip(SKIP_2) | instid1(VALU_DEP_1)
	v_rcp_f32_e32 v14, v11
	s_waitcnt_depctr 0xfff
	v_fma_f32 v15, -v11, v14, 1.0
	v_fmac_f32_e32 v14, v15, v14
	s_delay_alu instid0(VALU_DEP_1) | instskip(NEXT) | instid1(VALU_DEP_1)
	v_mul_f32_e32 v15, v16, v14
	v_fma_f32 v17, -v11, v15, v16
	s_delay_alu instid0(VALU_DEP_1) | instskip(NEXT) | instid1(VALU_DEP_1)
	v_fmac_f32_e32 v15, v17, v14
	v_fma_f32 v11, -v11, v15, v16
	s_delay_alu instid0(VALU_DEP_1) | instskip(NEXT) | instid1(VALU_DEP_1)
	v_div_fmas_f32 v11, v11, v14, v15
	v_div_fixup_f32 v12, v11, v12, 1.0
	s_delay_alu instid0(VALU_DEP_1)
	v_mul_f32_e32 v11, v13, v12
	v_xor_b32_e32 v12, 0x80000000, v12
.LBB186_26:                             ;   in Loop: Header=BB186_22 Depth=1
	s_and_not1_saveexec_b32 s11, s11
	s_cbranch_execz .LBB186_28
; %bb.27:                               ;   in Loop: Header=BB186_22 Depth=1
	s_delay_alu instid0(VALU_DEP_1) | instskip(SKIP_1) | instid1(VALU_DEP_2)
	v_div_scale_f32 v13, null, v11, v11, v12
	v_div_scale_f32 v16, vcc_lo, v12, v11, v12
	v_rcp_f32_e32 v14, v13
	s_waitcnt_depctr 0xfff
	v_fma_f32 v15, -v13, v14, 1.0
	s_delay_alu instid0(VALU_DEP_1) | instskip(NEXT) | instid1(VALU_DEP_1)
	v_fmac_f32_e32 v14, v15, v14
	v_mul_f32_e32 v15, v16, v14
	s_delay_alu instid0(VALU_DEP_1) | instskip(NEXT) | instid1(VALU_DEP_1)
	v_fma_f32 v17, -v13, v15, v16
	v_fmac_f32_e32 v15, v17, v14
	s_delay_alu instid0(VALU_DEP_1) | instskip(NEXT) | instid1(VALU_DEP_1)
	v_fma_f32 v13, -v13, v15, v16
	v_div_fmas_f32 v13, v13, v14, v15
	s_delay_alu instid0(VALU_DEP_1) | instskip(NEXT) | instid1(VALU_DEP_1)
	v_div_fixup_f32 v13, v13, v11, v12
	v_fmac_f32_e32 v11, v12, v13
	s_delay_alu instid0(VALU_DEP_1) | instskip(NEXT) | instid1(VALU_DEP_1)
	v_div_scale_f32 v12, null, v11, v11, 1.0
	v_rcp_f32_e32 v14, v12
	s_waitcnt_depctr 0xfff
	v_fma_f32 v15, -v12, v14, 1.0
	s_delay_alu instid0(VALU_DEP_1) | instskip(SKIP_1) | instid1(VALU_DEP_1)
	v_fmac_f32_e32 v14, v15, v14
	v_div_scale_f32 v15, vcc_lo, 1.0, v11, 1.0
	v_mul_f32_e32 v16, v15, v14
	s_delay_alu instid0(VALU_DEP_1) | instskip(NEXT) | instid1(VALU_DEP_1)
	v_fma_f32 v17, -v12, v16, v15
	v_fmac_f32_e32 v16, v17, v14
	s_delay_alu instid0(VALU_DEP_1) | instskip(NEXT) | instid1(VALU_DEP_1)
	v_fma_f32 v12, -v12, v16, v15
	v_div_fmas_f32 v12, v12, v14, v16
	s_delay_alu instid0(VALU_DEP_1) | instskip(NEXT) | instid1(VALU_DEP_1)
	v_div_fixup_f32 v11, v12, v11, 1.0
	v_mul_f32_e64 v12, v13, -v11
.LBB186_28:                             ;   in Loop: Header=BB186_22 Depth=1
	s_or_b32 exec_lo, exec_lo, s11
.LBB186_29:                             ;   in Loop: Header=BB186_22 Depth=1
	s_waitcnt vmcnt(0) lgkmcnt(0)
	s_delay_alu instid0(VALU_DEP_1) | instskip(SKIP_1) | instid1(VALU_DEP_2)
	v_mul_f32_e32 v13, v5, v12
	v_mul_f32_e32 v12, v6, v12
	v_fmac_f32_e32 v13, v6, v11
	s_delay_alu instid0(VALU_DEP_2) | instskip(NEXT) | instid1(VALU_DEP_1)
	v_fma_f32 v12, v5, v11, -v12
	v_dual_mov_b32 v6, v13 :: v_dual_mov_b32 v5, v12
	ds_store_b64 v0, v[12:13]
.LBB186_30:                             ;   in Loop: Header=BB186_22 Depth=1
	s_or_b32 exec_lo, exec_lo, s10
	s_delay_alu instid0(SALU_CYCLE_1)
	s_mov_b32 s10, exec_lo
	s_waitcnt lgkmcnt(0)
	s_barrier
	buffer_gl0_inv
	v_cmpx_lt_u64_e64 s[0:1], v[1:2]
	s_cbranch_execz .LBB186_21
; %bb.31:                               ;   in Loop: Header=BB186_22 Depth=1
	s_and_b32 vcc_lo, exec_lo, s6
	s_cbranch_vccz .LBB186_33
; %bb.32:                               ;   in Loop: Header=BB186_22 Depth=1
	flat_load_b64 v[11:12], v[7:8]
	s_cbranch_execnz .LBB186_20
	s_branch .LBB186_34
.LBB186_33:                             ;   in Loop: Header=BB186_22 Depth=1
                                        ; implicit-def: $vgpr11
.LBB186_34:                             ;   in Loop: Header=BB186_22 Depth=1
	s_waitcnt vmcnt(0) lgkmcnt(0)
	flat_load_b64 v[11:12], v[7:8]
	s_waitcnt vmcnt(0) lgkmcnt(0)
	v_xor_b32_e32 v12, 0x80000000, v12
	s_branch .LBB186_20
.LBB186_35:
	s_mov_b32 s0, exec_lo
	v_cmpx_eq_u64_e64 s[4:5], v[1:2]
	s_cbranch_execz .LBB186_43
; %bb.36:
	s_add_u32 s1, s12, s8
	s_delay_alu instid0(SALU_CYCLE_1) | instskip(SKIP_1) | instid1(VALU_DEP_1)
	v_mad_u64_u32 v[7:8], null, s1, v1, 0
	s_addc_u32 s1, s13, s9
	v_mov_b32_e32 v0, v8
	s_delay_alu instid0(VALU_DEP_1) | instskip(NEXT) | instid1(VALU_DEP_1)
	v_mad_u64_u32 v[8:9], null, s1, v1, v[0:1]
	v_lshlrev_b64 v[0:1], 3, v[7:8]
	s_delay_alu instid0(VALU_DEP_1) | instskip(NEXT) | instid1(VALU_DEP_2)
	v_add_co_u32 v0, vcc_lo, s2, v0
	v_add_co_ci_u32_e32 v1, vcc_lo, s3, v1, vcc_lo
	s_and_not1_b32 vcc_lo, exec_lo, s15
	flat_load_b64 v[0:1], v[0:1]
	s_cbranch_vccnz .LBB186_42
; %bb.37:
	s_waitcnt vmcnt(0) lgkmcnt(0)
	v_cmp_gt_f32_e32 vcc_lo, 0, v0
	s_mov_b32 s1, exec_lo
	v_cndmask_b32_e64 v2, v0, -v0, vcc_lo
	v_cmp_gt_f32_e32 vcc_lo, 0, v1
	v_cndmask_b32_e64 v7, v1, -v1, vcc_lo
	s_delay_alu instid0(VALU_DEP_1)
	v_cmpx_ngt_f32_e32 v2, v7
	s_xor_b32 s1, exec_lo, s1
	s_cbranch_execz .LBB186_39
; %bb.38:
	v_div_scale_f32 v2, null, v1, v1, v0
	v_div_scale_f32 v9, vcc_lo, v0, v1, v0
	s_delay_alu instid0(VALU_DEP_2) | instskip(SKIP_2) | instid1(VALU_DEP_1)
	v_rcp_f32_e32 v7, v2
	s_waitcnt_depctr 0xfff
	v_fma_f32 v8, -v2, v7, 1.0
	v_fmac_f32_e32 v7, v8, v7
	s_delay_alu instid0(VALU_DEP_1) | instskip(NEXT) | instid1(VALU_DEP_1)
	v_mul_f32_e32 v8, v9, v7
	v_fma_f32 v10, -v2, v8, v9
	s_delay_alu instid0(VALU_DEP_1) | instskip(NEXT) | instid1(VALU_DEP_1)
	v_fmac_f32_e32 v8, v10, v7
	v_fma_f32 v2, -v2, v8, v9
	s_delay_alu instid0(VALU_DEP_1) | instskip(NEXT) | instid1(VALU_DEP_1)
	v_div_fmas_f32 v2, v2, v7, v8
	v_div_fixup_f32 v2, v2, v1, v0
	s_delay_alu instid0(VALU_DEP_1) | instskip(NEXT) | instid1(VALU_DEP_1)
	v_fmac_f32_e32 v1, v0, v2
	v_div_scale_f32 v0, null, v1, v1, 1.0
	v_div_scale_f32 v9, vcc_lo, 1.0, v1, 1.0
	s_delay_alu instid0(VALU_DEP_2) | instskip(SKIP_2) | instid1(VALU_DEP_1)
	v_rcp_f32_e32 v7, v0
	s_waitcnt_depctr 0xfff
	v_fma_f32 v8, -v0, v7, 1.0
	v_fmac_f32_e32 v7, v8, v7
	s_delay_alu instid0(VALU_DEP_1) | instskip(NEXT) | instid1(VALU_DEP_1)
	v_mul_f32_e32 v8, v9, v7
	v_fma_f32 v10, -v0, v8, v9
	s_delay_alu instid0(VALU_DEP_1) | instskip(NEXT) | instid1(VALU_DEP_1)
	v_fmac_f32_e32 v8, v10, v7
	v_fma_f32 v0, -v0, v8, v9
	s_delay_alu instid0(VALU_DEP_1) | instskip(NEXT) | instid1(VALU_DEP_1)
	v_div_fmas_f32 v0, v0, v7, v8
	v_div_fixup_f32 v1, v0, v1, 1.0
	s_delay_alu instid0(VALU_DEP_1)
	v_mul_f32_e32 v0, v2, v1
	v_xor_b32_e32 v1, 0x80000000, v1
.LBB186_39:
	s_and_not1_saveexec_b32 s1, s1
	s_cbranch_execz .LBB186_41
; %bb.40:
	s_delay_alu instid0(VALU_DEP_1) | instskip(SKIP_1) | instid1(VALU_DEP_2)
	v_div_scale_f32 v2, null, v0, v0, v1
	v_div_scale_f32 v9, vcc_lo, v1, v0, v1
	v_rcp_f32_e32 v7, v2
	s_waitcnt_depctr 0xfff
	v_fma_f32 v8, -v2, v7, 1.0
	s_delay_alu instid0(VALU_DEP_1) | instskip(NEXT) | instid1(VALU_DEP_1)
	v_fmac_f32_e32 v7, v8, v7
	v_mul_f32_e32 v8, v9, v7
	s_delay_alu instid0(VALU_DEP_1) | instskip(NEXT) | instid1(VALU_DEP_1)
	v_fma_f32 v10, -v2, v8, v9
	v_fmac_f32_e32 v8, v10, v7
	s_delay_alu instid0(VALU_DEP_1) | instskip(NEXT) | instid1(VALU_DEP_1)
	v_fma_f32 v2, -v2, v8, v9
	v_div_fmas_f32 v2, v2, v7, v8
	s_delay_alu instid0(VALU_DEP_1) | instskip(NEXT) | instid1(VALU_DEP_1)
	v_div_fixup_f32 v2, v2, v0, v1
	v_fmac_f32_e32 v0, v1, v2
	s_delay_alu instid0(VALU_DEP_1) | instskip(NEXT) | instid1(VALU_DEP_1)
	v_div_scale_f32 v1, null, v0, v0, 1.0
	v_rcp_f32_e32 v7, v1
	s_waitcnt_depctr 0xfff
	v_fma_f32 v8, -v1, v7, 1.0
	s_delay_alu instid0(VALU_DEP_1) | instskip(SKIP_1) | instid1(VALU_DEP_1)
	v_fmac_f32_e32 v7, v8, v7
	v_div_scale_f32 v8, vcc_lo, 1.0, v0, 1.0
	v_mul_f32_e32 v9, v8, v7
	s_delay_alu instid0(VALU_DEP_1) | instskip(NEXT) | instid1(VALU_DEP_1)
	v_fma_f32 v10, -v1, v9, v8
	v_fmac_f32_e32 v9, v10, v7
	s_delay_alu instid0(VALU_DEP_1) | instskip(NEXT) | instid1(VALU_DEP_1)
	v_fma_f32 v1, -v1, v9, v8
	v_div_fmas_f32 v1, v1, v7, v9
	s_delay_alu instid0(VALU_DEP_1) | instskip(NEXT) | instid1(VALU_DEP_1)
	v_div_fixup_f32 v0, v1, v0, 1.0
	v_mul_f32_e64 v1, v2, -v0
.LBB186_41:
	s_or_b32 exec_lo, exec_lo, s1
.LBB186_42:
	s_waitcnt vmcnt(0) lgkmcnt(0)
	s_delay_alu instid0(VALU_DEP_1) | instskip(SKIP_1) | instid1(VALU_DEP_2)
	v_mul_f32_e32 v2, v6, v1
	v_mul_f32_e32 v6, v6, v0
	v_fma_f32 v0, v5, v0, -v2
	s_delay_alu instid0(VALU_DEP_1)
	v_dual_fmac_f32 v6, v5, v1 :: v_dual_mov_b32 v5, v0
.LBB186_43:
	s_or_b32 exec_lo, exec_lo, s0
	global_store_b64 v[3:4], v[5:6], off
.LBB186_44:
	s_nop 0
	s_sendmsg sendmsg(MSG_DEALLOC_VGPRS)
	s_endpgm
	.section	.rodata,"a",@progbits
	.p2align	6, 0x0
	.amdhsa_kernel _ZL39rocblas_trsm_block_forward_substitutionI19rocblas_complex_numIfES1_PKPKS1_PKPS1_Lb1ELb1ELb0EEv18rocblas_operation_llT0_T1_lllT2_lllib
		.amdhsa_group_segment_fixed_size 0
		.amdhsa_private_segment_fixed_size 0
		.amdhsa_kernarg_size 360
		.amdhsa_user_sgpr_count 13
		.amdhsa_user_sgpr_dispatch_ptr 0
		.amdhsa_user_sgpr_queue_ptr 0
		.amdhsa_user_sgpr_kernarg_segment_ptr 1
		.amdhsa_user_sgpr_dispatch_id 0
		.amdhsa_user_sgpr_private_segment_size 0
		.amdhsa_wavefront_size32 1
		.amdhsa_uses_dynamic_stack 0
		.amdhsa_enable_private_segment 0
		.amdhsa_system_sgpr_workgroup_id_x 1
		.amdhsa_system_sgpr_workgroup_id_y 1
		.amdhsa_system_sgpr_workgroup_id_z 1
		.amdhsa_system_sgpr_workgroup_info 0
		.amdhsa_system_vgpr_workitem_id 1
		.amdhsa_next_free_vgpr 18
		.amdhsa_next_free_sgpr 29
		.amdhsa_reserve_vcc 1
		.amdhsa_float_round_mode_32 0
		.amdhsa_float_round_mode_16_64 0
		.amdhsa_float_denorm_mode_32 3
		.amdhsa_float_denorm_mode_16_64 3
		.amdhsa_dx10_clamp 1
		.amdhsa_ieee_mode 1
		.amdhsa_fp16_overflow 0
		.amdhsa_workgroup_processor_mode 1
		.amdhsa_memory_ordered 1
		.amdhsa_forward_progress 0
		.amdhsa_shared_vgpr_count 0
		.amdhsa_exception_fp_ieee_invalid_op 0
		.amdhsa_exception_fp_denorm_src 0
		.amdhsa_exception_fp_ieee_div_zero 0
		.amdhsa_exception_fp_ieee_overflow 0
		.amdhsa_exception_fp_ieee_underflow 0
		.amdhsa_exception_fp_ieee_inexact 0
		.amdhsa_exception_int_div_zero 0
	.end_amdhsa_kernel
	.section	.text._ZL39rocblas_trsm_block_forward_substitutionI19rocblas_complex_numIfES1_PKPKS1_PKPS1_Lb1ELb1ELb0EEv18rocblas_operation_llT0_T1_lllT2_lllib,"axG",@progbits,_ZL39rocblas_trsm_block_forward_substitutionI19rocblas_complex_numIfES1_PKPKS1_PKPS1_Lb1ELb1ELb0EEv18rocblas_operation_llT0_T1_lllT2_lllib,comdat
.Lfunc_end186:
	.size	_ZL39rocblas_trsm_block_forward_substitutionI19rocblas_complex_numIfES1_PKPKS1_PKPS1_Lb1ELb1ELb0EEv18rocblas_operation_llT0_T1_lllT2_lllib, .Lfunc_end186-_ZL39rocblas_trsm_block_forward_substitutionI19rocblas_complex_numIfES1_PKPKS1_PKPS1_Lb1ELb1ELb0EEv18rocblas_operation_llT0_T1_lllT2_lllib
                                        ; -- End function
	.section	.AMDGPU.csdata,"",@progbits
; Kernel info:
; codeLenInByte = 2808
; NumSgprs: 31
; NumVgprs: 18
; ScratchSize: 0
; MemoryBound: 0
; FloatMode: 240
; IeeeMode: 1
; LDSByteSize: 0 bytes/workgroup (compile time only)
; SGPRBlocks: 3
; VGPRBlocks: 2
; NumSGPRsForWavesPerEU: 31
; NumVGPRsForWavesPerEU: 18
; Occupancy: 16
; WaveLimiterHint : 1
; COMPUTE_PGM_RSRC2:SCRATCH_EN: 0
; COMPUTE_PGM_RSRC2:USER_SGPR: 13
; COMPUTE_PGM_RSRC2:TRAP_HANDLER: 0
; COMPUTE_PGM_RSRC2:TGID_X_EN: 1
; COMPUTE_PGM_RSRC2:TGID_Y_EN: 1
; COMPUTE_PGM_RSRC2:TGID_Z_EN: 1
; COMPUTE_PGM_RSRC2:TIDIG_COMP_CNT: 1
	.section	.text._ZL40rocblas_trsm_block_backward_substitutionI19rocblas_complex_numIfES1_PKPKS1_PKPS1_Lb1ELb1ELb0EEv18rocblas_operation_llT0_T1_lllT2_lllib,"axG",@progbits,_ZL40rocblas_trsm_block_backward_substitutionI19rocblas_complex_numIfES1_PKPKS1_PKPS1_Lb1ELb1ELb0EEv18rocblas_operation_llT0_T1_lllT2_lllib,comdat
	.globl	_ZL40rocblas_trsm_block_backward_substitutionI19rocblas_complex_numIfES1_PKPKS1_PKPS1_Lb1ELb1ELb0EEv18rocblas_operation_llT0_T1_lllT2_lllib ; -- Begin function _ZL40rocblas_trsm_block_backward_substitutionI19rocblas_complex_numIfES1_PKPKS1_PKPS1_Lb1ELb1ELb0EEv18rocblas_operation_llT0_T1_lllT2_lllib
	.p2align	8
	.type	_ZL40rocblas_trsm_block_backward_substitutionI19rocblas_complex_numIfES1_PKPKS1_PKPS1_Lb1ELb1ELb0EEv18rocblas_operation_llT0_T1_lllT2_lllib,@function
_ZL40rocblas_trsm_block_backward_substitutionI19rocblas_complex_numIfES1_PKPKS1_PKPS1_Lb1ELb1ELb0EEv18rocblas_operation_llT0_T1_lllT2_lllib: ; @_ZL40rocblas_trsm_block_backward_substitutionI19rocblas_complex_numIfES1_PKPKS1_PKPS1_Lb1ELb1ELb0EEv18rocblas_operation_llT0_T1_lllT2_lllib
; %bb.0:
	s_clause 0x1
	s_load_b32 s8, s[0:1], 0x64
	s_load_b128 s[4:7], s[0:1], 0x20
	s_mov_b32 s2, s15
	s_mov_b32 s3, 0
	s_clause 0x2
	s_load_b32 s22, s[0:1], 0x74
	s_load_b64 s[18:19], s[0:1], 0x50
	s_load_b64 s[12:13], s[0:1], 0x30
	v_and_b32_e32 v1, 0x3ff, v0
	v_bfe_u32 v0, v0, 10, 10
	s_waitcnt lgkmcnt(0)
	s_bitcmp1_b32 s8, 0
	s_cselect_b32 s8, -1, 0
	s_lshl_b64 s[16:17], s[2:3], 3
	s_xor_b32 s15, s8, -1
	s_add_u32 s2, s4, s16
	s_addc_u32 s3, s5, s17
	s_lshl_b64 s[4:5], s[6:7], 3
	s_load_b64 s[2:3], s[2:3], 0x0
	s_load_b128 s[8:11], s[0:1], 0x40
	s_waitcnt lgkmcnt(0)
	s_add_u32 s2, s2, s4
	s_addc_u32 s3, s3, s5
	s_add_u32 s16, s8, s16
	s_addc_u32 s17, s9, s17
	s_clause 0x1
	s_load_b128 s[4:7], s[0:1], 0x8
	s_load_b64 s[8:9], s[0:1], 0x18
	s_load_b64 s[16:17], s[16:17], 0x0
	s_add_u32 s20, s0, 0x68
	s_addc_u32 s21, s1, 0
	s_and_b32 vcc_lo, exec_lo, s15
	s_lshr_b32 s26, s22, 16
	s_cbranch_vccnz .LBB187_16
; %bb.1:
	s_waitcnt lgkmcnt(0)
	v_cmp_lt_i64_e64 s22, s[4:5], 1
	s_lshl_b32 s23, s26, 3
	s_delay_alu instid0(VALU_DEP_1)
	s_and_b32 vcc_lo, exec_lo, s22
	s_add_i32 s22, s23, 0
	s_cbranch_vccnz .LBB187_15
; %bb.2:
	v_mad_u64_u32 v[3:4], null, v1, s12, 0
	s_mov_b32 s24, s26
	s_delay_alu instid0(VALU_DEP_1) | instskip(NEXT) | instid1(VALU_DEP_1)
	v_mov_b32_e32 v2, v4
	v_mad_u64_u32 v[4:5], null, v1, s13, v[2:3]
	v_dual_mov_b32 v2, 0 :: v_dual_lshlrev_b32 v5, 3, v1
	s_delay_alu instid0(VALU_DEP_1) | instskip(NEXT) | instid1(VALU_DEP_3)
	v_add_nc_u32_e32 v9, s22, v5
	v_lshlrev_b64 v[3:4], 3, v[3:4]
	v_add_co_u32 v10, s2, s2, v5
	s_delay_alu instid0(VALU_DEP_1) | instskip(SKIP_2) | instid1(VALU_DEP_4)
	v_add_co_ci_u32_e64 v11, null, s3, 0, s2
	v_cmp_le_u64_e64 s23, s[4:5], v[1:2]
	v_cmp_gt_u64_e64 s2, s[4:5], v[1:2]
	v_add_co_u32 v2, vcc_lo, v10, v3
	s_delay_alu instid0(VALU_DEP_4)
	v_add_co_ci_u32_e32 v3, vcc_lo, v11, v4, vcc_lo
	v_mov_b32_e32 v4, v0
	s_xor_b32 s27, s23, -1
	s_branch .LBB187_5
.LBB187_3:                              ;   in Loop: Header=BB187_5 Depth=1
	s_or_b32 exec_lo, exec_lo, s25
	s_load_b32 s25, s[20:21], 0xc
	s_waitcnt lgkmcnt(0)
	s_and_b32 s25, s25, 0xffff
	s_delay_alu instid0(SALU_CYCLE_1) | instskip(NEXT) | instid1(VALU_DEP_1)
	v_mul_u32_u24_e32 v5, s25, v1
	v_lshl_add_u32 v5, v5, 3, v9
	ds_store_b64 v5, v[7:8]
.LBB187_4:                              ;   in Loop: Header=BB187_5 Depth=1
	s_or_b32 exec_lo, exec_lo, s3
	s_ashr_i32 s25, s24, 31
	v_add_nc_u32_e32 v4, s26, v4
	v_cmp_ge_i64_e64 s3, s[24:25], s[4:5]
	s_add_i32 s24, s24, s26
	s_delay_alu instid0(VALU_DEP_1)
	s_and_b32 vcc_lo, exec_lo, s3
	s_cbranch_vccnz .LBB187_15
.LBB187_5:                              ; =>This Inner Loop Header: Depth=1
	s_mov_b32 s28, s23
	s_and_saveexec_b32 s25, s2
	s_cbranch_execz .LBB187_9
; %bb.6:                                ;   in Loop: Header=BB187_5 Depth=1
	v_ashrrev_i32_e32 v5, 31, v4
	v_cmp_lt_i32_e64 s3, v1, v4
	s_mov_b32 s28, -1
	s_delay_alu instid0(VALU_DEP_2) | instskip(NEXT) | instid1(VALU_DEP_2)
	v_cmp_gt_i64_e32 vcc_lo, s[4:5], v[4:5]
	s_and_b32 s29, s3, vcc_lo
	s_delay_alu instid0(SALU_CYCLE_1)
	s_and_saveexec_b32 s3, s29
	s_cbranch_execz .LBB187_8
; %bb.7:                                ;   in Loop: Header=BB187_5 Depth=1
	v_mul_lo_u32 v7, v5, s12
	v_mul_lo_u32 v8, v4, s13
	v_mad_u64_u32 v[5:6], null, v4, s12, 0
	s_load_b32 s28, s[20:21], 0xc
	s_delay_alu instid0(VALU_DEP_1) | instskip(NEXT) | instid1(VALU_DEP_1)
	v_add3_u32 v6, v6, v8, v7
	v_lshlrev_b64 v[5:6], 3, v[5:6]
	s_delay_alu instid0(VALU_DEP_1) | instskip(NEXT) | instid1(VALU_DEP_2)
	v_add_co_u32 v5, vcc_lo, v10, v5
	v_add_co_ci_u32_e32 v6, vcc_lo, v11, v6, vcc_lo
	s_waitcnt lgkmcnt(0)
	s_and_b32 s28, s28, 0xffff
	s_delay_alu instid0(SALU_CYCLE_1)
	v_mul_lo_u32 v7, v4, s28
	global_load_b64 v[5:6], v[5:6], off
	s_xor_b32 s28, exec_lo, -1
	v_lshl_add_u32 v7, v7, 3, v9
	s_waitcnt vmcnt(0)
	ds_store_b64 v7, v[5:6]
.LBB187_8:                              ;   in Loop: Header=BB187_5 Depth=1
	s_or_b32 exec_lo, exec_lo, s3
	s_delay_alu instid0(SALU_CYCLE_1) | instskip(SKIP_1) | instid1(SALU_CYCLE_1)
	s_and_not1_b32 s3, s23, exec_lo
	s_and_b32 s28, s28, exec_lo
	s_or_b32 s28, s3, s28
.LBB187_9:                              ;   in Loop: Header=BB187_5 Depth=1
	s_or_b32 exec_lo, exec_lo, s25
	s_and_saveexec_b32 s3, s28
	s_cbranch_execz .LBB187_4
; %bb.10:                               ;   in Loop: Header=BB187_5 Depth=1
	v_cmp_eq_u32_e32 vcc_lo, v1, v4
	s_and_b32 s25, s27, vcc_lo
	s_delay_alu instid0(SALU_CYCLE_1)
	s_and_b32 exec_lo, exec_lo, s25
	s_cbranch_execz .LBB187_4
; %bb.11:                               ;   in Loop: Header=BB187_5 Depth=1
	global_load_b64 v[5:6], v[2:3], off
	s_waitcnt vmcnt(0)
	v_cmp_gt_f32_e32 vcc_lo, 0, v5
	v_cndmask_b32_e64 v7, v5, -v5, vcc_lo
	v_cmp_gt_f32_e32 vcc_lo, 0, v6
	v_cndmask_b32_e64 v8, v6, -v6, vcc_lo
	s_delay_alu instid0(VALU_DEP_1) | instskip(SKIP_1) | instid1(SALU_CYCLE_1)
	v_cmp_ngt_f32_e32 vcc_lo, v7, v8
                                        ; implicit-def: $vgpr7
	s_and_saveexec_b32 s25, vcc_lo
	s_xor_b32 s25, exec_lo, s25
	s_cbranch_execz .LBB187_13
; %bb.12:                               ;   in Loop: Header=BB187_5 Depth=1
	v_div_scale_f32 v7, null, v6, v6, v5
	v_div_scale_f32 v13, vcc_lo, v5, v6, v5
	s_delay_alu instid0(VALU_DEP_2) | instskip(SKIP_2) | instid1(VALU_DEP_1)
	v_rcp_f32_e32 v8, v7
	s_waitcnt_depctr 0xfff
	v_fma_f32 v12, -v7, v8, 1.0
	v_fmac_f32_e32 v8, v12, v8
	s_delay_alu instid0(VALU_DEP_1) | instskip(NEXT) | instid1(VALU_DEP_1)
	v_mul_f32_e32 v12, v13, v8
	v_fma_f32 v14, -v7, v12, v13
	s_delay_alu instid0(VALU_DEP_1) | instskip(NEXT) | instid1(VALU_DEP_1)
	v_fmac_f32_e32 v12, v14, v8
	v_fma_f32 v7, -v7, v12, v13
	s_delay_alu instid0(VALU_DEP_1) | instskip(NEXT) | instid1(VALU_DEP_1)
	v_div_fmas_f32 v7, v7, v8, v12
	v_div_fixup_f32 v7, v7, v6, v5
	s_delay_alu instid0(VALU_DEP_1) | instskip(NEXT) | instid1(VALU_DEP_1)
	v_fmac_f32_e32 v6, v5, v7
	v_div_scale_f32 v5, null, v6, v6, 1.0
	v_div_scale_f32 v13, vcc_lo, 1.0, v6, 1.0
	s_delay_alu instid0(VALU_DEP_2) | instskip(SKIP_2) | instid1(VALU_DEP_1)
	v_rcp_f32_e32 v8, v5
	s_waitcnt_depctr 0xfff
	v_fma_f32 v12, -v5, v8, 1.0
	v_fmac_f32_e32 v8, v12, v8
	s_delay_alu instid0(VALU_DEP_1) | instskip(NEXT) | instid1(VALU_DEP_1)
	v_mul_f32_e32 v12, v13, v8
	v_fma_f32 v14, -v5, v12, v13
	s_delay_alu instid0(VALU_DEP_1) | instskip(NEXT) | instid1(VALU_DEP_1)
	v_fmac_f32_e32 v12, v14, v8
	v_fma_f32 v5, -v5, v12, v13
	s_delay_alu instid0(VALU_DEP_1) | instskip(NEXT) | instid1(VALU_DEP_1)
	v_div_fmas_f32 v5, v5, v8, v12
	v_div_fixup_f32 v5, v5, v6, 1.0
	s_delay_alu instid0(VALU_DEP_1)
	v_mul_f32_e32 v7, v7, v5
	v_xor_b32_e32 v8, 0x80000000, v5
                                        ; implicit-def: $vgpr5_vgpr6
.LBB187_13:                             ;   in Loop: Header=BB187_5 Depth=1
	s_and_not1_saveexec_b32 s25, s25
	s_cbranch_execz .LBB187_3
; %bb.14:                               ;   in Loop: Header=BB187_5 Depth=1
	v_div_scale_f32 v7, null, v5, v5, v6
	v_div_scale_f32 v13, vcc_lo, v6, v5, v6
	s_delay_alu instid0(VALU_DEP_2) | instskip(SKIP_2) | instid1(VALU_DEP_1)
	v_rcp_f32_e32 v8, v7
	s_waitcnt_depctr 0xfff
	v_fma_f32 v12, -v7, v8, 1.0
	v_fmac_f32_e32 v8, v12, v8
	s_delay_alu instid0(VALU_DEP_1) | instskip(NEXT) | instid1(VALU_DEP_1)
	v_mul_f32_e32 v12, v13, v8
	v_fma_f32 v14, -v7, v12, v13
	s_delay_alu instid0(VALU_DEP_1) | instskip(NEXT) | instid1(VALU_DEP_1)
	v_fmac_f32_e32 v12, v14, v8
	v_fma_f32 v7, -v7, v12, v13
	s_delay_alu instid0(VALU_DEP_1) | instskip(NEXT) | instid1(VALU_DEP_1)
	v_div_fmas_f32 v7, v7, v8, v12
	v_div_fixup_f32 v8, v7, v5, v6
	s_delay_alu instid0(VALU_DEP_1) | instskip(NEXT) | instid1(VALU_DEP_1)
	v_fmac_f32_e32 v5, v6, v8
	v_div_scale_f32 v6, null, v5, v5, 1.0
	s_delay_alu instid0(VALU_DEP_1) | instskip(SKIP_2) | instid1(VALU_DEP_1)
	v_rcp_f32_e32 v7, v6
	s_waitcnt_depctr 0xfff
	v_fma_f32 v12, -v6, v7, 1.0
	v_fmac_f32_e32 v7, v12, v7
	v_div_scale_f32 v12, vcc_lo, 1.0, v5, 1.0
	s_delay_alu instid0(VALU_DEP_1) | instskip(NEXT) | instid1(VALU_DEP_1)
	v_mul_f32_e32 v13, v12, v7
	v_fma_f32 v14, -v6, v13, v12
	s_delay_alu instid0(VALU_DEP_1) | instskip(NEXT) | instid1(VALU_DEP_1)
	v_fmac_f32_e32 v13, v14, v7
	v_fma_f32 v6, -v6, v13, v12
	s_delay_alu instid0(VALU_DEP_1) | instskip(NEXT) | instid1(VALU_DEP_1)
	v_div_fmas_f32 v6, v6, v7, v13
	v_div_fixup_f32 v7, v6, v5, 1.0
	s_delay_alu instid0(VALU_DEP_1)
	v_mul_f32_e64 v8, v8, -v7
	s_branch .LBB187_3
.LBB187_15:
	s_load_b32 s12, s[20:21], 0xc
	s_mov_b64 s[2:3], src_shared_base
	s_mov_b32 s13, 0
	s_mov_b32 s23, s3
	s_delay_alu instid0(SALU_CYCLE_1)
	s_mov_b64 s[2:3], s[22:23]
	s_waitcnt lgkmcnt(0)
	s_and_b32 s12, s12, 0xffff
.LBB187_16:
	v_mad_u64_u32 v[3:4], null, s14, s26, v[0:1]
	v_mov_b32_e32 v4, 0
	s_waitcnt lgkmcnt(0)
	s_delay_alu instid0(VALU_DEP_1)
	v_cmp_gt_i64_e32 vcc_lo, s[6:7], v[3:4]
	s_and_saveexec_b32 s6, vcc_lo
	s_cbranch_execz .LBB187_45
; %bb.17:
	v_mov_b32_e32 v2, v4
	s_delay_alu instid0(VALU_DEP_1)
	v_cmp_gt_i64_e32 vcc_lo, s[4:5], v[1:2]
	s_and_b32 exec_lo, exec_lo, vcc_lo
	s_cbranch_execz .LBB187_45
; %bb.18:
	v_mad_u64_u32 v[4:5], null, v3, s18, 0
	s_lshl_b64 s[6:7], s[10:11], 3
	v_lshlrev_b32_e32 v9, 3, v1
	s_add_u32 s6, s16, s6
	s_addc_u32 s7, s17, s7
	s_delay_alu instid0(VALU_DEP_2) | instskip(NEXT) | instid1(VALU_DEP_1)
	v_mad_u64_u32 v[6:7], null, v3, s19, v[5:6]
	v_mov_b32_e32 v5, v6
	s_delay_alu instid0(VALU_DEP_1) | instskip(NEXT) | instid1(VALU_DEP_1)
	v_lshlrev_b64 v[3:4], 3, v[4:5]
	v_add_co_u32 v3, vcc_lo, s6, v3
	s_delay_alu instid0(VALU_DEP_2) | instskip(SKIP_1) | instid1(VALU_DEP_3)
	v_add_co_ci_u32_e32 v4, vcc_lo, s7, v4, vcc_lo
	v_cmp_lt_u64_e64 s6, s[4:5], 2
	v_add_co_u32 v3, vcc_lo, v3, v9
	s_delay_alu instid0(VALU_DEP_3) | instskip(NEXT) | instid1(VALU_DEP_3)
	v_add_co_ci_u32_e32 v4, vcc_lo, 0, v4, vcc_lo
	s_and_b32 vcc_lo, exec_lo, s6
	global_load_b64 v[7:8], v[3:4], off
	s_waitcnt vmcnt(0)
	v_mul_f32_e32 v6, s8, v8
	s_delay_alu instid0(VALU_DEP_1) | instskip(NEXT) | instid1(VALU_DEP_1)
	v_dual_mul_f32 v5, s9, v8 :: v_dual_fmac_f32 v6, s9, v7
	v_fma_f32 v5, s8, v7, -v5
	s_cbranch_vccnz .LBB187_36
; %bb.19:
	s_load_b32 s0, s[0:1], 0x0
	v_mad_u64_u32 v[7:8], null, v1, s12, v[1:2]
	v_lshl_add_u32 v0, v0, 3, 0
	s_delay_alu instid0(VALU_DEP_2) | instskip(NEXT) | instid1(VALU_DEP_1)
	v_mad_u64_u32 v[10:11], null, v1, s13, v[8:9]
	v_mov_b32_e32 v8, v10
	s_waitcnt lgkmcnt(0)
	s_cmpk_lg_i32 s0, 0x71
	s_delay_alu instid0(VALU_DEP_1)
	v_lshlrev_b64 v[7:8], 3, v[7:8]
	s_cselect_b32 s6, -1, 0
	s_add_u32 s0, s4, -1
	s_addc_u32 s1, s5, -1
	s_mul_hi_u32 s4, s12, s0
	s_mul_i32 s7, s12, s1
	s_mul_i32 s5, s13, s0
	s_add_i32 s7, s4, s7
	s_mul_i32 s4, s12, s0
	s_add_i32 s5, s7, s5
	v_add_co_u32 v7, vcc_lo, s2, v7
	s_lshl_b64 s[4:5], s[4:5], 3
	v_add_co_ci_u32_e32 v8, vcc_lo, s3, v8, vcc_lo
	s_add_u32 s7, s2, s4
	s_addc_u32 s8, s3, s5
	v_add_co_u32 v9, s7, s7, v9
	s_lshl_b64 s[4:5], s[12:13], 3
	v_add_co_ci_u32_e64 v10, null, s8, 0, s7
	s_sub_u32 s7, 0, s4
	s_subb_u32 s8, 0, s5
.LBB187_20:                             ; =>This Inner Loop Header: Depth=1
	s_mov_b32 s4, exec_lo
	s_barrier
	buffer_gl0_inv
	v_cmpx_eq_u64_e64 s[0:1], v[1:2]
	s_cbranch_execz .LBB187_28
; %bb.21:                               ;   in Loop: Header=BB187_20 Depth=1
	flat_load_b64 v[11:12], v[7:8]
	s_and_not1_b32 vcc_lo, exec_lo, s15
	s_cbranch_vccnz .LBB187_27
; %bb.22:                               ;   in Loop: Header=BB187_20 Depth=1
	s_waitcnt vmcnt(0) lgkmcnt(0)
	v_cmp_gt_f32_e32 vcc_lo, 0, v11
	s_mov_b32 s5, exec_lo
	v_cndmask_b32_e64 v13, v11, -v11, vcc_lo
	v_cmp_gt_f32_e32 vcc_lo, 0, v12
	v_cndmask_b32_e64 v14, v12, -v12, vcc_lo
	s_delay_alu instid0(VALU_DEP_1)
	v_cmpx_ngt_f32_e32 v13, v14
	s_xor_b32 s5, exec_lo, s5
	s_cbranch_execz .LBB187_24
; %bb.23:                               ;   in Loop: Header=BB187_20 Depth=1
	v_div_scale_f32 v13, null, v12, v12, v11
	v_div_scale_f32 v16, vcc_lo, v11, v12, v11
	s_delay_alu instid0(VALU_DEP_2) | instskip(SKIP_2) | instid1(VALU_DEP_1)
	v_rcp_f32_e32 v14, v13
	s_waitcnt_depctr 0xfff
	v_fma_f32 v15, -v13, v14, 1.0
	v_fmac_f32_e32 v14, v15, v14
	s_delay_alu instid0(VALU_DEP_1) | instskip(NEXT) | instid1(VALU_DEP_1)
	v_mul_f32_e32 v15, v16, v14
	v_fma_f32 v17, -v13, v15, v16
	s_delay_alu instid0(VALU_DEP_1) | instskip(NEXT) | instid1(VALU_DEP_1)
	v_fmac_f32_e32 v15, v17, v14
	v_fma_f32 v13, -v13, v15, v16
	s_delay_alu instid0(VALU_DEP_1) | instskip(NEXT) | instid1(VALU_DEP_1)
	v_div_fmas_f32 v13, v13, v14, v15
	v_div_fixup_f32 v13, v13, v12, v11
	s_delay_alu instid0(VALU_DEP_1) | instskip(NEXT) | instid1(VALU_DEP_1)
	v_fmac_f32_e32 v12, v11, v13
	v_div_scale_f32 v11, null, v12, v12, 1.0
	v_div_scale_f32 v16, vcc_lo, 1.0, v12, 1.0
	s_delay_alu instid0(VALU_DEP_2) | instskip(SKIP_2) | instid1(VALU_DEP_1)
	v_rcp_f32_e32 v14, v11
	s_waitcnt_depctr 0xfff
	v_fma_f32 v15, -v11, v14, 1.0
	v_fmac_f32_e32 v14, v15, v14
	s_delay_alu instid0(VALU_DEP_1) | instskip(NEXT) | instid1(VALU_DEP_1)
	v_mul_f32_e32 v15, v16, v14
	v_fma_f32 v17, -v11, v15, v16
	s_delay_alu instid0(VALU_DEP_1) | instskip(NEXT) | instid1(VALU_DEP_1)
	v_fmac_f32_e32 v15, v17, v14
	v_fma_f32 v11, -v11, v15, v16
	s_delay_alu instid0(VALU_DEP_1) | instskip(NEXT) | instid1(VALU_DEP_1)
	v_div_fmas_f32 v11, v11, v14, v15
	v_div_fixup_f32 v12, v11, v12, 1.0
	s_delay_alu instid0(VALU_DEP_1)
	v_mul_f32_e32 v11, v13, v12
	v_xor_b32_e32 v12, 0x80000000, v12
.LBB187_24:                             ;   in Loop: Header=BB187_20 Depth=1
	s_and_not1_saveexec_b32 s5, s5
	s_cbranch_execz .LBB187_26
; %bb.25:                               ;   in Loop: Header=BB187_20 Depth=1
	s_delay_alu instid0(VALU_DEP_1) | instskip(SKIP_1) | instid1(VALU_DEP_2)
	v_div_scale_f32 v13, null, v11, v11, v12
	v_div_scale_f32 v16, vcc_lo, v12, v11, v12
	v_rcp_f32_e32 v14, v13
	s_waitcnt_depctr 0xfff
	v_fma_f32 v15, -v13, v14, 1.0
	s_delay_alu instid0(VALU_DEP_1) | instskip(NEXT) | instid1(VALU_DEP_1)
	v_fmac_f32_e32 v14, v15, v14
	v_mul_f32_e32 v15, v16, v14
	s_delay_alu instid0(VALU_DEP_1) | instskip(NEXT) | instid1(VALU_DEP_1)
	v_fma_f32 v17, -v13, v15, v16
	v_fmac_f32_e32 v15, v17, v14
	s_delay_alu instid0(VALU_DEP_1) | instskip(NEXT) | instid1(VALU_DEP_1)
	v_fma_f32 v13, -v13, v15, v16
	v_div_fmas_f32 v13, v13, v14, v15
	s_delay_alu instid0(VALU_DEP_1) | instskip(NEXT) | instid1(VALU_DEP_1)
	v_div_fixup_f32 v13, v13, v11, v12
	v_fmac_f32_e32 v11, v12, v13
	s_delay_alu instid0(VALU_DEP_1) | instskip(NEXT) | instid1(VALU_DEP_1)
	v_div_scale_f32 v12, null, v11, v11, 1.0
	v_rcp_f32_e32 v14, v12
	s_waitcnt_depctr 0xfff
	v_fma_f32 v15, -v12, v14, 1.0
	s_delay_alu instid0(VALU_DEP_1) | instskip(SKIP_1) | instid1(VALU_DEP_1)
	v_fmac_f32_e32 v14, v15, v14
	v_div_scale_f32 v15, vcc_lo, 1.0, v11, 1.0
	v_mul_f32_e32 v16, v15, v14
	s_delay_alu instid0(VALU_DEP_1) | instskip(NEXT) | instid1(VALU_DEP_1)
	v_fma_f32 v17, -v12, v16, v15
	v_fmac_f32_e32 v16, v17, v14
	s_delay_alu instid0(VALU_DEP_1) | instskip(NEXT) | instid1(VALU_DEP_1)
	v_fma_f32 v12, -v12, v16, v15
	v_div_fmas_f32 v12, v12, v14, v16
	s_delay_alu instid0(VALU_DEP_1) | instskip(NEXT) | instid1(VALU_DEP_1)
	v_div_fixup_f32 v11, v12, v11, 1.0
	v_mul_f32_e64 v12, v13, -v11
.LBB187_26:                             ;   in Loop: Header=BB187_20 Depth=1
	s_or_b32 exec_lo, exec_lo, s5
.LBB187_27:                             ;   in Loop: Header=BB187_20 Depth=1
	s_waitcnt vmcnt(0) lgkmcnt(0)
	s_delay_alu instid0(VALU_DEP_1) | instskip(SKIP_1) | instid1(VALU_DEP_2)
	v_mul_f32_e32 v13, v5, v12
	v_mul_f32_e32 v12, v6, v12
	v_fmac_f32_e32 v13, v6, v11
	s_delay_alu instid0(VALU_DEP_2) | instskip(NEXT) | instid1(VALU_DEP_1)
	v_fma_f32 v12, v5, v11, -v12
	v_dual_mov_b32 v6, v13 :: v_dual_mov_b32 v5, v12
	ds_store_b64 v0, v[12:13]
.LBB187_28:                             ;   in Loop: Header=BB187_20 Depth=1
	s_or_b32 exec_lo, exec_lo, s4
	s_delay_alu instid0(SALU_CYCLE_1)
	s_mov_b32 s4, exec_lo
	s_waitcnt lgkmcnt(0)
	s_barrier
	buffer_gl0_inv
	v_cmpx_gt_i64_e64 s[0:1], v[1:2]
	s_cbranch_execz .LBB187_34
; %bb.29:                               ;   in Loop: Header=BB187_20 Depth=1
	s_and_b32 vcc_lo, exec_lo, s6
	s_cbranch_vccz .LBB187_31
; %bb.30:                               ;   in Loop: Header=BB187_20 Depth=1
	flat_load_b64 v[11:12], v[9:10]
	s_cbranch_execz .LBB187_32
	s_branch .LBB187_33
.LBB187_31:                             ;   in Loop: Header=BB187_20 Depth=1
                                        ; implicit-def: $vgpr11
.LBB187_32:                             ;   in Loop: Header=BB187_20 Depth=1
	s_waitcnt vmcnt(0) lgkmcnt(0)
	flat_load_b64 v[11:12], v[9:10]
	s_waitcnt vmcnt(0) lgkmcnt(0)
	v_xor_b32_e32 v12, 0x80000000, v12
.LBB187_33:                             ;   in Loop: Header=BB187_20 Depth=1
	ds_load_b64 v[13:14], v0
	s_waitcnt vmcnt(0) lgkmcnt(0)
	v_mul_f32_e32 v15, v14, v12
	v_mul_f32_e32 v14, v14, v11
	s_delay_alu instid0(VALU_DEP_2) | instskip(NEXT) | instid1(VALU_DEP_2)
	v_fma_f32 v11, v13, v11, -v15
	v_fmac_f32_e32 v14, v13, v12
	s_delay_alu instid0(VALU_DEP_1)
	v_dual_sub_f32 v5, v5, v11 :: v_dual_sub_f32 v6, v6, v14
.LBB187_34:                             ;   in Loop: Header=BB187_20 Depth=1
	s_or_b32 exec_lo, exec_lo, s4
	s_add_u32 s4, s0, -1
	s_addc_u32 s5, s1, -1
	s_add_u32 s0, s0, 1
	s_addc_u32 s1, s1, 0
	v_add_co_u32 v9, vcc_lo, v9, s7
	v_cmp_lt_u64_e64 s0, s[0:1], 3
	v_add_co_ci_u32_e32 v10, vcc_lo, s8, v10, vcc_lo
	s_delay_alu instid0(VALU_DEP_2)
	s_and_b32 vcc_lo, exec_lo, s0
	s_cbranch_vccnz .LBB187_36
; %bb.35:                               ;   in Loop: Header=BB187_20 Depth=1
	s_mov_b64 s[0:1], s[4:5]
	s_branch .LBB187_20
.LBB187_36:
	s_mov_b32 s0, exec_lo
	v_cmpx_eq_u32_e32 0, v1
	s_cbranch_execz .LBB187_44
; %bb.37:
	v_mad_u64_u32 v[7:8], null, v1, s12, v[1:2]
	s_delay_alu instid0(VALU_DEP_1) | instskip(NEXT) | instid1(VALU_DEP_1)
	v_mov_b32_e32 v0, v8
	v_mad_u64_u32 v[8:9], null, v1, s13, v[0:1]
	s_delay_alu instid0(VALU_DEP_1) | instskip(NEXT) | instid1(VALU_DEP_1)
	v_lshlrev_b64 v[0:1], 3, v[7:8]
	v_add_co_u32 v0, vcc_lo, s2, v0
	s_delay_alu instid0(VALU_DEP_2)
	v_add_co_ci_u32_e32 v1, vcc_lo, s3, v1, vcc_lo
	s_and_not1_b32 vcc_lo, exec_lo, s15
	flat_load_b64 v[0:1], v[0:1]
	s_cbranch_vccnz .LBB187_43
; %bb.38:
	s_waitcnt vmcnt(0) lgkmcnt(0)
	v_cmp_gt_f32_e32 vcc_lo, 0, v0
	s_mov_b32 s1, exec_lo
	v_cndmask_b32_e64 v2, v0, -v0, vcc_lo
	v_cmp_gt_f32_e32 vcc_lo, 0, v1
	v_cndmask_b32_e64 v7, v1, -v1, vcc_lo
	s_delay_alu instid0(VALU_DEP_1)
	v_cmpx_ngt_f32_e32 v2, v7
	s_xor_b32 s1, exec_lo, s1
	s_cbranch_execz .LBB187_40
; %bb.39:
	v_div_scale_f32 v2, null, v1, v1, v0
	v_div_scale_f32 v9, vcc_lo, v0, v1, v0
	s_delay_alu instid0(VALU_DEP_2) | instskip(SKIP_2) | instid1(VALU_DEP_1)
	v_rcp_f32_e32 v7, v2
	s_waitcnt_depctr 0xfff
	v_fma_f32 v8, -v2, v7, 1.0
	v_fmac_f32_e32 v7, v8, v7
	s_delay_alu instid0(VALU_DEP_1) | instskip(NEXT) | instid1(VALU_DEP_1)
	v_mul_f32_e32 v8, v9, v7
	v_fma_f32 v10, -v2, v8, v9
	s_delay_alu instid0(VALU_DEP_1) | instskip(NEXT) | instid1(VALU_DEP_1)
	v_fmac_f32_e32 v8, v10, v7
	v_fma_f32 v2, -v2, v8, v9
	s_delay_alu instid0(VALU_DEP_1) | instskip(NEXT) | instid1(VALU_DEP_1)
	v_div_fmas_f32 v2, v2, v7, v8
	v_div_fixup_f32 v2, v2, v1, v0
	s_delay_alu instid0(VALU_DEP_1) | instskip(NEXT) | instid1(VALU_DEP_1)
	v_fmac_f32_e32 v1, v0, v2
	v_div_scale_f32 v0, null, v1, v1, 1.0
	v_div_scale_f32 v9, vcc_lo, 1.0, v1, 1.0
	s_delay_alu instid0(VALU_DEP_2) | instskip(SKIP_2) | instid1(VALU_DEP_1)
	v_rcp_f32_e32 v7, v0
	s_waitcnt_depctr 0xfff
	v_fma_f32 v8, -v0, v7, 1.0
	v_fmac_f32_e32 v7, v8, v7
	s_delay_alu instid0(VALU_DEP_1) | instskip(NEXT) | instid1(VALU_DEP_1)
	v_mul_f32_e32 v8, v9, v7
	v_fma_f32 v10, -v0, v8, v9
	s_delay_alu instid0(VALU_DEP_1) | instskip(NEXT) | instid1(VALU_DEP_1)
	v_fmac_f32_e32 v8, v10, v7
	v_fma_f32 v0, -v0, v8, v9
	s_delay_alu instid0(VALU_DEP_1) | instskip(NEXT) | instid1(VALU_DEP_1)
	v_div_fmas_f32 v0, v0, v7, v8
	v_div_fixup_f32 v1, v0, v1, 1.0
	s_delay_alu instid0(VALU_DEP_1)
	v_mul_f32_e32 v0, v2, v1
	v_xor_b32_e32 v1, 0x80000000, v1
.LBB187_40:
	s_and_not1_saveexec_b32 s1, s1
	s_cbranch_execz .LBB187_42
; %bb.41:
	s_delay_alu instid0(VALU_DEP_1) | instskip(SKIP_1) | instid1(VALU_DEP_2)
	v_div_scale_f32 v2, null, v0, v0, v1
	v_div_scale_f32 v9, vcc_lo, v1, v0, v1
	v_rcp_f32_e32 v7, v2
	s_waitcnt_depctr 0xfff
	v_fma_f32 v8, -v2, v7, 1.0
	s_delay_alu instid0(VALU_DEP_1) | instskip(NEXT) | instid1(VALU_DEP_1)
	v_fmac_f32_e32 v7, v8, v7
	v_mul_f32_e32 v8, v9, v7
	s_delay_alu instid0(VALU_DEP_1) | instskip(NEXT) | instid1(VALU_DEP_1)
	v_fma_f32 v10, -v2, v8, v9
	v_fmac_f32_e32 v8, v10, v7
	s_delay_alu instid0(VALU_DEP_1) | instskip(NEXT) | instid1(VALU_DEP_1)
	v_fma_f32 v2, -v2, v8, v9
	v_div_fmas_f32 v2, v2, v7, v8
	s_delay_alu instid0(VALU_DEP_1) | instskip(NEXT) | instid1(VALU_DEP_1)
	v_div_fixup_f32 v2, v2, v0, v1
	v_fmac_f32_e32 v0, v1, v2
	s_delay_alu instid0(VALU_DEP_1) | instskip(NEXT) | instid1(VALU_DEP_1)
	v_div_scale_f32 v1, null, v0, v0, 1.0
	v_rcp_f32_e32 v7, v1
	s_waitcnt_depctr 0xfff
	v_fma_f32 v8, -v1, v7, 1.0
	s_delay_alu instid0(VALU_DEP_1) | instskip(SKIP_1) | instid1(VALU_DEP_1)
	v_fmac_f32_e32 v7, v8, v7
	v_div_scale_f32 v8, vcc_lo, 1.0, v0, 1.0
	v_mul_f32_e32 v9, v8, v7
	s_delay_alu instid0(VALU_DEP_1) | instskip(NEXT) | instid1(VALU_DEP_1)
	v_fma_f32 v10, -v1, v9, v8
	v_fmac_f32_e32 v9, v10, v7
	s_delay_alu instid0(VALU_DEP_1) | instskip(NEXT) | instid1(VALU_DEP_1)
	v_fma_f32 v1, -v1, v9, v8
	v_div_fmas_f32 v1, v1, v7, v9
	s_delay_alu instid0(VALU_DEP_1) | instskip(NEXT) | instid1(VALU_DEP_1)
	v_div_fixup_f32 v0, v1, v0, 1.0
	v_mul_f32_e64 v1, v2, -v0
.LBB187_42:
	s_or_b32 exec_lo, exec_lo, s1
.LBB187_43:
	s_waitcnt vmcnt(0) lgkmcnt(0)
	s_delay_alu instid0(VALU_DEP_1) | instskip(SKIP_1) | instid1(VALU_DEP_2)
	v_mul_f32_e32 v2, v6, v1
	v_mul_f32_e32 v6, v6, v0
	v_fma_f32 v0, v5, v0, -v2
	s_delay_alu instid0(VALU_DEP_1)
	v_dual_fmac_f32 v6, v5, v1 :: v_dual_mov_b32 v5, v0
.LBB187_44:
	s_or_b32 exec_lo, exec_lo, s0
	global_store_b64 v[3:4], v[5:6], off
.LBB187_45:
	s_nop 0
	s_sendmsg sendmsg(MSG_DEALLOC_VGPRS)
	s_endpgm
	.section	.rodata,"a",@progbits
	.p2align	6, 0x0
	.amdhsa_kernel _ZL40rocblas_trsm_block_backward_substitutionI19rocblas_complex_numIfES1_PKPKS1_PKPS1_Lb1ELb1ELb0EEv18rocblas_operation_llT0_T1_lllT2_lllib
		.amdhsa_group_segment_fixed_size 0
		.amdhsa_private_segment_fixed_size 0
		.amdhsa_kernarg_size 360
		.amdhsa_user_sgpr_count 13
		.amdhsa_user_sgpr_dispatch_ptr 0
		.amdhsa_user_sgpr_queue_ptr 0
		.amdhsa_user_sgpr_kernarg_segment_ptr 1
		.amdhsa_user_sgpr_dispatch_id 0
		.amdhsa_user_sgpr_private_segment_size 0
		.amdhsa_wavefront_size32 1
		.amdhsa_uses_dynamic_stack 0
		.amdhsa_enable_private_segment 0
		.amdhsa_system_sgpr_workgroup_id_x 1
		.amdhsa_system_sgpr_workgroup_id_y 1
		.amdhsa_system_sgpr_workgroup_id_z 1
		.amdhsa_system_sgpr_workgroup_info 0
		.amdhsa_system_vgpr_workitem_id 1
		.amdhsa_next_free_vgpr 18
		.amdhsa_next_free_sgpr 30
		.amdhsa_reserve_vcc 1
		.amdhsa_float_round_mode_32 0
		.amdhsa_float_round_mode_16_64 0
		.amdhsa_float_denorm_mode_32 3
		.amdhsa_float_denorm_mode_16_64 3
		.amdhsa_dx10_clamp 1
		.amdhsa_ieee_mode 1
		.amdhsa_fp16_overflow 0
		.amdhsa_workgroup_processor_mode 1
		.amdhsa_memory_ordered 1
		.amdhsa_forward_progress 0
		.amdhsa_shared_vgpr_count 0
		.amdhsa_exception_fp_ieee_invalid_op 0
		.amdhsa_exception_fp_denorm_src 0
		.amdhsa_exception_fp_ieee_div_zero 0
		.amdhsa_exception_fp_ieee_overflow 0
		.amdhsa_exception_fp_ieee_underflow 0
		.amdhsa_exception_fp_ieee_inexact 0
		.amdhsa_exception_int_div_zero 0
	.end_amdhsa_kernel
	.section	.text._ZL40rocblas_trsm_block_backward_substitutionI19rocblas_complex_numIfES1_PKPKS1_PKPS1_Lb1ELb1ELb0EEv18rocblas_operation_llT0_T1_lllT2_lllib,"axG",@progbits,_ZL40rocblas_trsm_block_backward_substitutionI19rocblas_complex_numIfES1_PKPKS1_PKPS1_Lb1ELb1ELb0EEv18rocblas_operation_llT0_T1_lllT2_lllib,comdat
.Lfunc_end187:
	.size	_ZL40rocblas_trsm_block_backward_substitutionI19rocblas_complex_numIfES1_PKPKS1_PKPS1_Lb1ELb1ELb0EEv18rocblas_operation_llT0_T1_lllT2_lllib, .Lfunc_end187-_ZL40rocblas_trsm_block_backward_substitutionI19rocblas_complex_numIfES1_PKPKS1_PKPS1_Lb1ELb1ELb0EEv18rocblas_operation_llT0_T1_lllT2_lllib
                                        ; -- End function
	.section	.AMDGPU.csdata,"",@progbits
; Kernel info:
; codeLenInByte = 2880
; NumSgprs: 32
; NumVgprs: 18
; ScratchSize: 0
; MemoryBound: 0
; FloatMode: 240
; IeeeMode: 1
; LDSByteSize: 0 bytes/workgroup (compile time only)
; SGPRBlocks: 3
; VGPRBlocks: 2
; NumSGPRsForWavesPerEU: 32
; NumVGPRsForWavesPerEU: 18
; Occupancy: 16
; WaveLimiterHint : 1
; COMPUTE_PGM_RSRC2:SCRATCH_EN: 0
; COMPUTE_PGM_RSRC2:USER_SGPR: 13
; COMPUTE_PGM_RSRC2:TRAP_HANDLER: 0
; COMPUTE_PGM_RSRC2:TGID_X_EN: 1
; COMPUTE_PGM_RSRC2:TGID_Y_EN: 1
; COMPUTE_PGM_RSRC2:TGID_Z_EN: 1
; COMPUTE_PGM_RSRC2:TIDIG_COMP_CNT: 1
	.section	.text._ZL39rocblas_trsm_block_forward_substitutionI19rocblas_complex_numIfES1_PKPKS1_PKPS1_Lb1ELb1ELb1EEv18rocblas_operation_llT0_T1_lllT2_lllib,"axG",@progbits,_ZL39rocblas_trsm_block_forward_substitutionI19rocblas_complex_numIfES1_PKPKS1_PKPS1_Lb1ELb1ELb1EEv18rocblas_operation_llT0_T1_lllT2_lllib,comdat
	.globl	_ZL39rocblas_trsm_block_forward_substitutionI19rocblas_complex_numIfES1_PKPKS1_PKPS1_Lb1ELb1ELb1EEv18rocblas_operation_llT0_T1_lllT2_lllib ; -- Begin function _ZL39rocblas_trsm_block_forward_substitutionI19rocblas_complex_numIfES1_PKPKS1_PKPS1_Lb1ELb1ELb1EEv18rocblas_operation_llT0_T1_lllT2_lllib
	.p2align	8
	.type	_ZL39rocblas_trsm_block_forward_substitutionI19rocblas_complex_numIfES1_PKPKS1_PKPS1_Lb1ELb1ELb1EEv18rocblas_operation_llT0_T1_lllT2_lllib,@function
_ZL39rocblas_trsm_block_forward_substitutionI19rocblas_complex_numIfES1_PKPKS1_PKPS1_Lb1ELb1ELb1EEv18rocblas_operation_llT0_T1_lllT2_lllib: ; @_ZL39rocblas_trsm_block_forward_substitutionI19rocblas_complex_numIfES1_PKPKS1_PKPS1_Lb1ELb1ELb1EEv18rocblas_operation_llT0_T1_lllT2_lllib
; %bb.0:
	s_clause 0x1
	s_load_b128 s[4:7], s[0:1], 0x20
	s_load_b64 s[26:27], s[0:1], 0x30
	s_mov_b32 s2, s15
	s_mov_b32 s3, 0
	v_and_b32_e32 v1, 0x3ff, v0
	s_lshl_b64 s[2:3], s[2:3], 3
	v_bfe_u32 v0, v0, 10, 10
	s_waitcnt lgkmcnt(0)
	s_add_u32 s4, s4, s2
	s_addc_u32 s5, s5, s3
	s_lshl_b64 s[6:7], s[6:7], 3
	s_load_b64 s[4:5], s[4:5], 0x0
	s_clause 0x3
	s_load_b128 s[8:11], s[0:1], 0x40
	s_load_b64 s[12:13], s[0:1], 0x50
	s_load_b32 s16, s[0:1], 0x64
	s_load_b32 s15, s[0:1], 0x74
	s_waitcnt lgkmcnt(0)
	s_add_u32 s20, s4, s6
	s_addc_u32 s21, s5, s7
	s_add_u32 s2, s8, s2
	s_addc_u32 s3, s9, s3
	s_clause 0x1
	s_load_b128 s[4:7], s[0:1], 0x8
	s_load_b64 s[8:9], s[0:1], 0x18
	s_load_b64 s[18:19], s[2:3], 0x0
	s_add_u32 s22, s0, 0x68
	s_addc_u32 s23, s1, 0
	s_lshr_b32 s15, s15, 16
	s_bitcmp0_b32 s16, 0
	s_mov_b64 s[2:3], 1
	s_cbranch_scc1 .LBB188_6
; %bb.1:
	s_waitcnt lgkmcnt(0)
	v_cmp_lt_i64_e64 s2, s[4:5], 1
	s_lshl_b32 s3, s15, 3
	s_mov_b64 s[16:17], 1
	s_add_i32 s24, s3, 0
	s_delay_alu instid0(VALU_DEP_1)
	s_and_b32 vcc_lo, exec_lo, s2
	s_cbranch_vccnz .LBB188_7
; %bb.2:
	v_mad_u64_u32 v[3:4], null, v1, s26, 0
	s_delay_alu instid0(VALU_DEP_1) | instskip(NEXT) | instid1(VALU_DEP_1)
	v_mov_b32_e32 v2, v4
	v_mad_u64_u32 v[4:5], null, v1, s27, v[2:3]
	v_mov_b32_e32 v2, 0
	s_delay_alu instid0(VALU_DEP_1) | instskip(NEXT) | instid1(VALU_DEP_3)
	v_cmp_gt_u64_e64 s2, s[4:5], v[1:2]
	v_lshlrev_b64 v[5:6], 3, v[3:4]
	v_lshl_add_u32 v4, v1, 3, s24
	s_delay_alu instid0(VALU_DEP_2) | instskip(NEXT) | instid1(VALU_DEP_3)
	v_add_co_u32 v5, vcc_lo, s20, v5
	v_add_co_ci_u32_e32 v6, vcc_lo, s21, v6, vcc_lo
	s_mov_b32 s20, 0
	s_set_inst_prefetch_distance 0x1
	s_branch .LBB188_4
	.p2align	6
.LBB188_3:                              ;   in Loop: Header=BB188_4 Depth=1
	s_or_b32 exec_lo, exec_lo, s3
	s_add_i32 s20, s20, s15
	s_delay_alu instid0(SALU_CYCLE_1) | instskip(NEXT) | instid1(SALU_CYCLE_1)
	s_ashr_i32 s21, s20, 31
	v_cmp_ge_i64_e64 s3, s[20:21], s[4:5]
	s_delay_alu instid0(VALU_DEP_1)
	s_and_b32 vcc_lo, exec_lo, s3
	s_cbranch_vccnz .LBB188_7
.LBB188_4:                              ; =>This Inner Loop Header: Depth=1
	v_add_nc_u32_e32 v2, s20, v0
	s_delay_alu instid0(VALU_DEP_1) | instskip(SKIP_1) | instid1(SALU_CYCLE_1)
	v_cmp_gt_i32_e32 vcc_lo, v1, v2
	s_and_b32 s21, s2, vcc_lo
	s_and_saveexec_b32 s3, s21
	s_cbranch_execz .LBB188_3
; %bb.5:                                ;   in Loop: Header=BB188_4 Depth=1
	v_ashrrev_i32_e32 v3, 31, v2
	s_load_b32 s21, s[22:23], 0xc
	s_delay_alu instid0(VALU_DEP_1) | instskip(NEXT) | instid1(VALU_DEP_1)
	v_lshlrev_b64 v[7:8], 3, v[2:3]
	v_add_co_u32 v7, vcc_lo, v5, v7
	s_delay_alu instid0(VALU_DEP_2) | instskip(SKIP_3) | instid1(SALU_CYCLE_1)
	v_add_co_ci_u32_e32 v8, vcc_lo, v6, v8, vcc_lo
	global_load_b64 v[7:8], v[7:8], off
	s_waitcnt lgkmcnt(0)
	s_and_b32 s21, s21, 0xffff
	v_mul_lo_u32 v2, v2, s21
	s_delay_alu instid0(VALU_DEP_1)
	v_lshl_add_u32 v2, v2, 3, v4
	s_waitcnt vmcnt(0)
	ds_store_b64 v2, v[7:8]
	s_branch .LBB188_3
.LBB188_6:
	s_mov_b64 s[16:17], s[26:27]
	s_branch .LBB188_8
.LBB188_7:
	s_set_inst_prefetch_distance 0x2
	s_load_b32 s20, s[22:23], 0xc
	s_mov_b64 s[2:3], src_shared_base
	s_delay_alu instid0(SALU_CYCLE_1)
	s_mov_b32 s25, s3
	s_waitcnt lgkmcnt(0)
	s_and_b32 s2, s20, 0xffff
	s_mov_b64 s[20:21], s[24:25]
.LBB188_8:
	v_mad_u64_u32 v[3:4], null, s14, s15, v[0:1]
	v_mov_b32_e32 v4, 0
	s_mov_b32 s3, exec_lo
	s_waitcnt lgkmcnt(0)
	s_delay_alu instid0(VALU_DEP_1)
	v_cmpx_gt_i64_e64 s[6:7], v[3:4]
	s_cbranch_execz .LBB188_22
; %bb.9:
	v_mov_b32_e32 v2, v4
	s_delay_alu instid0(VALU_DEP_1)
	v_cmp_gt_i64_e32 vcc_lo, s[4:5], v[1:2]
	s_and_b32 exec_lo, exec_lo, vcc_lo
	s_cbranch_execz .LBB188_22
; %bb.10:
	v_mad_u64_u32 v[5:6], null, v1, s12, 0
	s_lshl_b64 s[6:7], s[10:11], 3
	v_lshlrev_b64 v[3:4], 3, v[3:4]
	s_add_u32 s3, s18, s6
	s_addc_u32 s6, s19, s7
	s_delay_alu instid0(VALU_DEP_2) | instskip(NEXT) | instid1(VALU_DEP_1)
	v_mad_u64_u32 v[7:8], null, v1, s13, v[6:7]
	v_mov_b32_e32 v6, v7
	s_delay_alu instid0(VALU_DEP_1) | instskip(NEXT) | instid1(VALU_DEP_1)
	v_lshlrev_b64 v[5:6], 3, v[5:6]
	v_add_co_u32 v5, vcc_lo, s3, v5
	s_delay_alu instid0(VALU_DEP_2) | instskip(SKIP_1) | instid1(VALU_DEP_3)
	v_add_co_ci_u32_e32 v6, vcc_lo, s6, v6, vcc_lo
	v_cmp_lt_u64_e64 s3, s[4:5], 2
	v_add_co_u32 v3, vcc_lo, v5, v3
	s_delay_alu instid0(VALU_DEP_3) | instskip(NEXT) | instid1(VALU_DEP_3)
	v_add_co_ci_u32_e32 v4, vcc_lo, v6, v4, vcc_lo
	s_and_b32 vcc_lo, exec_lo, s3
	global_load_b64 v[7:8], v[3:4], off
	s_waitcnt vmcnt(0)
	v_mul_f32_e32 v5, s9, v8
	v_mul_f32_e32 v6, s8, v8
	s_delay_alu instid0(VALU_DEP_2) | instskip(NEXT) | instid1(VALU_DEP_2)
	v_fma_f32 v5, s8, v7, -v5
	v_fmac_f32_e32 v6, s9, v7
	s_cbranch_vccnz .LBB188_21
; %bb.11:
	v_mad_u64_u32 v[7:8], null, s16, v1, 0
	s_load_b32 s0, s[0:1], 0x0
	v_lshl_add_u32 v0, v0, 3, 0
	s_delay_alu instid0(VALU_DEP_2) | instskip(NEXT) | instid1(VALU_DEP_1)
	v_mad_u64_u32 v[9:10], null, s17, v1, v[8:9]
	v_mov_b32_e32 v8, v9
	s_delay_alu instid0(VALU_DEP_1)
	v_lshlrev_b64 v[7:8], 3, v[7:8]
	s_waitcnt lgkmcnt(0)
	s_cmpk_lg_i32 s0, 0x71
	s_cselect_b32 s6, -1, 0
	s_add_u32 s0, s4, -1
	s_addc_u32 s1, s5, -1
	v_add_co_u32 v7, vcc_lo, s20, v7
	v_add_co_ci_u32_e32 v8, vcc_lo, s21, v8, vcc_lo
	s_lshl_b32 s4, s2, 3
	s_mov_b64 s[2:3], 0
	s_set_inst_prefetch_distance 0x1
	s_branch .LBB188_14
	.p2align	6
.LBB188_12:                             ;   in Loop: Header=BB188_14 Depth=1
	ds_load_b64 v[11:12], v0
	s_waitcnt vmcnt(0) lgkmcnt(0)
	v_mul_f32_e32 v13, v12, v10
	v_mul_f32_e32 v12, v12, v9
	s_delay_alu instid0(VALU_DEP_1) | instskip(NEXT) | instid1(VALU_DEP_1)
	v_fmac_f32_e32 v12, v11, v10
	v_sub_f32_e32 v6, v6, v12
	s_delay_alu instid0(VALU_DEP_4) | instskip(NEXT) | instid1(VALU_DEP_1)
	v_fma_f32 v9, v11, v9, -v13
	v_sub_f32_e32 v5, v5, v9
.LBB188_13:                             ;   in Loop: Header=BB188_14 Depth=1
	s_or_b32 exec_lo, exec_lo, s5
	v_add_co_u32 v7, vcc_lo, v7, s4
	s_add_u32 s2, s2, 1
	v_add_co_ci_u32_e32 v8, vcc_lo, 0, v8, vcc_lo
	s_addc_u32 s3, s3, 0
	s_delay_alu instid0(SALU_CYCLE_1)
	s_cmp_eq_u64 s[0:1], s[2:3]
	s_cbranch_scc1 .LBB188_21
.LBB188_14:                             ; =>This Inner Loop Header: Depth=1
	s_mov_b32 s5, exec_lo
	s_barrier
	buffer_gl0_inv
	v_cmpx_eq_u64_e64 s[2:3], v[1:2]
	s_cbranch_execz .LBB188_16
; %bb.15:                               ;   in Loop: Header=BB188_14 Depth=1
	ds_store_b64 v0, v[5:6]
.LBB188_16:                             ;   in Loop: Header=BB188_14 Depth=1
	s_or_b32 exec_lo, exec_lo, s5
	s_delay_alu instid0(SALU_CYCLE_1)
	s_mov_b32 s5, exec_lo
	s_waitcnt lgkmcnt(0)
	s_barrier
	buffer_gl0_inv
	v_cmpx_lt_u64_e64 s[2:3], v[1:2]
	s_cbranch_execz .LBB188_13
; %bb.17:                               ;   in Loop: Header=BB188_14 Depth=1
	s_and_b32 vcc_lo, exec_lo, s6
	s_cbranch_vccz .LBB188_19
; %bb.18:                               ;   in Loop: Header=BB188_14 Depth=1
	flat_load_b64 v[9:10], v[7:8]
	s_cbranch_execnz .LBB188_12
	s_branch .LBB188_20
.LBB188_19:                             ;   in Loop: Header=BB188_14 Depth=1
                                        ; implicit-def: $vgpr9
.LBB188_20:                             ;   in Loop: Header=BB188_14 Depth=1
	s_waitcnt vmcnt(0) lgkmcnt(0)
	flat_load_b64 v[9:10], v[7:8]
	s_waitcnt vmcnt(0) lgkmcnt(0)
	v_xor_b32_e32 v10, 0x80000000, v10
	s_branch .LBB188_12
.LBB188_21:
	s_set_inst_prefetch_distance 0x2
	global_store_b64 v[3:4], v[5:6], off
.LBB188_22:
	s_nop 0
	s_sendmsg sendmsg(MSG_DEALLOC_VGPRS)
	s_endpgm
	.section	.rodata,"a",@progbits
	.p2align	6, 0x0
	.amdhsa_kernel _ZL39rocblas_trsm_block_forward_substitutionI19rocblas_complex_numIfES1_PKPKS1_PKPS1_Lb1ELb1ELb1EEv18rocblas_operation_llT0_T1_lllT2_lllib
		.amdhsa_group_segment_fixed_size 0
		.amdhsa_private_segment_fixed_size 0
		.amdhsa_kernarg_size 360
		.amdhsa_user_sgpr_count 13
		.amdhsa_user_sgpr_dispatch_ptr 0
		.amdhsa_user_sgpr_queue_ptr 0
		.amdhsa_user_sgpr_kernarg_segment_ptr 1
		.amdhsa_user_sgpr_dispatch_id 0
		.amdhsa_user_sgpr_private_segment_size 0
		.amdhsa_wavefront_size32 1
		.amdhsa_uses_dynamic_stack 0
		.amdhsa_enable_private_segment 0
		.amdhsa_system_sgpr_workgroup_id_x 1
		.amdhsa_system_sgpr_workgroup_id_y 1
		.amdhsa_system_sgpr_workgroup_id_z 1
		.amdhsa_system_sgpr_workgroup_info 0
		.amdhsa_system_vgpr_workitem_id 1
		.amdhsa_next_free_vgpr 14
		.amdhsa_next_free_sgpr 28
		.amdhsa_reserve_vcc 1
		.amdhsa_float_round_mode_32 0
		.amdhsa_float_round_mode_16_64 0
		.amdhsa_float_denorm_mode_32 3
		.amdhsa_float_denorm_mode_16_64 3
		.amdhsa_dx10_clamp 1
		.amdhsa_ieee_mode 1
		.amdhsa_fp16_overflow 0
		.amdhsa_workgroup_processor_mode 1
		.amdhsa_memory_ordered 1
		.amdhsa_forward_progress 0
		.amdhsa_shared_vgpr_count 0
		.amdhsa_exception_fp_ieee_invalid_op 0
		.amdhsa_exception_fp_denorm_src 0
		.amdhsa_exception_fp_ieee_div_zero 0
		.amdhsa_exception_fp_ieee_overflow 0
		.amdhsa_exception_fp_ieee_underflow 0
		.amdhsa_exception_fp_ieee_inexact 0
		.amdhsa_exception_int_div_zero 0
	.end_amdhsa_kernel
	.section	.text._ZL39rocblas_trsm_block_forward_substitutionI19rocblas_complex_numIfES1_PKPKS1_PKPS1_Lb1ELb1ELb1EEv18rocblas_operation_llT0_T1_lllT2_lllib,"axG",@progbits,_ZL39rocblas_trsm_block_forward_substitutionI19rocblas_complex_numIfES1_PKPKS1_PKPS1_Lb1ELb1ELb1EEv18rocblas_operation_llT0_T1_lllT2_lllib,comdat
.Lfunc_end188:
	.size	_ZL39rocblas_trsm_block_forward_substitutionI19rocblas_complex_numIfES1_PKPKS1_PKPS1_Lb1ELb1ELb1EEv18rocblas_operation_llT0_T1_lllT2_lllib, .Lfunc_end188-_ZL39rocblas_trsm_block_forward_substitutionI19rocblas_complex_numIfES1_PKPKS1_PKPS1_Lb1ELb1ELb1EEv18rocblas_operation_llT0_T1_lllT2_lllib
                                        ; -- End function
	.section	.AMDGPU.csdata,"",@progbits
; Kernel info:
; codeLenInByte = 1040
; NumSgprs: 30
; NumVgprs: 14
; ScratchSize: 0
; MemoryBound: 0
; FloatMode: 240
; IeeeMode: 1
; LDSByteSize: 0 bytes/workgroup (compile time only)
; SGPRBlocks: 3
; VGPRBlocks: 1
; NumSGPRsForWavesPerEU: 30
; NumVGPRsForWavesPerEU: 14
; Occupancy: 16
; WaveLimiterHint : 1
; COMPUTE_PGM_RSRC2:SCRATCH_EN: 0
; COMPUTE_PGM_RSRC2:USER_SGPR: 13
; COMPUTE_PGM_RSRC2:TRAP_HANDLER: 0
; COMPUTE_PGM_RSRC2:TGID_X_EN: 1
; COMPUTE_PGM_RSRC2:TGID_Y_EN: 1
; COMPUTE_PGM_RSRC2:TGID_Z_EN: 1
; COMPUTE_PGM_RSRC2:TIDIG_COMP_CNT: 1
	.section	.text._ZL40rocblas_trsm_block_backward_substitutionI19rocblas_complex_numIfES1_PKPKS1_PKPS1_Lb1ELb1ELb1EEv18rocblas_operation_llT0_T1_lllT2_lllib,"axG",@progbits,_ZL40rocblas_trsm_block_backward_substitutionI19rocblas_complex_numIfES1_PKPKS1_PKPS1_Lb1ELb1ELb1EEv18rocblas_operation_llT0_T1_lllT2_lllib,comdat
	.globl	_ZL40rocblas_trsm_block_backward_substitutionI19rocblas_complex_numIfES1_PKPKS1_PKPS1_Lb1ELb1ELb1EEv18rocblas_operation_llT0_T1_lllT2_lllib ; -- Begin function _ZL40rocblas_trsm_block_backward_substitutionI19rocblas_complex_numIfES1_PKPKS1_PKPS1_Lb1ELb1ELb1EEv18rocblas_operation_llT0_T1_lllT2_lllib
	.p2align	8
	.type	_ZL40rocblas_trsm_block_backward_substitutionI19rocblas_complex_numIfES1_PKPKS1_PKPS1_Lb1ELb1ELb1EEv18rocblas_operation_llT0_T1_lllT2_lllib,@function
_ZL40rocblas_trsm_block_backward_substitutionI19rocblas_complex_numIfES1_PKPKS1_PKPS1_Lb1ELb1ELb1EEv18rocblas_operation_llT0_T1_lllT2_lllib: ; @_ZL40rocblas_trsm_block_backward_substitutionI19rocblas_complex_numIfES1_PKPKS1_PKPS1_Lb1ELb1ELb1EEv18rocblas_operation_llT0_T1_lllT2_lllib
; %bb.0:
	s_clause 0x1
	s_load_b128 s[4:7], s[0:1], 0x20
	s_load_b64 s[12:13], s[0:1], 0x30
	s_mov_b32 s2, s15
	s_mov_b32 s3, 0
	v_and_b32_e32 v1, 0x3ff, v0
	s_lshl_b64 s[2:3], s[2:3], 3
	v_bfe_u32 v0, v0, 10, 10
	s_waitcnt lgkmcnt(0)
	s_add_u32 s4, s4, s2
	s_addc_u32 s5, s5, s3
	s_lshl_b64 s[6:7], s[6:7], 3
	s_load_b64 s[4:5], s[4:5], 0x0
	s_clause 0x3
	s_load_b128 s[8:11], s[0:1], 0x40
	s_load_b64 s[16:17], s[0:1], 0x50
	s_load_b32 s24, s[0:1], 0x64
	s_load_b32 s15, s[0:1], 0x74
	s_waitcnt lgkmcnt(0)
	s_add_u32 s20, s4, s6
	s_addc_u32 s21, s5, s7
	s_add_u32 s2, s8, s2
	s_addc_u32 s3, s9, s3
	s_clause 0x1
	s_load_b128 s[4:7], s[0:1], 0x8
	s_load_b64 s[8:9], s[0:1], 0x18
	s_load_b64 s[18:19], s[2:3], 0x0
	s_add_u32 s22, s0, 0x68
	s_addc_u32 s23, s1, 0
	s_lshr_b32 s15, s15, 16
	s_bitcmp0_b32 s24, 0
	s_cbranch_scc1 .LBB189_7
; %bb.1:
	s_waitcnt lgkmcnt(0)
	v_cmp_lt_i64_e64 s2, s[4:5], 1
	s_lshl_b32 s3, s15, 3
	s_delay_alu instid0(SALU_CYCLE_1) | instskip(NEXT) | instid1(VALU_DEP_1)
	s_add_i32 s24, s3, 0
	s_and_b32 vcc_lo, exec_lo, s2
	s_cbranch_vccnz .LBB189_6
; %bb.2:
	v_dual_mov_b32 v2, 0 :: v_dual_lshlrev_b32 v3, 3, v1
	s_delay_alu instid0(VALU_DEP_1) | instskip(NEXT) | instid1(VALU_DEP_2)
	v_add_co_u32 v5, s3, s20, v3
	v_cmp_gt_u64_e64 s2, s[4:5], v[1:2]
	v_add_nc_u32_e32 v4, s24, v3
	v_add_co_ci_u32_e64 v6, null, s21, 0, s3
	s_mov_b32 s20, 0
	s_set_inst_prefetch_distance 0x1
	s_branch .LBB189_4
	.p2align	6
.LBB189_3:                              ;   in Loop: Header=BB189_4 Depth=1
	s_or_b32 exec_lo, exec_lo, s3
	s_add_i32 s20, s20, s15
	s_delay_alu instid0(SALU_CYCLE_1) | instskip(NEXT) | instid1(SALU_CYCLE_1)
	s_ashr_i32 s21, s20, 31
	v_cmp_ge_i64_e64 s3, s[20:21], s[4:5]
	s_delay_alu instid0(VALU_DEP_1)
	s_and_b32 vcc_lo, exec_lo, s3
	s_cbranch_vccnz .LBB189_6
.LBB189_4:                              ; =>This Inner Loop Header: Depth=1
	v_add_nc_u32_e32 v2, s20, v0
	s_delay_alu instid0(VALU_DEP_1) | instskip(SKIP_1) | instid1(VALU_DEP_2)
	v_ashrrev_i32_e32 v3, 31, v2
	v_cmp_lt_i32_e64 s3, v1, v2
	v_cmp_gt_i64_e32 vcc_lo, s[4:5], v[2:3]
	s_delay_alu instid0(VALU_DEP_2) | instskip(NEXT) | instid1(SALU_CYCLE_1)
	s_and_b32 s3, s3, vcc_lo
	s_and_b32 s21, s2, s3
	s_delay_alu instid0(SALU_CYCLE_1)
	s_and_saveexec_b32 s3, s21
	s_cbranch_execz .LBB189_3
; %bb.5:                                ;   in Loop: Header=BB189_4 Depth=1
	v_mul_lo_u32 v3, v3, s12
	v_mul_lo_u32 v9, v2, s13
	v_mad_u64_u32 v[7:8], null, v2, s12, 0
	s_load_b32 s21, s[22:23], 0xc
	s_delay_alu instid0(VALU_DEP_1) | instskip(NEXT) | instid1(VALU_DEP_1)
	v_add3_u32 v8, v8, v9, v3
	v_lshlrev_b64 v[7:8], 3, v[7:8]
	s_delay_alu instid0(VALU_DEP_1) | instskip(NEXT) | instid1(VALU_DEP_2)
	v_add_co_u32 v7, vcc_lo, v5, v7
	v_add_co_ci_u32_e32 v8, vcc_lo, v6, v8, vcc_lo
	s_waitcnt lgkmcnt(0)
	s_and_b32 s21, s21, 0xffff
	s_delay_alu instid0(SALU_CYCLE_1)
	v_mul_lo_u32 v2, v2, s21
	global_load_b64 v[7:8], v[7:8], off
	v_lshl_add_u32 v2, v2, 3, v4
	s_waitcnt vmcnt(0)
	ds_store_b64 v2, v[7:8]
	s_branch .LBB189_3
.LBB189_6:
	s_set_inst_prefetch_distance 0x2
	s_load_b32 s12, s[22:23], 0xc
	s_mov_b64 s[2:3], src_shared_base
	s_mov_b32 s13, 0
	s_mov_b32 s25, s3
	s_delay_alu instid0(SALU_CYCLE_1)
	s_mov_b64 s[20:21], s[24:25]
	s_waitcnt lgkmcnt(0)
	s_and_b32 s12, s12, 0xffff
.LBB189_7:
	v_mad_u64_u32 v[3:4], null, s14, s15, v[0:1]
	v_mov_b32_e32 v4, 0
	s_mov_b32 s2, exec_lo
	s_waitcnt lgkmcnt(0)
	s_delay_alu instid0(VALU_DEP_1)
	v_cmpx_gt_i64_e64 s[6:7], v[3:4]
	s_cbranch_execz .LBB189_22
; %bb.8:
	v_mov_b32_e32 v2, v4
	s_delay_alu instid0(VALU_DEP_1)
	v_cmp_gt_i64_e32 vcc_lo, s[4:5], v[1:2]
	s_and_b32 exec_lo, exec_lo, vcc_lo
	s_cbranch_execz .LBB189_22
; %bb.9:
	v_mad_u64_u32 v[4:5], null, v3, s16, 0
	s_lshl_b64 s[2:3], s[10:11], 3
	s_delay_alu instid0(SALU_CYCLE_1) | instskip(SKIP_1) | instid1(VALU_DEP_1)
	s_add_u32 s2, s18, s2
	s_addc_u32 s3, s19, s3
	v_mad_u64_u32 v[6:7], null, v3, s17, v[5:6]
	v_lshlrev_b32_e32 v7, 3, v1
	s_delay_alu instid0(VALU_DEP_2) | instskip(NEXT) | instid1(VALU_DEP_1)
	v_mov_b32_e32 v5, v6
	v_lshlrev_b64 v[3:4], 3, v[4:5]
	s_delay_alu instid0(VALU_DEP_1) | instskip(NEXT) | instid1(VALU_DEP_2)
	v_add_co_u32 v3, vcc_lo, s2, v3
	v_add_co_ci_u32_e32 v4, vcc_lo, s3, v4, vcc_lo
	v_cmp_lt_u64_e64 s2, s[4:5], 2
	s_delay_alu instid0(VALU_DEP_3) | instskip(NEXT) | instid1(VALU_DEP_3)
	v_add_co_u32 v3, vcc_lo, v3, v7
	v_add_co_ci_u32_e32 v4, vcc_lo, 0, v4, vcc_lo
	s_delay_alu instid0(VALU_DEP_3) | instskip(SKIP_3) | instid1(VALU_DEP_1)
	s_and_b32 vcc_lo, exec_lo, s2
	global_load_b64 v[8:9], v[3:4], off
	s_waitcnt vmcnt(0)
	v_mul_f32_e32 v6, s8, v9
	v_dual_mul_f32 v5, s9, v9 :: v_dual_fmac_f32 v6, s9, v8
	s_delay_alu instid0(VALU_DEP_1)
	v_fma_f32 v5, s8, v8, -v5
	s_cbranch_vccnz .LBB189_21
; %bb.10:
	s_load_b32 s0, s[0:1], 0x0
	v_lshl_add_u32 v0, v0, 3, 0
	s_waitcnt lgkmcnt(0)
	s_cmpk_lg_i32 s0, 0x71
	s_cselect_b32 s6, -1, 0
	s_add_u32 s0, s4, -1
	s_addc_u32 s1, s5, -1
	s_mul_hi_u32 s2, s12, s0
	s_mul_i32 s3, s12, s1
	s_mul_i32 s4, s13, s0
	s_add_i32 s3, s2, s3
	s_mul_i32 s2, s12, s0
	s_add_i32 s3, s3, s4
	s_delay_alu instid0(SALU_CYCLE_1) | instskip(NEXT) | instid1(SALU_CYCLE_1)
	s_lshl_b64 s[2:3], s[2:3], 3
	s_add_u32 s2, s20, s2
	s_addc_u32 s3, s21, s3
	v_add_co_u32 v7, s2, s2, v7
	s_delay_alu instid0(VALU_DEP_1) | instskip(SKIP_1) | instid1(SALU_CYCLE_1)
	v_add_co_ci_u32_e64 v8, null, s3, 0, s2
	s_lshl_b64 s[2:3], s[12:13], 3
	s_sub_u32 s4, 0, s2
	s_subb_u32 s5, 0, s3
.LBB189_11:                             ; =>This Inner Loop Header: Depth=1
	s_mov_b32 s2, exec_lo
	s_barrier
	buffer_gl0_inv
	v_cmpx_eq_u64_e64 s[0:1], v[1:2]
	s_cbranch_execz .LBB189_13
; %bb.12:                               ;   in Loop: Header=BB189_11 Depth=1
	ds_store_b64 v0, v[5:6]
.LBB189_13:                             ;   in Loop: Header=BB189_11 Depth=1
	s_or_b32 exec_lo, exec_lo, s2
	s_delay_alu instid0(SALU_CYCLE_1)
	s_mov_b32 s2, exec_lo
	s_waitcnt lgkmcnt(0)
	s_barrier
	buffer_gl0_inv
	v_cmpx_gt_i64_e64 s[0:1], v[1:2]
	s_cbranch_execz .LBB189_19
; %bb.14:                               ;   in Loop: Header=BB189_11 Depth=1
	s_and_b32 vcc_lo, exec_lo, s6
	s_cbranch_vccz .LBB189_16
; %bb.15:                               ;   in Loop: Header=BB189_11 Depth=1
	flat_load_b64 v[9:10], v[7:8]
	s_cbranch_execz .LBB189_17
	s_branch .LBB189_18
.LBB189_16:                             ;   in Loop: Header=BB189_11 Depth=1
                                        ; implicit-def: $vgpr9
.LBB189_17:                             ;   in Loop: Header=BB189_11 Depth=1
	s_waitcnt vmcnt(0) lgkmcnt(0)
	flat_load_b64 v[9:10], v[7:8]
	s_waitcnt vmcnt(0) lgkmcnt(0)
	v_xor_b32_e32 v10, 0x80000000, v10
.LBB189_18:                             ;   in Loop: Header=BB189_11 Depth=1
	ds_load_b64 v[11:12], v0
	s_waitcnt vmcnt(0) lgkmcnt(0)
	v_mul_f32_e32 v13, v12, v10
	v_mul_f32_e32 v12, v12, v9
	s_delay_alu instid0(VALU_DEP_1) | instskip(NEXT) | instid1(VALU_DEP_1)
	v_fmac_f32_e32 v12, v11, v10
	v_sub_f32_e32 v6, v6, v12
	s_delay_alu instid0(VALU_DEP_4) | instskip(NEXT) | instid1(VALU_DEP_1)
	v_fma_f32 v9, v11, v9, -v13
	v_sub_f32_e32 v5, v5, v9
.LBB189_19:                             ;   in Loop: Header=BB189_11 Depth=1
	s_or_b32 exec_lo, exec_lo, s2
	s_add_u32 s2, s0, -1
	s_addc_u32 s3, s1, -1
	s_add_u32 s0, s0, 1
	s_addc_u32 s1, s1, 0
	v_add_co_u32 v7, vcc_lo, v7, s4
	v_cmp_lt_u64_e64 s0, s[0:1], 3
	v_add_co_ci_u32_e32 v8, vcc_lo, s5, v8, vcc_lo
	s_delay_alu instid0(VALU_DEP_2)
	s_and_b32 vcc_lo, exec_lo, s0
	s_cbranch_vccnz .LBB189_21
; %bb.20:                               ;   in Loop: Header=BB189_11 Depth=1
	s_mov_b64 s[0:1], s[2:3]
	s_branch .LBB189_11
.LBB189_21:
	global_store_b64 v[3:4], v[5:6], off
.LBB189_22:
	s_nop 0
	s_sendmsg sendmsg(MSG_DEALLOC_VGPRS)
	s_endpgm
	.section	.rodata,"a",@progbits
	.p2align	6, 0x0
	.amdhsa_kernel _ZL40rocblas_trsm_block_backward_substitutionI19rocblas_complex_numIfES1_PKPKS1_PKPS1_Lb1ELb1ELb1EEv18rocblas_operation_llT0_T1_lllT2_lllib
		.amdhsa_group_segment_fixed_size 0
		.amdhsa_private_segment_fixed_size 0
		.amdhsa_kernarg_size 360
		.amdhsa_user_sgpr_count 13
		.amdhsa_user_sgpr_dispatch_ptr 0
		.amdhsa_user_sgpr_queue_ptr 0
		.amdhsa_user_sgpr_kernarg_segment_ptr 1
		.amdhsa_user_sgpr_dispatch_id 0
		.amdhsa_user_sgpr_private_segment_size 0
		.amdhsa_wavefront_size32 1
		.amdhsa_uses_dynamic_stack 0
		.amdhsa_enable_private_segment 0
		.amdhsa_system_sgpr_workgroup_id_x 1
		.amdhsa_system_sgpr_workgroup_id_y 1
		.amdhsa_system_sgpr_workgroup_id_z 1
		.amdhsa_system_sgpr_workgroup_info 0
		.amdhsa_system_vgpr_workitem_id 1
		.amdhsa_next_free_vgpr 14
		.amdhsa_next_free_sgpr 26
		.amdhsa_reserve_vcc 1
		.amdhsa_float_round_mode_32 0
		.amdhsa_float_round_mode_16_64 0
		.amdhsa_float_denorm_mode_32 3
		.amdhsa_float_denorm_mode_16_64 3
		.amdhsa_dx10_clamp 1
		.amdhsa_ieee_mode 1
		.amdhsa_fp16_overflow 0
		.amdhsa_workgroup_processor_mode 1
		.amdhsa_memory_ordered 1
		.amdhsa_forward_progress 0
		.amdhsa_shared_vgpr_count 0
		.amdhsa_exception_fp_ieee_invalid_op 0
		.amdhsa_exception_fp_denorm_src 0
		.amdhsa_exception_fp_ieee_div_zero 0
		.amdhsa_exception_fp_ieee_overflow 0
		.amdhsa_exception_fp_ieee_underflow 0
		.amdhsa_exception_fp_ieee_inexact 0
		.amdhsa_exception_int_div_zero 0
	.end_amdhsa_kernel
	.section	.text._ZL40rocblas_trsm_block_backward_substitutionI19rocblas_complex_numIfES1_PKPKS1_PKPS1_Lb1ELb1ELb1EEv18rocblas_operation_llT0_T1_lllT2_lllib,"axG",@progbits,_ZL40rocblas_trsm_block_backward_substitutionI19rocblas_complex_numIfES1_PKPKS1_PKPS1_Lb1ELb1ELb1EEv18rocblas_operation_llT0_T1_lllT2_lllib,comdat
.Lfunc_end189:
	.size	_ZL40rocblas_trsm_block_backward_substitutionI19rocblas_complex_numIfES1_PKPKS1_PKPS1_Lb1ELb1ELb1EEv18rocblas_operation_llT0_T1_lllT2_lllib, .Lfunc_end189-_ZL40rocblas_trsm_block_backward_substitutionI19rocblas_complex_numIfES1_PKPKS1_PKPS1_Lb1ELb1ELb1EEv18rocblas_operation_llT0_T1_lllT2_lllib
                                        ; -- End function
	.section	.AMDGPU.csdata,"",@progbits
; Kernel info:
; codeLenInByte = 1072
; NumSgprs: 28
; NumVgprs: 14
; ScratchSize: 0
; MemoryBound: 0
; FloatMode: 240
; IeeeMode: 1
; LDSByteSize: 0 bytes/workgroup (compile time only)
; SGPRBlocks: 3
; VGPRBlocks: 1
; NumSGPRsForWavesPerEU: 28
; NumVGPRsForWavesPerEU: 14
; Occupancy: 16
; WaveLimiterHint : 1
; COMPUTE_PGM_RSRC2:SCRATCH_EN: 0
; COMPUTE_PGM_RSRC2:USER_SGPR: 13
; COMPUTE_PGM_RSRC2:TRAP_HANDLER: 0
; COMPUTE_PGM_RSRC2:TGID_X_EN: 1
; COMPUTE_PGM_RSRC2:TGID_Y_EN: 1
; COMPUTE_PGM_RSRC2:TGID_Z_EN: 1
; COMPUTE_PGM_RSRC2:TIDIG_COMP_CNT: 1
	.section	.text._ZL39rocblas_trsm_block_forward_substitutionI19rocblas_complex_numIfES1_PKPKS1_PKPS1_Lb1ELb0ELb0EEv18rocblas_operation_llT0_T1_lllT2_lllib,"axG",@progbits,_ZL39rocblas_trsm_block_forward_substitutionI19rocblas_complex_numIfES1_PKPKS1_PKPS1_Lb1ELb0ELb0EEv18rocblas_operation_llT0_T1_lllT2_lllib,comdat
	.globl	_ZL39rocblas_trsm_block_forward_substitutionI19rocblas_complex_numIfES1_PKPKS1_PKPS1_Lb1ELb0ELb0EEv18rocblas_operation_llT0_T1_lllT2_lllib ; -- Begin function _ZL39rocblas_trsm_block_forward_substitutionI19rocblas_complex_numIfES1_PKPKS1_PKPS1_Lb1ELb0ELb0EEv18rocblas_operation_llT0_T1_lllT2_lllib
	.p2align	8
	.type	_ZL39rocblas_trsm_block_forward_substitutionI19rocblas_complex_numIfES1_PKPKS1_PKPS1_Lb1ELb0ELb0EEv18rocblas_operation_llT0_T1_lllT2_lllib,@function
_ZL39rocblas_trsm_block_forward_substitutionI19rocblas_complex_numIfES1_PKPKS1_PKPS1_Lb1ELb0ELb0EEv18rocblas_operation_llT0_T1_lllT2_lllib: ; @_ZL39rocblas_trsm_block_forward_substitutionI19rocblas_complex_numIfES1_PKPKS1_PKPS1_Lb1ELb0ELb0EEv18rocblas_operation_llT0_T1_lllT2_lllib
; %bb.0:
	s_clause 0x1
	s_load_b32 s8, s[0:1], 0x64
	s_load_b128 s[4:7], s[0:1], 0x20
	s_mov_b32 s2, s15
	s_mov_b32 s3, 0
	s_clause 0x2
	s_load_b32 s24, s[0:1], 0x74
	s_load_b64 s[20:21], s[0:1], 0x50
	s_load_b64 s[26:27], s[0:1], 0x30
	v_and_b32_e32 v1, 0x3ff, v0
	v_bfe_u32 v0, v0, 10, 10
	s_waitcnt lgkmcnt(0)
	s_bitcmp1_b32 s8, 0
	s_cselect_b32 s8, -1, 0
	s_lshl_b64 s[12:13], s[2:3], 3
	s_xor_b32 s15, s8, -1
	s_add_u32 s2, s4, s12
	s_addc_u32 s3, s5, s13
	s_lshl_b64 s[4:5], s[6:7], 3
	s_load_b64 s[2:3], s[2:3], 0x0
	s_load_b128 s[8:11], s[0:1], 0x40
	s_waitcnt lgkmcnt(0)
	s_add_u32 s2, s2, s4
	s_addc_u32 s3, s3, s5
	s_add_u32 s8, s8, s12
	s_addc_u32 s9, s9, s13
	s_clause 0x1
	s_load_b128 s[4:7], s[0:1], 0x8
	s_load_b64 s[16:17], s[0:1], 0x18
	s_load_b64 s[18:19], s[8:9], 0x0
	s_add_u32 s22, s0, 0x68
	s_addc_u32 s23, s1, 0
	s_lshr_b32 s28, s24, 16
	s_and_b32 vcc_lo, exec_lo, s15
	s_mov_b64 s[12:13], 1
	s_cbranch_vccnz .LBB190_14
; %bb.1:
	s_waitcnt lgkmcnt(0)
	v_cmp_lt_i64_e64 s8, s[4:5], 1
	s_lshl_b32 s9, s28, 3
	s_delay_alu instid0(SALU_CYCLE_1) | instskip(NEXT) | instid1(VALU_DEP_1)
	s_add_i32 s24, s9, 0
	s_and_b32 vcc_lo, exec_lo, s8
	s_mov_b64 s[8:9], 1
	s_cbranch_vccnz .LBB190_15
; %bb.2:
	v_mad_u64_u32 v[2:3], null, v1, s26, 0
	s_delay_alu instid0(VALU_DEP_1) | instskip(SKIP_1) | instid1(VALU_DEP_2)
	v_mad_u64_u32 v[4:5], null, v1, s27, v[3:4]
	v_lshlrev_b32_e32 v5, 3, v1
	v_mov_b32_e32 v3, v4
	s_delay_alu instid0(VALU_DEP_1) | instskip(SKIP_1) | instid1(VALU_DEP_2)
	v_lshlrev_b64 v[3:4], 3, v[2:3]
	v_mov_b32_e32 v2, 0
	v_add_co_u32 v10, vcc_lo, s2, v3
	s_delay_alu instid0(VALU_DEP_3) | instskip(NEXT) | instid1(VALU_DEP_3)
	v_add_co_ci_u32_e32 v11, vcc_lo, s3, v4, vcc_lo
	v_cmp_le_u64_e32 vcc_lo, s[4:5], v[1:2]
	v_mov_b32_e32 v4, v0
	s_delay_alu instid0(VALU_DEP_4)
	v_add_co_u32 v2, s2, v10, v5
	v_add_nc_u32_e32 v9, s24, v5
	v_add_co_ci_u32_e64 v3, s2, 0, v11, s2
	s_xor_b32 s12, vcc_lo, -1
	s_mov_b32 s2, s28
	s_branch .LBB190_6
.LBB190_3:                              ;   in Loop: Header=BB190_6 Depth=1
	s_or_b32 exec_lo, exec_lo, s25
	s_load_b32 s25, s[22:23], 0xc
	s_waitcnt lgkmcnt(0)
	s_and_b32 s25, s25, 0xffff
	s_delay_alu instid0(SALU_CYCLE_1) | instskip(NEXT) | instid1(VALU_DEP_1)
	v_mul_u32_u24_e32 v5, s25, v1
	v_lshl_add_u32 v5, v5, 3, v9
	ds_store_b64 v5, v[7:8]
.LBB190_4:                              ;   in Loop: Header=BB190_6 Depth=1
	s_or_b32 exec_lo, exec_lo, s13
.LBB190_5:                              ;   in Loop: Header=BB190_6 Depth=1
	s_delay_alu instid0(SALU_CYCLE_1) | instskip(SKIP_4) | instid1(VALU_DEP_1)
	s_or_b32 exec_lo, exec_lo, s3
	s_ashr_i32 s3, s2, 31
	v_add_nc_u32_e32 v4, s28, v4
	v_cmp_ge_i64_e64 s3, s[2:3], s[4:5]
	s_add_i32 s2, s2, s28
	s_and_b32 vcc_lo, exec_lo, s3
	s_cbranch_vccnz .LBB190_15
.LBB190_6:                              ; =>This Inner Loop Header: Depth=1
	v_cmp_gt_i32_e32 vcc_lo, v1, v4
	s_and_b32 s3, s12, vcc_lo
	s_delay_alu instid0(SALU_CYCLE_1) | instskip(NEXT) | instid1(SALU_CYCLE_1)
	s_and_saveexec_b32 s13, s3
	s_xor_b32 s3, exec_lo, s13
	s_cbranch_execz .LBB190_8
; %bb.7:                                ;   in Loop: Header=BB190_6 Depth=1
	v_ashrrev_i32_e32 v5, 31, v4
	s_load_b32 s13, s[22:23], 0xc
	s_delay_alu instid0(VALU_DEP_1) | instskip(NEXT) | instid1(VALU_DEP_1)
	v_lshlrev_b64 v[5:6], 3, v[4:5]
	v_add_co_u32 v5, vcc_lo, v10, v5
	s_delay_alu instid0(VALU_DEP_2) | instskip(SKIP_3) | instid1(SALU_CYCLE_1)
	v_add_co_ci_u32_e32 v6, vcc_lo, v11, v6, vcc_lo
	global_load_b64 v[5:6], v[5:6], off
	s_waitcnt lgkmcnt(0)
	s_and_b32 s13, s13, 0xffff
	v_mul_lo_u32 v7, v4, s13
	s_delay_alu instid0(VALU_DEP_1)
	v_lshl_add_u32 v7, v7, 3, v9
	s_waitcnt vmcnt(0)
	ds_store_b64 v7, v[5:6]
.LBB190_8:                              ;   in Loop: Header=BB190_6 Depth=1
	s_and_not1_saveexec_b32 s3, s3
	s_cbranch_execz .LBB190_5
; %bb.9:                                ;   in Loop: Header=BB190_6 Depth=1
	v_cmp_eq_u32_e32 vcc_lo, v1, v4
	s_and_b32 s25, s12, vcc_lo
	s_delay_alu instid0(SALU_CYCLE_1)
	s_and_saveexec_b32 s13, s25
	s_cbranch_execz .LBB190_4
; %bb.10:                               ;   in Loop: Header=BB190_6 Depth=1
	global_load_b64 v[5:6], v[2:3], off
	s_waitcnt vmcnt(0)
	v_cmp_gt_f32_e32 vcc_lo, 0, v5
	v_cndmask_b32_e64 v7, v5, -v5, vcc_lo
	v_cmp_gt_f32_e32 vcc_lo, 0, v6
	v_cndmask_b32_e64 v8, v6, -v6, vcc_lo
	s_delay_alu instid0(VALU_DEP_1) | instskip(SKIP_1) | instid1(SALU_CYCLE_1)
	v_cmp_ngt_f32_e32 vcc_lo, v7, v8
                                        ; implicit-def: $vgpr7
	s_and_saveexec_b32 s25, vcc_lo
	s_xor_b32 s25, exec_lo, s25
	s_cbranch_execz .LBB190_12
; %bb.11:                               ;   in Loop: Header=BB190_6 Depth=1
	v_div_scale_f32 v7, null, v6, v6, v5
	v_div_scale_f32 v13, vcc_lo, v5, v6, v5
	s_delay_alu instid0(VALU_DEP_2) | instskip(SKIP_2) | instid1(VALU_DEP_1)
	v_rcp_f32_e32 v8, v7
	s_waitcnt_depctr 0xfff
	v_fma_f32 v12, -v7, v8, 1.0
	v_fmac_f32_e32 v8, v12, v8
	s_delay_alu instid0(VALU_DEP_1) | instskip(NEXT) | instid1(VALU_DEP_1)
	v_mul_f32_e32 v12, v13, v8
	v_fma_f32 v14, -v7, v12, v13
	s_delay_alu instid0(VALU_DEP_1) | instskip(NEXT) | instid1(VALU_DEP_1)
	v_fmac_f32_e32 v12, v14, v8
	v_fma_f32 v7, -v7, v12, v13
	s_delay_alu instid0(VALU_DEP_1) | instskip(NEXT) | instid1(VALU_DEP_1)
	v_div_fmas_f32 v7, v7, v8, v12
	v_div_fixup_f32 v7, v7, v6, v5
	s_delay_alu instid0(VALU_DEP_1) | instskip(NEXT) | instid1(VALU_DEP_1)
	v_fmac_f32_e32 v6, v5, v7
	v_div_scale_f32 v5, null, v6, v6, 1.0
	v_div_scale_f32 v13, vcc_lo, 1.0, v6, 1.0
	s_delay_alu instid0(VALU_DEP_2) | instskip(SKIP_2) | instid1(VALU_DEP_1)
	v_rcp_f32_e32 v8, v5
	s_waitcnt_depctr 0xfff
	v_fma_f32 v12, -v5, v8, 1.0
	v_fmac_f32_e32 v8, v12, v8
	s_delay_alu instid0(VALU_DEP_1) | instskip(NEXT) | instid1(VALU_DEP_1)
	v_mul_f32_e32 v12, v13, v8
	v_fma_f32 v14, -v5, v12, v13
	s_delay_alu instid0(VALU_DEP_1) | instskip(NEXT) | instid1(VALU_DEP_1)
	v_fmac_f32_e32 v12, v14, v8
	v_fma_f32 v5, -v5, v12, v13
	s_delay_alu instid0(VALU_DEP_1) | instskip(NEXT) | instid1(VALU_DEP_1)
	v_div_fmas_f32 v5, v5, v8, v12
	v_div_fixup_f32 v5, v5, v6, 1.0
	s_delay_alu instid0(VALU_DEP_1)
	v_mul_f32_e32 v7, v7, v5
	v_xor_b32_e32 v8, 0x80000000, v5
                                        ; implicit-def: $vgpr5_vgpr6
.LBB190_12:                             ;   in Loop: Header=BB190_6 Depth=1
	s_and_not1_saveexec_b32 s25, s25
	s_cbranch_execz .LBB190_3
; %bb.13:                               ;   in Loop: Header=BB190_6 Depth=1
	v_div_scale_f32 v7, null, v5, v5, v6
	v_div_scale_f32 v13, vcc_lo, v6, v5, v6
	s_delay_alu instid0(VALU_DEP_2) | instskip(SKIP_2) | instid1(VALU_DEP_1)
	v_rcp_f32_e32 v8, v7
	s_waitcnt_depctr 0xfff
	v_fma_f32 v12, -v7, v8, 1.0
	v_fmac_f32_e32 v8, v12, v8
	s_delay_alu instid0(VALU_DEP_1) | instskip(NEXT) | instid1(VALU_DEP_1)
	v_mul_f32_e32 v12, v13, v8
	v_fma_f32 v14, -v7, v12, v13
	s_delay_alu instid0(VALU_DEP_1) | instskip(NEXT) | instid1(VALU_DEP_1)
	v_fmac_f32_e32 v12, v14, v8
	v_fma_f32 v7, -v7, v12, v13
	s_delay_alu instid0(VALU_DEP_1) | instskip(NEXT) | instid1(VALU_DEP_1)
	v_div_fmas_f32 v7, v7, v8, v12
	v_div_fixup_f32 v8, v7, v5, v6
	s_delay_alu instid0(VALU_DEP_1) | instskip(NEXT) | instid1(VALU_DEP_1)
	v_fmac_f32_e32 v5, v6, v8
	v_div_scale_f32 v6, null, v5, v5, 1.0
	s_delay_alu instid0(VALU_DEP_1) | instskip(SKIP_2) | instid1(VALU_DEP_1)
	v_rcp_f32_e32 v7, v6
	s_waitcnt_depctr 0xfff
	v_fma_f32 v12, -v6, v7, 1.0
	v_fmac_f32_e32 v7, v12, v7
	v_div_scale_f32 v12, vcc_lo, 1.0, v5, 1.0
	s_delay_alu instid0(VALU_DEP_1) | instskip(NEXT) | instid1(VALU_DEP_1)
	v_mul_f32_e32 v13, v12, v7
	v_fma_f32 v14, -v6, v13, v12
	s_delay_alu instid0(VALU_DEP_1) | instskip(NEXT) | instid1(VALU_DEP_1)
	v_fmac_f32_e32 v13, v14, v7
	v_fma_f32 v6, -v6, v13, v12
	s_delay_alu instid0(VALU_DEP_1) | instskip(NEXT) | instid1(VALU_DEP_1)
	v_div_fmas_f32 v6, v6, v7, v13
	v_div_fixup_f32 v7, v6, v5, 1.0
	s_delay_alu instid0(VALU_DEP_1)
	v_mul_f32_e64 v8, v8, -v7
	s_branch .LBB190_3
.LBB190_14:
	s_mov_b64 s[8:9], s[26:27]
	s_branch .LBB190_16
.LBB190_15:
	s_load_b32 s12, s[22:23], 0xc
	s_mov_b64 s[2:3], src_shared_base
	s_mov_b32 s13, 0
	s_mov_b32 s25, s3
	s_delay_alu instid0(SALU_CYCLE_1)
	s_mov_b64 s[2:3], s[24:25]
	s_waitcnt lgkmcnt(0)
	s_and_b32 s12, s12, 0xffff
.LBB190_16:
	v_mad_u64_u32 v[3:4], null, s14, s28, v[0:1]
	v_mov_b32_e32 v4, 0
	s_waitcnt lgkmcnt(0)
	s_delay_alu instid0(VALU_DEP_1)
	v_cmp_gt_i64_e32 vcc_lo, s[6:7], v[3:4]
	s_and_saveexec_b32 s6, vcc_lo
	s_cbranch_execz .LBB190_44
; %bb.17:
	v_mov_b32_e32 v2, v4
	s_delay_alu instid0(VALU_DEP_1)
	v_cmp_gt_i64_e32 vcc_lo, s[4:5], v[1:2]
	s_and_b32 exec_lo, exec_lo, vcc_lo
	s_cbranch_execz .LBB190_44
; %bb.18:
	v_mad_u64_u32 v[4:5], null, v3, s20, 0
	s_lshl_b64 s[6:7], s[10:11], 3
	s_delay_alu instid0(SALU_CYCLE_1) | instskip(SKIP_1) | instid1(VALU_DEP_1)
	s_add_u32 s6, s18, s6
	s_addc_u32 s7, s19, s7
	v_mad_u64_u32 v[6:7], null, v3, s21, v[5:6]
	s_delay_alu instid0(VALU_DEP_1) | instskip(NEXT) | instid1(VALU_DEP_1)
	v_mov_b32_e32 v5, v6
	v_lshlrev_b64 v[3:4], 3, v[4:5]
	v_lshlrev_b32_e32 v5, 3, v1
	s_delay_alu instid0(VALU_DEP_2) | instskip(NEXT) | instid1(VALU_DEP_3)
	v_add_co_u32 v3, vcc_lo, s6, v3
	v_add_co_ci_u32_e32 v4, vcc_lo, s7, v4, vcc_lo
	v_cmp_lt_u64_e64 s6, s[4:5], 2
	s_delay_alu instid0(VALU_DEP_3) | instskip(NEXT) | instid1(VALU_DEP_3)
	v_add_co_u32 v3, vcc_lo, v3, v5
	v_add_co_ci_u32_e32 v4, vcc_lo, 0, v4, vcc_lo
	s_add_u32 s4, s4, -1
	s_addc_u32 s5, s5, -1
	s_delay_alu instid0(VALU_DEP_3) | instskip(SKIP_4) | instid1(VALU_DEP_2)
	s_and_b32 vcc_lo, exec_lo, s6
	global_load_b64 v[7:8], v[3:4], off
	s_waitcnt vmcnt(0)
	v_mul_f32_e32 v5, s17, v8
	v_mul_f32_e32 v6, s16, v8
	v_fma_f32 v5, s16, v7, -v5
	s_delay_alu instid0(VALU_DEP_2)
	v_fmac_f32_e32 v6, s17, v7
	s_cbranch_vccnz .LBB190_35
; %bb.19:
	s_load_b32 s0, s[0:1], 0x0
	v_mad_u64_u32 v[7:8], null, s8, v1, 0
	v_lshl_add_u32 v0, v0, 3, 0
	s_waitcnt lgkmcnt(0)
	s_cmpk_lg_i32 s0, 0x71
	s_cselect_b32 s6, -1, 0
	s_add_u32 s0, s12, s8
	s_delay_alu instid0(SALU_CYCLE_1) | instskip(SKIP_2) | instid1(VALU_DEP_1)
	v_mad_u64_u32 v[9:10], null, s0, v1, 0
	s_addc_u32 s0, s13, s9
	s_lshl_b32 s7, s12, 3
	v_mad_u64_u32 v[11:12], null, s9, v1, v[8:9]
	s_delay_alu instid0(VALU_DEP_1) | instskip(SKIP_2) | instid1(VALU_DEP_1)
	v_mad_u64_u32 v[12:13], null, s0, v1, v[10:11]
	v_mov_b32_e32 v8, v11
	s_mov_b64 s[0:1], 0
	v_lshlrev_b64 v[7:8], 3, v[7:8]
	s_delay_alu instid0(VALU_DEP_3) | instskip(NEXT) | instid1(VALU_DEP_2)
	v_mov_b32_e32 v10, v12
	v_add_co_u32 v7, vcc_lo, s2, v7
	s_delay_alu instid0(VALU_DEP_2) | instskip(NEXT) | instid1(VALU_DEP_4)
	v_lshlrev_b64 v[9:10], 3, v[9:10]
	v_add_co_ci_u32_e32 v8, vcc_lo, s3, v8, vcc_lo
	s_delay_alu instid0(VALU_DEP_2) | instskip(NEXT) | instid1(VALU_DEP_3)
	v_add_co_u32 v9, vcc_lo, s2, v9
	v_add_co_ci_u32_e32 v10, vcc_lo, s3, v10, vcc_lo
	s_branch .LBB190_22
.LBB190_20:                             ;   in Loop: Header=BB190_22 Depth=1
	ds_load_b64 v[13:14], v0
	s_waitcnt vmcnt(0) lgkmcnt(0)
	v_mul_f32_e32 v15, v14, v12
	v_mul_f32_e32 v14, v14, v11
	s_delay_alu instid0(VALU_DEP_2) | instskip(NEXT) | instid1(VALU_DEP_2)
	v_fma_f32 v11, v13, v11, -v15
	v_fmac_f32_e32 v14, v13, v12
	s_delay_alu instid0(VALU_DEP_1)
	v_dual_sub_f32 v5, v5, v11 :: v_dual_sub_f32 v6, v6, v14
.LBB190_21:                             ;   in Loop: Header=BB190_22 Depth=1
	s_or_b32 exec_lo, exec_lo, s10
	v_add_co_u32 v7, vcc_lo, v7, s7
	s_add_u32 s0, s0, 1
	v_add_co_ci_u32_e32 v8, vcc_lo, 0, v8, vcc_lo
	s_addc_u32 s1, s1, 0
	s_delay_alu instid0(SALU_CYCLE_1)
	s_cmp_eq_u64 s[4:5], s[0:1]
	s_cbranch_scc1 .LBB190_35
.LBB190_22:                             ; =>This Inner Loop Header: Depth=1
	s_mov_b32 s10, exec_lo
	s_barrier
	buffer_gl0_inv
	v_cmpx_eq_u64_e64 s[0:1], v[1:2]
	s_cbranch_execz .LBB190_30
; %bb.23:                               ;   in Loop: Header=BB190_22 Depth=1
	flat_load_b64 v[11:12], v[9:10]
	s_and_not1_b32 vcc_lo, exec_lo, s15
	s_cbranch_vccnz .LBB190_29
; %bb.24:                               ;   in Loop: Header=BB190_22 Depth=1
	s_waitcnt vmcnt(0) lgkmcnt(0)
	v_cmp_gt_f32_e32 vcc_lo, 0, v11
	s_mov_b32 s11, exec_lo
	v_cndmask_b32_e64 v13, v11, -v11, vcc_lo
	v_cmp_gt_f32_e32 vcc_lo, 0, v12
	v_cndmask_b32_e64 v14, v12, -v12, vcc_lo
	s_delay_alu instid0(VALU_DEP_1)
	v_cmpx_ngt_f32_e32 v13, v14
	s_xor_b32 s11, exec_lo, s11
	s_cbranch_execz .LBB190_26
; %bb.25:                               ;   in Loop: Header=BB190_22 Depth=1
	v_div_scale_f32 v13, null, v12, v12, v11
	v_div_scale_f32 v16, vcc_lo, v11, v12, v11
	s_delay_alu instid0(VALU_DEP_2) | instskip(SKIP_2) | instid1(VALU_DEP_1)
	v_rcp_f32_e32 v14, v13
	s_waitcnt_depctr 0xfff
	v_fma_f32 v15, -v13, v14, 1.0
	v_fmac_f32_e32 v14, v15, v14
	s_delay_alu instid0(VALU_DEP_1) | instskip(NEXT) | instid1(VALU_DEP_1)
	v_mul_f32_e32 v15, v16, v14
	v_fma_f32 v17, -v13, v15, v16
	s_delay_alu instid0(VALU_DEP_1) | instskip(NEXT) | instid1(VALU_DEP_1)
	v_fmac_f32_e32 v15, v17, v14
	v_fma_f32 v13, -v13, v15, v16
	s_delay_alu instid0(VALU_DEP_1) | instskip(NEXT) | instid1(VALU_DEP_1)
	v_div_fmas_f32 v13, v13, v14, v15
	v_div_fixup_f32 v13, v13, v12, v11
	s_delay_alu instid0(VALU_DEP_1) | instskip(NEXT) | instid1(VALU_DEP_1)
	v_fmac_f32_e32 v12, v11, v13
	v_div_scale_f32 v11, null, v12, v12, 1.0
	v_div_scale_f32 v16, vcc_lo, 1.0, v12, 1.0
	s_delay_alu instid0(VALU_DEP_2) | instskip(SKIP_2) | instid1(VALU_DEP_1)
	v_rcp_f32_e32 v14, v11
	s_waitcnt_depctr 0xfff
	v_fma_f32 v15, -v11, v14, 1.0
	v_fmac_f32_e32 v14, v15, v14
	s_delay_alu instid0(VALU_DEP_1) | instskip(NEXT) | instid1(VALU_DEP_1)
	v_mul_f32_e32 v15, v16, v14
	v_fma_f32 v17, -v11, v15, v16
	s_delay_alu instid0(VALU_DEP_1) | instskip(NEXT) | instid1(VALU_DEP_1)
	v_fmac_f32_e32 v15, v17, v14
	v_fma_f32 v11, -v11, v15, v16
	s_delay_alu instid0(VALU_DEP_1) | instskip(NEXT) | instid1(VALU_DEP_1)
	v_div_fmas_f32 v11, v11, v14, v15
	v_div_fixup_f32 v12, v11, v12, 1.0
	s_delay_alu instid0(VALU_DEP_1)
	v_mul_f32_e32 v11, v13, v12
	v_xor_b32_e32 v12, 0x80000000, v12
.LBB190_26:                             ;   in Loop: Header=BB190_22 Depth=1
	s_and_not1_saveexec_b32 s11, s11
	s_cbranch_execz .LBB190_28
; %bb.27:                               ;   in Loop: Header=BB190_22 Depth=1
	s_delay_alu instid0(VALU_DEP_1) | instskip(SKIP_1) | instid1(VALU_DEP_2)
	v_div_scale_f32 v13, null, v11, v11, v12
	v_div_scale_f32 v16, vcc_lo, v12, v11, v12
	v_rcp_f32_e32 v14, v13
	s_waitcnt_depctr 0xfff
	v_fma_f32 v15, -v13, v14, 1.0
	s_delay_alu instid0(VALU_DEP_1) | instskip(NEXT) | instid1(VALU_DEP_1)
	v_fmac_f32_e32 v14, v15, v14
	v_mul_f32_e32 v15, v16, v14
	s_delay_alu instid0(VALU_DEP_1) | instskip(NEXT) | instid1(VALU_DEP_1)
	v_fma_f32 v17, -v13, v15, v16
	v_fmac_f32_e32 v15, v17, v14
	s_delay_alu instid0(VALU_DEP_1) | instskip(NEXT) | instid1(VALU_DEP_1)
	v_fma_f32 v13, -v13, v15, v16
	v_div_fmas_f32 v13, v13, v14, v15
	s_delay_alu instid0(VALU_DEP_1) | instskip(NEXT) | instid1(VALU_DEP_1)
	v_div_fixup_f32 v13, v13, v11, v12
	v_fmac_f32_e32 v11, v12, v13
	s_delay_alu instid0(VALU_DEP_1) | instskip(NEXT) | instid1(VALU_DEP_1)
	v_div_scale_f32 v12, null, v11, v11, 1.0
	v_rcp_f32_e32 v14, v12
	s_waitcnt_depctr 0xfff
	v_fma_f32 v15, -v12, v14, 1.0
	s_delay_alu instid0(VALU_DEP_1) | instskip(SKIP_1) | instid1(VALU_DEP_1)
	v_fmac_f32_e32 v14, v15, v14
	v_div_scale_f32 v15, vcc_lo, 1.0, v11, 1.0
	v_mul_f32_e32 v16, v15, v14
	s_delay_alu instid0(VALU_DEP_1) | instskip(NEXT) | instid1(VALU_DEP_1)
	v_fma_f32 v17, -v12, v16, v15
	v_fmac_f32_e32 v16, v17, v14
	s_delay_alu instid0(VALU_DEP_1) | instskip(NEXT) | instid1(VALU_DEP_1)
	v_fma_f32 v12, -v12, v16, v15
	v_div_fmas_f32 v12, v12, v14, v16
	s_delay_alu instid0(VALU_DEP_1) | instskip(NEXT) | instid1(VALU_DEP_1)
	v_div_fixup_f32 v11, v12, v11, 1.0
	v_mul_f32_e64 v12, v13, -v11
.LBB190_28:                             ;   in Loop: Header=BB190_22 Depth=1
	s_or_b32 exec_lo, exec_lo, s11
.LBB190_29:                             ;   in Loop: Header=BB190_22 Depth=1
	s_waitcnt vmcnt(0) lgkmcnt(0)
	s_delay_alu instid0(VALU_DEP_1) | instskip(SKIP_1) | instid1(VALU_DEP_2)
	v_mul_f32_e32 v13, v5, v12
	v_mul_f32_e32 v12, v6, v12
	v_fmac_f32_e32 v13, v6, v11
	s_delay_alu instid0(VALU_DEP_2) | instskip(NEXT) | instid1(VALU_DEP_1)
	v_fma_f32 v12, v5, v11, -v12
	v_dual_mov_b32 v6, v13 :: v_dual_mov_b32 v5, v12
	ds_store_b64 v0, v[12:13]
.LBB190_30:                             ;   in Loop: Header=BB190_22 Depth=1
	s_or_b32 exec_lo, exec_lo, s10
	s_delay_alu instid0(SALU_CYCLE_1)
	s_mov_b32 s10, exec_lo
	s_waitcnt lgkmcnt(0)
	s_barrier
	buffer_gl0_inv
	v_cmpx_lt_u64_e64 s[0:1], v[1:2]
	s_cbranch_execz .LBB190_21
; %bb.31:                               ;   in Loop: Header=BB190_22 Depth=1
	s_and_b32 vcc_lo, exec_lo, s6
	s_cbranch_vccz .LBB190_33
; %bb.32:                               ;   in Loop: Header=BB190_22 Depth=1
	flat_load_b64 v[11:12], v[7:8]
	s_cbranch_execnz .LBB190_20
	s_branch .LBB190_34
.LBB190_33:                             ;   in Loop: Header=BB190_22 Depth=1
                                        ; implicit-def: $vgpr11
.LBB190_34:                             ;   in Loop: Header=BB190_22 Depth=1
	s_waitcnt vmcnt(0) lgkmcnt(0)
	flat_load_b64 v[11:12], v[7:8]
	s_waitcnt vmcnt(0) lgkmcnt(0)
	v_xor_b32_e32 v12, 0x80000000, v12
	s_branch .LBB190_20
.LBB190_35:
	s_mov_b32 s0, exec_lo
	v_cmpx_eq_u64_e64 s[4:5], v[1:2]
	s_cbranch_execz .LBB190_43
; %bb.36:
	s_add_u32 s1, s12, s8
	s_delay_alu instid0(SALU_CYCLE_1) | instskip(SKIP_1) | instid1(VALU_DEP_1)
	v_mad_u64_u32 v[7:8], null, s1, v1, 0
	s_addc_u32 s1, s13, s9
	v_mov_b32_e32 v0, v8
	s_delay_alu instid0(VALU_DEP_1) | instskip(NEXT) | instid1(VALU_DEP_1)
	v_mad_u64_u32 v[8:9], null, s1, v1, v[0:1]
	v_lshlrev_b64 v[0:1], 3, v[7:8]
	s_delay_alu instid0(VALU_DEP_1) | instskip(NEXT) | instid1(VALU_DEP_2)
	v_add_co_u32 v0, vcc_lo, s2, v0
	v_add_co_ci_u32_e32 v1, vcc_lo, s3, v1, vcc_lo
	s_and_not1_b32 vcc_lo, exec_lo, s15
	flat_load_b64 v[0:1], v[0:1]
	s_cbranch_vccnz .LBB190_42
; %bb.37:
	s_waitcnt vmcnt(0) lgkmcnt(0)
	v_cmp_gt_f32_e32 vcc_lo, 0, v0
	s_mov_b32 s1, exec_lo
	v_cndmask_b32_e64 v2, v0, -v0, vcc_lo
	v_cmp_gt_f32_e32 vcc_lo, 0, v1
	v_cndmask_b32_e64 v7, v1, -v1, vcc_lo
	s_delay_alu instid0(VALU_DEP_1)
	v_cmpx_ngt_f32_e32 v2, v7
	s_xor_b32 s1, exec_lo, s1
	s_cbranch_execz .LBB190_39
; %bb.38:
	v_div_scale_f32 v2, null, v1, v1, v0
	v_div_scale_f32 v9, vcc_lo, v0, v1, v0
	s_delay_alu instid0(VALU_DEP_2) | instskip(SKIP_2) | instid1(VALU_DEP_1)
	v_rcp_f32_e32 v7, v2
	s_waitcnt_depctr 0xfff
	v_fma_f32 v8, -v2, v7, 1.0
	v_fmac_f32_e32 v7, v8, v7
	s_delay_alu instid0(VALU_DEP_1) | instskip(NEXT) | instid1(VALU_DEP_1)
	v_mul_f32_e32 v8, v9, v7
	v_fma_f32 v10, -v2, v8, v9
	s_delay_alu instid0(VALU_DEP_1) | instskip(NEXT) | instid1(VALU_DEP_1)
	v_fmac_f32_e32 v8, v10, v7
	v_fma_f32 v2, -v2, v8, v9
	s_delay_alu instid0(VALU_DEP_1) | instskip(NEXT) | instid1(VALU_DEP_1)
	v_div_fmas_f32 v2, v2, v7, v8
	v_div_fixup_f32 v2, v2, v1, v0
	s_delay_alu instid0(VALU_DEP_1) | instskip(NEXT) | instid1(VALU_DEP_1)
	v_fmac_f32_e32 v1, v0, v2
	v_div_scale_f32 v0, null, v1, v1, 1.0
	v_div_scale_f32 v9, vcc_lo, 1.0, v1, 1.0
	s_delay_alu instid0(VALU_DEP_2) | instskip(SKIP_2) | instid1(VALU_DEP_1)
	v_rcp_f32_e32 v7, v0
	s_waitcnt_depctr 0xfff
	v_fma_f32 v8, -v0, v7, 1.0
	v_fmac_f32_e32 v7, v8, v7
	s_delay_alu instid0(VALU_DEP_1) | instskip(NEXT) | instid1(VALU_DEP_1)
	v_mul_f32_e32 v8, v9, v7
	v_fma_f32 v10, -v0, v8, v9
	s_delay_alu instid0(VALU_DEP_1) | instskip(NEXT) | instid1(VALU_DEP_1)
	v_fmac_f32_e32 v8, v10, v7
	v_fma_f32 v0, -v0, v8, v9
	s_delay_alu instid0(VALU_DEP_1) | instskip(NEXT) | instid1(VALU_DEP_1)
	v_div_fmas_f32 v0, v0, v7, v8
	v_div_fixup_f32 v1, v0, v1, 1.0
	s_delay_alu instid0(VALU_DEP_1)
	v_mul_f32_e32 v0, v2, v1
	v_xor_b32_e32 v1, 0x80000000, v1
.LBB190_39:
	s_and_not1_saveexec_b32 s1, s1
	s_cbranch_execz .LBB190_41
; %bb.40:
	s_delay_alu instid0(VALU_DEP_1) | instskip(SKIP_1) | instid1(VALU_DEP_2)
	v_div_scale_f32 v2, null, v0, v0, v1
	v_div_scale_f32 v9, vcc_lo, v1, v0, v1
	v_rcp_f32_e32 v7, v2
	s_waitcnt_depctr 0xfff
	v_fma_f32 v8, -v2, v7, 1.0
	s_delay_alu instid0(VALU_DEP_1) | instskip(NEXT) | instid1(VALU_DEP_1)
	v_fmac_f32_e32 v7, v8, v7
	v_mul_f32_e32 v8, v9, v7
	s_delay_alu instid0(VALU_DEP_1) | instskip(NEXT) | instid1(VALU_DEP_1)
	v_fma_f32 v10, -v2, v8, v9
	v_fmac_f32_e32 v8, v10, v7
	s_delay_alu instid0(VALU_DEP_1) | instskip(NEXT) | instid1(VALU_DEP_1)
	v_fma_f32 v2, -v2, v8, v9
	v_div_fmas_f32 v2, v2, v7, v8
	s_delay_alu instid0(VALU_DEP_1) | instskip(NEXT) | instid1(VALU_DEP_1)
	v_div_fixup_f32 v2, v2, v0, v1
	v_fmac_f32_e32 v0, v1, v2
	s_delay_alu instid0(VALU_DEP_1) | instskip(NEXT) | instid1(VALU_DEP_1)
	v_div_scale_f32 v1, null, v0, v0, 1.0
	v_rcp_f32_e32 v7, v1
	s_waitcnt_depctr 0xfff
	v_fma_f32 v8, -v1, v7, 1.0
	s_delay_alu instid0(VALU_DEP_1) | instskip(SKIP_1) | instid1(VALU_DEP_1)
	v_fmac_f32_e32 v7, v8, v7
	v_div_scale_f32 v8, vcc_lo, 1.0, v0, 1.0
	v_mul_f32_e32 v9, v8, v7
	s_delay_alu instid0(VALU_DEP_1) | instskip(NEXT) | instid1(VALU_DEP_1)
	v_fma_f32 v10, -v1, v9, v8
	v_fmac_f32_e32 v9, v10, v7
	s_delay_alu instid0(VALU_DEP_1) | instskip(NEXT) | instid1(VALU_DEP_1)
	v_fma_f32 v1, -v1, v9, v8
	v_div_fmas_f32 v1, v1, v7, v9
	s_delay_alu instid0(VALU_DEP_1) | instskip(NEXT) | instid1(VALU_DEP_1)
	v_div_fixup_f32 v0, v1, v0, 1.0
	v_mul_f32_e64 v1, v2, -v0
.LBB190_41:
	s_or_b32 exec_lo, exec_lo, s1
.LBB190_42:
	s_waitcnt vmcnt(0) lgkmcnt(0)
	s_delay_alu instid0(VALU_DEP_1) | instskip(SKIP_1) | instid1(VALU_DEP_2)
	v_mul_f32_e32 v2, v6, v1
	v_mul_f32_e32 v6, v6, v0
	v_fma_f32 v0, v5, v0, -v2
	s_delay_alu instid0(VALU_DEP_1)
	v_dual_fmac_f32 v6, v5, v1 :: v_dual_mov_b32 v5, v0
.LBB190_43:
	s_or_b32 exec_lo, exec_lo, s0
	global_store_b64 v[3:4], v[5:6], off
.LBB190_44:
	s_nop 0
	s_sendmsg sendmsg(MSG_DEALLOC_VGPRS)
	s_endpgm
	.section	.rodata,"a",@progbits
	.p2align	6, 0x0
	.amdhsa_kernel _ZL39rocblas_trsm_block_forward_substitutionI19rocblas_complex_numIfES1_PKPKS1_PKPS1_Lb1ELb0ELb0EEv18rocblas_operation_llT0_T1_lllT2_lllib
		.amdhsa_group_segment_fixed_size 0
		.amdhsa_private_segment_fixed_size 0
		.amdhsa_kernarg_size 360
		.amdhsa_user_sgpr_count 13
		.amdhsa_user_sgpr_dispatch_ptr 0
		.amdhsa_user_sgpr_queue_ptr 0
		.amdhsa_user_sgpr_kernarg_segment_ptr 1
		.amdhsa_user_sgpr_dispatch_id 0
		.amdhsa_user_sgpr_private_segment_size 0
		.amdhsa_wavefront_size32 1
		.amdhsa_uses_dynamic_stack 0
		.amdhsa_enable_private_segment 0
		.amdhsa_system_sgpr_workgroup_id_x 1
		.amdhsa_system_sgpr_workgroup_id_y 1
		.amdhsa_system_sgpr_workgroup_id_z 1
		.amdhsa_system_sgpr_workgroup_info 0
		.amdhsa_system_vgpr_workitem_id 1
		.amdhsa_next_free_vgpr 18
		.amdhsa_next_free_sgpr 29
		.amdhsa_reserve_vcc 1
		.amdhsa_float_round_mode_32 0
		.amdhsa_float_round_mode_16_64 0
		.amdhsa_float_denorm_mode_32 3
		.amdhsa_float_denorm_mode_16_64 3
		.amdhsa_dx10_clamp 1
		.amdhsa_ieee_mode 1
		.amdhsa_fp16_overflow 0
		.amdhsa_workgroup_processor_mode 1
		.amdhsa_memory_ordered 1
		.amdhsa_forward_progress 0
		.amdhsa_shared_vgpr_count 0
		.amdhsa_exception_fp_ieee_invalid_op 0
		.amdhsa_exception_fp_denorm_src 0
		.amdhsa_exception_fp_ieee_div_zero 0
		.amdhsa_exception_fp_ieee_overflow 0
		.amdhsa_exception_fp_ieee_underflow 0
		.amdhsa_exception_fp_ieee_inexact 0
		.amdhsa_exception_int_div_zero 0
	.end_amdhsa_kernel
	.section	.text._ZL39rocblas_trsm_block_forward_substitutionI19rocblas_complex_numIfES1_PKPKS1_PKPS1_Lb1ELb0ELb0EEv18rocblas_operation_llT0_T1_lllT2_lllib,"axG",@progbits,_ZL39rocblas_trsm_block_forward_substitutionI19rocblas_complex_numIfES1_PKPKS1_PKPS1_Lb1ELb0ELb0EEv18rocblas_operation_llT0_T1_lllT2_lllib,comdat
.Lfunc_end190:
	.size	_ZL39rocblas_trsm_block_forward_substitutionI19rocblas_complex_numIfES1_PKPKS1_PKPS1_Lb1ELb0ELb0EEv18rocblas_operation_llT0_T1_lllT2_lllib, .Lfunc_end190-_ZL39rocblas_trsm_block_forward_substitutionI19rocblas_complex_numIfES1_PKPKS1_PKPS1_Lb1ELb0ELb0EEv18rocblas_operation_llT0_T1_lllT2_lllib
                                        ; -- End function
	.section	.AMDGPU.csdata,"",@progbits
; Kernel info:
; codeLenInByte = 2808
; NumSgprs: 31
; NumVgprs: 18
; ScratchSize: 0
; MemoryBound: 0
; FloatMode: 240
; IeeeMode: 1
; LDSByteSize: 0 bytes/workgroup (compile time only)
; SGPRBlocks: 3
; VGPRBlocks: 2
; NumSGPRsForWavesPerEU: 31
; NumVGPRsForWavesPerEU: 18
; Occupancy: 16
; WaveLimiterHint : 1
; COMPUTE_PGM_RSRC2:SCRATCH_EN: 0
; COMPUTE_PGM_RSRC2:USER_SGPR: 13
; COMPUTE_PGM_RSRC2:TRAP_HANDLER: 0
; COMPUTE_PGM_RSRC2:TGID_X_EN: 1
; COMPUTE_PGM_RSRC2:TGID_Y_EN: 1
; COMPUTE_PGM_RSRC2:TGID_Z_EN: 1
; COMPUTE_PGM_RSRC2:TIDIG_COMP_CNT: 1
	.section	.text._ZL40rocblas_trsm_block_backward_substitutionI19rocblas_complex_numIfES1_PKPKS1_PKPS1_Lb1ELb0ELb0EEv18rocblas_operation_llT0_T1_lllT2_lllib,"axG",@progbits,_ZL40rocblas_trsm_block_backward_substitutionI19rocblas_complex_numIfES1_PKPKS1_PKPS1_Lb1ELb0ELb0EEv18rocblas_operation_llT0_T1_lllT2_lllib,comdat
	.globl	_ZL40rocblas_trsm_block_backward_substitutionI19rocblas_complex_numIfES1_PKPKS1_PKPS1_Lb1ELb0ELb0EEv18rocblas_operation_llT0_T1_lllT2_lllib ; -- Begin function _ZL40rocblas_trsm_block_backward_substitutionI19rocblas_complex_numIfES1_PKPKS1_PKPS1_Lb1ELb0ELb0EEv18rocblas_operation_llT0_T1_lllT2_lllib
	.p2align	8
	.type	_ZL40rocblas_trsm_block_backward_substitutionI19rocblas_complex_numIfES1_PKPKS1_PKPS1_Lb1ELb0ELb0EEv18rocblas_operation_llT0_T1_lllT2_lllib,@function
_ZL40rocblas_trsm_block_backward_substitutionI19rocblas_complex_numIfES1_PKPKS1_PKPS1_Lb1ELb0ELb0EEv18rocblas_operation_llT0_T1_lllT2_lllib: ; @_ZL40rocblas_trsm_block_backward_substitutionI19rocblas_complex_numIfES1_PKPKS1_PKPS1_Lb1ELb0ELb0EEv18rocblas_operation_llT0_T1_lllT2_lllib
; %bb.0:
	s_clause 0x1
	s_load_b32 s8, s[0:1], 0x64
	s_load_b128 s[4:7], s[0:1], 0x20
	s_mov_b32 s2, s15
	s_mov_b32 s3, 0
	s_clause 0x2
	s_load_b32 s22, s[0:1], 0x74
	s_load_b64 s[18:19], s[0:1], 0x50
	s_load_b64 s[12:13], s[0:1], 0x30
	v_and_b32_e32 v1, 0x3ff, v0
	v_bfe_u32 v0, v0, 10, 10
	s_waitcnt lgkmcnt(0)
	s_bitcmp1_b32 s8, 0
	s_cselect_b32 s8, -1, 0
	s_lshl_b64 s[16:17], s[2:3], 3
	s_xor_b32 s15, s8, -1
	s_add_u32 s2, s4, s16
	s_addc_u32 s3, s5, s17
	s_lshl_b64 s[4:5], s[6:7], 3
	s_load_b64 s[2:3], s[2:3], 0x0
	s_load_b128 s[8:11], s[0:1], 0x40
	s_waitcnt lgkmcnt(0)
	s_add_u32 s2, s2, s4
	s_addc_u32 s3, s3, s5
	s_add_u32 s16, s8, s16
	s_addc_u32 s17, s9, s17
	s_clause 0x1
	s_load_b128 s[4:7], s[0:1], 0x8
	s_load_b64 s[8:9], s[0:1], 0x18
	s_load_b64 s[16:17], s[16:17], 0x0
	s_add_u32 s20, s0, 0x68
	s_addc_u32 s21, s1, 0
	s_and_b32 vcc_lo, exec_lo, s15
	s_lshr_b32 s26, s22, 16
	s_cbranch_vccnz .LBB191_16
; %bb.1:
	s_waitcnt lgkmcnt(0)
	v_cmp_lt_i64_e64 s22, s[4:5], 1
	s_lshl_b32 s23, s26, 3
	s_delay_alu instid0(VALU_DEP_1)
	s_and_b32 vcc_lo, exec_lo, s22
	s_add_i32 s22, s23, 0
	s_cbranch_vccnz .LBB191_15
; %bb.2:
	v_mad_u64_u32 v[3:4], null, v1, s12, 0
	s_mov_b32 s24, s26
	s_delay_alu instid0(VALU_DEP_1) | instskip(NEXT) | instid1(VALU_DEP_1)
	v_mov_b32_e32 v2, v4
	v_mad_u64_u32 v[4:5], null, v1, s13, v[2:3]
	v_dual_mov_b32 v2, 0 :: v_dual_lshlrev_b32 v5, 3, v1
	s_delay_alu instid0(VALU_DEP_1) | instskip(NEXT) | instid1(VALU_DEP_3)
	v_add_nc_u32_e32 v9, s22, v5
	v_lshlrev_b64 v[3:4], 3, v[3:4]
	v_add_co_u32 v10, s2, s2, v5
	s_delay_alu instid0(VALU_DEP_1) | instskip(SKIP_2) | instid1(VALU_DEP_4)
	v_add_co_ci_u32_e64 v11, null, s3, 0, s2
	v_cmp_le_u64_e64 s23, s[4:5], v[1:2]
	v_cmp_gt_u64_e64 s2, s[4:5], v[1:2]
	v_add_co_u32 v2, vcc_lo, v10, v3
	s_delay_alu instid0(VALU_DEP_4)
	v_add_co_ci_u32_e32 v3, vcc_lo, v11, v4, vcc_lo
	v_mov_b32_e32 v4, v0
	s_xor_b32 s27, s23, -1
	s_branch .LBB191_5
.LBB191_3:                              ;   in Loop: Header=BB191_5 Depth=1
	s_or_b32 exec_lo, exec_lo, s25
	s_load_b32 s25, s[20:21], 0xc
	s_waitcnt lgkmcnt(0)
	s_and_b32 s25, s25, 0xffff
	s_delay_alu instid0(SALU_CYCLE_1) | instskip(NEXT) | instid1(VALU_DEP_1)
	v_mul_u32_u24_e32 v5, s25, v1
	v_lshl_add_u32 v5, v5, 3, v9
	ds_store_b64 v5, v[7:8]
.LBB191_4:                              ;   in Loop: Header=BB191_5 Depth=1
	s_or_b32 exec_lo, exec_lo, s3
	s_ashr_i32 s25, s24, 31
	v_add_nc_u32_e32 v4, s26, v4
	v_cmp_ge_i64_e64 s3, s[24:25], s[4:5]
	s_add_i32 s24, s24, s26
	s_delay_alu instid0(VALU_DEP_1)
	s_and_b32 vcc_lo, exec_lo, s3
	s_cbranch_vccnz .LBB191_15
.LBB191_5:                              ; =>This Inner Loop Header: Depth=1
	s_mov_b32 s28, s23
	s_and_saveexec_b32 s25, s2
	s_cbranch_execz .LBB191_9
; %bb.6:                                ;   in Loop: Header=BB191_5 Depth=1
	v_ashrrev_i32_e32 v5, 31, v4
	v_cmp_lt_i32_e64 s3, v1, v4
	s_mov_b32 s28, -1
	s_delay_alu instid0(VALU_DEP_2) | instskip(NEXT) | instid1(VALU_DEP_2)
	v_cmp_gt_i64_e32 vcc_lo, s[4:5], v[4:5]
	s_and_b32 s29, s3, vcc_lo
	s_delay_alu instid0(SALU_CYCLE_1)
	s_and_saveexec_b32 s3, s29
	s_cbranch_execz .LBB191_8
; %bb.7:                                ;   in Loop: Header=BB191_5 Depth=1
	v_mul_lo_u32 v7, v5, s12
	v_mul_lo_u32 v8, v4, s13
	v_mad_u64_u32 v[5:6], null, v4, s12, 0
	s_load_b32 s28, s[20:21], 0xc
	s_delay_alu instid0(VALU_DEP_1) | instskip(NEXT) | instid1(VALU_DEP_1)
	v_add3_u32 v6, v6, v8, v7
	v_lshlrev_b64 v[5:6], 3, v[5:6]
	s_delay_alu instid0(VALU_DEP_1) | instskip(NEXT) | instid1(VALU_DEP_2)
	v_add_co_u32 v5, vcc_lo, v10, v5
	v_add_co_ci_u32_e32 v6, vcc_lo, v11, v6, vcc_lo
	s_waitcnt lgkmcnt(0)
	s_and_b32 s28, s28, 0xffff
	s_delay_alu instid0(SALU_CYCLE_1)
	v_mul_lo_u32 v7, v4, s28
	global_load_b64 v[5:6], v[5:6], off
	s_xor_b32 s28, exec_lo, -1
	v_lshl_add_u32 v7, v7, 3, v9
	s_waitcnt vmcnt(0)
	ds_store_b64 v7, v[5:6]
.LBB191_8:                              ;   in Loop: Header=BB191_5 Depth=1
	s_or_b32 exec_lo, exec_lo, s3
	s_delay_alu instid0(SALU_CYCLE_1) | instskip(SKIP_1) | instid1(SALU_CYCLE_1)
	s_and_not1_b32 s3, s23, exec_lo
	s_and_b32 s28, s28, exec_lo
	s_or_b32 s28, s3, s28
.LBB191_9:                              ;   in Loop: Header=BB191_5 Depth=1
	s_or_b32 exec_lo, exec_lo, s25
	s_and_saveexec_b32 s3, s28
	s_cbranch_execz .LBB191_4
; %bb.10:                               ;   in Loop: Header=BB191_5 Depth=1
	v_cmp_eq_u32_e32 vcc_lo, v1, v4
	s_and_b32 s25, s27, vcc_lo
	s_delay_alu instid0(SALU_CYCLE_1)
	s_and_b32 exec_lo, exec_lo, s25
	s_cbranch_execz .LBB191_4
; %bb.11:                               ;   in Loop: Header=BB191_5 Depth=1
	global_load_b64 v[5:6], v[2:3], off
	s_waitcnt vmcnt(0)
	v_cmp_gt_f32_e32 vcc_lo, 0, v5
	v_cndmask_b32_e64 v7, v5, -v5, vcc_lo
	v_cmp_gt_f32_e32 vcc_lo, 0, v6
	v_cndmask_b32_e64 v8, v6, -v6, vcc_lo
	s_delay_alu instid0(VALU_DEP_1) | instskip(SKIP_1) | instid1(SALU_CYCLE_1)
	v_cmp_ngt_f32_e32 vcc_lo, v7, v8
                                        ; implicit-def: $vgpr7
	s_and_saveexec_b32 s25, vcc_lo
	s_xor_b32 s25, exec_lo, s25
	s_cbranch_execz .LBB191_13
; %bb.12:                               ;   in Loop: Header=BB191_5 Depth=1
	v_div_scale_f32 v7, null, v6, v6, v5
	v_div_scale_f32 v13, vcc_lo, v5, v6, v5
	s_delay_alu instid0(VALU_DEP_2) | instskip(SKIP_2) | instid1(VALU_DEP_1)
	v_rcp_f32_e32 v8, v7
	s_waitcnt_depctr 0xfff
	v_fma_f32 v12, -v7, v8, 1.0
	v_fmac_f32_e32 v8, v12, v8
	s_delay_alu instid0(VALU_DEP_1) | instskip(NEXT) | instid1(VALU_DEP_1)
	v_mul_f32_e32 v12, v13, v8
	v_fma_f32 v14, -v7, v12, v13
	s_delay_alu instid0(VALU_DEP_1) | instskip(NEXT) | instid1(VALU_DEP_1)
	v_fmac_f32_e32 v12, v14, v8
	v_fma_f32 v7, -v7, v12, v13
	s_delay_alu instid0(VALU_DEP_1) | instskip(NEXT) | instid1(VALU_DEP_1)
	v_div_fmas_f32 v7, v7, v8, v12
	v_div_fixup_f32 v7, v7, v6, v5
	s_delay_alu instid0(VALU_DEP_1) | instskip(NEXT) | instid1(VALU_DEP_1)
	v_fmac_f32_e32 v6, v5, v7
	v_div_scale_f32 v5, null, v6, v6, 1.0
	v_div_scale_f32 v13, vcc_lo, 1.0, v6, 1.0
	s_delay_alu instid0(VALU_DEP_2) | instskip(SKIP_2) | instid1(VALU_DEP_1)
	v_rcp_f32_e32 v8, v5
	s_waitcnt_depctr 0xfff
	v_fma_f32 v12, -v5, v8, 1.0
	v_fmac_f32_e32 v8, v12, v8
	s_delay_alu instid0(VALU_DEP_1) | instskip(NEXT) | instid1(VALU_DEP_1)
	v_mul_f32_e32 v12, v13, v8
	v_fma_f32 v14, -v5, v12, v13
	s_delay_alu instid0(VALU_DEP_1) | instskip(NEXT) | instid1(VALU_DEP_1)
	v_fmac_f32_e32 v12, v14, v8
	v_fma_f32 v5, -v5, v12, v13
	s_delay_alu instid0(VALU_DEP_1) | instskip(NEXT) | instid1(VALU_DEP_1)
	v_div_fmas_f32 v5, v5, v8, v12
	v_div_fixup_f32 v5, v5, v6, 1.0
	s_delay_alu instid0(VALU_DEP_1)
	v_mul_f32_e32 v7, v7, v5
	v_xor_b32_e32 v8, 0x80000000, v5
                                        ; implicit-def: $vgpr5_vgpr6
.LBB191_13:                             ;   in Loop: Header=BB191_5 Depth=1
	s_and_not1_saveexec_b32 s25, s25
	s_cbranch_execz .LBB191_3
; %bb.14:                               ;   in Loop: Header=BB191_5 Depth=1
	v_div_scale_f32 v7, null, v5, v5, v6
	v_div_scale_f32 v13, vcc_lo, v6, v5, v6
	s_delay_alu instid0(VALU_DEP_2) | instskip(SKIP_2) | instid1(VALU_DEP_1)
	v_rcp_f32_e32 v8, v7
	s_waitcnt_depctr 0xfff
	v_fma_f32 v12, -v7, v8, 1.0
	v_fmac_f32_e32 v8, v12, v8
	s_delay_alu instid0(VALU_DEP_1) | instskip(NEXT) | instid1(VALU_DEP_1)
	v_mul_f32_e32 v12, v13, v8
	v_fma_f32 v14, -v7, v12, v13
	s_delay_alu instid0(VALU_DEP_1) | instskip(NEXT) | instid1(VALU_DEP_1)
	v_fmac_f32_e32 v12, v14, v8
	v_fma_f32 v7, -v7, v12, v13
	s_delay_alu instid0(VALU_DEP_1) | instskip(NEXT) | instid1(VALU_DEP_1)
	v_div_fmas_f32 v7, v7, v8, v12
	v_div_fixup_f32 v8, v7, v5, v6
	s_delay_alu instid0(VALU_DEP_1) | instskip(NEXT) | instid1(VALU_DEP_1)
	v_fmac_f32_e32 v5, v6, v8
	v_div_scale_f32 v6, null, v5, v5, 1.0
	s_delay_alu instid0(VALU_DEP_1) | instskip(SKIP_2) | instid1(VALU_DEP_1)
	v_rcp_f32_e32 v7, v6
	s_waitcnt_depctr 0xfff
	v_fma_f32 v12, -v6, v7, 1.0
	v_fmac_f32_e32 v7, v12, v7
	v_div_scale_f32 v12, vcc_lo, 1.0, v5, 1.0
	s_delay_alu instid0(VALU_DEP_1) | instskip(NEXT) | instid1(VALU_DEP_1)
	v_mul_f32_e32 v13, v12, v7
	v_fma_f32 v14, -v6, v13, v12
	s_delay_alu instid0(VALU_DEP_1) | instskip(NEXT) | instid1(VALU_DEP_1)
	v_fmac_f32_e32 v13, v14, v7
	v_fma_f32 v6, -v6, v13, v12
	s_delay_alu instid0(VALU_DEP_1) | instskip(NEXT) | instid1(VALU_DEP_1)
	v_div_fmas_f32 v6, v6, v7, v13
	v_div_fixup_f32 v7, v6, v5, 1.0
	s_delay_alu instid0(VALU_DEP_1)
	v_mul_f32_e64 v8, v8, -v7
	s_branch .LBB191_3
.LBB191_15:
	s_load_b32 s12, s[20:21], 0xc
	s_mov_b64 s[2:3], src_shared_base
	s_mov_b32 s13, 0
	s_mov_b32 s23, s3
	s_delay_alu instid0(SALU_CYCLE_1)
	s_mov_b64 s[2:3], s[22:23]
	s_waitcnt lgkmcnt(0)
	s_and_b32 s12, s12, 0xffff
.LBB191_16:
	v_mad_u64_u32 v[3:4], null, s14, s26, v[0:1]
	v_mov_b32_e32 v4, 0
	s_waitcnt lgkmcnt(0)
	s_delay_alu instid0(VALU_DEP_1)
	v_cmp_gt_i64_e32 vcc_lo, s[6:7], v[3:4]
	s_and_saveexec_b32 s6, vcc_lo
	s_cbranch_execz .LBB191_45
; %bb.17:
	v_mov_b32_e32 v2, v4
	s_delay_alu instid0(VALU_DEP_1)
	v_cmp_gt_i64_e32 vcc_lo, s[4:5], v[1:2]
	s_and_b32 exec_lo, exec_lo, vcc_lo
	s_cbranch_execz .LBB191_45
; %bb.18:
	v_mad_u64_u32 v[5:6], null, v1, s18, 0
	s_lshl_b64 s[6:7], s[10:11], 3
	v_lshlrev_b64 v[3:4], 3, v[3:4]
	s_add_u32 s6, s16, s6
	s_addc_u32 s7, s17, s7
	s_delay_alu instid0(VALU_DEP_2) | instskip(NEXT) | instid1(VALU_DEP_1)
	v_mad_u64_u32 v[7:8], null, v1, s19, v[6:7]
	v_mov_b32_e32 v6, v7
	s_delay_alu instid0(VALU_DEP_1) | instskip(NEXT) | instid1(VALU_DEP_1)
	v_lshlrev_b64 v[5:6], 3, v[5:6]
	v_add_co_u32 v5, vcc_lo, s6, v5
	s_delay_alu instid0(VALU_DEP_2) | instskip(SKIP_1) | instid1(VALU_DEP_3)
	v_add_co_ci_u32_e32 v6, vcc_lo, s7, v6, vcc_lo
	v_cmp_lt_u64_e64 s6, s[4:5], 2
	v_add_co_u32 v3, vcc_lo, v5, v3
	s_delay_alu instid0(VALU_DEP_3) | instskip(NEXT) | instid1(VALU_DEP_3)
	v_add_co_ci_u32_e32 v4, vcc_lo, v6, v4, vcc_lo
	s_and_b32 vcc_lo, exec_lo, s6
	global_load_b64 v[7:8], v[3:4], off
	s_waitcnt vmcnt(0)
	v_mul_f32_e32 v5, s9, v8
	v_mul_f32_e32 v6, s8, v8
	s_delay_alu instid0(VALU_DEP_2) | instskip(NEXT) | instid1(VALU_DEP_2)
	v_fma_f32 v5, s8, v7, -v5
	v_fmac_f32_e32 v6, s9, v7
	s_cbranch_vccnz .LBB191_36
; %bb.19:
	s_load_b32 s0, s[0:1], 0x0
	v_mad_u64_u32 v[7:8], null, v1, s12, v[1:2]
	v_lshl_add_u32 v0, v0, 3, 0
	s_delay_alu instid0(VALU_DEP_2) | instskip(NEXT) | instid1(VALU_DEP_1)
	v_mad_u64_u32 v[9:10], null, v1, s13, v[8:9]
	v_dual_mov_b32 v8, v9 :: v_dual_lshlrev_b32 v9, 3, v1
	s_waitcnt lgkmcnt(0)
	s_cmpk_lg_i32 s0, 0x71
	s_delay_alu instid0(VALU_DEP_1)
	v_lshlrev_b64 v[7:8], 3, v[7:8]
	s_cselect_b32 s6, -1, 0
	s_add_u32 s0, s4, -1
	s_addc_u32 s1, s5, -1
	s_mul_hi_u32 s4, s12, s0
	s_mul_i32 s7, s12, s1
	s_mul_i32 s5, s13, s0
	s_add_i32 s7, s4, s7
	s_mul_i32 s4, s12, s0
	s_add_i32 s5, s7, s5
	v_add_co_u32 v7, vcc_lo, s2, v7
	s_lshl_b64 s[4:5], s[4:5], 3
	v_add_co_ci_u32_e32 v8, vcc_lo, s3, v8, vcc_lo
	s_add_u32 s7, s2, s4
	s_addc_u32 s8, s3, s5
	v_add_co_u32 v9, s7, s7, v9
	s_lshl_b64 s[4:5], s[12:13], 3
	v_add_co_ci_u32_e64 v10, null, s8, 0, s7
	s_sub_u32 s7, 0, s4
	s_subb_u32 s8, 0, s5
.LBB191_20:                             ; =>This Inner Loop Header: Depth=1
	s_mov_b32 s4, exec_lo
	s_barrier
	buffer_gl0_inv
	v_cmpx_eq_u64_e64 s[0:1], v[1:2]
	s_cbranch_execz .LBB191_28
; %bb.21:                               ;   in Loop: Header=BB191_20 Depth=1
	flat_load_b64 v[11:12], v[7:8]
	s_and_not1_b32 vcc_lo, exec_lo, s15
	s_cbranch_vccnz .LBB191_27
; %bb.22:                               ;   in Loop: Header=BB191_20 Depth=1
	s_waitcnt vmcnt(0) lgkmcnt(0)
	v_cmp_gt_f32_e32 vcc_lo, 0, v11
	s_mov_b32 s5, exec_lo
	v_cndmask_b32_e64 v13, v11, -v11, vcc_lo
	v_cmp_gt_f32_e32 vcc_lo, 0, v12
	v_cndmask_b32_e64 v14, v12, -v12, vcc_lo
	s_delay_alu instid0(VALU_DEP_1)
	v_cmpx_ngt_f32_e32 v13, v14
	s_xor_b32 s5, exec_lo, s5
	s_cbranch_execz .LBB191_24
; %bb.23:                               ;   in Loop: Header=BB191_20 Depth=1
	v_div_scale_f32 v13, null, v12, v12, v11
	v_div_scale_f32 v16, vcc_lo, v11, v12, v11
	s_delay_alu instid0(VALU_DEP_2) | instskip(SKIP_2) | instid1(VALU_DEP_1)
	v_rcp_f32_e32 v14, v13
	s_waitcnt_depctr 0xfff
	v_fma_f32 v15, -v13, v14, 1.0
	v_fmac_f32_e32 v14, v15, v14
	s_delay_alu instid0(VALU_DEP_1) | instskip(NEXT) | instid1(VALU_DEP_1)
	v_mul_f32_e32 v15, v16, v14
	v_fma_f32 v17, -v13, v15, v16
	s_delay_alu instid0(VALU_DEP_1) | instskip(NEXT) | instid1(VALU_DEP_1)
	v_fmac_f32_e32 v15, v17, v14
	v_fma_f32 v13, -v13, v15, v16
	s_delay_alu instid0(VALU_DEP_1) | instskip(NEXT) | instid1(VALU_DEP_1)
	v_div_fmas_f32 v13, v13, v14, v15
	v_div_fixup_f32 v13, v13, v12, v11
	s_delay_alu instid0(VALU_DEP_1) | instskip(NEXT) | instid1(VALU_DEP_1)
	v_fmac_f32_e32 v12, v11, v13
	v_div_scale_f32 v11, null, v12, v12, 1.0
	v_div_scale_f32 v16, vcc_lo, 1.0, v12, 1.0
	s_delay_alu instid0(VALU_DEP_2) | instskip(SKIP_2) | instid1(VALU_DEP_1)
	v_rcp_f32_e32 v14, v11
	s_waitcnt_depctr 0xfff
	v_fma_f32 v15, -v11, v14, 1.0
	v_fmac_f32_e32 v14, v15, v14
	s_delay_alu instid0(VALU_DEP_1) | instskip(NEXT) | instid1(VALU_DEP_1)
	v_mul_f32_e32 v15, v16, v14
	v_fma_f32 v17, -v11, v15, v16
	s_delay_alu instid0(VALU_DEP_1) | instskip(NEXT) | instid1(VALU_DEP_1)
	v_fmac_f32_e32 v15, v17, v14
	v_fma_f32 v11, -v11, v15, v16
	s_delay_alu instid0(VALU_DEP_1) | instskip(NEXT) | instid1(VALU_DEP_1)
	v_div_fmas_f32 v11, v11, v14, v15
	v_div_fixup_f32 v12, v11, v12, 1.0
	s_delay_alu instid0(VALU_DEP_1)
	v_mul_f32_e32 v11, v13, v12
	v_xor_b32_e32 v12, 0x80000000, v12
.LBB191_24:                             ;   in Loop: Header=BB191_20 Depth=1
	s_and_not1_saveexec_b32 s5, s5
	s_cbranch_execz .LBB191_26
; %bb.25:                               ;   in Loop: Header=BB191_20 Depth=1
	s_delay_alu instid0(VALU_DEP_1) | instskip(SKIP_1) | instid1(VALU_DEP_2)
	v_div_scale_f32 v13, null, v11, v11, v12
	v_div_scale_f32 v16, vcc_lo, v12, v11, v12
	v_rcp_f32_e32 v14, v13
	s_waitcnt_depctr 0xfff
	v_fma_f32 v15, -v13, v14, 1.0
	s_delay_alu instid0(VALU_DEP_1) | instskip(NEXT) | instid1(VALU_DEP_1)
	v_fmac_f32_e32 v14, v15, v14
	v_mul_f32_e32 v15, v16, v14
	s_delay_alu instid0(VALU_DEP_1) | instskip(NEXT) | instid1(VALU_DEP_1)
	v_fma_f32 v17, -v13, v15, v16
	v_fmac_f32_e32 v15, v17, v14
	s_delay_alu instid0(VALU_DEP_1) | instskip(NEXT) | instid1(VALU_DEP_1)
	v_fma_f32 v13, -v13, v15, v16
	v_div_fmas_f32 v13, v13, v14, v15
	s_delay_alu instid0(VALU_DEP_1) | instskip(NEXT) | instid1(VALU_DEP_1)
	v_div_fixup_f32 v13, v13, v11, v12
	v_fmac_f32_e32 v11, v12, v13
	s_delay_alu instid0(VALU_DEP_1) | instskip(NEXT) | instid1(VALU_DEP_1)
	v_div_scale_f32 v12, null, v11, v11, 1.0
	v_rcp_f32_e32 v14, v12
	s_waitcnt_depctr 0xfff
	v_fma_f32 v15, -v12, v14, 1.0
	s_delay_alu instid0(VALU_DEP_1) | instskip(SKIP_1) | instid1(VALU_DEP_1)
	v_fmac_f32_e32 v14, v15, v14
	v_div_scale_f32 v15, vcc_lo, 1.0, v11, 1.0
	v_mul_f32_e32 v16, v15, v14
	s_delay_alu instid0(VALU_DEP_1) | instskip(NEXT) | instid1(VALU_DEP_1)
	v_fma_f32 v17, -v12, v16, v15
	v_fmac_f32_e32 v16, v17, v14
	s_delay_alu instid0(VALU_DEP_1) | instskip(NEXT) | instid1(VALU_DEP_1)
	v_fma_f32 v12, -v12, v16, v15
	v_div_fmas_f32 v12, v12, v14, v16
	s_delay_alu instid0(VALU_DEP_1) | instskip(NEXT) | instid1(VALU_DEP_1)
	v_div_fixup_f32 v11, v12, v11, 1.0
	v_mul_f32_e64 v12, v13, -v11
.LBB191_26:                             ;   in Loop: Header=BB191_20 Depth=1
	s_or_b32 exec_lo, exec_lo, s5
.LBB191_27:                             ;   in Loop: Header=BB191_20 Depth=1
	s_waitcnt vmcnt(0) lgkmcnt(0)
	s_delay_alu instid0(VALU_DEP_1) | instskip(SKIP_1) | instid1(VALU_DEP_2)
	v_mul_f32_e32 v13, v5, v12
	v_mul_f32_e32 v12, v6, v12
	v_fmac_f32_e32 v13, v6, v11
	s_delay_alu instid0(VALU_DEP_2) | instskip(NEXT) | instid1(VALU_DEP_1)
	v_fma_f32 v12, v5, v11, -v12
	v_dual_mov_b32 v6, v13 :: v_dual_mov_b32 v5, v12
	ds_store_b64 v0, v[12:13]
.LBB191_28:                             ;   in Loop: Header=BB191_20 Depth=1
	s_or_b32 exec_lo, exec_lo, s4
	s_delay_alu instid0(SALU_CYCLE_1)
	s_mov_b32 s4, exec_lo
	s_waitcnt lgkmcnt(0)
	s_barrier
	buffer_gl0_inv
	v_cmpx_gt_i64_e64 s[0:1], v[1:2]
	s_cbranch_execz .LBB191_34
; %bb.29:                               ;   in Loop: Header=BB191_20 Depth=1
	s_and_b32 vcc_lo, exec_lo, s6
	s_cbranch_vccz .LBB191_31
; %bb.30:                               ;   in Loop: Header=BB191_20 Depth=1
	flat_load_b64 v[11:12], v[9:10]
	s_cbranch_execz .LBB191_32
	s_branch .LBB191_33
.LBB191_31:                             ;   in Loop: Header=BB191_20 Depth=1
                                        ; implicit-def: $vgpr11
.LBB191_32:                             ;   in Loop: Header=BB191_20 Depth=1
	s_waitcnt vmcnt(0) lgkmcnt(0)
	flat_load_b64 v[11:12], v[9:10]
	s_waitcnt vmcnt(0) lgkmcnt(0)
	v_xor_b32_e32 v12, 0x80000000, v12
.LBB191_33:                             ;   in Loop: Header=BB191_20 Depth=1
	ds_load_b64 v[13:14], v0
	s_waitcnt vmcnt(0) lgkmcnt(0)
	v_mul_f32_e32 v15, v14, v12
	v_mul_f32_e32 v14, v14, v11
	s_delay_alu instid0(VALU_DEP_2) | instskip(NEXT) | instid1(VALU_DEP_2)
	v_fma_f32 v11, v13, v11, -v15
	v_fmac_f32_e32 v14, v13, v12
	s_delay_alu instid0(VALU_DEP_1)
	v_dual_sub_f32 v5, v5, v11 :: v_dual_sub_f32 v6, v6, v14
.LBB191_34:                             ;   in Loop: Header=BB191_20 Depth=1
	s_or_b32 exec_lo, exec_lo, s4
	s_add_u32 s4, s0, -1
	s_addc_u32 s5, s1, -1
	s_add_u32 s0, s0, 1
	s_addc_u32 s1, s1, 0
	v_add_co_u32 v9, vcc_lo, v9, s7
	v_cmp_lt_u64_e64 s0, s[0:1], 3
	v_add_co_ci_u32_e32 v10, vcc_lo, s8, v10, vcc_lo
	s_delay_alu instid0(VALU_DEP_2)
	s_and_b32 vcc_lo, exec_lo, s0
	s_cbranch_vccnz .LBB191_36
; %bb.35:                               ;   in Loop: Header=BB191_20 Depth=1
	s_mov_b64 s[0:1], s[4:5]
	s_branch .LBB191_20
.LBB191_36:
	s_mov_b32 s0, exec_lo
	v_cmpx_eq_u32_e32 0, v1
	s_cbranch_execz .LBB191_44
; %bb.37:
	v_mad_u64_u32 v[7:8], null, v1, s12, v[1:2]
	s_delay_alu instid0(VALU_DEP_1) | instskip(NEXT) | instid1(VALU_DEP_1)
	v_mov_b32_e32 v0, v8
	v_mad_u64_u32 v[8:9], null, v1, s13, v[0:1]
	s_delay_alu instid0(VALU_DEP_1) | instskip(NEXT) | instid1(VALU_DEP_1)
	v_lshlrev_b64 v[0:1], 3, v[7:8]
	v_add_co_u32 v0, vcc_lo, s2, v0
	s_delay_alu instid0(VALU_DEP_2)
	v_add_co_ci_u32_e32 v1, vcc_lo, s3, v1, vcc_lo
	s_and_not1_b32 vcc_lo, exec_lo, s15
	flat_load_b64 v[0:1], v[0:1]
	s_cbranch_vccnz .LBB191_43
; %bb.38:
	s_waitcnt vmcnt(0) lgkmcnt(0)
	v_cmp_gt_f32_e32 vcc_lo, 0, v0
	s_mov_b32 s1, exec_lo
	v_cndmask_b32_e64 v2, v0, -v0, vcc_lo
	v_cmp_gt_f32_e32 vcc_lo, 0, v1
	v_cndmask_b32_e64 v7, v1, -v1, vcc_lo
	s_delay_alu instid0(VALU_DEP_1)
	v_cmpx_ngt_f32_e32 v2, v7
	s_xor_b32 s1, exec_lo, s1
	s_cbranch_execz .LBB191_40
; %bb.39:
	v_div_scale_f32 v2, null, v1, v1, v0
	v_div_scale_f32 v9, vcc_lo, v0, v1, v0
	s_delay_alu instid0(VALU_DEP_2) | instskip(SKIP_2) | instid1(VALU_DEP_1)
	v_rcp_f32_e32 v7, v2
	s_waitcnt_depctr 0xfff
	v_fma_f32 v8, -v2, v7, 1.0
	v_fmac_f32_e32 v7, v8, v7
	s_delay_alu instid0(VALU_DEP_1) | instskip(NEXT) | instid1(VALU_DEP_1)
	v_mul_f32_e32 v8, v9, v7
	v_fma_f32 v10, -v2, v8, v9
	s_delay_alu instid0(VALU_DEP_1) | instskip(NEXT) | instid1(VALU_DEP_1)
	v_fmac_f32_e32 v8, v10, v7
	v_fma_f32 v2, -v2, v8, v9
	s_delay_alu instid0(VALU_DEP_1) | instskip(NEXT) | instid1(VALU_DEP_1)
	v_div_fmas_f32 v2, v2, v7, v8
	v_div_fixup_f32 v2, v2, v1, v0
	s_delay_alu instid0(VALU_DEP_1) | instskip(NEXT) | instid1(VALU_DEP_1)
	v_fmac_f32_e32 v1, v0, v2
	v_div_scale_f32 v0, null, v1, v1, 1.0
	v_div_scale_f32 v9, vcc_lo, 1.0, v1, 1.0
	s_delay_alu instid0(VALU_DEP_2) | instskip(SKIP_2) | instid1(VALU_DEP_1)
	v_rcp_f32_e32 v7, v0
	s_waitcnt_depctr 0xfff
	v_fma_f32 v8, -v0, v7, 1.0
	v_fmac_f32_e32 v7, v8, v7
	s_delay_alu instid0(VALU_DEP_1) | instskip(NEXT) | instid1(VALU_DEP_1)
	v_mul_f32_e32 v8, v9, v7
	v_fma_f32 v10, -v0, v8, v9
	s_delay_alu instid0(VALU_DEP_1) | instskip(NEXT) | instid1(VALU_DEP_1)
	v_fmac_f32_e32 v8, v10, v7
	v_fma_f32 v0, -v0, v8, v9
	s_delay_alu instid0(VALU_DEP_1) | instskip(NEXT) | instid1(VALU_DEP_1)
	v_div_fmas_f32 v0, v0, v7, v8
	v_div_fixup_f32 v1, v0, v1, 1.0
	s_delay_alu instid0(VALU_DEP_1)
	v_mul_f32_e32 v0, v2, v1
	v_xor_b32_e32 v1, 0x80000000, v1
.LBB191_40:
	s_and_not1_saveexec_b32 s1, s1
	s_cbranch_execz .LBB191_42
; %bb.41:
	s_delay_alu instid0(VALU_DEP_1) | instskip(SKIP_1) | instid1(VALU_DEP_2)
	v_div_scale_f32 v2, null, v0, v0, v1
	v_div_scale_f32 v9, vcc_lo, v1, v0, v1
	v_rcp_f32_e32 v7, v2
	s_waitcnt_depctr 0xfff
	v_fma_f32 v8, -v2, v7, 1.0
	s_delay_alu instid0(VALU_DEP_1) | instskip(NEXT) | instid1(VALU_DEP_1)
	v_fmac_f32_e32 v7, v8, v7
	v_mul_f32_e32 v8, v9, v7
	s_delay_alu instid0(VALU_DEP_1) | instskip(NEXT) | instid1(VALU_DEP_1)
	v_fma_f32 v10, -v2, v8, v9
	v_fmac_f32_e32 v8, v10, v7
	s_delay_alu instid0(VALU_DEP_1) | instskip(NEXT) | instid1(VALU_DEP_1)
	v_fma_f32 v2, -v2, v8, v9
	v_div_fmas_f32 v2, v2, v7, v8
	s_delay_alu instid0(VALU_DEP_1) | instskip(NEXT) | instid1(VALU_DEP_1)
	v_div_fixup_f32 v2, v2, v0, v1
	v_fmac_f32_e32 v0, v1, v2
	s_delay_alu instid0(VALU_DEP_1) | instskip(NEXT) | instid1(VALU_DEP_1)
	v_div_scale_f32 v1, null, v0, v0, 1.0
	v_rcp_f32_e32 v7, v1
	s_waitcnt_depctr 0xfff
	v_fma_f32 v8, -v1, v7, 1.0
	s_delay_alu instid0(VALU_DEP_1) | instskip(SKIP_1) | instid1(VALU_DEP_1)
	v_fmac_f32_e32 v7, v8, v7
	v_div_scale_f32 v8, vcc_lo, 1.0, v0, 1.0
	v_mul_f32_e32 v9, v8, v7
	s_delay_alu instid0(VALU_DEP_1) | instskip(NEXT) | instid1(VALU_DEP_1)
	v_fma_f32 v10, -v1, v9, v8
	v_fmac_f32_e32 v9, v10, v7
	s_delay_alu instid0(VALU_DEP_1) | instskip(NEXT) | instid1(VALU_DEP_1)
	v_fma_f32 v1, -v1, v9, v8
	v_div_fmas_f32 v1, v1, v7, v9
	s_delay_alu instid0(VALU_DEP_1) | instskip(NEXT) | instid1(VALU_DEP_1)
	v_div_fixup_f32 v0, v1, v0, 1.0
	v_mul_f32_e64 v1, v2, -v0
.LBB191_42:
	s_or_b32 exec_lo, exec_lo, s1
.LBB191_43:
	s_waitcnt vmcnt(0) lgkmcnt(0)
	s_delay_alu instid0(VALU_DEP_1) | instskip(SKIP_1) | instid1(VALU_DEP_2)
	v_mul_f32_e32 v2, v6, v1
	v_mul_f32_e32 v6, v6, v0
	v_fma_f32 v0, v5, v0, -v2
	s_delay_alu instid0(VALU_DEP_1)
	v_dual_fmac_f32 v6, v5, v1 :: v_dual_mov_b32 v5, v0
.LBB191_44:
	s_or_b32 exec_lo, exec_lo, s0
	global_store_b64 v[3:4], v[5:6], off
.LBB191_45:
	s_nop 0
	s_sendmsg sendmsg(MSG_DEALLOC_VGPRS)
	s_endpgm
	.section	.rodata,"a",@progbits
	.p2align	6, 0x0
	.amdhsa_kernel _ZL40rocblas_trsm_block_backward_substitutionI19rocblas_complex_numIfES1_PKPKS1_PKPS1_Lb1ELb0ELb0EEv18rocblas_operation_llT0_T1_lllT2_lllib
		.amdhsa_group_segment_fixed_size 0
		.amdhsa_private_segment_fixed_size 0
		.amdhsa_kernarg_size 360
		.amdhsa_user_sgpr_count 13
		.amdhsa_user_sgpr_dispatch_ptr 0
		.amdhsa_user_sgpr_queue_ptr 0
		.amdhsa_user_sgpr_kernarg_segment_ptr 1
		.amdhsa_user_sgpr_dispatch_id 0
		.amdhsa_user_sgpr_private_segment_size 0
		.amdhsa_wavefront_size32 1
		.amdhsa_uses_dynamic_stack 0
		.amdhsa_enable_private_segment 0
		.amdhsa_system_sgpr_workgroup_id_x 1
		.amdhsa_system_sgpr_workgroup_id_y 1
		.amdhsa_system_sgpr_workgroup_id_z 1
		.amdhsa_system_sgpr_workgroup_info 0
		.amdhsa_system_vgpr_workitem_id 1
		.amdhsa_next_free_vgpr 18
		.amdhsa_next_free_sgpr 30
		.amdhsa_reserve_vcc 1
		.amdhsa_float_round_mode_32 0
		.amdhsa_float_round_mode_16_64 0
		.amdhsa_float_denorm_mode_32 3
		.amdhsa_float_denorm_mode_16_64 3
		.amdhsa_dx10_clamp 1
		.amdhsa_ieee_mode 1
		.amdhsa_fp16_overflow 0
		.amdhsa_workgroup_processor_mode 1
		.amdhsa_memory_ordered 1
		.amdhsa_forward_progress 0
		.amdhsa_shared_vgpr_count 0
		.amdhsa_exception_fp_ieee_invalid_op 0
		.amdhsa_exception_fp_denorm_src 0
		.amdhsa_exception_fp_ieee_div_zero 0
		.amdhsa_exception_fp_ieee_overflow 0
		.amdhsa_exception_fp_ieee_underflow 0
		.amdhsa_exception_fp_ieee_inexact 0
		.amdhsa_exception_int_div_zero 0
	.end_amdhsa_kernel
	.section	.text._ZL40rocblas_trsm_block_backward_substitutionI19rocblas_complex_numIfES1_PKPKS1_PKPS1_Lb1ELb0ELb0EEv18rocblas_operation_llT0_T1_lllT2_lllib,"axG",@progbits,_ZL40rocblas_trsm_block_backward_substitutionI19rocblas_complex_numIfES1_PKPKS1_PKPS1_Lb1ELb0ELb0EEv18rocblas_operation_llT0_T1_lllT2_lllib,comdat
.Lfunc_end191:
	.size	_ZL40rocblas_trsm_block_backward_substitutionI19rocblas_complex_numIfES1_PKPKS1_PKPS1_Lb1ELb0ELb0EEv18rocblas_operation_llT0_T1_lllT2_lllib, .Lfunc_end191-_ZL40rocblas_trsm_block_backward_substitutionI19rocblas_complex_numIfES1_PKPKS1_PKPS1_Lb1ELb0ELb0EEv18rocblas_operation_llT0_T1_lllT2_lllib
                                        ; -- End function
	.section	.AMDGPU.csdata,"",@progbits
; Kernel info:
; codeLenInByte = 2888
; NumSgprs: 32
; NumVgprs: 18
; ScratchSize: 0
; MemoryBound: 0
; FloatMode: 240
; IeeeMode: 1
; LDSByteSize: 0 bytes/workgroup (compile time only)
; SGPRBlocks: 3
; VGPRBlocks: 2
; NumSGPRsForWavesPerEU: 32
; NumVGPRsForWavesPerEU: 18
; Occupancy: 16
; WaveLimiterHint : 1
; COMPUTE_PGM_RSRC2:SCRATCH_EN: 0
; COMPUTE_PGM_RSRC2:USER_SGPR: 13
; COMPUTE_PGM_RSRC2:TRAP_HANDLER: 0
; COMPUTE_PGM_RSRC2:TGID_X_EN: 1
; COMPUTE_PGM_RSRC2:TGID_Y_EN: 1
; COMPUTE_PGM_RSRC2:TGID_Z_EN: 1
; COMPUTE_PGM_RSRC2:TIDIG_COMP_CNT: 1
	.section	.text._ZL39rocblas_trsm_block_forward_substitutionI19rocblas_complex_numIfES1_PKPKS1_PKPS1_Lb1ELb0ELb1EEv18rocblas_operation_llT0_T1_lllT2_lllib,"axG",@progbits,_ZL39rocblas_trsm_block_forward_substitutionI19rocblas_complex_numIfES1_PKPKS1_PKPS1_Lb1ELb0ELb1EEv18rocblas_operation_llT0_T1_lllT2_lllib,comdat
	.globl	_ZL39rocblas_trsm_block_forward_substitutionI19rocblas_complex_numIfES1_PKPKS1_PKPS1_Lb1ELb0ELb1EEv18rocblas_operation_llT0_T1_lllT2_lllib ; -- Begin function _ZL39rocblas_trsm_block_forward_substitutionI19rocblas_complex_numIfES1_PKPKS1_PKPS1_Lb1ELb0ELb1EEv18rocblas_operation_llT0_T1_lllT2_lllib
	.p2align	8
	.type	_ZL39rocblas_trsm_block_forward_substitutionI19rocblas_complex_numIfES1_PKPKS1_PKPS1_Lb1ELb0ELb1EEv18rocblas_operation_llT0_T1_lllT2_lllib,@function
_ZL39rocblas_trsm_block_forward_substitutionI19rocblas_complex_numIfES1_PKPKS1_PKPS1_Lb1ELb0ELb1EEv18rocblas_operation_llT0_T1_lllT2_lllib: ; @_ZL39rocblas_trsm_block_forward_substitutionI19rocblas_complex_numIfES1_PKPKS1_PKPS1_Lb1ELb0ELb1EEv18rocblas_operation_llT0_T1_lllT2_lllib
; %bb.0:
	s_clause 0x1
	s_load_b128 s[4:7], s[0:1], 0x20
	s_load_b64 s[26:27], s[0:1], 0x30
	s_mov_b32 s2, s15
	s_mov_b32 s3, 0
	v_and_b32_e32 v1, 0x3ff, v0
	s_lshl_b64 s[2:3], s[2:3], 3
	v_bfe_u32 v0, v0, 10, 10
	s_waitcnt lgkmcnt(0)
	s_add_u32 s4, s4, s2
	s_addc_u32 s5, s5, s3
	s_lshl_b64 s[6:7], s[6:7], 3
	s_load_b64 s[4:5], s[4:5], 0x0
	s_clause 0x3
	s_load_b128 s[8:11], s[0:1], 0x40
	s_load_b64 s[12:13], s[0:1], 0x50
	s_load_b32 s16, s[0:1], 0x64
	s_load_b32 s15, s[0:1], 0x74
	s_waitcnt lgkmcnt(0)
	s_add_u32 s20, s4, s6
	s_addc_u32 s21, s5, s7
	s_add_u32 s2, s8, s2
	s_addc_u32 s3, s9, s3
	s_clause 0x1
	s_load_b128 s[4:7], s[0:1], 0x8
	s_load_b64 s[8:9], s[0:1], 0x18
	s_load_b64 s[18:19], s[2:3], 0x0
	s_add_u32 s22, s0, 0x68
	s_addc_u32 s23, s1, 0
	s_lshr_b32 s15, s15, 16
	s_bitcmp0_b32 s16, 0
	s_mov_b64 s[2:3], 1
	s_cbranch_scc1 .LBB192_6
; %bb.1:
	s_waitcnt lgkmcnt(0)
	v_cmp_lt_i64_e64 s2, s[4:5], 1
	s_lshl_b32 s3, s15, 3
	s_mov_b64 s[16:17], 1
	s_add_i32 s24, s3, 0
	s_delay_alu instid0(VALU_DEP_1)
	s_and_b32 vcc_lo, exec_lo, s2
	s_cbranch_vccnz .LBB192_7
; %bb.2:
	v_mad_u64_u32 v[3:4], null, v1, s26, 0
	s_delay_alu instid0(VALU_DEP_1) | instskip(NEXT) | instid1(VALU_DEP_1)
	v_mov_b32_e32 v2, v4
	v_mad_u64_u32 v[4:5], null, v1, s27, v[2:3]
	v_mov_b32_e32 v2, 0
	s_delay_alu instid0(VALU_DEP_1) | instskip(NEXT) | instid1(VALU_DEP_3)
	v_cmp_gt_u64_e64 s2, s[4:5], v[1:2]
	v_lshlrev_b64 v[5:6], 3, v[3:4]
	v_lshl_add_u32 v4, v1, 3, s24
	s_delay_alu instid0(VALU_DEP_2) | instskip(NEXT) | instid1(VALU_DEP_3)
	v_add_co_u32 v5, vcc_lo, s20, v5
	v_add_co_ci_u32_e32 v6, vcc_lo, s21, v6, vcc_lo
	s_mov_b32 s20, 0
	s_set_inst_prefetch_distance 0x1
	s_branch .LBB192_4
	.p2align	6
.LBB192_3:                              ;   in Loop: Header=BB192_4 Depth=1
	s_or_b32 exec_lo, exec_lo, s3
	s_add_i32 s20, s20, s15
	s_delay_alu instid0(SALU_CYCLE_1) | instskip(NEXT) | instid1(SALU_CYCLE_1)
	s_ashr_i32 s21, s20, 31
	v_cmp_ge_i64_e64 s3, s[20:21], s[4:5]
	s_delay_alu instid0(VALU_DEP_1)
	s_and_b32 vcc_lo, exec_lo, s3
	s_cbranch_vccnz .LBB192_7
.LBB192_4:                              ; =>This Inner Loop Header: Depth=1
	v_add_nc_u32_e32 v2, s20, v0
	s_delay_alu instid0(VALU_DEP_1) | instskip(SKIP_1) | instid1(SALU_CYCLE_1)
	v_cmp_gt_i32_e32 vcc_lo, v1, v2
	s_and_b32 s21, s2, vcc_lo
	s_and_saveexec_b32 s3, s21
	s_cbranch_execz .LBB192_3
; %bb.5:                                ;   in Loop: Header=BB192_4 Depth=1
	v_ashrrev_i32_e32 v3, 31, v2
	s_load_b32 s21, s[22:23], 0xc
	s_delay_alu instid0(VALU_DEP_1) | instskip(NEXT) | instid1(VALU_DEP_1)
	v_lshlrev_b64 v[7:8], 3, v[2:3]
	v_add_co_u32 v7, vcc_lo, v5, v7
	s_delay_alu instid0(VALU_DEP_2) | instskip(SKIP_3) | instid1(SALU_CYCLE_1)
	v_add_co_ci_u32_e32 v8, vcc_lo, v6, v8, vcc_lo
	global_load_b64 v[7:8], v[7:8], off
	s_waitcnt lgkmcnt(0)
	s_and_b32 s21, s21, 0xffff
	v_mul_lo_u32 v2, v2, s21
	s_delay_alu instid0(VALU_DEP_1)
	v_lshl_add_u32 v2, v2, 3, v4
	s_waitcnt vmcnt(0)
	ds_store_b64 v2, v[7:8]
	s_branch .LBB192_3
.LBB192_6:
	s_mov_b64 s[16:17], s[26:27]
	s_branch .LBB192_8
.LBB192_7:
	s_set_inst_prefetch_distance 0x2
	s_load_b32 s20, s[22:23], 0xc
	s_mov_b64 s[2:3], src_shared_base
	s_delay_alu instid0(SALU_CYCLE_1)
	s_mov_b32 s25, s3
	s_waitcnt lgkmcnt(0)
	s_and_b32 s2, s20, 0xffff
	s_mov_b64 s[20:21], s[24:25]
.LBB192_8:
	v_mad_u64_u32 v[3:4], null, s14, s15, v[0:1]
	v_mov_b32_e32 v4, 0
	s_mov_b32 s3, exec_lo
	s_waitcnt lgkmcnt(0)
	s_delay_alu instid0(VALU_DEP_1)
	v_cmpx_gt_i64_e64 s[6:7], v[3:4]
	s_cbranch_execz .LBB192_22
; %bb.9:
	v_mov_b32_e32 v2, v4
	s_delay_alu instid0(VALU_DEP_1)
	v_cmp_gt_i64_e32 vcc_lo, s[4:5], v[1:2]
	s_and_b32 exec_lo, exec_lo, vcc_lo
	s_cbranch_execz .LBB192_22
; %bb.10:
	v_mad_u64_u32 v[4:5], null, v3, s12, 0
	s_lshl_b64 s[6:7], s[10:11], 3
	s_delay_alu instid0(SALU_CYCLE_1) | instskip(SKIP_1) | instid1(VALU_DEP_1)
	s_add_u32 s3, s18, s6
	s_addc_u32 s6, s19, s7
	v_mad_u64_u32 v[6:7], null, v3, s13, v[5:6]
	s_delay_alu instid0(VALU_DEP_1) | instskip(NEXT) | instid1(VALU_DEP_1)
	v_mov_b32_e32 v5, v6
	v_lshlrev_b64 v[3:4], 3, v[4:5]
	v_lshlrev_b32_e32 v5, 3, v1
	s_delay_alu instid0(VALU_DEP_2) | instskip(NEXT) | instid1(VALU_DEP_3)
	v_add_co_u32 v3, vcc_lo, s3, v3
	v_add_co_ci_u32_e32 v4, vcc_lo, s6, v4, vcc_lo
	v_cmp_lt_u64_e64 s3, s[4:5], 2
	s_delay_alu instid0(VALU_DEP_3) | instskip(NEXT) | instid1(VALU_DEP_3)
	v_add_co_u32 v3, vcc_lo, v3, v5
	v_add_co_ci_u32_e32 v4, vcc_lo, 0, v4, vcc_lo
	s_delay_alu instid0(VALU_DEP_3) | instskip(SKIP_4) | instid1(VALU_DEP_2)
	s_and_b32 vcc_lo, exec_lo, s3
	global_load_b64 v[7:8], v[3:4], off
	s_waitcnt vmcnt(0)
	v_mul_f32_e32 v5, s9, v8
	v_mul_f32_e32 v6, s8, v8
	v_fma_f32 v5, s8, v7, -v5
	s_delay_alu instid0(VALU_DEP_2)
	v_fmac_f32_e32 v6, s9, v7
	s_cbranch_vccnz .LBB192_21
; %bb.11:
	v_mad_u64_u32 v[7:8], null, s16, v1, 0
	s_load_b32 s0, s[0:1], 0x0
	v_lshl_add_u32 v0, v0, 3, 0
	s_delay_alu instid0(VALU_DEP_2) | instskip(NEXT) | instid1(VALU_DEP_1)
	v_mad_u64_u32 v[9:10], null, s17, v1, v[8:9]
	v_mov_b32_e32 v8, v9
	s_delay_alu instid0(VALU_DEP_1)
	v_lshlrev_b64 v[7:8], 3, v[7:8]
	s_waitcnt lgkmcnt(0)
	s_cmpk_lg_i32 s0, 0x71
	s_cselect_b32 s6, -1, 0
	s_add_u32 s0, s4, -1
	s_addc_u32 s1, s5, -1
	v_add_co_u32 v7, vcc_lo, s20, v7
	v_add_co_ci_u32_e32 v8, vcc_lo, s21, v8, vcc_lo
	s_lshl_b32 s4, s2, 3
	s_mov_b64 s[2:3], 0
	s_set_inst_prefetch_distance 0x1
	s_branch .LBB192_14
	.p2align	6
.LBB192_12:                             ;   in Loop: Header=BB192_14 Depth=1
	ds_load_b64 v[11:12], v0
	s_waitcnt vmcnt(0) lgkmcnt(0)
	v_mul_f32_e32 v13, v12, v10
	v_mul_f32_e32 v12, v12, v9
	s_delay_alu instid0(VALU_DEP_1) | instskip(NEXT) | instid1(VALU_DEP_1)
	v_fmac_f32_e32 v12, v11, v10
	v_sub_f32_e32 v6, v6, v12
	s_delay_alu instid0(VALU_DEP_4) | instskip(NEXT) | instid1(VALU_DEP_1)
	v_fma_f32 v9, v11, v9, -v13
	v_sub_f32_e32 v5, v5, v9
.LBB192_13:                             ;   in Loop: Header=BB192_14 Depth=1
	s_or_b32 exec_lo, exec_lo, s5
	v_add_co_u32 v7, vcc_lo, v7, s4
	s_add_u32 s2, s2, 1
	v_add_co_ci_u32_e32 v8, vcc_lo, 0, v8, vcc_lo
	s_addc_u32 s3, s3, 0
	s_delay_alu instid0(SALU_CYCLE_1)
	s_cmp_eq_u64 s[0:1], s[2:3]
	s_cbranch_scc1 .LBB192_21
.LBB192_14:                             ; =>This Inner Loop Header: Depth=1
	s_mov_b32 s5, exec_lo
	s_barrier
	buffer_gl0_inv
	v_cmpx_eq_u64_e64 s[2:3], v[1:2]
	s_cbranch_execz .LBB192_16
; %bb.15:                               ;   in Loop: Header=BB192_14 Depth=1
	ds_store_b64 v0, v[5:6]
.LBB192_16:                             ;   in Loop: Header=BB192_14 Depth=1
	s_or_b32 exec_lo, exec_lo, s5
	s_delay_alu instid0(SALU_CYCLE_1)
	s_mov_b32 s5, exec_lo
	s_waitcnt lgkmcnt(0)
	s_barrier
	buffer_gl0_inv
	v_cmpx_lt_u64_e64 s[2:3], v[1:2]
	s_cbranch_execz .LBB192_13
; %bb.17:                               ;   in Loop: Header=BB192_14 Depth=1
	s_and_b32 vcc_lo, exec_lo, s6
	s_cbranch_vccz .LBB192_19
; %bb.18:                               ;   in Loop: Header=BB192_14 Depth=1
	flat_load_b64 v[9:10], v[7:8]
	s_cbranch_execnz .LBB192_12
	s_branch .LBB192_20
.LBB192_19:                             ;   in Loop: Header=BB192_14 Depth=1
                                        ; implicit-def: $vgpr9
.LBB192_20:                             ;   in Loop: Header=BB192_14 Depth=1
	s_waitcnt vmcnt(0) lgkmcnt(0)
	flat_load_b64 v[9:10], v[7:8]
	s_waitcnt vmcnt(0) lgkmcnt(0)
	v_xor_b32_e32 v10, 0x80000000, v10
	s_branch .LBB192_12
.LBB192_21:
	s_set_inst_prefetch_distance 0x2
	global_store_b64 v[3:4], v[5:6], off
.LBB192_22:
	s_nop 0
	s_sendmsg sendmsg(MSG_DEALLOC_VGPRS)
	s_endpgm
	.section	.rodata,"a",@progbits
	.p2align	6, 0x0
	.amdhsa_kernel _ZL39rocblas_trsm_block_forward_substitutionI19rocblas_complex_numIfES1_PKPKS1_PKPS1_Lb1ELb0ELb1EEv18rocblas_operation_llT0_T1_lllT2_lllib
		.amdhsa_group_segment_fixed_size 0
		.amdhsa_private_segment_fixed_size 0
		.amdhsa_kernarg_size 360
		.amdhsa_user_sgpr_count 13
		.amdhsa_user_sgpr_dispatch_ptr 0
		.amdhsa_user_sgpr_queue_ptr 0
		.amdhsa_user_sgpr_kernarg_segment_ptr 1
		.amdhsa_user_sgpr_dispatch_id 0
		.amdhsa_user_sgpr_private_segment_size 0
		.amdhsa_wavefront_size32 1
		.amdhsa_uses_dynamic_stack 0
		.amdhsa_enable_private_segment 0
		.amdhsa_system_sgpr_workgroup_id_x 1
		.amdhsa_system_sgpr_workgroup_id_y 1
		.amdhsa_system_sgpr_workgroup_id_z 1
		.amdhsa_system_sgpr_workgroup_info 0
		.amdhsa_system_vgpr_workitem_id 1
		.amdhsa_next_free_vgpr 14
		.amdhsa_next_free_sgpr 28
		.amdhsa_reserve_vcc 1
		.amdhsa_float_round_mode_32 0
		.amdhsa_float_round_mode_16_64 0
		.amdhsa_float_denorm_mode_32 3
		.amdhsa_float_denorm_mode_16_64 3
		.amdhsa_dx10_clamp 1
		.amdhsa_ieee_mode 1
		.amdhsa_fp16_overflow 0
		.amdhsa_workgroup_processor_mode 1
		.amdhsa_memory_ordered 1
		.amdhsa_forward_progress 0
		.amdhsa_shared_vgpr_count 0
		.amdhsa_exception_fp_ieee_invalid_op 0
		.amdhsa_exception_fp_denorm_src 0
		.amdhsa_exception_fp_ieee_div_zero 0
		.amdhsa_exception_fp_ieee_overflow 0
		.amdhsa_exception_fp_ieee_underflow 0
		.amdhsa_exception_fp_ieee_inexact 0
		.amdhsa_exception_int_div_zero 0
	.end_amdhsa_kernel
	.section	.text._ZL39rocblas_trsm_block_forward_substitutionI19rocblas_complex_numIfES1_PKPKS1_PKPS1_Lb1ELb0ELb1EEv18rocblas_operation_llT0_T1_lllT2_lllib,"axG",@progbits,_ZL39rocblas_trsm_block_forward_substitutionI19rocblas_complex_numIfES1_PKPKS1_PKPS1_Lb1ELb0ELb1EEv18rocblas_operation_llT0_T1_lllT2_lllib,comdat
.Lfunc_end192:
	.size	_ZL39rocblas_trsm_block_forward_substitutionI19rocblas_complex_numIfES1_PKPKS1_PKPS1_Lb1ELb0ELb1EEv18rocblas_operation_llT0_T1_lllT2_lllib, .Lfunc_end192-_ZL39rocblas_trsm_block_forward_substitutionI19rocblas_complex_numIfES1_PKPKS1_PKPS1_Lb1ELb0ELb1EEv18rocblas_operation_llT0_T1_lllT2_lllib
                                        ; -- End function
	.section	.AMDGPU.csdata,"",@progbits
; Kernel info:
; codeLenInByte = 1040
; NumSgprs: 30
; NumVgprs: 14
; ScratchSize: 0
; MemoryBound: 0
; FloatMode: 240
; IeeeMode: 1
; LDSByteSize: 0 bytes/workgroup (compile time only)
; SGPRBlocks: 3
; VGPRBlocks: 1
; NumSGPRsForWavesPerEU: 30
; NumVGPRsForWavesPerEU: 14
; Occupancy: 16
; WaveLimiterHint : 1
; COMPUTE_PGM_RSRC2:SCRATCH_EN: 0
; COMPUTE_PGM_RSRC2:USER_SGPR: 13
; COMPUTE_PGM_RSRC2:TRAP_HANDLER: 0
; COMPUTE_PGM_RSRC2:TGID_X_EN: 1
; COMPUTE_PGM_RSRC2:TGID_Y_EN: 1
; COMPUTE_PGM_RSRC2:TGID_Z_EN: 1
; COMPUTE_PGM_RSRC2:TIDIG_COMP_CNT: 1
	.section	.text._ZL40rocblas_trsm_block_backward_substitutionI19rocblas_complex_numIfES1_PKPKS1_PKPS1_Lb1ELb0ELb1EEv18rocblas_operation_llT0_T1_lllT2_lllib,"axG",@progbits,_ZL40rocblas_trsm_block_backward_substitutionI19rocblas_complex_numIfES1_PKPKS1_PKPS1_Lb1ELb0ELb1EEv18rocblas_operation_llT0_T1_lllT2_lllib,comdat
	.globl	_ZL40rocblas_trsm_block_backward_substitutionI19rocblas_complex_numIfES1_PKPKS1_PKPS1_Lb1ELb0ELb1EEv18rocblas_operation_llT0_T1_lllT2_lllib ; -- Begin function _ZL40rocblas_trsm_block_backward_substitutionI19rocblas_complex_numIfES1_PKPKS1_PKPS1_Lb1ELb0ELb1EEv18rocblas_operation_llT0_T1_lllT2_lllib
	.p2align	8
	.type	_ZL40rocblas_trsm_block_backward_substitutionI19rocblas_complex_numIfES1_PKPKS1_PKPS1_Lb1ELb0ELb1EEv18rocblas_operation_llT0_T1_lllT2_lllib,@function
_ZL40rocblas_trsm_block_backward_substitutionI19rocblas_complex_numIfES1_PKPKS1_PKPS1_Lb1ELb0ELb1EEv18rocblas_operation_llT0_T1_lllT2_lllib: ; @_ZL40rocblas_trsm_block_backward_substitutionI19rocblas_complex_numIfES1_PKPKS1_PKPS1_Lb1ELb0ELb1EEv18rocblas_operation_llT0_T1_lllT2_lllib
; %bb.0:
	s_clause 0x1
	s_load_b128 s[4:7], s[0:1], 0x20
	s_load_b64 s[12:13], s[0:1], 0x30
	s_mov_b32 s2, s15
	s_mov_b32 s3, 0
	v_and_b32_e32 v1, 0x3ff, v0
	s_lshl_b64 s[2:3], s[2:3], 3
	v_bfe_u32 v0, v0, 10, 10
	s_waitcnt lgkmcnt(0)
	s_add_u32 s4, s4, s2
	s_addc_u32 s5, s5, s3
	s_lshl_b64 s[6:7], s[6:7], 3
	s_load_b64 s[4:5], s[4:5], 0x0
	s_clause 0x3
	s_load_b128 s[8:11], s[0:1], 0x40
	s_load_b64 s[16:17], s[0:1], 0x50
	s_load_b32 s24, s[0:1], 0x64
	s_load_b32 s15, s[0:1], 0x74
	s_waitcnt lgkmcnt(0)
	s_add_u32 s20, s4, s6
	s_addc_u32 s21, s5, s7
	s_add_u32 s2, s8, s2
	s_addc_u32 s3, s9, s3
	s_clause 0x1
	s_load_b128 s[4:7], s[0:1], 0x8
	s_load_b64 s[8:9], s[0:1], 0x18
	s_load_b64 s[18:19], s[2:3], 0x0
	s_add_u32 s22, s0, 0x68
	s_addc_u32 s23, s1, 0
	s_lshr_b32 s15, s15, 16
	s_bitcmp0_b32 s24, 0
	s_cbranch_scc1 .LBB193_7
; %bb.1:
	s_waitcnt lgkmcnt(0)
	v_cmp_lt_i64_e64 s2, s[4:5], 1
	s_lshl_b32 s3, s15, 3
	s_delay_alu instid0(SALU_CYCLE_1) | instskip(NEXT) | instid1(VALU_DEP_1)
	s_add_i32 s24, s3, 0
	s_and_b32 vcc_lo, exec_lo, s2
	s_cbranch_vccnz .LBB193_6
; %bb.2:
	v_dual_mov_b32 v2, 0 :: v_dual_lshlrev_b32 v3, 3, v1
	s_delay_alu instid0(VALU_DEP_1) | instskip(NEXT) | instid1(VALU_DEP_2)
	v_add_co_u32 v5, s3, s20, v3
	v_cmp_gt_u64_e64 s2, s[4:5], v[1:2]
	v_add_nc_u32_e32 v4, s24, v3
	v_add_co_ci_u32_e64 v6, null, s21, 0, s3
	s_mov_b32 s20, 0
	s_set_inst_prefetch_distance 0x1
	s_branch .LBB193_4
	.p2align	6
.LBB193_3:                              ;   in Loop: Header=BB193_4 Depth=1
	s_or_b32 exec_lo, exec_lo, s3
	s_add_i32 s20, s20, s15
	s_delay_alu instid0(SALU_CYCLE_1) | instskip(NEXT) | instid1(SALU_CYCLE_1)
	s_ashr_i32 s21, s20, 31
	v_cmp_ge_i64_e64 s3, s[20:21], s[4:5]
	s_delay_alu instid0(VALU_DEP_1)
	s_and_b32 vcc_lo, exec_lo, s3
	s_cbranch_vccnz .LBB193_6
.LBB193_4:                              ; =>This Inner Loop Header: Depth=1
	v_add_nc_u32_e32 v2, s20, v0
	s_delay_alu instid0(VALU_DEP_1) | instskip(SKIP_1) | instid1(VALU_DEP_2)
	v_ashrrev_i32_e32 v3, 31, v2
	v_cmp_lt_i32_e64 s3, v1, v2
	v_cmp_gt_i64_e32 vcc_lo, s[4:5], v[2:3]
	s_delay_alu instid0(VALU_DEP_2) | instskip(NEXT) | instid1(SALU_CYCLE_1)
	s_and_b32 s3, s3, vcc_lo
	s_and_b32 s21, s2, s3
	s_delay_alu instid0(SALU_CYCLE_1)
	s_and_saveexec_b32 s3, s21
	s_cbranch_execz .LBB193_3
; %bb.5:                                ;   in Loop: Header=BB193_4 Depth=1
	v_mul_lo_u32 v3, v3, s12
	v_mul_lo_u32 v9, v2, s13
	v_mad_u64_u32 v[7:8], null, v2, s12, 0
	s_load_b32 s21, s[22:23], 0xc
	s_delay_alu instid0(VALU_DEP_1) | instskip(NEXT) | instid1(VALU_DEP_1)
	v_add3_u32 v8, v8, v9, v3
	v_lshlrev_b64 v[7:8], 3, v[7:8]
	s_delay_alu instid0(VALU_DEP_1) | instskip(NEXT) | instid1(VALU_DEP_2)
	v_add_co_u32 v7, vcc_lo, v5, v7
	v_add_co_ci_u32_e32 v8, vcc_lo, v6, v8, vcc_lo
	s_waitcnt lgkmcnt(0)
	s_and_b32 s21, s21, 0xffff
	s_delay_alu instid0(SALU_CYCLE_1)
	v_mul_lo_u32 v2, v2, s21
	global_load_b64 v[7:8], v[7:8], off
	v_lshl_add_u32 v2, v2, 3, v4
	s_waitcnt vmcnt(0)
	ds_store_b64 v2, v[7:8]
	s_branch .LBB193_3
.LBB193_6:
	s_set_inst_prefetch_distance 0x2
	s_load_b32 s12, s[22:23], 0xc
	s_mov_b64 s[2:3], src_shared_base
	s_mov_b32 s13, 0
	s_mov_b32 s25, s3
	s_delay_alu instid0(SALU_CYCLE_1)
	s_mov_b64 s[20:21], s[24:25]
	s_waitcnt lgkmcnt(0)
	s_and_b32 s12, s12, 0xffff
.LBB193_7:
	v_mad_u64_u32 v[3:4], null, s14, s15, v[0:1]
	v_mov_b32_e32 v4, 0
	s_mov_b32 s2, exec_lo
	s_waitcnt lgkmcnt(0)
	s_delay_alu instid0(VALU_DEP_1)
	v_cmpx_gt_i64_e64 s[6:7], v[3:4]
	s_cbranch_execz .LBB193_22
; %bb.8:
	v_mov_b32_e32 v2, v4
	s_delay_alu instid0(VALU_DEP_1)
	v_cmp_gt_i64_e32 vcc_lo, s[4:5], v[1:2]
	s_and_b32 exec_lo, exec_lo, vcc_lo
	s_cbranch_execz .LBB193_22
; %bb.9:
	v_mad_u64_u32 v[5:6], null, v1, s16, 0
	s_lshl_b64 s[2:3], s[10:11], 3
	v_lshlrev_b64 v[3:4], 3, v[3:4]
	s_add_u32 s2, s18, s2
	s_addc_u32 s3, s19, s3
	s_delay_alu instid0(VALU_DEP_2) | instskip(NEXT) | instid1(VALU_DEP_1)
	v_mad_u64_u32 v[7:8], null, v1, s17, v[6:7]
	v_mov_b32_e32 v6, v7
	s_delay_alu instid0(VALU_DEP_1) | instskip(NEXT) | instid1(VALU_DEP_1)
	v_lshlrev_b64 v[5:6], 3, v[5:6]
	v_add_co_u32 v5, vcc_lo, s2, v5
	s_delay_alu instid0(VALU_DEP_2) | instskip(SKIP_1) | instid1(VALU_DEP_3)
	v_add_co_ci_u32_e32 v6, vcc_lo, s3, v6, vcc_lo
	v_cmp_lt_u64_e64 s2, s[4:5], 2
	v_add_co_u32 v3, vcc_lo, v5, v3
	s_delay_alu instid0(VALU_DEP_3) | instskip(NEXT) | instid1(VALU_DEP_3)
	v_add_co_ci_u32_e32 v4, vcc_lo, v6, v4, vcc_lo
	s_and_b32 vcc_lo, exec_lo, s2
	global_load_b64 v[7:8], v[3:4], off
	s_waitcnt vmcnt(0)
	v_mul_f32_e32 v5, s9, v8
	v_mul_f32_e32 v6, s8, v8
	s_delay_alu instid0(VALU_DEP_2) | instskip(NEXT) | instid1(VALU_DEP_2)
	v_fma_f32 v5, s8, v7, -v5
	v_fmac_f32_e32 v6, s9, v7
	s_cbranch_vccnz .LBB193_21
; %bb.10:
	s_load_b32 s0, s[0:1], 0x0
	v_lshlrev_b32_e32 v7, 3, v1
	v_lshl_add_u32 v0, v0, 3, 0
	s_waitcnt lgkmcnt(0)
	s_cmpk_lg_i32 s0, 0x71
	s_cselect_b32 s6, -1, 0
	s_add_u32 s0, s4, -1
	s_addc_u32 s1, s5, -1
	s_mul_hi_u32 s2, s12, s0
	s_mul_i32 s3, s12, s1
	s_mul_i32 s4, s13, s0
	s_add_i32 s3, s2, s3
	s_mul_i32 s2, s12, s0
	s_add_i32 s3, s3, s4
	s_delay_alu instid0(SALU_CYCLE_1) | instskip(NEXT) | instid1(SALU_CYCLE_1)
	s_lshl_b64 s[2:3], s[2:3], 3
	s_add_u32 s2, s20, s2
	s_addc_u32 s3, s21, s3
	v_add_co_u32 v7, s2, s2, v7
	s_delay_alu instid0(VALU_DEP_1) | instskip(SKIP_1) | instid1(SALU_CYCLE_1)
	v_add_co_ci_u32_e64 v8, null, s3, 0, s2
	s_lshl_b64 s[2:3], s[12:13], 3
	s_sub_u32 s4, 0, s2
	s_subb_u32 s5, 0, s3
.LBB193_11:                             ; =>This Inner Loop Header: Depth=1
	s_mov_b32 s2, exec_lo
	s_barrier
	buffer_gl0_inv
	v_cmpx_eq_u64_e64 s[0:1], v[1:2]
	s_cbranch_execz .LBB193_13
; %bb.12:                               ;   in Loop: Header=BB193_11 Depth=1
	ds_store_b64 v0, v[5:6]
.LBB193_13:                             ;   in Loop: Header=BB193_11 Depth=1
	s_or_b32 exec_lo, exec_lo, s2
	s_delay_alu instid0(SALU_CYCLE_1)
	s_mov_b32 s2, exec_lo
	s_waitcnt lgkmcnt(0)
	s_barrier
	buffer_gl0_inv
	v_cmpx_gt_i64_e64 s[0:1], v[1:2]
	s_cbranch_execz .LBB193_19
; %bb.14:                               ;   in Loop: Header=BB193_11 Depth=1
	s_and_b32 vcc_lo, exec_lo, s6
	s_cbranch_vccz .LBB193_16
; %bb.15:                               ;   in Loop: Header=BB193_11 Depth=1
	flat_load_b64 v[9:10], v[7:8]
	s_cbranch_execz .LBB193_17
	s_branch .LBB193_18
.LBB193_16:                             ;   in Loop: Header=BB193_11 Depth=1
                                        ; implicit-def: $vgpr9
.LBB193_17:                             ;   in Loop: Header=BB193_11 Depth=1
	s_waitcnt vmcnt(0) lgkmcnt(0)
	flat_load_b64 v[9:10], v[7:8]
	s_waitcnt vmcnt(0) lgkmcnt(0)
	v_xor_b32_e32 v10, 0x80000000, v10
.LBB193_18:                             ;   in Loop: Header=BB193_11 Depth=1
	ds_load_b64 v[11:12], v0
	s_waitcnt vmcnt(0) lgkmcnt(0)
	v_mul_f32_e32 v13, v12, v10
	v_mul_f32_e32 v12, v12, v9
	s_delay_alu instid0(VALU_DEP_1) | instskip(NEXT) | instid1(VALU_DEP_1)
	v_fmac_f32_e32 v12, v11, v10
	v_sub_f32_e32 v6, v6, v12
	s_delay_alu instid0(VALU_DEP_4) | instskip(NEXT) | instid1(VALU_DEP_1)
	v_fma_f32 v9, v11, v9, -v13
	v_sub_f32_e32 v5, v5, v9
.LBB193_19:                             ;   in Loop: Header=BB193_11 Depth=1
	s_or_b32 exec_lo, exec_lo, s2
	s_add_u32 s2, s0, -1
	s_addc_u32 s3, s1, -1
	s_add_u32 s0, s0, 1
	s_addc_u32 s1, s1, 0
	v_add_co_u32 v7, vcc_lo, v7, s4
	v_cmp_lt_u64_e64 s0, s[0:1], 3
	v_add_co_ci_u32_e32 v8, vcc_lo, s5, v8, vcc_lo
	s_delay_alu instid0(VALU_DEP_2)
	s_and_b32 vcc_lo, exec_lo, s0
	s_cbranch_vccnz .LBB193_21
; %bb.20:                               ;   in Loop: Header=BB193_11 Depth=1
	s_mov_b64 s[0:1], s[2:3]
	s_branch .LBB193_11
.LBB193_21:
	global_store_b64 v[3:4], v[5:6], off
.LBB193_22:
	s_nop 0
	s_sendmsg sendmsg(MSG_DEALLOC_VGPRS)
	s_endpgm
	.section	.rodata,"a",@progbits
	.p2align	6, 0x0
	.amdhsa_kernel _ZL40rocblas_trsm_block_backward_substitutionI19rocblas_complex_numIfES1_PKPKS1_PKPS1_Lb1ELb0ELb1EEv18rocblas_operation_llT0_T1_lllT2_lllib
		.amdhsa_group_segment_fixed_size 0
		.amdhsa_private_segment_fixed_size 0
		.amdhsa_kernarg_size 360
		.amdhsa_user_sgpr_count 13
		.amdhsa_user_sgpr_dispatch_ptr 0
		.amdhsa_user_sgpr_queue_ptr 0
		.amdhsa_user_sgpr_kernarg_segment_ptr 1
		.amdhsa_user_sgpr_dispatch_id 0
		.amdhsa_user_sgpr_private_segment_size 0
		.amdhsa_wavefront_size32 1
		.amdhsa_uses_dynamic_stack 0
		.amdhsa_enable_private_segment 0
		.amdhsa_system_sgpr_workgroup_id_x 1
		.amdhsa_system_sgpr_workgroup_id_y 1
		.amdhsa_system_sgpr_workgroup_id_z 1
		.amdhsa_system_sgpr_workgroup_info 0
		.amdhsa_system_vgpr_workitem_id 1
		.amdhsa_next_free_vgpr 14
		.amdhsa_next_free_sgpr 26
		.amdhsa_reserve_vcc 1
		.amdhsa_float_round_mode_32 0
		.amdhsa_float_round_mode_16_64 0
		.amdhsa_float_denorm_mode_32 3
		.amdhsa_float_denorm_mode_16_64 3
		.amdhsa_dx10_clamp 1
		.amdhsa_ieee_mode 1
		.amdhsa_fp16_overflow 0
		.amdhsa_workgroup_processor_mode 1
		.amdhsa_memory_ordered 1
		.amdhsa_forward_progress 0
		.amdhsa_shared_vgpr_count 0
		.amdhsa_exception_fp_ieee_invalid_op 0
		.amdhsa_exception_fp_denorm_src 0
		.amdhsa_exception_fp_ieee_div_zero 0
		.amdhsa_exception_fp_ieee_overflow 0
		.amdhsa_exception_fp_ieee_underflow 0
		.amdhsa_exception_fp_ieee_inexact 0
		.amdhsa_exception_int_div_zero 0
	.end_amdhsa_kernel
	.section	.text._ZL40rocblas_trsm_block_backward_substitutionI19rocblas_complex_numIfES1_PKPKS1_PKPS1_Lb1ELb0ELb1EEv18rocblas_operation_llT0_T1_lllT2_lllib,"axG",@progbits,_ZL40rocblas_trsm_block_backward_substitutionI19rocblas_complex_numIfES1_PKPKS1_PKPS1_Lb1ELb0ELb1EEv18rocblas_operation_llT0_T1_lllT2_lllib,comdat
.Lfunc_end193:
	.size	_ZL40rocblas_trsm_block_backward_substitutionI19rocblas_complex_numIfES1_PKPKS1_PKPS1_Lb1ELb0ELb1EEv18rocblas_operation_llT0_T1_lllT2_lllib, .Lfunc_end193-_ZL40rocblas_trsm_block_backward_substitutionI19rocblas_complex_numIfES1_PKPKS1_PKPS1_Lb1ELb0ELb1EEv18rocblas_operation_llT0_T1_lllT2_lllib
                                        ; -- End function
	.section	.AMDGPU.csdata,"",@progbits
; Kernel info:
; codeLenInByte = 1076
; NumSgprs: 28
; NumVgprs: 14
; ScratchSize: 0
; MemoryBound: 0
; FloatMode: 240
; IeeeMode: 1
; LDSByteSize: 0 bytes/workgroup (compile time only)
; SGPRBlocks: 3
; VGPRBlocks: 1
; NumSGPRsForWavesPerEU: 28
; NumVGPRsForWavesPerEU: 14
; Occupancy: 16
; WaveLimiterHint : 1
; COMPUTE_PGM_RSRC2:SCRATCH_EN: 0
; COMPUTE_PGM_RSRC2:USER_SGPR: 13
; COMPUTE_PGM_RSRC2:TRAP_HANDLER: 0
; COMPUTE_PGM_RSRC2:TGID_X_EN: 1
; COMPUTE_PGM_RSRC2:TGID_Y_EN: 1
; COMPUTE_PGM_RSRC2:TGID_Z_EN: 1
; COMPUTE_PGM_RSRC2:TIDIG_COMP_CNT: 1
	.section	.text._ZL26setup_batched_array_kernelILi128E19rocblas_complex_numIfEEvPT0_lPS3_,"axG",@progbits,_ZL26setup_batched_array_kernelILi128E19rocblas_complex_numIfEEvPT0_lPS3_,comdat
	.globl	_ZL26setup_batched_array_kernelILi128E19rocblas_complex_numIfEEvPT0_lPS3_ ; -- Begin function _ZL26setup_batched_array_kernelILi128E19rocblas_complex_numIfEEvPT0_lPS3_
	.p2align	8
	.type	_ZL26setup_batched_array_kernelILi128E19rocblas_complex_numIfEEvPT0_lPS3_,@function
_ZL26setup_batched_array_kernelILi128E19rocblas_complex_numIfEEvPT0_lPS3_: ; @_ZL26setup_batched_array_kernelILi128E19rocblas_complex_numIfEEvPT0_lPS3_
; %bb.0:
	s_clause 0x1
	s_load_b128 s[4:7], s[0:1], 0x0
	s_load_b64 s[0:1], s[0:1], 0x10
	s_mov_b32 s2, s15
	s_waitcnt lgkmcnt(0)
	s_mul_i32 s3, s15, s7
	s_mul_hi_u32 s7, s15, s6
	s_mul_i32 s6, s15, s6
	s_add_i32 s7, s7, s3
	s_mov_b32 s3, 0
	s_lshl_b64 s[6:7], s[6:7], 3
	s_delay_alu instid0(SALU_CYCLE_1)
	s_add_u32 s4, s4, s6
	s_addc_u32 s5, s5, s7
	v_mov_b32_e32 v0, s4
	s_lshl_b64 s[2:3], s[2:3], 3
	v_dual_mov_b32 v2, 0 :: v_dual_mov_b32 v1, s5
	s_add_u32 s0, s0, s2
	s_addc_u32 s1, s1, s3
	global_store_b64 v2, v[0:1], s[0:1]
	s_nop 0
	s_sendmsg sendmsg(MSG_DEALLOC_VGPRS)
	s_endpgm
	.section	.rodata,"a",@progbits
	.p2align	6, 0x0
	.amdhsa_kernel _ZL26setup_batched_array_kernelILi128E19rocblas_complex_numIfEEvPT0_lPS3_
		.amdhsa_group_segment_fixed_size 0
		.amdhsa_private_segment_fixed_size 0
		.amdhsa_kernarg_size 24
		.amdhsa_user_sgpr_count 15
		.amdhsa_user_sgpr_dispatch_ptr 0
		.amdhsa_user_sgpr_queue_ptr 0
		.amdhsa_user_sgpr_kernarg_segment_ptr 1
		.amdhsa_user_sgpr_dispatch_id 0
		.amdhsa_user_sgpr_private_segment_size 0
		.amdhsa_wavefront_size32 1
		.amdhsa_uses_dynamic_stack 0
		.amdhsa_enable_private_segment 0
		.amdhsa_system_sgpr_workgroup_id_x 1
		.amdhsa_system_sgpr_workgroup_id_y 0
		.amdhsa_system_sgpr_workgroup_id_z 0
		.amdhsa_system_sgpr_workgroup_info 0
		.amdhsa_system_vgpr_workitem_id 0
		.amdhsa_next_free_vgpr 3
		.amdhsa_next_free_sgpr 16
		.amdhsa_reserve_vcc 0
		.amdhsa_float_round_mode_32 0
		.amdhsa_float_round_mode_16_64 0
		.amdhsa_float_denorm_mode_32 3
		.amdhsa_float_denorm_mode_16_64 3
		.amdhsa_dx10_clamp 1
		.amdhsa_ieee_mode 1
		.amdhsa_fp16_overflow 0
		.amdhsa_workgroup_processor_mode 1
		.amdhsa_memory_ordered 1
		.amdhsa_forward_progress 0
		.amdhsa_shared_vgpr_count 0
		.amdhsa_exception_fp_ieee_invalid_op 0
		.amdhsa_exception_fp_denorm_src 0
		.amdhsa_exception_fp_ieee_div_zero 0
		.amdhsa_exception_fp_ieee_overflow 0
		.amdhsa_exception_fp_ieee_underflow 0
		.amdhsa_exception_fp_ieee_inexact 0
		.amdhsa_exception_int_div_zero 0
	.end_amdhsa_kernel
	.section	.text._ZL26setup_batched_array_kernelILi128E19rocblas_complex_numIfEEvPT0_lPS3_,"axG",@progbits,_ZL26setup_batched_array_kernelILi128E19rocblas_complex_numIfEEvPT0_lPS3_,comdat
.Lfunc_end194:
	.size	_ZL26setup_batched_array_kernelILi128E19rocblas_complex_numIfEEvPT0_lPS3_, .Lfunc_end194-_ZL26setup_batched_array_kernelILi128E19rocblas_complex_numIfEEvPT0_lPS3_
                                        ; -- End function
	.section	.AMDGPU.csdata,"",@progbits
; Kernel info:
; codeLenInByte = 108
; NumSgprs: 16
; NumVgprs: 3
; ScratchSize: 0
; MemoryBound: 0
; FloatMode: 240
; IeeeMode: 1
; LDSByteSize: 0 bytes/workgroup (compile time only)
; SGPRBlocks: 1
; VGPRBlocks: 0
; NumSGPRsForWavesPerEU: 16
; NumVGPRsForWavesPerEU: 3
; Occupancy: 16
; WaveLimiterHint : 0
; COMPUTE_PGM_RSRC2:SCRATCH_EN: 0
; COMPUTE_PGM_RSRC2:USER_SGPR: 15
; COMPUTE_PGM_RSRC2:TRAP_HANDLER: 0
; COMPUTE_PGM_RSRC2:TGID_X_EN: 1
; COMPUTE_PGM_RSRC2:TGID_Y_EN: 0
; COMPUTE_PGM_RSRC2:TGID_Z_EN: 0
; COMPUTE_PGM_RSRC2:TIDIG_COMP_CNT: 0
	.section	.text._ZL25rocblas_trtri_trsm_kernelILi128ELi16ELi8E19rocblas_complex_numIfEPKPKS1_PKPS1_Ev13rocblas_fill_17rocblas_diagonal_T3_lilT4_lli,"axG",@progbits,_ZL25rocblas_trtri_trsm_kernelILi128ELi16ELi8E19rocblas_complex_numIfEPKPKS1_PKPS1_Ev13rocblas_fill_17rocblas_diagonal_T3_lilT4_lli,comdat
	.globl	_ZL25rocblas_trtri_trsm_kernelILi128ELi16ELi8E19rocblas_complex_numIfEPKPKS1_PKPS1_Ev13rocblas_fill_17rocblas_diagonal_T3_lilT4_lli ; -- Begin function _ZL25rocblas_trtri_trsm_kernelILi128ELi16ELi8E19rocblas_complex_numIfEPKPKS1_PKPS1_Ev13rocblas_fill_17rocblas_diagonal_T3_lilT4_lli
	.p2align	8
	.type	_ZL25rocblas_trtri_trsm_kernelILi128ELi16ELi8E19rocblas_complex_numIfEPKPKS1_PKPS1_Ev13rocblas_fill_17rocblas_diagonal_T3_lilT4_lli,@function
_ZL25rocblas_trtri_trsm_kernelILi128ELi16ELi8E19rocblas_complex_numIfEPKPKS1_PKPS1_Ev13rocblas_fill_17rocblas_diagonal_T3_lilT4_lli: ; @_ZL25rocblas_trtri_trsm_kernelILi128ELi16ELi8E19rocblas_complex_numIfEPKPKS1_PKPS1_Ev13rocblas_fill_17rocblas_diagonal_T3_lilT4_lli
; %bb.0:
	s_clause 0x1
	s_load_b128 s[8:11], s[0:1], 0x8
	s_load_b128 s[4:7], s[0:1], 0x28
	s_mov_b32 s2, s15
	s_mov_b32 s3, 0
	v_cmp_lt_u32_e32 vcc_lo, 31, v0
	s_lshl_b64 s[2:3], s[2:3], 3
	v_mov_b32_e32 v1, v0
	s_waitcnt lgkmcnt(0)
	s_add_u32 s8, s8, s2
	s_addc_u32 s9, s9, s3
	s_add_u32 s2, s4, s2
	s_addc_u32 s3, s5, s3
	s_load_b64 s[18:19], s[8:9], 0x0
	s_load_b64 s[8:9], s[2:3], 0x0
	v_cmp_gt_u32_e64 s2, 16, v0
	v_cmp_gt_u32_e64 s3, 32, v0
	s_mov_b32 s5, exec_lo
	v_cmpx_lt_u32_e32 15, v0
	s_cbranch_execz .LBB195_6
; %bb.1:
                                        ; implicit-def: $vgpr1
	s_and_saveexec_b32 s4, vcc_lo
	s_delay_alu instid0(SALU_CYCLE_1)
	s_xor_b32 s4, exec_lo, s4
; %bb.2:
	v_subrev_nc_u32_e32 v1, 32, v0
; %bb.3:
	s_and_not1_saveexec_b32 s4, s4
; %bb.4:
	v_add_nc_u32_e32 v1, -16, v0
; %bb.5:
	s_or_b32 exec_lo, exec_lo, s4
.LBB195_6:
	s_delay_alu instid0(SALU_CYCLE_1)
	s_or_b32 exec_lo, exec_lo, s5
	s_clause 0x1
	s_load_b32 s12, s[0:1], 0x18
	s_load_b64 s[4:5], s[0:1], 0x0
	s_lshl_b32 s1, s14, 1
	v_cndmask_b32_e64 v4, 0, 0x1800, s3
	s_waitcnt lgkmcnt(0)
	s_ashr_i32 s13, s12, 31
	s_delay_alu instid0(SALU_CYCLE_1) | instskip(NEXT) | instid1(SALU_CYCLE_1)
	s_lshl_b64 s[16:17], s[12:13], 4
	s_add_u32 s0, s16, 16
	s_addc_u32 s20, s17, 0
	s_mul_hi_u32 s15, s0, s1
	s_mul_i32 s21, s20, s1
	s_mul_i32 s22, s0, s1
	s_add_i32 s23, s15, s21
	s_delay_alu instid0(SALU_CYCLE_1) | instskip(NEXT) | instid1(SALU_CYCLE_1)
	s_lshl_b64 s[22:23], s[22:23], 3
	s_add_u32 s15, s18, s22
	s_addc_u32 s21, s19, s23
	s_lshl_b64 s[18:19], s[10:11], 3
	s_delay_alu instid0(SALU_CYCLE_1) | instskip(SKIP_2) | instid1(SALU_CYCLE_1)
	s_add_u32 s11, s15, s18
	s_addc_u32 s15, s21, s19
	s_and_saveexec_b32 s10, vcc_lo
	s_xor_b32 s10, exec_lo, s10
	s_cbranch_execz .LBB195_13
; %bb.7:
	s_mov_b32 s18, exec_lo
	v_cmpx_gt_u32_e32 48, v0
	s_cbranch_execz .LBB195_12
; %bb.8:
	v_mov_b32_e32 v2, 0
	s_cmpk_eq_i32 s4, 0x7a
	s_mov_b32 s19, -1
	s_delay_alu instid0(VALU_DEP_1)
	v_lshlrev_b64 v[2:3], 3, v[1:2]
	s_cbranch_scc1 .LBB195_10
; %bb.9:
	s_lshl_b64 s[22:23], s[12:13], 7
	v_lshlrev_b32_e32 v37, 3, v1
	s_add_u32 s19, s11, s22
	s_addc_u32 s21, s15, s23
	v_add_co_u32 v5, vcc_lo, s19, v2
	v_add_co_ci_u32_e32 v6, vcc_lo, s21, v3, vcc_lo
	s_lshl_b64 s[22:23], s[12:13], 3
	s_mov_b32 s19, 0
	s_delay_alu instid0(VALU_DEP_1) | instskip(NEXT) | instid1(VALU_DEP_1)
	v_mad_i64_i32 v[7:8], null, 0x78, s12, v[5:6]
	v_sub_co_u32 v9, vcc_lo, v7, s22
	s_delay_alu instid0(VALU_DEP_2)
	v_subrev_co_ci_u32_e32 v10, vcc_lo, s23, v8, vcc_lo
	global_load_b64 v[7:8], v[7:8], off
	v_sub_co_u32 v11, vcc_lo, v9, s22
	v_subrev_co_ci_u32_e32 v12, vcc_lo, s23, v10, vcc_lo
	global_load_b64 v[9:10], v[9:10], off
	v_sub_co_u32 v13, vcc_lo, v11, s22
	;; [unrolled: 3-line block ×10, first 2 shown]
	v_subrev_co_ci_u32_e32 v30, vcc_lo, s23, v28, vcc_lo
	s_delay_alu instid0(VALU_DEP_2) | instskip(NEXT) | instid1(VALU_DEP_2)
	v_sub_co_u32 v31, vcc_lo, v29, s22
	v_subrev_co_ci_u32_e32 v32, vcc_lo, s23, v30, vcc_lo
	s_delay_alu instid0(VALU_DEP_2) | instskip(NEXT) | instid1(VALU_DEP_2)
	v_sub_co_u32 v33, vcc_lo, v31, s22
	;; [unrolled: 3-line block ×3, first 2 shown]
	v_subrev_co_ci_u32_e32 v36, vcc_lo, s23, v34, vcc_lo
	global_load_b64 v[27:28], v[27:28], off
	global_load_b64 v[29:30], v[29:30], off
	;; [unrolled: 1-line block ×6, first 2 shown]
	s_waitcnt vmcnt(14)
	ds_store_2addr_b64 v37, v[9:10], v[7:8] offset0:224 offset1:240
	s_waitcnt vmcnt(12)
	ds_store_2addr_b64 v37, v[13:14], v[11:12] offset0:192 offset1:208
	;; [unrolled: 2-line block ×7, first 2 shown]
	s_waitcnt vmcnt(0)
	ds_store_2addr_b64 v37, v[5:6], v[35:36] offset1:16
.LBB195_10:
	s_and_not1_b32 vcc_lo, exec_lo, s19
	s_cbranch_vccnz .LBB195_12
; %bb.11:
	s_delay_alu instid0(VALU_DEP_1) | instskip(NEXT) | instid1(VALU_DEP_2)
	v_add_co_u32 v2, vcc_lo, s11, v2
	v_add_co_ci_u32_e32 v3, vcc_lo, s15, v3, vcc_lo
	s_lshl_b64 s[22:23], s[12:13], 3
	v_lshlrev_b32_e32 v35, 3, v1
	s_delay_alu instid0(VALU_DEP_3) | instskip(NEXT) | instid1(VALU_DEP_3)
	v_add_co_u32 v5, vcc_lo, v2, s22
	v_add_co_ci_u32_e32 v6, vcc_lo, s23, v3, vcc_lo
	s_delay_alu instid0(VALU_DEP_2) | instskip(NEXT) | instid1(VALU_DEP_2)
	v_add_co_u32 v7, vcc_lo, v5, s22
	v_add_co_ci_u32_e32 v8, vcc_lo, s23, v6, vcc_lo
	s_clause 0x1
	global_load_b64 v[2:3], v[2:3], off offset:128
	global_load_b64 v[5:6], v[5:6], off offset:128
	v_add_co_u32 v9, vcc_lo, v7, s22
	v_add_co_ci_u32_e32 v10, vcc_lo, s23, v8, vcc_lo
	global_load_b64 v[7:8], v[7:8], off offset:128
	v_add_co_u32 v11, vcc_lo, v9, s22
	v_add_co_ci_u32_e32 v12, vcc_lo, s23, v10, vcc_lo
	global_load_b64 v[9:10], v[9:10], off offset:128
	v_add_co_u32 v13, vcc_lo, v11, s22
	v_add_co_ci_u32_e32 v14, vcc_lo, s23, v12, vcc_lo
	global_load_b64 v[11:12], v[11:12], off offset:128
	v_add_co_u32 v15, vcc_lo, v13, s22
	v_add_co_ci_u32_e32 v16, vcc_lo, s23, v14, vcc_lo
	global_load_b64 v[13:14], v[13:14], off offset:128
	v_add_co_u32 v17, vcc_lo, v15, s22
	v_add_co_ci_u32_e32 v18, vcc_lo, s23, v16, vcc_lo
	global_load_b64 v[15:16], v[15:16], off offset:128
	v_add_co_u32 v19, vcc_lo, v17, s22
	v_add_co_ci_u32_e32 v20, vcc_lo, s23, v18, vcc_lo
	global_load_b64 v[17:18], v[17:18], off offset:128
	v_add_co_u32 v21, vcc_lo, v19, s22
	v_add_co_ci_u32_e32 v22, vcc_lo, s23, v20, vcc_lo
	global_load_b64 v[19:20], v[19:20], off offset:128
	v_add_co_u32 v23, vcc_lo, v21, s22
	v_add_co_ci_u32_e32 v24, vcc_lo, s23, v22, vcc_lo
	global_load_b64 v[21:22], v[21:22], off offset:128
	v_add_co_u32 v25, vcc_lo, v23, s22
	v_add_co_ci_u32_e32 v26, vcc_lo, s23, v24, vcc_lo
	global_load_b64 v[23:24], v[23:24], off offset:128
	v_add_co_u32 v27, vcc_lo, v25, s22
	v_add_co_ci_u32_e32 v28, vcc_lo, s23, v26, vcc_lo
	s_delay_alu instid0(VALU_DEP_2) | instskip(NEXT) | instid1(VALU_DEP_2)
	v_add_co_u32 v29, vcc_lo, v27, s22
	v_add_co_ci_u32_e32 v30, vcc_lo, s23, v28, vcc_lo
	s_delay_alu instid0(VALU_DEP_2) | instskip(NEXT) | instid1(VALU_DEP_2)
	v_add_co_u32 v31, vcc_lo, v29, s22
	v_add_co_ci_u32_e32 v32, vcc_lo, s23, v30, vcc_lo
	;; [unrolled: 3-line block ×3, first 2 shown]
	global_load_b64 v[25:26], v[25:26], off offset:128
	global_load_b64 v[27:28], v[27:28], off offset:128
	;; [unrolled: 1-line block ×5, first 2 shown]
	s_waitcnt vmcnt(14)
	ds_store_2addr_b64 v35, v[2:3], v[5:6] offset1:16
	s_waitcnt vmcnt(12)
	ds_store_2addr_b64 v35, v[7:8], v[9:10] offset0:32 offset1:48
	s_waitcnt vmcnt(10)
	ds_store_2addr_b64 v35, v[11:12], v[13:14] offset0:64 offset1:80
	;; [unrolled: 2-line block ×7, first 2 shown]
.LBB195_12:
	s_or_b32 exec_lo, exec_lo, s18
.LBB195_13:
	s_or_saveexec_b32 s10, s10
	v_cndmask_b32_e64 v3, v4, 0x1000, s2
	s_xor_b32 exec_lo, exec_lo, s10
	s_cbranch_execz .LBB195_80
; %bb.14:
	v_cndmask_b32_e64 v5, s20, 0, s2
	v_cndmask_b32_e64 v4, s0, 0, s2
	s_cmpk_eq_i32 s4, 0x7a
	s_mov_b32 s0, -1
	s_delay_alu instid0(VALU_DEP_1)
	v_lshlrev_b64 v[4:5], 3, v[4:5]
	s_cbranch_scc1 .LBB195_48
; %bb.15:
	v_dual_mov_b32 v8, 0 :: v_dual_mov_b32 v11, 0
	v_mov_b32_e32 v10, 0
	s_delay_alu instid0(VALU_DEP_2) | instskip(NEXT) | instid1(VALU_DEP_1)
	v_mov_b32_e32 v2, v8
	v_lshlrev_b64 v[6:7], 3, v[1:2]
	v_add_co_u32 v2, vcc_lo, s11, v4
	v_add_co_ci_u32_e32 v9, vcc_lo, s15, v5, vcc_lo
	s_delay_alu instid0(VALU_DEP_2) | instskip(NEXT) | instid1(VALU_DEP_1)
	v_add_co_u32 v6, s0, v2, v6
	v_add_co_ci_u32_e64 v7, s0, v9, v7, s0
	s_mov_b32 s0, exec_lo
	v_cmpx_gt_u32_e32 16, v1
	s_cbranch_execz .LBB195_17
; %bb.16:
	s_delay_alu instid0(VALU_DEP_2)
	v_mad_i64_i32 v[9:10], null, 0x78, s12, v[6:7]
	global_load_b64 v[10:11], v[9:10], off
.LBB195_17:
	s_or_b32 exec_lo, exec_lo, s0
	v_sub_nc_u32_e32 v2, 0xffffff10, v1
	v_mov_b32_e32 v9, 0
	s_mov_b32 s0, exec_lo
	s_delay_alu instid0(VALU_DEP_2)
	v_lshl_add_u32 v2, v2, 3, v3
	s_waitcnt vmcnt(0)
	ds_store_b64 v2, v[10:11] offset:2040
	v_cmpx_gt_u32_e32 15, v1
	s_cbranch_execz .LBB195_19
; %bb.18:
	v_mad_i64_i32 v[8:9], null, 0x70, s12, v[6:7]
	global_load_b64 v[8:9], v[8:9], off
.LBB195_19:
	s_or_b32 exec_lo, exec_lo, s0
	v_sub_nc_u32_e32 v2, 0xffffff20, v1
	v_dual_mov_b32 v11, 0 :: v_dual_mov_b32 v14, 0
	v_mov_b32_e32 v13, 0
	s_mov_b32 s0, exec_lo
	s_delay_alu instid0(VALU_DEP_3)
	v_lshl_add_u32 v2, v2, 3, v3
	s_waitcnt vmcnt(0)
	ds_store_b64 v2, v[8:9] offset:2040
	v_cmpx_gt_u32_e32 14, v1
	s_cbranch_execz .LBB195_21
; %bb.20:
	v_mad_i64_i32 v[8:9], null, 0x68, s12, v[6:7]
	global_load_b64 v[13:14], v[8:9], off
.LBB195_21:
	s_or_b32 exec_lo, exec_lo, s0
	v_sub_nc_u32_e32 v2, 0xffffff30, v1
	v_mov_b32_e32 v12, 0
	s_mov_b32 s0, exec_lo
	s_delay_alu instid0(VALU_DEP_2)
	v_lshl_add_u32 v2, v2, 3, v3
	s_waitcnt vmcnt(0)
	ds_store_b64 v2, v[13:14] offset:2040
	v_cmpx_gt_u32_e32 13, v1
	s_cbranch_execz .LBB195_23
; %bb.22:
	v_mad_i64_i32 v[8:9], null, 0x60, s12, v[6:7]
	global_load_b64 v[11:12], v[8:9], off
.LBB195_23:
	s_or_b32 exec_lo, exec_lo, s0
	v_sub_nc_u32_e32 v2, 0xffffff40, v1
	v_dual_mov_b32 v10, 0 :: v_dual_mov_b32 v9, 0
	v_mov_b32_e32 v8, 0
	s_mov_b32 s0, exec_lo
	s_delay_alu instid0(VALU_DEP_3)
	v_lshl_add_u32 v2, v2, 3, v3
	s_waitcnt vmcnt(0)
	ds_store_b64 v2, v[11:12] offset:2040
	v_cmpx_gt_u32_e32 12, v1
	s_cbranch_execz .LBB195_25
; %bb.24:
	v_mad_i64_i32 v[8:9], null, 0x58, s12, v[6:7]
	global_load_b64 v[8:9], v[8:9], off
.LBB195_25:
	;; [unrolled: 29-line block ×3, first 2 shown]
	s_or_b32 exec_lo, exec_lo, s0
	v_sub_nc_u32_e32 v2, 0xffffff70, v1
	v_mov_b32_e32 v10, 0
	s_mov_b32 s0, exec_lo
	s_delay_alu instid0(VALU_DEP_2)
	v_lshl_add_u32 v2, v2, 3, v3
	s_waitcnt vmcnt(0)
	ds_store_b64 v2, v[12:13] offset:2040
	v_cmpx_gt_u32_e32 9, v1
	s_cbranch_execz .LBB195_31
; %bb.30:
	s_lshl_b64 s[18:19], s[12:13], 6
	s_delay_alu instid0(SALU_CYCLE_1)
	v_add_co_u32 v8, vcc_lo, v6, s18
	v_add_co_ci_u32_e32 v9, vcc_lo, s19, v7, vcc_lo
	global_load_b64 v[9:10], v[8:9], off
.LBB195_31:
	s_or_b32 exec_lo, exec_lo, s0
	v_sub_nc_u32_e32 v2, 0xffffff80, v1
	v_dual_mov_b32 v8, 0 :: v_dual_mov_b32 v11, 0
	v_mov_b32_e32 v12, 0
	s_mov_b32 s0, exec_lo
	s_delay_alu instid0(VALU_DEP_3)
	v_lshl_add_u32 v2, v2, 3, v3
	s_waitcnt vmcnt(0)
	ds_store_b64 v2, v[9:10] offset:2040
	v_cmpx_gt_u32_e32 8, v1
	s_cbranch_execz .LBB195_33
; %bb.32:
	v_mad_i64_i32 v[9:10], null, s12, 56, v[6:7]
	global_load_b64 v[11:12], v[9:10], off
.LBB195_33:
	s_or_b32 exec_lo, exec_lo, s0
	v_sub_nc_u32_e32 v2, 0xffffff90, v1
	v_mov_b32_e32 v9, 0
	s_mov_b32 s0, exec_lo
	s_delay_alu instid0(VALU_DEP_2)
	v_lshl_add_u32 v2, v2, 3, v3
	s_waitcnt vmcnt(0)
	ds_store_b64 v2, v[11:12] offset:2040
	v_cmpx_gt_u32_e32 7, v1
	s_cbranch_execz .LBB195_35
; %bb.34:
	v_mad_i64_i32 v[8:9], null, s12, 48, v[6:7]
	global_load_b64 v[8:9], v[8:9], off
.LBB195_35:
	s_or_b32 exec_lo, exec_lo, s0
	v_sub_nc_u32_e32 v2, 0xffffffa0, v1
	v_dual_mov_b32 v10, 0 :: v_dual_mov_b32 v13, 0
	v_mov_b32_e32 v12, 0
	s_mov_b32 s0, exec_lo
	s_delay_alu instid0(VALU_DEP_3)
	v_lshl_add_u32 v2, v2, 3, v3
	s_waitcnt vmcnt(0)
	ds_store_b64 v2, v[8:9] offset:2040
	v_cmpx_gt_u32_e32 6, v1
	s_cbranch_execz .LBB195_37
; %bb.36:
	v_mad_i64_i32 v[8:9], null, s12, 40, v[6:7]
	global_load_b64 v[12:13], v[8:9], off
.LBB195_37:
	s_or_b32 exec_lo, exec_lo, s0
	v_sub_nc_u32_e32 v2, 0xffffffb0, v1
	v_mov_b32_e32 v11, 0
	s_mov_b32 s0, exec_lo
	s_delay_alu instid0(VALU_DEP_2)
	v_lshl_add_u32 v2, v2, 3, v3
	s_waitcnt vmcnt(0)
	ds_store_b64 v2, v[12:13] offset:2040
	v_cmpx_gt_u32_e32 5, v1
	s_cbranch_execz .LBB195_39
; %bb.38:
	s_lshl_b64 s[18:19], s[12:13], 5
	s_delay_alu instid0(SALU_CYCLE_1)
	v_add_co_u32 v8, vcc_lo, v6, s18
	v_add_co_ci_u32_e32 v9, vcc_lo, s19, v7, vcc_lo
	global_load_b64 v[10:11], v[8:9], off
.LBB195_39:
	s_or_b32 exec_lo, exec_lo, s0
	v_sub_nc_u32_e32 v2, 0xffffffc0, v1
	v_dual_mov_b32 v9, 0 :: v_dual_mov_b32 v12, 0
	v_mov_b32_e32 v13, 0
	s_mov_b32 s0, exec_lo
	s_delay_alu instid0(VALU_DEP_3)
	v_lshl_add_u32 v2, v2, 3, v3
	s_waitcnt vmcnt(0)
	ds_store_b64 v2, v[10:11] offset:2040
	v_cmpx_gt_u32_e32 4, v1
	s_cbranch_execz .LBB195_41
; %bb.40:
	v_mad_i64_i32 v[10:11], null, s12, 24, v[6:7]
	global_load_b64 v[12:13], v[10:11], off
.LBB195_41:
	s_or_b32 exec_lo, exec_lo, s0
	v_sub_nc_u32_e32 v2, 0xffffffd0, v1
	v_mov_b32_e32 v10, 0
	s_mov_b32 s0, exec_lo
	s_delay_alu instid0(VALU_DEP_2)
	v_lshl_add_u32 v2, v2, 3, v3
	s_waitcnt vmcnt(0)
	ds_store_b64 v2, v[12:13] offset:2040
	v_cmpx_gt_u32_e32 3, v1
	s_cbranch_execz .LBB195_43
; %bb.42:
	v_add_co_u32 v8, vcc_lo, v6, s16
	v_add_co_ci_u32_e32 v9, vcc_lo, s17, v7, vcc_lo
	global_load_b64 v[9:10], v[8:9], off
.LBB195_43:
	s_or_b32 exec_lo, exec_lo, s0
	v_sub_nc_u32_e32 v2, 0xffffffe0, v1
	v_dual_mov_b32 v8, 0 :: v_dual_mov_b32 v11, 0
	v_mov_b32_e32 v12, 0
	s_mov_b32 s0, exec_lo
	s_delay_alu instid0(VALU_DEP_3)
	v_lshl_add_u32 v2, v2, 3, v3
	s_waitcnt vmcnt(0)
	ds_store_b64 v2, v[9:10] offset:2040
	v_cmpx_gt_u32_e32 2, v1
	s_cbranch_execz .LBB195_45
; %bb.44:
	s_lshl_b64 s[18:19], s[12:13], 3
	s_delay_alu instid0(SALU_CYCLE_1)
	v_add_co_u32 v9, vcc_lo, v6, s18
	v_add_co_ci_u32_e32 v10, vcc_lo, s19, v7, vcc_lo
	global_load_b64 v[11:12], v[9:10], off
.LBB195_45:
	s_or_b32 exec_lo, exec_lo, s0
	v_sub_nc_u32_e32 v2, -16, v1
	v_mov_b32_e32 v9, 0
	s_mov_b32 s0, 0
	s_mov_b32 s18, exec_lo
	s_delay_alu instid0(VALU_DEP_2)
	v_lshl_add_u32 v2, v2, 3, v3
	s_waitcnt vmcnt(0)
	ds_store_b64 v2, v[11:12] offset:2040
	v_cmpx_eq_u32_e32 0, v1
	s_cbranch_execz .LBB195_47
; %bb.46:
	global_load_b64 v[8:9], v[6:7], off
.LBB195_47:
	s_or_b32 exec_lo, exec_lo, s18
	v_lshlrev_b32_e32 v2, 3, v1
	s_delay_alu instid0(VALU_DEP_1)
	v_sub_nc_u32_e32 v2, v3, v2
	s_waitcnt vmcnt(0)
	ds_store_b64 v2, v[8:9] offset:2040
.LBB195_48:
	s_and_b32 vcc_lo, exec_lo, s0
	s_cbranch_vccz .LBB195_80
; %bb.49:
	v_dual_mov_b32 v6, 0 :: v_dual_mov_b32 v9, 0
	s_mov_b32 s0, exec_lo
	s_delay_alu instid0(VALU_DEP_1) | instskip(NEXT) | instid1(VALU_DEP_1)
	v_mov_b32_e32 v2, v6
	v_lshlrev_b64 v[7:8], 3, v[1:2]
	v_add_co_u32 v2, vcc_lo, s11, v4
	v_add_co_ci_u32_e32 v5, vcc_lo, s15, v5, vcc_lo
	s_delay_alu instid0(VALU_DEP_2) | instskip(NEXT) | instid1(VALU_DEP_2)
	v_add_co_u32 v4, vcc_lo, v2, v7
	v_add_co_ci_u32_e32 v5, vcc_lo, v5, v8, vcc_lo
	v_lshl_add_u32 v2, v1, 3, v3
	v_mov_b32_e32 v8, 0
	global_load_b64 v[10:11], v[4:5], off
	s_waitcnt vmcnt(0)
	ds_store_b64 v2, v[10:11]
	v_cmpx_ne_u32_e32 0, v1
	s_cbranch_execz .LBB195_51
; %bb.50:
	s_lshl_b64 s[18:19], s[12:13], 3
	s_delay_alu instid0(SALU_CYCLE_1)
	v_add_co_u32 v7, vcc_lo, v4, s18
	v_add_co_ci_u32_e32 v8, vcc_lo, s19, v5, vcc_lo
	global_load_b64 v[8:9], v[7:8], off
.LBB195_51:
	s_or_b32 exec_lo, exec_lo, s0
	v_mov_b32_e32 v7, 0
	s_mov_b32 s0, exec_lo
	s_waitcnt vmcnt(0)
	ds_store_b64 v2, v[8:9] offset:128
	v_cmpx_lt_u32_e32 1, v1
	s_cbranch_execz .LBB195_53
; %bb.52:
	v_add_co_u32 v6, vcc_lo, v4, s16
	v_add_co_ci_u32_e32 v7, vcc_lo, s17, v5, vcc_lo
	global_load_b64 v[6:7], v[6:7], off
.LBB195_53:
	s_or_b32 exec_lo, exec_lo, s0
	v_dual_mov_b32 v8, 0 :: v_dual_mov_b32 v11, 0
	v_mov_b32_e32 v10, 0
	s_mov_b32 s0, exec_lo
	s_waitcnt vmcnt(0)
	ds_store_b64 v2, v[6:7] offset:256
	v_cmpx_lt_u32_e32 2, v1
	s_cbranch_execz .LBB195_55
; %bb.54:
	v_mad_i64_i32 v[6:7], null, s12, 24, v[4:5]
	global_load_b64 v[10:11], v[6:7], off
.LBB195_55:
	s_or_b32 exec_lo, exec_lo, s0
	v_mov_b32_e32 v9, 0
	s_mov_b32 s0, exec_lo
	s_waitcnt vmcnt(0)
	ds_store_b64 v2, v[10:11] offset:384
	v_cmpx_lt_u32_e32 3, v1
	s_cbranch_execz .LBB195_57
; %bb.56:
	s_lshl_b64 s[16:17], s[12:13], 5
	s_delay_alu instid0(SALU_CYCLE_1)
	v_add_co_u32 v6, vcc_lo, v4, s16
	v_add_co_ci_u32_e32 v7, vcc_lo, s17, v5, vcc_lo
	global_load_b64 v[8:9], v[6:7], off
.LBB195_57:
	s_or_b32 exec_lo, exec_lo, s0
	v_dual_mov_b32 v7, 0 :: v_dual_mov_b32 v10, 0
	v_mov_b32_e32 v11, 0
	s_mov_b32 s0, exec_lo
	s_waitcnt vmcnt(0)
	ds_store_b64 v2, v[8:9] offset:512
	v_cmpx_lt_u32_e32 4, v1
	s_cbranch_execz .LBB195_59
; %bb.58:
	v_mad_i64_i32 v[8:9], null, s12, 40, v[4:5]
	global_load_b64 v[10:11], v[8:9], off
.LBB195_59:
	s_or_b32 exec_lo, exec_lo, s0
	v_mov_b32_e32 v8, 0
	s_mov_b32 s0, exec_lo
	s_waitcnt vmcnt(0)
	ds_store_b64 v2, v[10:11] offset:640
	v_cmpx_lt_u32_e32 5, v1
	s_cbranch_execz .LBB195_61
; %bb.60:
	v_mad_i64_i32 v[6:7], null, s12, 48, v[4:5]
	global_load_b64 v[7:8], v[6:7], off
.LBB195_61:
	s_or_b32 exec_lo, exec_lo, s0
	v_dual_mov_b32 v6, 0 :: v_dual_mov_b32 v9, 0
	v_mov_b32_e32 v10, 0
	s_mov_b32 s0, exec_lo
	s_waitcnt vmcnt(0)
	ds_store_b64 v2, v[7:8] offset:768
	v_cmpx_lt_u32_e32 6, v1
	s_cbranch_execz .LBB195_63
; %bb.62:
	v_mad_i64_i32 v[7:8], null, s12, 56, v[4:5]
	global_load_b64 v[9:10], v[7:8], off
.LBB195_63:
	s_or_b32 exec_lo, exec_lo, s0
	v_mov_b32_e32 v7, 0
	s_mov_b32 s0, exec_lo
	s_waitcnt vmcnt(0)
	ds_store_b64 v2, v[9:10] offset:896
	v_cmpx_lt_u32_e32 7, v1
	s_cbranch_execz .LBB195_65
; %bb.64:
	s_lshl_b64 s[16:17], s[12:13], 6
	s_delay_alu instid0(SALU_CYCLE_1)
	v_add_co_u32 v6, vcc_lo, v4, s16
	v_add_co_ci_u32_e32 v7, vcc_lo, s17, v5, vcc_lo
	global_load_b64 v[6:7], v[6:7], off
.LBB195_65:
	s_or_b32 exec_lo, exec_lo, s0
	v_dual_mov_b32 v8, 0 :: v_dual_mov_b32 v11, 0
	v_mov_b32_e32 v10, 0
	s_mov_b32 s0, exec_lo
	s_waitcnt vmcnt(0)
	ds_store_b64 v2, v[6:7] offset:1024
	v_cmpx_lt_u32_e32 8, v1
	s_cbranch_execz .LBB195_67
; %bb.66:
	v_mad_i64_i32 v[6:7], null, 0x48, s12, v[4:5]
	global_load_b64 v[10:11], v[6:7], off
.LBB195_67:
	s_or_b32 exec_lo, exec_lo, s0
	v_mov_b32_e32 v9, 0
	s_mov_b32 s0, exec_lo
	s_waitcnt vmcnt(0)
	ds_store_b64 v2, v[10:11] offset:1152
	v_cmpx_lt_u32_e32 9, v1
	s_cbranch_execz .LBB195_69
; %bb.68:
	v_mad_i64_i32 v[6:7], null, 0x50, s12, v[4:5]
	global_load_b64 v[8:9], v[6:7], off
.LBB195_69:
	s_or_b32 exec_lo, exec_lo, s0
	v_dual_mov_b32 v7, 0 :: v_dual_mov_b32 v10, 0
	v_mov_b32_e32 v11, 0
	s_mov_b32 s0, exec_lo
	s_waitcnt vmcnt(0)
	ds_store_b64 v2, v[8:9] offset:1280
	v_cmpx_lt_u32_e32 10, v1
	s_cbranch_execz .LBB195_71
; %bb.70:
	v_mad_i64_i32 v[8:9], null, 0x58, s12, v[4:5]
	global_load_b64 v[10:11], v[8:9], off
.LBB195_71:
	s_or_b32 exec_lo, exec_lo, s0
	v_mov_b32_e32 v8, 0
	s_mov_b32 s0, exec_lo
	s_waitcnt vmcnt(0)
	ds_store_b64 v2, v[10:11] offset:1408
	v_cmpx_lt_u32_e32 11, v1
	s_cbranch_execz .LBB195_73
; %bb.72:
	v_mad_i64_i32 v[6:7], null, 0x60, s12, v[4:5]
	global_load_b64 v[7:8], v[6:7], off
.LBB195_73:
	;; [unrolled: 23-line block ×3, first 2 shown]
	s_or_b32 exec_lo, exec_lo, s0
	v_dual_mov_b32 v8, 0 :: v_dual_mov_b32 v9, 0
	s_mov_b32 s0, exec_lo
	s_waitcnt vmcnt(0)
	ds_store_b64 v2, v[6:7] offset:1792
	v_cmpx_lt_u32_e32 14, v1
	s_cbranch_execz .LBB195_79
; %bb.78:
	v_mad_i64_i32 v[6:7], null, 0x78, s12, v[4:5]
	global_load_b64 v[8:9], v[6:7], off
.LBB195_79:
	s_or_b32 exec_lo, exec_lo, s0
	s_waitcnt vmcnt(0)
	ds_store_b64 v2, v[8:9] offset:1920
.LBB195_80:
	s_or_b32 exec_lo, exec_lo, s10
	v_mul_i32_i24_e32 v2, 0x88, v1
	s_waitcnt lgkmcnt(0)
	s_barrier
	buffer_gl0_inv
	s_and_saveexec_b32 s10, s3
	s_cbranch_execz .LBB195_93
; %bb.81:
	v_add_nc_u32_e32 v8, v3, v2
	s_cmpk_lg_i32 s5, 0x84
	s_mov_b32 s0, -1
	s_cbranch_scc0 .LBB195_91
; %bb.82:
	ds_load_b64 v[4:5], v8
	s_waitcnt lgkmcnt(0)
	v_cmp_neq_f32_e32 vcc_lo, 0, v4
	v_cmp_neq_f32_e64 s0, 0, v5
	s_delay_alu instid0(VALU_DEP_1) | instskip(NEXT) | instid1(SALU_CYCLE_1)
	s_or_b32 s0, vcc_lo, s0
	s_and_saveexec_b32 s5, s0
	s_delay_alu instid0(SALU_CYCLE_1)
	s_xor_b32 s0, exec_lo, s5
	s_cbranch_execz .LBB195_88
; %bb.83:
	v_cmp_gt_f32_e32 vcc_lo, 0, v4
	v_cndmask_b32_e64 v6, v4, -v4, vcc_lo
	v_cmp_gt_f32_e32 vcc_lo, 0, v5
	v_cndmask_b32_e64 v7, v5, -v5, vcc_lo
	s_delay_alu instid0(VALU_DEP_1) | instskip(SKIP_1) | instid1(SALU_CYCLE_1)
	v_cmp_ngt_f32_e32 vcc_lo, v6, v7
                                        ; implicit-def: $vgpr6
	s_and_saveexec_b32 s5, vcc_lo
	s_xor_b32 s5, exec_lo, s5
	s_cbranch_execz .LBB195_85
; %bb.84:
	v_div_scale_f32 v6, null, v5, v5, v4
	v_div_scale_f32 v10, vcc_lo, v4, v5, v4
	s_delay_alu instid0(VALU_DEP_2) | instskip(SKIP_2) | instid1(VALU_DEP_1)
	v_rcp_f32_e32 v7, v6
	s_waitcnt_depctr 0xfff
	v_fma_f32 v9, -v6, v7, 1.0
	v_fmac_f32_e32 v7, v9, v7
	s_delay_alu instid0(VALU_DEP_1) | instskip(NEXT) | instid1(VALU_DEP_1)
	v_mul_f32_e32 v9, v10, v7
	v_fma_f32 v11, -v6, v9, v10
	s_delay_alu instid0(VALU_DEP_1) | instskip(NEXT) | instid1(VALU_DEP_1)
	v_fmac_f32_e32 v9, v11, v7
	v_fma_f32 v6, -v6, v9, v10
	s_delay_alu instid0(VALU_DEP_1) | instskip(NEXT) | instid1(VALU_DEP_1)
	v_div_fmas_f32 v6, v6, v7, v9
	v_div_fixup_f32 v6, v6, v5, v4
	s_delay_alu instid0(VALU_DEP_1) | instskip(NEXT) | instid1(VALU_DEP_1)
	v_fmac_f32_e32 v5, v4, v6
	v_div_scale_f32 v4, null, v5, v5, 1.0
	v_div_scale_f32 v10, vcc_lo, 1.0, v5, 1.0
	s_delay_alu instid0(VALU_DEP_2) | instskip(SKIP_2) | instid1(VALU_DEP_1)
	v_rcp_f32_e32 v7, v4
	s_waitcnt_depctr 0xfff
	v_fma_f32 v9, -v4, v7, 1.0
	v_fmac_f32_e32 v7, v9, v7
	s_delay_alu instid0(VALU_DEP_1) | instskip(NEXT) | instid1(VALU_DEP_1)
	v_mul_f32_e32 v9, v10, v7
	v_fma_f32 v11, -v4, v9, v10
	s_delay_alu instid0(VALU_DEP_1) | instskip(NEXT) | instid1(VALU_DEP_1)
	v_fmac_f32_e32 v9, v11, v7
	v_fma_f32 v4, -v4, v9, v10
	s_delay_alu instid0(VALU_DEP_1) | instskip(NEXT) | instid1(VALU_DEP_1)
	v_div_fmas_f32 v4, v4, v7, v9
	v_div_fixup_f32 v4, v4, v5, 1.0
	s_delay_alu instid0(VALU_DEP_1)
	v_mul_f32_e32 v6, v6, v4
	v_xor_b32_e32 v7, 0x80000000, v4
                                        ; implicit-def: $vgpr4_vgpr5
.LBB195_85:
	s_and_not1_saveexec_b32 s5, s5
	s_cbranch_execz .LBB195_87
; %bb.86:
	v_div_scale_f32 v6, null, v4, v4, v5
	v_div_scale_f32 v10, vcc_lo, v5, v4, v5
	s_delay_alu instid0(VALU_DEP_2) | instskip(SKIP_2) | instid1(VALU_DEP_1)
	v_rcp_f32_e32 v7, v6
	s_waitcnt_depctr 0xfff
	v_fma_f32 v9, -v6, v7, 1.0
	v_fmac_f32_e32 v7, v9, v7
	s_delay_alu instid0(VALU_DEP_1) | instskip(NEXT) | instid1(VALU_DEP_1)
	v_mul_f32_e32 v9, v10, v7
	v_fma_f32 v11, -v6, v9, v10
	s_delay_alu instid0(VALU_DEP_1) | instskip(NEXT) | instid1(VALU_DEP_1)
	v_fmac_f32_e32 v9, v11, v7
	v_fma_f32 v6, -v6, v9, v10
	s_delay_alu instid0(VALU_DEP_1) | instskip(NEXT) | instid1(VALU_DEP_1)
	v_div_fmas_f32 v6, v6, v7, v9
	v_div_fixup_f32 v7, v6, v4, v5
	s_delay_alu instid0(VALU_DEP_1) | instskip(NEXT) | instid1(VALU_DEP_1)
	v_fmac_f32_e32 v4, v5, v7
	v_div_scale_f32 v5, null, v4, v4, 1.0
	s_delay_alu instid0(VALU_DEP_1) | instskip(SKIP_2) | instid1(VALU_DEP_1)
	v_rcp_f32_e32 v6, v5
	s_waitcnt_depctr 0xfff
	v_fma_f32 v9, -v5, v6, 1.0
	v_fmac_f32_e32 v6, v9, v6
	v_div_scale_f32 v9, vcc_lo, 1.0, v4, 1.0
	s_delay_alu instid0(VALU_DEP_1) | instskip(NEXT) | instid1(VALU_DEP_1)
	v_mul_f32_e32 v10, v9, v6
	v_fma_f32 v11, -v5, v10, v9
	s_delay_alu instid0(VALU_DEP_1) | instskip(NEXT) | instid1(VALU_DEP_1)
	v_fmac_f32_e32 v10, v11, v6
	v_fma_f32 v5, -v5, v10, v9
	s_delay_alu instid0(VALU_DEP_1) | instskip(NEXT) | instid1(VALU_DEP_1)
	v_div_fmas_f32 v5, v5, v6, v10
	v_div_fixup_f32 v6, v5, v4, 1.0
	s_delay_alu instid0(VALU_DEP_1)
	v_mul_f32_e64 v7, v7, -v6
.LBB195_87:
	s_or_b32 exec_lo, exec_lo, s5
	ds_store_b64 v8, v[6:7]
.LBB195_88:
	s_and_not1_saveexec_b32 s0, s0
	s_cbranch_execz .LBB195_90
; %bb.89:
	v_dual_mov_b32 v4, 1.0 :: v_dual_mov_b32 v5, 0
	ds_store_b64 v8, v[4:5]
.LBB195_90:
	s_or_b32 exec_lo, exec_lo, s0
	s_mov_b32 s0, 0
.LBB195_91:
	s_delay_alu instid0(SALU_CYCLE_1)
	s_and_not1_b32 vcc_lo, exec_lo, s0
	s_cbranch_vccnz .LBB195_93
; %bb.92:
	v_dual_mov_b32 v4, 1.0 :: v_dual_mov_b32 v5, 0
	ds_store_b64 v8, v[4:5]
.LBB195_93:
	s_or_b32 exec_lo, exec_lo, s10
	s_waitcnt lgkmcnt(0)
	s_barrier
	buffer_gl0_inv
	s_and_saveexec_b32 s0, s3
	s_cbranch_execz .LBB195_105
; %bb.94:
	v_lshl_add_u32 v4, v1, 3, v3
	v_add_nc_u32_e32 v5, 8, v3
	v_add_nc_u32_e32 v2, v3, v2
	s_mov_b32 s5, 0
	s_delay_alu instid0(VALU_DEP_3)
	v_add_nc_u32_e32 v6, 0x80, v4
	s_branch .LBB195_96
.LBB195_95:                             ;   in Loop: Header=BB195_96 Depth=1
	s_set_inst_prefetch_distance 0x2
	v_add_nc_u32_e32 v5, 0x88, v5
	v_add_nc_u32_e32 v6, 0x80, v6
	s_cmp_eq_u32 s5, 16
	s_cbranch_scc1 .LBB195_105
.LBB195_96:                             ; =>This Loop Header: Depth=1
                                        ;     Child Loop BB195_101 Depth 2
	v_dual_mov_b32 v7, 0 :: v_dual_mov_b32 v8, 0
	s_mov_b32 s10, s5
	s_mov_b32 s5, exec_lo
	v_cmpx_lt_i32_e64 s10, v1
	s_cbranch_execz .LBB195_98
; %bb.97:                               ;   in Loop: Header=BB195_96 Depth=1
	v_mad_u64_u32 v[7:8], null, 0x88, s10, v[3:4]
	v_lshl_add_u32 v8, s10, 7, v4
	ds_load_b64 v[8:9], v8
	ds_load_b64 v[10:11], v7
	s_waitcnt lgkmcnt(0)
	v_mul_f32_e32 v7, v11, v9
	v_mul_f32_e32 v9, v10, v9
	s_delay_alu instid0(VALU_DEP_2) | instskip(NEXT) | instid1(VALU_DEP_2)
	v_fma_f32 v7, v10, v8, -v7
	v_fmac_f32_e32 v9, v11, v8
	s_delay_alu instid0(VALU_DEP_1)
	v_dual_add_f32 v7, 0, v7 :: v_dual_add_f32 v8, 0, v9
.LBB195_98:                             ;   in Loop: Header=BB195_96 Depth=1
	s_or_b32 exec_lo, exec_lo, s5
	s_add_i32 s5, s10, 1
	s_cmp_gt_u32 s10, 14
	s_cbranch_scc1 .LBB195_95
; %bb.99:                               ;   in Loop: Header=BB195_96 Depth=1
	s_lshl_b32 s10, s10, 7
	s_delay_alu instid0(SALU_CYCLE_1)
	v_dual_mov_b32 v9, v6 :: v_dual_add_nc_u32 v10, s10, v4
	v_mov_b32_e32 v11, v5
	s_mov_b32 s10, s5
	s_set_inst_prefetch_distance 0x1
	s_branch .LBB195_101
	.p2align	6
.LBB195_100:                            ;   in Loop: Header=BB195_101 Depth=2
	s_or_b32 exec_lo, exec_lo, s11
	v_add_nc_u32_e32 v11, 8, v11
	v_add_nc_u32_e32 v9, 0x80, v9
	s_add_i32 s11, s10, 1
	s_cmp_gt_u32 s10, 14
	s_mov_b32 s10, s11
	s_cbranch_scc1 .LBB195_95
.LBB195_101:                            ;   Parent Loop BB195_96 Depth=1
                                        ; =>  This Inner Loop Header: Depth=2
	s_mov_b32 s11, exec_lo
	v_cmpx_eq_u32_e64 s10, v1
	s_cbranch_execz .LBB195_103
; %bb.102:                              ;   in Loop: Header=BB195_101 Depth=2
	ds_load_b64 v[12:13], v2
	s_waitcnt lgkmcnt(0)
	v_dual_sub_f32 v15, 0, v7 :: v_dual_mul_f32 v14, v8, v13
	v_mul_f32_e32 v16, v8, v12
	s_delay_alu instid0(VALU_DEP_2) | instskip(NEXT) | instid1(VALU_DEP_2)
	v_fmac_f32_e32 v14, v15, v12
	v_fma_f32 v15, -v7, v13, -v16
	ds_store_b64 v10, v[14:15]
.LBB195_103:                            ;   in Loop: Header=BB195_101 Depth=2
	s_or_b32 exec_lo, exec_lo, s11
	s_delay_alu instid0(SALU_CYCLE_1)
	s_mov_b32 s11, exec_lo
	v_cmpx_lt_i32_e64 s10, v1
	s_cbranch_execz .LBB195_100
; %bb.104:                              ;   in Loop: Header=BB195_101 Depth=2
	ds_load_b64 v[12:13], v9
	ds_load_b64 v[14:15], v11
	s_waitcnt lgkmcnt(0)
	v_mul_f32_e32 v16, v15, v13
	v_mul_f32_e32 v13, v14, v13
	s_delay_alu instid0(VALU_DEP_2) | instskip(NEXT) | instid1(VALU_DEP_2)
	v_fma_f32 v14, v14, v12, -v16
	v_fmac_f32_e32 v13, v15, v12
	s_delay_alu instid0(VALU_DEP_1)
	v_dual_add_f32 v7, v7, v14 :: v_dual_add_f32 v8, v8, v13
	s_branch .LBB195_100
.LBB195_105:
	s_or_b32 exec_lo, exec_lo, s0
	s_cmpk_lg_i32 s4, 0x7a
	v_and_b32_e32 v2, 15, v0
	v_lshrrev_b32_e32 v6, 4, v0
	v_cmp_gt_u32_e64 s0, 0x100, v0
	s_cselect_b32 s10, -1, 0
	s_waitcnt lgkmcnt(0)
	s_and_b32 vcc_lo, exec_lo, s10
	s_barrier
	buffer_gl0_inv
	s_cbranch_vccz .LBB195_116
; %bb.106:
	s_mov_b32 s4, 0
	s_mov_b32 s11, 0
                                        ; implicit-def: $vgpr5
	s_and_saveexec_b32 s5, s0
	s_cbranch_execz .LBB195_117
; %bb.107:
	v_dual_mov_b32 v4, 0 :: v_dual_and_b32 v5, 0xf0, v0
	v_add_nc_u32_e32 v9, 1, v6
	v_mov_b32_e32 v7, 0
	s_mov_b32 s11, exec_lo
	s_delay_alu instid0(VALU_DEP_3)
	v_xor_b32_e32 v8, 0xff, v5
	v_mov_b32_e32 v5, 0
	v_cmpx_lt_u32_e32 0x6f, v0
	s_cbranch_execz .LBB195_111
; %bb.108:
	v_dual_mov_b32 v4, 0 :: v_dual_and_b32 v7, 24, v9
	v_dual_mov_b32 v5, 0 :: v_dual_lshlrev_b32 v10, 3, v2
	v_lshl_add_u32 v11, v8, 3, 0x17c8
	s_mov_b32 s12, 0
	s_mov_b32 s13, 0
.LBB195_109:                            ; =>This Inner Loop Header: Depth=1
	ds_load_2addr_b64 v[12:15], v10 offset1:16
	ds_load_b128 v[16:19], v11 offset:48
	ds_load_b128 v[20:23], v11 offset:32
	ds_load_2addr_b64 v[24:27], v10 offset0:32 offset1:48
	ds_load_b128 v[28:31], v11 offset:16
	ds_load_2addr_b64 v[32:35], v10 offset0:64 offset1:80
	ds_load_b128 v[36:39], v11
	ds_load_2addr_b64 v[40:43], v10 offset0:96 offset1:112
	s_add_i32 s13, s13, 8
	v_subrev_nc_u32_e32 v11, 64, v11
	v_cmp_eq_u32_e32 vcc_lo, s13, v7
	v_add_nc_u32_e32 v10, 0x400, v10
	s_or_b32 s12, vcc_lo, s12
	s_waitcnt lgkmcnt(6)
	v_dual_mul_f32 v44, v19, v13 :: v_dual_mul_f32 v45, v17, v15
	v_mul_f32_e32 v13, v18, v13
	s_waitcnt lgkmcnt(4)
	v_dual_mul_f32 v15, v16, v15 :: v_dual_mul_f32 v46, v23, v25
	s_delay_alu instid0(VALU_DEP_3)
	v_fma_f32 v18, v18, v12, -v44
	v_mul_f32_e32 v25, v22, v25
	s_waitcnt lgkmcnt(2)
	v_dual_mul_f32 v47, v21, v27 :: v_dual_mul_f32 v48, v31, v33
	v_fma_f32 v16, v16, v14, -v45
	v_dual_add_f32 v4, v4, v18 :: v_dual_mul_f32 v33, v30, v33
	v_mul_f32_e32 v27, v20, v27
	v_fmac_f32_e32 v25, v23, v24
	s_delay_alu instid0(VALU_DEP_3)
	v_add_f32_e32 v4, v4, v16
	v_fma_f32 v16, v20, v26, -v47
	v_fmac_f32_e32 v15, v17, v14
	v_fma_f32 v14, v22, v24, -v46
	v_dual_fmac_f32 v13, v19, v12 :: v_dual_mul_f32 v12, v29, v35
	v_fma_f32 v17, v30, v32, -v48
	s_delay_alu instid0(VALU_DEP_3)
	v_dual_fmac_f32 v33, v31, v32 :: v_dual_add_f32 v4, v4, v14
	s_waitcnt lgkmcnt(0)
	v_mul_f32_e32 v14, v38, v41
	v_add_f32_e32 v5, v5, v13
	v_fma_f32 v12, v28, v34, -v12
	v_mul_f32_e32 v13, v28, v35
	v_add_f32_e32 v4, v4, v16
	s_delay_alu instid0(VALU_DEP_4) | instskip(SKIP_1) | instid1(VALU_DEP_3)
	v_dual_fmac_f32 v14, v39, v40 :: v_dual_add_f32 v5, v5, v15
	v_mul_f32_e32 v16, v37, v43
	v_dual_fmac_f32 v13, v29, v34 :: v_dual_add_f32 v4, v4, v17
	v_mul_f32_e32 v15, v39, v41
	v_mul_f32_e32 v17, v36, v43
	s_delay_alu instid0(VALU_DEP_3) | instskip(NEXT) | instid1(VALU_DEP_3)
	v_add_f32_e32 v4, v4, v12
	v_fma_f32 v15, v38, v40, -v15
	v_fmac_f32_e32 v27, v21, v26
	v_fma_f32 v12, v36, v42, -v16
	s_delay_alu instid0(VALU_DEP_3) | instskip(NEXT) | instid1(VALU_DEP_1)
	v_dual_fmac_f32 v17, v37, v42 :: v_dual_add_f32 v4, v4, v15
	v_dual_add_f32 v5, v5, v25 :: v_dual_add_f32 v4, v4, v12
	s_delay_alu instid0(VALU_DEP_1) | instskip(NEXT) | instid1(VALU_DEP_1)
	v_add_f32_e32 v5, v5, v27
	v_add_f32_e32 v5, v5, v33
	s_delay_alu instid0(VALU_DEP_1) | instskip(NEXT) | instid1(VALU_DEP_1)
	v_add_f32_e32 v5, v5, v13
	v_add_f32_e32 v5, v5, v14
	s_delay_alu instid0(VALU_DEP_1)
	v_add_f32_e32 v5, v5, v17
	s_and_not1_b32 exec_lo, exec_lo, s12
	s_cbranch_execnz .LBB195_109
; %bb.110:
	s_or_b32 exec_lo, exec_lo, s12
.LBB195_111:
	s_delay_alu instid0(SALU_CYCLE_1) | instskip(SKIP_3) | instid1(VALU_DEP_1)
	s_or_b32 exec_lo, exec_lo, s11
	v_and_b32_e32 v9, 7, v9
	s_mov_b32 s12, 0
	s_mov_b32 s11, exec_lo
	v_cmpx_ne_u32_e32 0, v9
	s_cbranch_execz .LBB195_115
; %bb.112:
	v_lshlrev_b32_e32 v8, 3, v8
	v_lshlrev_b32_e32 v10, 3, v7
	s_delay_alu instid0(VALU_DEP_1) | instskip(SKIP_1) | instid1(VALU_DEP_2)
	v_sub_nc_u32_e32 v8, v8, v10
	v_lshlrev_b32_e32 v10, 3, v2
	v_add_nc_u32_e32 v8, 0x1800, v8
	s_delay_alu instid0(VALU_DEP_2)
	v_lshl_or_b32 v7, v7, 7, v10
	.p2align	6
.LBB195_113:                            ; =>This Inner Loop Header: Depth=1
	ds_load_b64 v[10:11], v7
	ds_load_b64 v[12:13], v8
	v_add_nc_u32_e32 v7, 0x80, v7
	v_add_nc_u32_e32 v9, -1, v9
	v_add_nc_u32_e32 v8, -8, v8
	s_delay_alu instid0(VALU_DEP_2) | instskip(SKIP_4) | instid1(VALU_DEP_2)
	v_cmp_eq_u32_e32 vcc_lo, 0, v9
	s_or_b32 s12, vcc_lo, s12
	s_waitcnt lgkmcnt(0)
	v_mul_f32_e32 v14, v13, v11
	v_mul_f32_e32 v11, v12, v11
	v_fma_f32 v12, v12, v10, -v14
	s_delay_alu instid0(VALU_DEP_1) | instskip(NEXT) | instid1(VALU_DEP_1)
	v_dual_fmac_f32 v11, v13, v10 :: v_dual_add_f32 v4, v4, v12
	v_add_f32_e32 v5, v5, v11
	s_and_not1_b32 exec_lo, exec_lo, s12
	s_cbranch_execnz .LBB195_113
; %bb.114:
	s_or_b32 exec_lo, exec_lo, s12
.LBB195_115:
	s_delay_alu instid0(SALU_CYCLE_1) | instskip(NEXT) | instid1(SALU_CYCLE_1)
	s_or_b32 exec_lo, exec_lo, s11
	s_mov_b32 s11, exec_lo
	s_or_b32 exec_lo, exec_lo, s5
	s_delay_alu instid0(SALU_CYCLE_1)
	s_and_b32 vcc_lo, exec_lo, s4
	s_cbranch_vccnz .LBB195_118
	s_branch .LBB195_123
.LBB195_116:
	s_mov_b32 s11, 0
                                        ; implicit-def: $vgpr5
	s_cbranch_execnz .LBB195_118
	s_branch .LBB195_123
.LBB195_117:
	s_or_b32 exec_lo, exec_lo, s5
	s_delay_alu instid0(SALU_CYCLE_1)
	s_and_b32 vcc_lo, exec_lo, s4
	s_cbranch_vccz .LBB195_123
.LBB195_118:
                                        ; implicit-def: $vgpr5
	s_and_saveexec_b32 s4, s0
	s_cbranch_execz .LBB195_122
; %bb.119:
	v_dual_mov_b32 v5, 0 :: v_dual_lshlrev_b32 v4, 3, v0
	v_lshlrev_b32_e32 v9, 3, v6
	v_lshlrev_b32_e32 v8, 3, v2
	v_add_nc_u32_e32 v7, -1, v6
	s_delay_alu instid0(VALU_DEP_4) | instskip(SKIP_1) | instid1(VALU_DEP_3)
	v_and_b32_e32 v4, 0x780, v4
	s_mov_b32 s5, 0
	v_lshl_or_b32 v8, v6, 7, v8
	s_delay_alu instid0(VALU_DEP_2)
	v_or3_b32 v9, v4, v9, 0x1000
	v_mov_b32_e32 v4, 0
	.p2align	6
.LBB195_120:                            ; =>This Inner Loop Header: Depth=1
	ds_load_b64 v[10:11], v8
	ds_load_b64 v[12:13], v9
	v_add_nc_u32_e32 v9, 8, v9
	v_add_nc_u32_e32 v8, 0x80, v8
	s_waitcnt lgkmcnt(0)
	v_mul_f32_e32 v14, v13, v11
	v_mul_f32_e32 v11, v12, v11
	s_delay_alu instid0(VALU_DEP_2) | instskip(SKIP_1) | instid1(VALU_DEP_2)
	v_fma_f32 v12, v12, v10, -v14
	v_add_nc_u32_e32 v7, 1, v7
	v_dual_fmac_f32 v11, v13, v10 :: v_dual_add_f32 v4, v4, v12
	s_delay_alu instid0(VALU_DEP_2) | instskip(NEXT) | instid1(VALU_DEP_2)
	v_cmp_lt_u32_e32 vcc_lo, 14, v7
	v_add_f32_e32 v5, v5, v11
	s_or_b32 s5, vcc_lo, s5
	s_delay_alu instid0(SALU_CYCLE_1)
	s_and_not1_b32 exec_lo, exec_lo, s5
	s_cbranch_execnz .LBB195_120
; %bb.121:
	s_or_b32 exec_lo, exec_lo, s5
	s_delay_alu instid0(SALU_CYCLE_1)
	s_or_b32 s11, s11, exec_lo
.LBB195_122:
	s_or_b32 exec_lo, exec_lo, s4
.LBB195_123:
	s_and_saveexec_b32 s4, s11
	s_cbranch_execz .LBB195_125
; %bb.124:
	v_lshlrev_b32_e32 v7, 3, v0
	ds_store_b64 v7, v[4:5] offset:2048
.LBB195_125:
	s_or_b32 exec_lo, exec_lo, s4
	s_bfe_u32 s4, s14, 0x1d0002
	s_and_b32 s1, s1, 6
	s_mov_b32 s5, 0
	s_mulk_i32 s1, 0x4080
	s_lshl_b64 s[12:13], s[4:5], 17
	s_waitcnt lgkmcnt(0)
	s_or_b32 s1, s12, s1
	s_barrier
	s_add_u32 s1, s8, s1
	s_addc_u32 s4, s9, s13
	s_lshl_b64 s[6:7], s[6:7], 3
	buffer_gl0_inv
	s_add_u32 s1, s1, s6
	s_addc_u32 s4, s4, s7
	s_and_b32 vcc_lo, exec_lo, s10
	s_cbranch_vccz .LBB195_131
; %bb.126:
	s_mov_b32 s6, 0
                                        ; implicit-def: $vgpr5
                                        ; implicit-def: $sgpr7
	s_and_saveexec_b32 s8, s0
	s_cbranch_execz .LBB195_130
; %bb.127:
	v_xor_b32_e32 v4, 0xff, v2
	v_lshlrev_b32_e32 v5, 3, v0
	v_lshlrev_b32_e32 v7, 7, v2
	;; [unrolled: 1-line block ×3, first 2 shown]
	s_delay_alu instid0(VALU_DEP_4) | instskip(NEXT) | instid1(VALU_DEP_1)
	v_lshlrev_b32_e32 v4, 3, v4
	v_sub_nc_u32_e32 v9, v4, v7
	v_dual_mov_b32 v4, 0 :: v_dual_and_b32 v5, 0x780, v5
	v_add_nc_u32_e32 v7, -1, v2
	s_delay_alu instid0(VALU_DEP_3) | instskip(NEXT) | instid1(VALU_DEP_3)
	v_or_b32_e32 v9, 0x1000, v9
	v_or3_b32 v8, v5, v8, 0x800
	v_mov_b32_e32 v5, 0
	.p2align	6
.LBB195_128:                            ; =>This Inner Loop Header: Depth=1
	ds_load_b64 v[10:11], v9
	ds_load_b64 v[12:13], v8
	v_add_nc_u32_e32 v9, 0xffffff80, v9
	v_add_nc_u32_e32 v7, 1, v7
	s_delay_alu instid0(VALU_DEP_1) | instskip(SKIP_4) | instid1(VALU_DEP_2)
	v_cmp_lt_u32_e32 vcc_lo, 14, v7
	s_or_b32 s5, vcc_lo, s5
	s_waitcnt lgkmcnt(0)
	v_mul_f32_e32 v14, v10, v12
	v_mul_f32_e32 v10, v10, v13
	v_fma_f32 v13, v11, v13, -v14
	s_delay_alu instid0(VALU_DEP_2) | instskip(SKIP_1) | instid1(VALU_DEP_2)
	v_fma_f32 v10, v12, -v11, -v10
	v_add_nc_u32_e32 v8, 8, v8
	v_dual_add_f32 v4, v4, v13 :: v_dual_add_f32 v5, v5, v10
	s_and_not1_b32 exec_lo, exec_lo, s5
	s_cbranch_execnz .LBB195_128
; %bb.129:
	s_or_b32 exec_lo, exec_lo, s5
	s_delay_alu instid0(SALU_CYCLE_1)
	s_mov_b32 s5, exec_lo
	s_movk_i32 s7, 0x800
.LBB195_130:
	s_or_b32 exec_lo, exec_lo, s8
	s_delay_alu instid0(SALU_CYCLE_1)
	s_and_b32 vcc_lo, exec_lo, s6
	s_cbranch_vccnz .LBB195_132
	s_branch .LBB195_143
.LBB195_131:
                                        ; implicit-def: $vgpr5
                                        ; implicit-def: $sgpr7
	s_cbranch_execz .LBB195_143
.LBB195_132:
                                        ; implicit-def: $vgpr5
                                        ; implicit-def: $sgpr7
	s_and_saveexec_b32 s6, s0
	s_cbranch_execz .LBB195_142
; %bb.133:
	v_dual_mov_b32 v5, 0 :: v_dual_add_nc_u32 v8, 1, v2
	v_dual_mov_b32 v7, 0 :: v_dual_lshlrev_b32 v0, 3, v0
	v_mov_b32_e32 v4, 0
	s_mov_b32 s0, exec_lo
	v_cmpx_lt_u32_e32 6, v2
	s_cbranch_execz .LBB195_137
; %bb.134:
	s_movk_i32 s7, 0x780
	v_dual_mov_b32 v4, 0 :: v_dual_and_b32 v7, 24, v8
	v_lshl_or_b32 v9, v2, 3, 0x1800
	v_and_or_b32 v10, v0, s7, 0x800
	v_mov_b32_e32 v5, 0
	s_mov_b32 s7, 0
	s_mov_b32 s8, 0
.LBB195_135:                            ; =>This Inner Loop Header: Depth=1
	ds_load_2addr_b64 v[11:14], v9 offset1:16
	ds_load_b128 v[15:18], v10
	ds_load_b128 v[19:22], v10 offset:16
	ds_load_2addr_b64 v[23:26], v9 offset0:32 offset1:48
	ds_load_2addr_b64 v[27:30], v9 offset0:64 offset1:80
	ds_load_b128 v[31:34], v10 offset:32
	ds_load_b128 v[35:38], v10 offset:48
	ds_load_2addr_b64 v[39:42], v9 offset0:96 offset1:112
	s_add_i32 s8, s8, 8
	v_add_nc_u32_e32 v9, 0x400, v9
	v_cmp_eq_u32_e32 vcc_lo, s8, v7
	v_add_nc_u32_e32 v10, 64, v10
	s_or_b32 s7, vcc_lo, s7
	s_waitcnt lgkmcnt(6)
	v_dual_mul_f32 v43, v11, v15 :: v_dual_mul_f32 v44, v13, v17
	s_waitcnt lgkmcnt(4)
	v_dual_mul_f32 v11, v11, v16 :: v_dual_mul_f32 v46, v25, v21
	v_mul_f32_e32 v45, v23, v19
	s_delay_alu instid0(VALU_DEP_3) | instskip(SKIP_1) | instid1(VALU_DEP_4)
	v_fma_f32 v16, v12, v16, -v43
	v_mul_f32_e32 v13, v13, v18
	v_fma_f32 v11, v15, -v12, -v11
	v_fma_f32 v15, v14, v18, -v44
	s_waitcnt lgkmcnt(2)
	v_mul_f32_e32 v12, v29, v33
	v_add_f32_e32 v4, v4, v16
	v_mul_f32_e32 v23, v23, v20
	v_fma_f32 v13, v17, -v14, -v13
	v_fma_f32 v14, v24, v20, -v45
	s_delay_alu instid0(VALU_DEP_4)
	v_dual_mul_f32 v25, v25, v22 :: v_dual_add_f32 v4, v4, v15
	v_mul_f32_e32 v47, v27, v31
	v_fma_f32 v15, v26, v22, -v46
	v_fma_f32 v16, v19, -v24, -v23
	v_fma_f32 v12, v30, v34, -v12
	v_dual_add_f32 v4, v4, v14 :: v_dual_mul_f32 v27, v27, v32
	s_waitcnt lgkmcnt(0)
	v_mul_f32_e32 v14, v39, v36
	v_fma_f32 v17, v21, -v26, -v25
	s_delay_alu instid0(VALU_DEP_3) | instskip(SKIP_4) | instid1(VALU_DEP_4)
	v_add_f32_e32 v4, v4, v15
	v_add_f32_e32 v5, v5, v11
	v_fma_f32 v18, v31, -v28, -v27
	v_mul_f32_e32 v15, v41, v37
	v_fma_f32 v14, v35, -v40, -v14
	v_add_f32_e32 v5, v5, v13
	v_mul_f32_e32 v13, v39, v35
	s_delay_alu instid0(VALU_DEP_2) | instskip(SKIP_1) | instid1(VALU_DEP_1)
	v_add_f32_e32 v5, v5, v16
	v_fma_f32 v16, v28, v32, -v47
	v_dual_add_f32 v4, v4, v16 :: v_dual_mul_f32 v11, v29, v34
	v_mul_f32_e32 v16, v41, v38
	v_fma_f32 v13, v40, v36, -v13
	s_delay_alu instid0(VALU_DEP_3) | instskip(NEXT) | instid1(VALU_DEP_4)
	v_add_f32_e32 v4, v4, v12
	v_fma_f32 v11, v33, -v30, -v11
	s_delay_alu instid0(VALU_DEP_4) | instskip(NEXT) | instid1(VALU_DEP_3)
	v_fma_f32 v12, v37, -v42, -v16
	v_add_f32_e32 v4, v4, v13
	v_add_f32_e32 v5, v5, v17
	s_delay_alu instid0(VALU_DEP_1) | instskip(NEXT) | instid1(VALU_DEP_1)
	v_add_f32_e32 v5, v5, v18
	v_add_f32_e32 v5, v5, v11
	v_fma_f32 v11, v42, v38, -v15
	s_delay_alu instid0(VALU_DEP_1) | instskip(NEXT) | instid1(VALU_DEP_1)
	v_dual_add_f32 v5, v5, v14 :: v_dual_add_f32 v4, v4, v11
	v_add_f32_e32 v5, v5, v12
	s_and_not1_b32 exec_lo, exec_lo, s7
	s_cbranch_execnz .LBB195_135
; %bb.136:
	s_or_b32 exec_lo, exec_lo, s7
.LBB195_137:
	s_delay_alu instid0(SALU_CYCLE_1) | instskip(SKIP_3) | instid1(VALU_DEP_1)
	s_or_b32 exec_lo, exec_lo, s0
	v_and_b32_e32 v8, 7, v8
	s_mov_b32 s7, 0
	s_mov_b32 s0, exec_lo
	v_cmpx_ne_u32_e32 0, v8
	s_cbranch_execz .LBB195_141
; %bb.138:
	v_lshlrev_b32_e32 v9, 3, v2
	v_and_b32_e32 v0, 0x780, v0
	v_lshlrev_b32_e32 v10, 3, v7
	s_delay_alu instid0(VALU_DEP_3) | instskip(NEXT) | instid1(VALU_DEP_2)
	v_lshl_or_b32 v7, v7, 7, v9
	v_add3_u32 v0, v0, v10, 0x800
	s_delay_alu instid0(VALU_DEP_2)
	v_add_nc_u32_e32 v7, 0x1800, v7
	.p2align	6
.LBB195_139:                            ; =>This Inner Loop Header: Depth=1
	ds_load_b64 v[9:10], v7
	ds_load_b64 v[11:12], v0
	v_add_nc_u32_e32 v8, -1, v8
	s_delay_alu instid0(VALU_DEP_1) | instskip(SKIP_4) | instid1(VALU_DEP_2)
	v_cmp_eq_u32_e32 vcc_lo, 0, v8
	s_or_b32 s7, vcc_lo, s7
	s_waitcnt lgkmcnt(0)
	v_mul_f32_e32 v13, v9, v11
	v_mul_f32_e32 v9, v9, v12
	v_fma_f32 v12, v10, v12, -v13
	s_delay_alu instid0(VALU_DEP_2) | instskip(SKIP_1) | instid1(VALU_DEP_3)
	v_fma_f32 v9, v11, -v10, -v9
	v_add_nc_u32_e32 v0, 8, v0
	v_dual_add_f32 v4, v4, v12 :: v_dual_add_nc_u32 v7, 0x80, v7
	s_delay_alu instid0(VALU_DEP_3)
	v_add_f32_e32 v5, v5, v9
	s_and_not1_b32 exec_lo, exec_lo, s7
	s_cbranch_execnz .LBB195_139
; %bb.140:
	s_or_b32 exec_lo, exec_lo, s7
.LBB195_141:
	s_delay_alu instid0(SALU_CYCLE_1)
	s_or_b32 exec_lo, exec_lo, s0
	s_mov_b32 s7, 16
	s_or_b32 s5, s5, exec_lo
.LBB195_142:
	s_or_b32 exec_lo, exec_lo, s6
.LBB195_143:
	s_and_saveexec_b32 s0, s5
	s_cbranch_execnz .LBB195_145
; %bb.144:
	s_or_b32 exec_lo, exec_lo, s0
	s_and_saveexec_b32 s0, s3
	s_cbranch_execnz .LBB195_146
	s_branch .LBB195_155
.LBB195_145:
	v_dual_mov_b32 v7, 0 :: v_dual_lshlrev_b32 v0, 7, v6
	s_delay_alu instid0(VALU_DEP_1) | instskip(NEXT) | instid1(VALU_DEP_1)
	v_or3_b32 v6, v0, s7, v2
	v_lshlrev_b64 v[6:7], 3, v[6:7]
	s_delay_alu instid0(VALU_DEP_1) | instskip(NEXT) | instid1(VALU_DEP_2)
	v_add_co_u32 v6, vcc_lo, s1, v6
	v_add_co_ci_u32_e32 v7, vcc_lo, s4, v7, vcc_lo
	global_store_b64 v[6:7], v[4:5], off
	s_or_b32 exec_lo, exec_lo, s0
	s_and_saveexec_b32 s0, s3
	s_cbranch_execz .LBB195_155
.LBB195_146:
	v_cndmask_b32_e64 v0, 0x810, 0, s2
	s_and_not1_b32 vcc_lo, exec_lo, s10
	s_mov_b32 s0, -1
	s_cbranch_vccnz .LBB195_151
; %bb.147:
	s_mov_b32 s2, 16
	s_mov_b32 s5, exec_lo
	v_cmpx_gt_i32_e32 16, v1
	s_cbranch_execz .LBB195_150
; %bb.148:
	v_dual_mov_b32 v2, 0 :: v_dual_lshlrev_b32 v7, 3, v1
	v_lshlrev_b32_e32 v6, 3, v0
	s_mov_b32 s3, 0
	s_mov_b32 s6, 0
	s_delay_alu instid0(VALU_DEP_2) | instskip(SKIP_2) | instid1(VALU_DEP_1)
	v_lshlrev_b64 v[4:5], 3, v[1:2]
	v_sub_nc_u32_e32 v7, v3, v7
	v_add_co_u32 v2, s0, s1, v6
	v_add_co_ci_u32_e64 v6, null, s4, 0, s0
	s_delay_alu instid0(VALU_DEP_2) | instskip(NEXT) | instid1(VALU_DEP_2)
	v_add_co_u32 v2, vcc_lo, v2, v4
	v_add_co_ci_u32_e32 v4, vcc_lo, v6, v5, vcc_lo
	v_add_nc_u32_e32 v5, 0x78, v7
.LBB195_149:                            ; =>This Inner Loop Header: Depth=1
	ds_load_b64 v[6:7], v5
	s_add_i32 s2, s2, -1
	v_add_nc_u32_e32 v5, 0x80, v5
	s_lshl_b64 s[8:9], s[2:3], 10
	v_cmp_le_i32_e32 vcc_lo, s2, v1
	v_add_co_u32 v8, s0, v2, s8
	s_delay_alu instid0(VALU_DEP_1)
	v_add_co_ci_u32_e64 v9, s0, s9, v4, s0
	s_or_b32 s6, vcc_lo, s6
	s_waitcnt lgkmcnt(0)
	global_store_b64 v[8:9], v[6:7], off
	s_and_not1_b32 exec_lo, exec_lo, s6
	s_cbranch_execnz .LBB195_149
.LBB195_150:
	s_or_b32 exec_lo, exec_lo, s5
	s_mov_b32 s0, 0
.LBB195_151:
	s_delay_alu instid0(SALU_CYCLE_1)
	s_and_not1_b32 vcc_lo, exec_lo, s0
	s_cbranch_vccnz .LBB195_155
; %bb.152:
	v_cmp_lt_i32_e32 vcc_lo, -1, v1
	s_and_b32 exec_lo, exec_lo, vcc_lo
	s_cbranch_execz .LBB195_155
; %bb.153:
	v_mov_b32_e32 v2, 0
	v_lshlrev_b32_e32 v0, 3, v0
	s_delay_alu instid0(VALU_DEP_2) | instskip(NEXT) | instid1(VALU_DEP_2)
	v_lshlrev_b64 v[4:5], 3, v[1:2]
	v_add_co_u32 v2, s0, s1, v0
	s_delay_alu instid0(VALU_DEP_1) | instskip(SKIP_2) | instid1(VALU_DEP_4)
	v_add_co_ci_u32_e64 v6, null, s4, 0, s0
	v_lshl_add_u32 v0, v1, 3, v3
	v_add_nc_u32_e32 v1, 1, v1
	v_add_co_u32 v2, vcc_lo, v2, v4
	s_delay_alu instid0(VALU_DEP_4)
	v_add_co_ci_u32_e32 v3, vcc_lo, v6, v5, vcc_lo
	s_mov_b32 s1, 0
.LBB195_154:                            ; =>This Inner Loop Header: Depth=1
	ds_load_b64 v[4:5], v0
	v_add_nc_u32_e32 v1, -1, v1
	v_add_nc_u32_e32 v0, 0x80, v0
	s_delay_alu instid0(VALU_DEP_2) | instskip(SKIP_4) | instid1(VALU_DEP_1)
	v_cmp_eq_u32_e32 vcc_lo, 0, v1
	s_or_b32 s1, vcc_lo, s1
	s_waitcnt lgkmcnt(0)
	global_store_b64 v[2:3], v[4:5], off
	v_add_co_u32 v2, s0, 0x400, v2
	v_add_co_ci_u32_e64 v3, s0, 0, v3, s0
	s_and_not1_b32 exec_lo, exec_lo, s1
	s_cbranch_execnz .LBB195_154
.LBB195_155:
	s_nop 0
	s_sendmsg sendmsg(MSG_DEALLOC_VGPRS)
	s_endpgm
	.section	.rodata,"a",@progbits
	.p2align	6, 0x0
	.amdhsa_kernel _ZL25rocblas_trtri_trsm_kernelILi128ELi16ELi8E19rocblas_complex_numIfEPKPKS1_PKPS1_Ev13rocblas_fill_17rocblas_diagonal_T3_lilT4_lli
		.amdhsa_group_segment_fixed_size 8192
		.amdhsa_private_segment_fixed_size 0
		.amdhsa_kernarg_size 68
		.amdhsa_user_sgpr_count 14
		.amdhsa_user_sgpr_dispatch_ptr 0
		.amdhsa_user_sgpr_queue_ptr 0
		.amdhsa_user_sgpr_kernarg_segment_ptr 1
		.amdhsa_user_sgpr_dispatch_id 0
		.amdhsa_user_sgpr_private_segment_size 0
		.amdhsa_wavefront_size32 1
		.amdhsa_uses_dynamic_stack 0
		.amdhsa_enable_private_segment 0
		.amdhsa_system_sgpr_workgroup_id_x 1
		.amdhsa_system_sgpr_workgroup_id_y 0
		.amdhsa_system_sgpr_workgroup_id_z 1
		.amdhsa_system_sgpr_workgroup_info 0
		.amdhsa_system_vgpr_workitem_id 0
		.amdhsa_next_free_vgpr 49
		.amdhsa_next_free_sgpr 24
		.amdhsa_reserve_vcc 1
		.amdhsa_float_round_mode_32 0
		.amdhsa_float_round_mode_16_64 0
		.amdhsa_float_denorm_mode_32 3
		.amdhsa_float_denorm_mode_16_64 3
		.amdhsa_dx10_clamp 1
		.amdhsa_ieee_mode 1
		.amdhsa_fp16_overflow 0
		.amdhsa_workgroup_processor_mode 1
		.amdhsa_memory_ordered 1
		.amdhsa_forward_progress 0
		.amdhsa_shared_vgpr_count 0
		.amdhsa_exception_fp_ieee_invalid_op 0
		.amdhsa_exception_fp_denorm_src 0
		.amdhsa_exception_fp_ieee_div_zero 0
		.amdhsa_exception_fp_ieee_overflow 0
		.amdhsa_exception_fp_ieee_underflow 0
		.amdhsa_exception_fp_ieee_inexact 0
		.amdhsa_exception_int_div_zero 0
	.end_amdhsa_kernel
	.section	.text._ZL25rocblas_trtri_trsm_kernelILi128ELi16ELi8E19rocblas_complex_numIfEPKPKS1_PKPS1_Ev13rocblas_fill_17rocblas_diagonal_T3_lilT4_lli,"axG",@progbits,_ZL25rocblas_trtri_trsm_kernelILi128ELi16ELi8E19rocblas_complex_numIfEPKPKS1_PKPS1_Ev13rocblas_fill_17rocblas_diagonal_T3_lilT4_lli,comdat
.Lfunc_end195:
	.size	_ZL25rocblas_trtri_trsm_kernelILi128ELi16ELi8E19rocblas_complex_numIfEPKPKS1_PKPS1_Ev13rocblas_fill_17rocblas_diagonal_T3_lilT4_lli, .Lfunc_end195-_ZL25rocblas_trtri_trsm_kernelILi128ELi16ELi8E19rocblas_complex_numIfEPKPKS1_PKPS1_Ev13rocblas_fill_17rocblas_diagonal_T3_lilT4_lli
                                        ; -- End function
	.section	.AMDGPU.csdata,"",@progbits
; Kernel info:
; codeLenInByte = 6940
; NumSgprs: 26
; NumVgprs: 49
; ScratchSize: 0
; MemoryBound: 0
; FloatMode: 240
; IeeeMode: 1
; LDSByteSize: 8192 bytes/workgroup (compile time only)
; SGPRBlocks: 3
; VGPRBlocks: 6
; NumSGPRsForWavesPerEU: 26
; NumVGPRsForWavesPerEU: 49
; Occupancy: 16
; WaveLimiterHint : 1
; COMPUTE_PGM_RSRC2:SCRATCH_EN: 0
; COMPUTE_PGM_RSRC2:USER_SGPR: 14
; COMPUTE_PGM_RSRC2:TRAP_HANDLER: 0
; COMPUTE_PGM_RSRC2:TGID_X_EN: 1
; COMPUTE_PGM_RSRC2:TGID_Y_EN: 0
; COMPUTE_PGM_RSRC2:TGID_Z_EN: 1
; COMPUTE_PGM_RSRC2:TIDIG_COMP_CNT: 0
	.section	.text._ZL18rocblas_trtri_fillILi128E19rocblas_complex_numIfEPKPS1_EvP15_rocblas_handle13rocblas_fill_ililT1_llii,"axG",@progbits,_ZL18rocblas_trtri_fillILi128E19rocblas_complex_numIfEPKPS1_EvP15_rocblas_handle13rocblas_fill_ililT1_llii,comdat
	.globl	_ZL18rocblas_trtri_fillILi128E19rocblas_complex_numIfEPKPS1_EvP15_rocblas_handle13rocblas_fill_ililT1_llii ; -- Begin function _ZL18rocblas_trtri_fillILi128E19rocblas_complex_numIfEPKPS1_EvP15_rocblas_handle13rocblas_fill_ililT1_llii
	.p2align	8
	.type	_ZL18rocblas_trtri_fillILi128E19rocblas_complex_numIfEPKPS1_EvP15_rocblas_handle13rocblas_fill_ililT1_llii,@function
_ZL18rocblas_trtri_fillILi128E19rocblas_complex_numIfEPKPS1_EvP15_rocblas_handle13rocblas_fill_ililT1_llii: ; @_ZL18rocblas_trtri_fillILi128E19rocblas_complex_numIfEPKPS1_EvP15_rocblas_handle13rocblas_fill_ililT1_llii
; %bb.0:
	s_clause 0x1
	s_load_b64 s[2:3], s[0:1], 0x10
	s_load_b32 s6, s[0:1], 0x40
	s_mov_b32 s12, s15
	s_mov_b32 s15, 0
	s_delay_alu instid0(SALU_CYCLE_1) | instskip(NEXT) | instid1(SALU_CYCLE_1)
	s_lshl_b64 s[4:5], s[14:15], 7
	v_mov_b32_e32 v1, s5
	v_or_b32_e32 v0, s4, v0
	s_waitcnt lgkmcnt(0)
	s_mul_i32 s4, s6, s3
	s_mul_hi_u32 s5, s6, s2
	s_ashr_i32 s7, s6, 31
	s_add_i32 s4, s5, s4
	s_mul_i32 s7, s7, s2
	s_mul_i32 s8, s6, s2
	s_add_i32 s9, s4, s7
	s_mov_b32 s4, exec_lo
	v_cmpx_gt_u64_e64 s[8:9], v[0:1]
	s_cbranch_execz .LBB196_16
; %bb.1:
	s_clause 0x1
	s_load_b32 s10, s[0:1], 0x18
	s_load_b128 s[4:7], s[0:1], 0x20
	s_mov_b32 s13, s15
	s_load_b64 s[16:17], s[0:1], 0x30
	s_lshl_b64 s[12:13], s[12:13], 3
	v_cvt_f32_u32_e32 v4, s2
	v_cvt_f32_u32_e32 v2, s2
	;; [unrolled: 1-line block ×3, first 2 shown]
	s_delay_alu instid0(VALU_DEP_3) | instskip(NEXT) | instid1(VALU_DEP_1)
	v_rcp_iflag_f32_e32 v4, v4
	v_fmamk_f32 v5, v3, 0x4f800000, v2
	s_delay_alu instid0(VALU_DEP_1)
	v_rcp_f32_e32 v5, v5
	s_waitcnt_depctr 0xfff
	v_mul_f32_e32 v4, 0x4f7ffffe, v4
	s_waitcnt lgkmcnt(0)
	s_ashr_i32 s11, s10, 31
	s_add_u32 s6, s6, s12
	s_addc_u32 s7, s7, s13
	s_load_b64 s[12:13], s[6:7], 0x0
	s_load_b64 s[6:7], s[0:1], 0x8
	s_lshl_b64 s[16:17], s[16:17], 3
	v_cvt_u32_f32_e32 v6, v4
	v_mul_f32_e32 v5, 0x5f7ffffc, v5
	s_clause 0x1
	s_load_b32 s20, s[0:1], 0x48
	s_load_b32 s0, s[0:1], 0x54
	s_delay_alu instid0(VALU_DEP_1) | instskip(NEXT) | instid1(VALU_DEP_1)
	v_mul_f32_e32 v4, 0x2f800000, v5
	v_trunc_f32_e32 v8, v4
	s_delay_alu instid0(VALU_DEP_1)
	v_dual_mov_b32 v4, 0 :: v_dual_fmamk_f32 v5, v8, 0xcf800000, v5
	s_waitcnt lgkmcnt(0)
	s_add_u32 s14, s12, s16
	s_addc_u32 s16, s13, s17
	s_add_i32 s12, s7, -2
	s_ashr_i32 s17, s7, 31
	v_cvt_f64_i32_e32 v[2:3], s12
	s_add_i32 s12, s7, -1
	v_cvt_u32_f32_e32 v11, v5
	s_mul_hi_i32 s13, s12, s7
	s_mul_i32 s12, s12, s7
	v_cvt_u32_f32_e32 v12, v8
	s_lshl_b64 s[18:19], s[12:13], 2
	s_delay_alu instid0(SALU_CYCLE_1)
	s_add_u32 s1, s18, -7
	s_addc_u32 s18, s19, -1
	s_sub_i32 s19, 0, s2
	s_and_b32 s0, s0, 0xffff
	v_mul_lo_u32 v7, s19, v6
	s_lshr_b64 s[12:13], s[12:13], 1
	s_mul_hi_u32 s19, s0, s20
	s_mul_i32 s20, s0, s20
	s_delay_alu instid0(VALU_DEP_1) | instskip(NEXT) | instid1(VALU_DEP_1)
	v_mul_hi_u32 v7, v6, v7
	v_add_nc_u32_e32 v13, v6, v7
	s_branch .LBB196_3
.LBB196_2:                              ;   in Loop: Header=BB196_3 Depth=1
	v_add_co_u32 v0, vcc_lo, v0, s20
	v_add_co_ci_u32_e32 v1, vcc_lo, s19, v1, vcc_lo
	s_delay_alu instid0(VALU_DEP_1) | instskip(SKIP_1) | instid1(SALU_CYCLE_1)
	v_cmp_le_u64_e32 vcc_lo, s[8:9], v[0:1]
	s_or_b32 s15, vcc_lo, s15
	s_and_not1_b32 exec_lo, exec_lo, s15
	s_cbranch_execz .LBB196_16
.LBB196_3:                              ; =>This Inner Loop Header: Depth=1
	v_or_b32_e32 v5, s3, v1
	s_delay_alu instid0(VALU_DEP_1) | instskip(SKIP_1) | instid1(SALU_CYCLE_1)
	v_cmp_ne_u64_e32 vcc_lo, 0, v[4:5]
                                        ; implicit-def: $vgpr5_vgpr6
	s_and_saveexec_b32 s0, vcc_lo
	s_xor_b32 s21, exec_lo, s0
	s_cbranch_execz .LBB196_5
; %bb.4:                                ;   in Loop: Header=BB196_3 Depth=1
	s_sub_u32 s0, 0, s2
	s_subb_u32 s22, 0, s3
	v_mul_hi_u32 v5, s0, v11
	v_mul_lo_u32 v6, s0, v12
	v_mul_lo_u32 v7, s22, v11
	s_delay_alu instid0(VALU_DEP_2) | instskip(SKIP_1) | instid1(VALU_DEP_2)
	v_add_nc_u32_e32 v5, v5, v6
	v_mul_lo_u32 v6, s0, v11
	v_add_nc_u32_e32 v5, v5, v7
	s_delay_alu instid0(VALU_DEP_2) | instskip(NEXT) | instid1(VALU_DEP_2)
	v_mul_hi_u32 v7, v11, v6
	v_mul_lo_u32 v8, v11, v5
	v_mul_hi_u32 v9, v11, v5
	v_mul_hi_u32 v10, v12, v6
	v_mul_lo_u32 v6, v12, v6
	v_mul_hi_u32 v14, v12, v5
	v_mul_lo_u32 v5, v12, v5
	v_add_co_u32 v7, vcc_lo, v7, v8
	v_add_co_ci_u32_e32 v8, vcc_lo, 0, v9, vcc_lo
	s_delay_alu instid0(VALU_DEP_2) | instskip(NEXT) | instid1(VALU_DEP_2)
	v_add_co_u32 v6, vcc_lo, v7, v6
	v_add_co_ci_u32_e32 v6, vcc_lo, v8, v10, vcc_lo
	v_add_co_ci_u32_e32 v7, vcc_lo, 0, v14, vcc_lo
	s_delay_alu instid0(VALU_DEP_2) | instskip(NEXT) | instid1(VALU_DEP_2)
	v_add_co_u32 v5, vcc_lo, v6, v5
	v_add_co_ci_u32_e32 v6, vcc_lo, 0, v7, vcc_lo
	s_delay_alu instid0(VALU_DEP_2) | instskip(NEXT) | instid1(VALU_DEP_2)
	v_add_co_u32 v5, vcc_lo, v11, v5
	v_add_co_ci_u32_e32 v6, vcc_lo, v12, v6, vcc_lo
	s_delay_alu instid0(VALU_DEP_2) | instskip(SKIP_1) | instid1(VALU_DEP_3)
	v_mul_hi_u32 v7, s0, v5
	v_mul_lo_u32 v9, s22, v5
	v_mul_lo_u32 v8, s0, v6
	s_delay_alu instid0(VALU_DEP_1) | instskip(SKIP_1) | instid1(VALU_DEP_2)
	v_add_nc_u32_e32 v7, v7, v8
	v_mul_lo_u32 v8, s0, v5
	v_add_nc_u32_e32 v7, v7, v9
	s_delay_alu instid0(VALU_DEP_2) | instskip(NEXT) | instid1(VALU_DEP_2)
	v_mul_hi_u32 v9, v5, v8
	v_mul_lo_u32 v10, v5, v7
	v_mul_hi_u32 v14, v5, v7
	v_mul_hi_u32 v15, v6, v8
	v_mul_lo_u32 v8, v6, v8
	v_mul_hi_u32 v16, v6, v7
	v_mul_lo_u32 v7, v6, v7
	v_add_co_u32 v9, vcc_lo, v9, v10
	v_add_co_ci_u32_e32 v10, vcc_lo, 0, v14, vcc_lo
	s_delay_alu instid0(VALU_DEP_2) | instskip(NEXT) | instid1(VALU_DEP_2)
	v_add_co_u32 v8, vcc_lo, v9, v8
	v_add_co_ci_u32_e32 v8, vcc_lo, v10, v15, vcc_lo
	v_add_co_ci_u32_e32 v9, vcc_lo, 0, v16, vcc_lo
	s_delay_alu instid0(VALU_DEP_2) | instskip(NEXT) | instid1(VALU_DEP_2)
	v_add_co_u32 v7, vcc_lo, v8, v7
	v_add_co_ci_u32_e32 v8, vcc_lo, 0, v9, vcc_lo
	s_delay_alu instid0(VALU_DEP_2) | instskip(NEXT) | instid1(VALU_DEP_2)
	v_add_co_u32 v9, vcc_lo, v5, v7
	v_add_co_ci_u32_e32 v14, vcc_lo, v6, v8, vcc_lo
	s_delay_alu instid0(VALU_DEP_2) | instskip(SKIP_1) | instid1(VALU_DEP_3)
	v_mul_hi_u32 v15, v0, v9
	v_mad_u64_u32 v[7:8], null, v1, v9, 0
	v_mad_u64_u32 v[5:6], null, v0, v14, 0
	;; [unrolled: 1-line block ×3, first 2 shown]
	s_delay_alu instid0(VALU_DEP_2) | instskip(NEXT) | instid1(VALU_DEP_3)
	v_add_co_u32 v5, vcc_lo, v15, v5
	v_add_co_ci_u32_e32 v6, vcc_lo, 0, v6, vcc_lo
	s_delay_alu instid0(VALU_DEP_2) | instskip(NEXT) | instid1(VALU_DEP_2)
	v_add_co_u32 v5, vcc_lo, v5, v7
	v_add_co_ci_u32_e32 v5, vcc_lo, v6, v8, vcc_lo
	v_add_co_ci_u32_e32 v6, vcc_lo, 0, v10, vcc_lo
	s_delay_alu instid0(VALU_DEP_2) | instskip(NEXT) | instid1(VALU_DEP_2)
	v_add_co_u32 v7, vcc_lo, v5, v9
	v_add_co_ci_u32_e32 v8, vcc_lo, 0, v6, vcc_lo
	s_delay_alu instid0(VALU_DEP_2) | instskip(SKIP_1) | instid1(VALU_DEP_3)
	v_mul_lo_u32 v9, s3, v7
	v_mad_u64_u32 v[5:6], null, s2, v7, 0
	v_mul_lo_u32 v10, s2, v8
	s_delay_alu instid0(VALU_DEP_2) | instskip(NEXT) | instid1(VALU_DEP_2)
	v_sub_co_u32 v5, vcc_lo, v0, v5
	v_add3_u32 v6, v6, v10, v9
	s_delay_alu instid0(VALU_DEP_1) | instskip(NEXT) | instid1(VALU_DEP_1)
	v_sub_nc_u32_e32 v9, v1, v6
	v_subrev_co_ci_u32_e64 v9, s0, s3, v9, vcc_lo
	v_add_co_u32 v10, s0, v7, 2
	s_delay_alu instid0(VALU_DEP_1) | instskip(SKIP_3) | instid1(VALU_DEP_3)
	v_add_co_ci_u32_e64 v14, s0, 0, v8, s0
	v_sub_co_u32 v15, s0, v5, s2
	v_sub_co_ci_u32_e32 v6, vcc_lo, v1, v6, vcc_lo
	v_subrev_co_ci_u32_e64 v9, s0, 0, v9, s0
	v_cmp_le_u32_e32 vcc_lo, s2, v15
	s_delay_alu instid0(VALU_DEP_3) | instskip(SKIP_1) | instid1(VALU_DEP_4)
	v_cmp_eq_u32_e64 s0, s3, v6
	v_cndmask_b32_e64 v15, 0, -1, vcc_lo
	v_cmp_le_u32_e32 vcc_lo, s3, v9
	v_cndmask_b32_e64 v16, 0, -1, vcc_lo
	v_cmp_le_u32_e32 vcc_lo, s2, v5
	;; [unrolled: 2-line block ×3, first 2 shown]
	v_cndmask_b32_e64 v17, 0, -1, vcc_lo
	v_cmp_eq_u32_e32 vcc_lo, s3, v9
	s_delay_alu instid0(VALU_DEP_2) | instskip(SKIP_3) | instid1(VALU_DEP_3)
	v_cndmask_b32_e64 v5, v17, v5, s0
	v_cndmask_b32_e32 v9, v16, v15, vcc_lo
	v_add_co_u32 v15, vcc_lo, v7, 1
	v_add_co_ci_u32_e32 v16, vcc_lo, 0, v8, vcc_lo
	v_cmp_ne_u32_e32 vcc_lo, 0, v9
	s_delay_alu instid0(VALU_DEP_2) | instskip(NEXT) | instid1(VALU_DEP_4)
	v_cndmask_b32_e32 v6, v16, v14, vcc_lo
	v_cndmask_b32_e32 v9, v15, v10, vcc_lo
	v_cmp_ne_u32_e32 vcc_lo, 0, v5
	s_delay_alu instid0(VALU_DEP_2)
	v_dual_cndmask_b32 v6, v8, v6 :: v_dual_cndmask_b32 v5, v7, v9
.LBB196_5:                              ;   in Loop: Header=BB196_3 Depth=1
	s_and_not1_saveexec_b32 s0, s21
; %bb.6:                                ;   in Loop: Header=BB196_3 Depth=1
	v_mul_hi_u32 v5, v0, v13
	s_delay_alu instid0(VALU_DEP_1) | instskip(NEXT) | instid1(VALU_DEP_1)
	v_mul_lo_u32 v6, v5, s2
	v_sub_nc_u32_e32 v6, v0, v6
	s_delay_alu instid0(VALU_DEP_1) | instskip(SKIP_1) | instid1(VALU_DEP_2)
	v_subrev_nc_u32_e32 v8, s2, v6
	v_cmp_le_u32_e32 vcc_lo, s2, v6
	v_dual_cndmask_b32 v6, v6, v8 :: v_dual_add_nc_u32 v7, 1, v5
	s_delay_alu instid0(VALU_DEP_1) | instskip(NEXT) | instid1(VALU_DEP_2)
	v_cndmask_b32_e32 v5, v5, v7, vcc_lo
	v_cmp_le_u32_e32 vcc_lo, s2, v6
	s_delay_alu instid0(VALU_DEP_2) | instskip(NEXT) | instid1(VALU_DEP_1)
	v_dual_mov_b32 v6, v4 :: v_dual_add_nc_u32 v7, 1, v5
	v_cndmask_b32_e32 v5, v5, v7, vcc_lo
; %bb.7:                                ;   in Loop: Header=BB196_3 Depth=1
	s_or_b32 exec_lo, exec_lo, s0
	s_delay_alu instid0(VALU_DEP_2) | instskip(NEXT) | instid1(VALU_DEP_2)
	v_mul_lo_u32 v9, v6, s2
	v_mul_lo_u32 v10, v5, s3
	v_mad_u64_u32 v[7:8], null, v5, s2, 0
	s_cmpk_lt_i32 s6, 0x7a
	s_delay_alu instid0(VALU_DEP_1) | instskip(NEXT) | instid1(VALU_DEP_2)
	v_add3_u32 v8, v8, v10, v9
	v_sub_co_u32 v7, vcc_lo, v0, v7
	s_delay_alu instid0(VALU_DEP_2)
	v_sub_co_ci_u32_e32 v8, vcc_lo, v1, v8, vcc_lo
	s_cbranch_scc1 .LBB196_10
; %bb.8:                                ;   in Loop: Header=BB196_3 Depth=1
	s_mov_b32 s0, 0
	s_cmpk_eq_i32 s6, 0x7a
	s_mov_b32 s21, 0
                                        ; implicit-def: $vgpr9_vgpr10
	s_cbranch_scc0 .LBB196_11
; %bb.9:                                ;   in Loop: Header=BB196_3 Depth=1
	v_lshlrev_b64 v[9:10], 3, v[7:8]
	s_mov_b32 s21, -1
	s_delay_alu instid0(VALU_DEP_1) | instskip(NEXT) | instid1(VALU_DEP_2)
	v_sub_co_u32 v14, vcc_lo, s1, v9
	v_sub_co_ci_u32_e32 v9, vcc_lo, s18, v10, vcc_lo
	s_delay_alu instid0(VALU_DEP_2) | instskip(NEXT) | instid1(VALU_DEP_2)
	v_cvt_f64_u32_e32 v[14:15], v14
	v_cvt_f64_u32_e32 v[9:10], v9
	s_delay_alu instid0(VALU_DEP_1) | instskip(NEXT) | instid1(VALU_DEP_1)
	v_ldexp_f64 v[9:10], v[9:10], 32
	v_add_f64 v[9:10], v[9:10], v[14:15]
	s_delay_alu instid0(VALU_DEP_1) | instskip(SKIP_1) | instid1(VALU_DEP_1)
	v_cmp_gt_f64_e32 vcc_lo, 0x10000000, v[9:10]
	v_cndmask_b32_e64 v14, 0, 1, vcc_lo
	v_lshlrev_b32_e32 v14, 8, v14
	s_delay_alu instid0(VALU_DEP_1) | instskip(NEXT) | instid1(VALU_DEP_1)
	v_ldexp_f64 v[9:10], v[9:10], v14
	v_rsq_f64_e32 v[14:15], v[9:10]
	s_waitcnt_depctr 0xfff
	v_mul_f64 v[16:17], v[9:10], v[14:15]
	v_mul_f64 v[14:15], v[14:15], 0.5
	s_delay_alu instid0(VALU_DEP_1) | instskip(NEXT) | instid1(VALU_DEP_1)
	v_fma_f64 v[18:19], -v[14:15], v[16:17], 0.5
	v_fma_f64 v[16:17], v[16:17], v[18:19], v[16:17]
	v_fma_f64 v[14:15], v[14:15], v[18:19], v[14:15]
	s_delay_alu instid0(VALU_DEP_2) | instskip(NEXT) | instid1(VALU_DEP_1)
	v_fma_f64 v[18:19], -v[16:17], v[16:17], v[9:10]
	v_fma_f64 v[16:17], v[18:19], v[14:15], v[16:17]
	s_delay_alu instid0(VALU_DEP_1) | instskip(NEXT) | instid1(VALU_DEP_1)
	v_fma_f64 v[18:19], -v[16:17], v[16:17], v[9:10]
	v_fma_f64 v[14:15], v[18:19], v[14:15], v[16:17]
	v_cndmask_b32_e64 v16, 0, 0xffffff80, vcc_lo
	v_cmp_class_f64_e64 vcc_lo, v[9:10], 0x260
	v_mul_lo_u32 v17, v5, s5
	s_delay_alu instid0(VALU_DEP_3) | instskip(SKIP_1) | instid1(VALU_DEP_2)
	v_ldexp_f64 v[14:15], v[14:15], v16
	v_mul_lo_u32 v16, v6, s4
	v_dual_cndmask_b32 v10, v15, v10 :: v_dual_cndmask_b32 v9, v14, v9
	s_delay_alu instid0(VALU_DEP_1) | instskip(NEXT) | instid1(VALU_DEP_1)
	v_fma_f64 v[9:10], v[9:10], 0.5, -0.5
	v_floor_f64_e32 v[9:10], v[9:10]
	s_delay_alu instid0(VALU_DEP_1) | instskip(NEXT) | instid1(VALU_DEP_1)
	v_add_f64 v[9:10], v[2:3], -v[9:10]
	v_trunc_f64_e32 v[9:10], v[9:10]
	s_delay_alu instid0(VALU_DEP_1) | instskip(NEXT) | instid1(VALU_DEP_1)
	v_ldexp_f64 v[14:15], v[9:10], 0xffffffe0
	v_floor_f64_e32 v[14:15], v[14:15]
	s_delay_alu instid0(VALU_DEP_1) | instskip(SKIP_1) | instid1(VALU_DEP_2)
	v_fma_f64 v[9:10], 0xc1f00000, v[14:15], v[9:10]
	v_cvt_u32_f64_e32 v15, v[14:15]
	v_cvt_u32_f64_e32 v14, v[9:10]
	v_mad_u64_u32 v[9:10], null, v5, s4, 0
	s_delay_alu instid0(VALU_DEP_3) | instskip(NEXT) | instid1(VALU_DEP_2)
	v_mul_lo_u32 v20, v15, s10
	v_add3_u32 v10, v10, v17, v16
	s_delay_alu instid0(VALU_DEP_1) | instskip(SKIP_4) | instid1(VALU_DEP_4)
	v_lshlrev_b64 v[9:10], 3, v[9:10]
	v_sub_co_u32 v22, vcc_lo, s7, v14
	v_sub_co_ci_u32_e32 v21, vcc_lo, s17, v15, vcc_lo
	v_mul_lo_u32 v23, v14, s11
	v_mad_u64_u32 v[16:17], null, v14, s10, 0
	v_add_co_u32 v24, vcc_lo, v22, -1
	s_delay_alu instid0(VALU_DEP_4) | instskip(SKIP_1) | instid1(VALU_DEP_4)
	v_add_co_ci_u32_e32 v25, vcc_lo, -1, v21, vcc_lo
	v_sub_co_u32 v18, vcc_lo, v7, s12
	v_add3_u32 v17, v17, v23, v20
	s_delay_alu instid0(VALU_DEP_3)
	v_mul_lo_u32 v23, v25, v22
	v_mul_lo_u32 v25, v24, v21
	v_mad_u64_u32 v[20:21], null, v24, v22, 0
	v_subrev_co_ci_u32_e32 v19, vcc_lo, s13, v8, vcc_lo
	v_lshlrev_b64 v[16:17], 3, v[16:17]
	v_add_co_u32 v9, vcc_lo, s14, v9
	v_add_co_ci_u32_e32 v10, vcc_lo, s16, v10, vcc_lo
	s_delay_alu instid0(VALU_DEP_4) | instskip(SKIP_1) | instid1(VALU_DEP_4)
	v_lshlrev_b64 v[18:19], 3, v[18:19]
	v_add3_u32 v21, v21, v25, v23
	v_add_co_u32 v16, vcc_lo, v9, v16
	s_delay_alu instid0(VALU_DEP_4) | instskip(NEXT) | instid1(VALU_DEP_3)
	v_add_co_ci_u32_e32 v17, vcc_lo, v10, v17, vcc_lo
	v_lshlrev_b64 v[9:10], 2, v[20:21]
	v_lshlrev_b64 v[14:15], 3, v[14:15]
	s_delay_alu instid0(VALU_DEP_4) | instskip(NEXT) | instid1(VALU_DEP_4)
	v_add_co_u32 v16, vcc_lo, v16, v18
	v_add_co_ci_u32_e32 v17, vcc_lo, v17, v19, vcc_lo
	s_delay_alu instid0(VALU_DEP_4) | instskip(NEXT) | instid1(VALU_DEP_3)
	v_and_b32_e32 v9, -8, v9
	v_add_co_u32 v14, vcc_lo, v16, v14
	s_delay_alu instid0(VALU_DEP_3) | instskip(NEXT) | instid1(VALU_DEP_2)
	v_add_co_ci_u32_e32 v15, vcc_lo, v17, v15, vcc_lo
	v_add_co_u32 v9, vcc_lo, v14, v9
	s_delay_alu instid0(VALU_DEP_2) | instskip(NEXT) | instid1(VALU_DEP_2)
	v_add_co_ci_u32_e32 v10, vcc_lo, v15, v10, vcc_lo
	v_add_co_u32 v9, vcc_lo, v9, 8
	s_delay_alu instid0(VALU_DEP_2)
	v_add_co_ci_u32_e32 v10, vcc_lo, 0, v10, vcc_lo
	s_branch .LBB196_11
.LBB196_10:                             ;   in Loop: Header=BB196_3 Depth=1
	s_mov_b32 s0, -1
	s_mov_b32 s21, 0
                                        ; implicit-def: $vgpr9_vgpr10
.LBB196_11:                             ;   in Loop: Header=BB196_3 Depth=1
	s_and_b32 vcc_lo, exec_lo, s0
	s_cbranch_vccz .LBB196_14
; %bb.12:                               ;   in Loop: Header=BB196_3 Depth=1
	s_cmpk_eq_i32 s6, 0x79
                                        ; implicit-def: $vgpr9_vgpr10
	s_cbranch_scc0 .LBB196_14
; %bb.13:                               ;   in Loop: Header=BB196_3 Depth=1
	v_lshlrev_b64 v[9:10], 3, v[7:8]
	s_mov_b32 s21, -1
	s_delay_alu instid0(VALU_DEP_1) | instskip(NEXT) | instid1(VALU_DEP_2)
	v_cvt_f64_u32_e32 v[14:15], v10
	v_or_b32_e32 v9, 1, v9
	s_delay_alu instid0(VALU_DEP_1) | instskip(NEXT) | instid1(VALU_DEP_3)
	v_cvt_f64_u32_e32 v[9:10], v9
	v_ldexp_f64 v[14:15], v[14:15], 32
	s_delay_alu instid0(VALU_DEP_1) | instskip(NEXT) | instid1(VALU_DEP_1)
	v_add_f64 v[9:10], v[14:15], v[9:10]
	v_cmp_gt_f64_e32 vcc_lo, 0x10000000, v[9:10]
	v_cndmask_b32_e64 v14, 0, 1, vcc_lo
	s_delay_alu instid0(VALU_DEP_1) | instskip(NEXT) | instid1(VALU_DEP_1)
	v_lshlrev_b32_e32 v14, 8, v14
	v_ldexp_f64 v[9:10], v[9:10], v14
	s_delay_alu instid0(VALU_DEP_1) | instskip(SKIP_3) | instid1(VALU_DEP_1)
	v_rsq_f64_e32 v[14:15], v[9:10]
	s_waitcnt_depctr 0xfff
	v_mul_f64 v[16:17], v[9:10], v[14:15]
	v_mul_f64 v[14:15], v[14:15], 0.5
	v_fma_f64 v[18:19], -v[14:15], v[16:17], 0.5
	s_delay_alu instid0(VALU_DEP_1) | instskip(SKIP_1) | instid1(VALU_DEP_2)
	v_fma_f64 v[16:17], v[16:17], v[18:19], v[16:17]
	v_fma_f64 v[14:15], v[14:15], v[18:19], v[14:15]
	v_fma_f64 v[18:19], -v[16:17], v[16:17], v[9:10]
	s_delay_alu instid0(VALU_DEP_1) | instskip(NEXT) | instid1(VALU_DEP_1)
	v_fma_f64 v[16:17], v[18:19], v[14:15], v[16:17]
	v_fma_f64 v[18:19], -v[16:17], v[16:17], v[9:10]
	s_delay_alu instid0(VALU_DEP_1) | instskip(SKIP_4) | instid1(VALU_DEP_4)
	v_fma_f64 v[14:15], v[18:19], v[14:15], v[16:17]
	v_cndmask_b32_e64 v16, 0, 0xffffff80, vcc_lo
	v_cmp_class_f64_e64 vcc_lo, v[9:10], 0x260
	v_mul_lo_u32 v17, v6, s4
	v_mul_lo_u32 v18, v5, s5
	v_ldexp_f64 v[14:15], v[14:15], v16
	s_delay_alu instid0(VALU_DEP_1) | instskip(NEXT) | instid1(VALU_DEP_1)
	v_dual_cndmask_b32 v10, v15, v10 :: v_dual_cndmask_b32 v9, v14, v9
	v_add_f64 v[9:10], v[9:10], -1.0
	s_delay_alu instid0(VALU_DEP_1) | instskip(NEXT) | instid1(VALU_DEP_1)
	v_mul_f64 v[9:10], v[9:10], 0.5
	v_trunc_f64_e32 v[9:10], v[9:10]
	s_delay_alu instid0(VALU_DEP_1) | instskip(NEXT) | instid1(VALU_DEP_1)
	v_ldexp_f64 v[14:15], v[9:10], 0xffffffe0
	v_floor_f64_e32 v[14:15], v[14:15]
	s_delay_alu instid0(VALU_DEP_1) | instskip(SKIP_1) | instid1(VALU_DEP_2)
	v_fma_f64 v[9:10], 0xc1f00000, v[14:15], v[9:10]
	v_cvt_u32_f64_e32 v15, v[14:15]
	v_cvt_u32_f64_e32 v14, v[9:10]
	v_mad_u64_u32 v[9:10], null, v5, s4, 0
	s_delay_alu instid0(VALU_DEP_3) | instskip(NEXT) | instid1(VALU_DEP_2)
	v_mul_lo_u32 v20, s10, v15
	v_add3_u32 v10, v10, v18, v17
	s_delay_alu instid0(VALU_DEP_1) | instskip(SKIP_4) | instid1(VALU_DEP_3)
	v_lshlrev_b64 v[9:10], 3, v[9:10]
	v_mad_u64_u32 v[5:6], null, v14, v14, v[14:15]
	v_mul_lo_u32 v19, v14, v15
	v_mul_lo_u32 v21, s11, v14
	v_mad_u64_u32 v[15:16], null, s10, v14, s[10:11]
	v_add3_u32 v6, v19, v6, v19
	s_delay_alu instid0(VALU_DEP_2) | instskip(NEXT) | instid1(VALU_DEP_2)
	v_add3_u32 v16, v21, v16, v20
	v_lshrrev_b64 v[5:6], 1, v[5:6]
	s_delay_alu instid0(VALU_DEP_2) | instskip(NEXT) | instid1(VALU_DEP_2)
	v_lshlrev_b64 v[14:15], 3, v[15:16]
	v_sub_co_u32 v5, vcc_lo, v7, v5
	s_delay_alu instid0(VALU_DEP_3) | instskip(SKIP_2) | instid1(VALU_DEP_3)
	v_sub_co_ci_u32_e32 v6, vcc_lo, v8, v6, vcc_lo
	v_add_co_u32 v7, vcc_lo, s14, v9
	v_add_co_ci_u32_e32 v8, vcc_lo, s16, v10, vcc_lo
	v_lshlrev_b64 v[5:6], 3, v[5:6]
	s_delay_alu instid0(VALU_DEP_3) | instskip(NEXT) | instid1(VALU_DEP_3)
	v_add_co_u32 v7, vcc_lo, v7, v14
	v_add_co_ci_u32_e32 v8, vcc_lo, v8, v15, vcc_lo
	s_delay_alu instid0(VALU_DEP_2) | instskip(NEXT) | instid1(VALU_DEP_2)
	v_add_co_u32 v9, vcc_lo, v7, v5
	v_add_co_ci_u32_e32 v10, vcc_lo, v8, v6, vcc_lo
.LBB196_14:                             ;   in Loop: Header=BB196_3 Depth=1
	s_and_b32 vcc_lo, exec_lo, s21
	s_cbranch_vccz .LBB196_2
; %bb.15:                               ;   in Loop: Header=BB196_3 Depth=1
	v_mov_b32_e32 v5, v4
	global_store_b64 v[9:10], v[4:5], off
	s_branch .LBB196_2
.LBB196_16:
	s_nop 0
	s_sendmsg sendmsg(MSG_DEALLOC_VGPRS)
	s_endpgm
	.section	.rodata,"a",@progbits
	.p2align	6, 0x0
	.amdhsa_kernel _ZL18rocblas_trtri_fillILi128E19rocblas_complex_numIfEPKPS1_EvP15_rocblas_handle13rocblas_fill_ililT1_llii
		.amdhsa_group_segment_fixed_size 0
		.amdhsa_private_segment_fixed_size 0
		.amdhsa_kernarg_size 328
		.amdhsa_user_sgpr_count 14
		.amdhsa_user_sgpr_dispatch_ptr 0
		.amdhsa_user_sgpr_queue_ptr 0
		.amdhsa_user_sgpr_kernarg_segment_ptr 1
		.amdhsa_user_sgpr_dispatch_id 0
		.amdhsa_user_sgpr_private_segment_size 0
		.amdhsa_wavefront_size32 1
		.amdhsa_uses_dynamic_stack 0
		.amdhsa_enable_private_segment 0
		.amdhsa_system_sgpr_workgroup_id_x 1
		.amdhsa_system_sgpr_workgroup_id_y 0
		.amdhsa_system_sgpr_workgroup_id_z 1
		.amdhsa_system_sgpr_workgroup_info 0
		.amdhsa_system_vgpr_workitem_id 0
		.amdhsa_next_free_vgpr 26
		.amdhsa_next_free_sgpr 23
		.amdhsa_reserve_vcc 1
		.amdhsa_float_round_mode_32 0
		.amdhsa_float_round_mode_16_64 0
		.amdhsa_float_denorm_mode_32 3
		.amdhsa_float_denorm_mode_16_64 3
		.amdhsa_dx10_clamp 1
		.amdhsa_ieee_mode 1
		.amdhsa_fp16_overflow 0
		.amdhsa_workgroup_processor_mode 1
		.amdhsa_memory_ordered 1
		.amdhsa_forward_progress 0
		.amdhsa_shared_vgpr_count 0
		.amdhsa_exception_fp_ieee_invalid_op 0
		.amdhsa_exception_fp_denorm_src 0
		.amdhsa_exception_fp_ieee_div_zero 0
		.amdhsa_exception_fp_ieee_overflow 0
		.amdhsa_exception_fp_ieee_underflow 0
		.amdhsa_exception_fp_ieee_inexact 0
		.amdhsa_exception_int_div_zero 0
	.end_amdhsa_kernel
	.section	.text._ZL18rocblas_trtri_fillILi128E19rocblas_complex_numIfEPKPS1_EvP15_rocblas_handle13rocblas_fill_ililT1_llii,"axG",@progbits,_ZL18rocblas_trtri_fillILi128E19rocblas_complex_numIfEPKPS1_EvP15_rocblas_handle13rocblas_fill_ililT1_llii,comdat
.Lfunc_end196:
	.size	_ZL18rocblas_trtri_fillILi128E19rocblas_complex_numIfEPKPS1_EvP15_rocblas_handle13rocblas_fill_ililT1_llii, .Lfunc_end196-_ZL18rocblas_trtri_fillILi128E19rocblas_complex_numIfEPKPS1_EvP15_rocblas_handle13rocblas_fill_ililT1_llii
                                        ; -- End function
	.section	.AMDGPU.csdata,"",@progbits
; Kernel info:
; codeLenInByte = 2420
; NumSgprs: 25
; NumVgprs: 26
; ScratchSize: 0
; MemoryBound: 0
; FloatMode: 240
; IeeeMode: 1
; LDSByteSize: 0 bytes/workgroup (compile time only)
; SGPRBlocks: 3
; VGPRBlocks: 3
; NumSGPRsForWavesPerEU: 25
; NumVGPRsForWavesPerEU: 26
; Occupancy: 16
; WaveLimiterHint : 0
; COMPUTE_PGM_RSRC2:SCRATCH_EN: 0
; COMPUTE_PGM_RSRC2:USER_SGPR: 14
; COMPUTE_PGM_RSRC2:TRAP_HANDLER: 0
; COMPUTE_PGM_RSRC2:TGID_X_EN: 1
; COMPUTE_PGM_RSRC2:TGID_Y_EN: 0
; COMPUTE_PGM_RSRC2:TGID_Z_EN: 1
; COMPUTE_PGM_RSRC2:TIDIG_COMP_CNT: 0
	.section	.text._ZL24rocblas_copy_matrix_trsmILi128ELi8E19rocblas_complex_numIfEPKPKS1_PKPS1_EviiiT2_ilT3_illli,"axG",@progbits,_ZL24rocblas_copy_matrix_trsmILi128ELi8E19rocblas_complex_numIfEPKPKS1_PKPS1_EviiiT2_ilT3_illli,comdat
	.globl	_ZL24rocblas_copy_matrix_trsmILi128ELi8E19rocblas_complex_numIfEPKPKS1_PKPS1_EviiiT2_ilT3_illli ; -- Begin function _ZL24rocblas_copy_matrix_trsmILi128ELi8E19rocblas_complex_numIfEPKPKS1_PKPS1_EviiiT2_ilT3_illli
	.p2align	8
	.type	_ZL24rocblas_copy_matrix_trsmILi128ELi8E19rocblas_complex_numIfEPKPKS1_PKPS1_EviiiT2_ilT3_illli,@function
_ZL24rocblas_copy_matrix_trsmILi128ELi8E19rocblas_complex_numIfEPKPKS1_PKPS1_EviiiT2_ilT3_illli: ; @_ZL24rocblas_copy_matrix_trsmILi128ELi8E19rocblas_complex_numIfEPKPKS1_PKPS1_EviiiT2_ilT3_illli
; %bb.0:
	s_load_b64 s[2:3], s[0:1], 0x0
	v_dual_mov_b32 v3, 0 :: v_dual_and_b32 v2, 0x3ff, v0
	v_bfe_u32 v0, v0, 10, 10
	s_mov_b32 s5, 0
	s_delay_alu instid0(VALU_DEP_2) | instskip(NEXT) | instid1(VALU_DEP_3)
	v_mov_b32_e32 v1, v3
	v_lshl_add_u32 v2, s13, 7, v2
	s_delay_alu instid0(VALU_DEP_3) | instskip(SKIP_4) | instid1(SALU_CYCLE_1)
	v_lshl_add_u32 v0, s14, 3, v0
	s_waitcnt lgkmcnt(0)
	s_ashr_i32 s7, s3, 31
	s_mov_b32 s6, s3
	s_ashr_i32 s3, s2, 31
	v_cmp_gt_u64_e32 vcc_lo, s[2:3], v[2:3]
	v_cmp_gt_u64_e64 s2, s[6:7], v[0:1]
	s_delay_alu instid0(VALU_DEP_1) | instskip(NEXT) | instid1(SALU_CYCLE_1)
	s_and_b32 s2, vcc_lo, s2
	s_and_saveexec_b32 s3, s2
	s_cbranch_execz .LBB197_3
; %bb.1:
	s_mov_b32 s4, s15
	s_clause 0x5
	s_load_b32 s14, s[0:1], 0x30
	s_load_b32 s16, s[0:1], 0x18
	s_load_b64 s[2:3], s[0:1], 0x10
	s_load_b64 s[12:13], s[0:1], 0x28
	s_load_b32 s15, s[0:1], 0x5c
	s_load_b128 s[8:11], s[0:1], 0x40
	s_lshl_b64 s[0:1], s[4:5], 3
	v_lshlrev_b64 v[2:3], 3, v[2:3]
	s_waitcnt lgkmcnt(0)
	v_mad_u64_u32 v[4:5], null, s14, v0, 0
	v_mad_u64_u32 v[6:7], null, s16, v0, 0
	s_ashr_i32 s17, s14, 31
	s_ashr_i32 s4, s16, 31
	s_add_u32 s2, s2, s0
	s_addc_u32 s3, s3, s1
	s_add_u32 s12, s12, s0
	s_addc_u32 s13, s13, s1
	s_delay_alu instid0(VALU_DEP_1)
	v_mad_u64_u32 v[8:9], null, s17, v0, v[5:6]
	s_load_b64 s[12:13], s[12:13], 0x0
	s_load_b64 s[2:3], s[2:3], 0x0
	s_lshl_b64 s[10:11], s[10:11], 3
	s_lshl_b64 s[8:9], s[8:9], 3
	s_lshl_b32 s1, s15, 3
	s_delay_alu instid0(VALU_DEP_1)
	v_mad_u64_u32 v[9:10], null, s4, v0, v[7:8]
	v_mov_b32_e32 v5, v8
	s_mul_i32 s17, s17, s1
	s_mul_hi_u32 s0, s14, s1
	s_mul_i32 s4, s4, s1
	s_mul_hi_u32 s18, s16, s1
	v_lshlrev_b64 v[4:5], 3, v[4:5]
	s_delay_alu instid0(VALU_DEP_3) | instskip(SKIP_2) | instid1(VALU_DEP_1)
	v_mov_b32_e32 v7, v9
	s_mul_i32 s14, s14, s1
	s_add_i32 s15, s0, s17
	v_lshlrev_b64 v[6:7], 3, v[6:7]
	s_delay_alu instid0(VALU_DEP_3) | instskip(SKIP_1) | instid1(VALU_DEP_3)
	v_add_co_u32 v4, vcc_lo, v4, s10
	v_add_co_ci_u32_e32 v5, vcc_lo, s11, v5, vcc_lo
	v_add_co_u32 v6, vcc_lo, v6, s8
	s_delay_alu instid0(VALU_DEP_4) | instskip(NEXT) | instid1(VALU_DEP_4)
	v_add_co_ci_u32_e32 v7, vcc_lo, s9, v7, vcc_lo
	v_add_co_u32 v4, vcc_lo, v4, v2
	s_delay_alu instid0(VALU_DEP_4) | instskip(NEXT) | instid1(VALU_DEP_4)
	v_add_co_ci_u32_e32 v5, vcc_lo, v5, v3, vcc_lo
	v_add_co_u32 v6, vcc_lo, v6, v2
	s_delay_alu instid0(VALU_DEP_4)
	v_add_co_ci_u32_e32 v7, vcc_lo, v7, v3, vcc_lo
	s_waitcnt lgkmcnt(0)
	v_add_co_u32 v2, vcc_lo, s12, v4
	v_add_co_ci_u32_e32 v3, vcc_lo, s13, v5, vcc_lo
	v_add_co_u32 v4, vcc_lo, s2, v6
	v_add_co_ci_u32_e32 v5, vcc_lo, s3, v7, vcc_lo
	s_add_i32 s9, s18, s4
	s_mul_i32 s8, s16, s1
	s_lshl_b64 s[2:3], s[14:15], 3
	s_lshl_b64 s[8:9], s[8:9], 3
	.p2align	6
.LBB197_2:                              ; =>This Inner Loop Header: Depth=1
	global_load_b64 v[6:7], v[4:5], off
	v_add_co_u32 v0, vcc_lo, v0, s1
	v_add_co_ci_u32_e32 v1, vcc_lo, 0, v1, vcc_lo
	v_add_co_u32 v4, vcc_lo, v4, s8
	v_add_co_ci_u32_e32 v5, vcc_lo, s9, v5, vcc_lo
	s_delay_alu instid0(VALU_DEP_3) | instskip(SKIP_4) | instid1(VALU_DEP_1)
	v_cmp_le_u64_e32 vcc_lo, s[6:7], v[0:1]
	s_or_b32 s5, vcc_lo, s5
	s_waitcnt vmcnt(0)
	global_store_b64 v[2:3], v[6:7], off
	v_add_co_u32 v2, s0, v2, s2
	v_add_co_ci_u32_e64 v3, s0, s3, v3, s0
	s_and_not1_b32 exec_lo, exec_lo, s5
	s_cbranch_execnz .LBB197_2
.LBB197_3:
	s_nop 0
	s_sendmsg sendmsg(MSG_DEALLOC_VGPRS)
	s_endpgm
	.section	.rodata,"a",@progbits
	.p2align	6, 0x0
	.amdhsa_kernel _ZL24rocblas_copy_matrix_trsmILi128ELi8E19rocblas_complex_numIfEPKPKS1_PKPS1_EviiiT2_ilT3_illli
		.amdhsa_group_segment_fixed_size 0
		.amdhsa_private_segment_fixed_size 0
		.amdhsa_kernarg_size 344
		.amdhsa_user_sgpr_count 13
		.amdhsa_user_sgpr_dispatch_ptr 0
		.amdhsa_user_sgpr_queue_ptr 0
		.amdhsa_user_sgpr_kernarg_segment_ptr 1
		.amdhsa_user_sgpr_dispatch_id 0
		.amdhsa_user_sgpr_private_segment_size 0
		.amdhsa_wavefront_size32 1
		.amdhsa_uses_dynamic_stack 0
		.amdhsa_enable_private_segment 0
		.amdhsa_system_sgpr_workgroup_id_x 1
		.amdhsa_system_sgpr_workgroup_id_y 1
		.amdhsa_system_sgpr_workgroup_id_z 1
		.amdhsa_system_sgpr_workgroup_info 0
		.amdhsa_system_vgpr_workitem_id 1
		.amdhsa_next_free_vgpr 11
		.amdhsa_next_free_sgpr 19
		.amdhsa_reserve_vcc 1
		.amdhsa_float_round_mode_32 0
		.amdhsa_float_round_mode_16_64 0
		.amdhsa_float_denorm_mode_32 3
		.amdhsa_float_denorm_mode_16_64 3
		.amdhsa_dx10_clamp 1
		.amdhsa_ieee_mode 1
		.amdhsa_fp16_overflow 0
		.amdhsa_workgroup_processor_mode 1
		.amdhsa_memory_ordered 1
		.amdhsa_forward_progress 0
		.amdhsa_shared_vgpr_count 0
		.amdhsa_exception_fp_ieee_invalid_op 0
		.amdhsa_exception_fp_denorm_src 0
		.amdhsa_exception_fp_ieee_div_zero 0
		.amdhsa_exception_fp_ieee_overflow 0
		.amdhsa_exception_fp_ieee_underflow 0
		.amdhsa_exception_fp_ieee_inexact 0
		.amdhsa_exception_int_div_zero 0
	.end_amdhsa_kernel
	.section	.text._ZL24rocblas_copy_matrix_trsmILi128ELi8E19rocblas_complex_numIfEPKPKS1_PKPS1_EviiiT2_ilT3_illli,"axG",@progbits,_ZL24rocblas_copy_matrix_trsmILi128ELi8E19rocblas_complex_numIfEPKPKS1_PKPS1_EviiiT2_ilT3_illli,comdat
.Lfunc_end197:
	.size	_ZL24rocblas_copy_matrix_trsmILi128ELi8E19rocblas_complex_numIfEPKPKS1_PKPS1_EviiiT2_ilT3_illli, .Lfunc_end197-_ZL24rocblas_copy_matrix_trsmILi128ELi8E19rocblas_complex_numIfEPKPKS1_PKPS1_EviiiT2_ilT3_illli
                                        ; -- End function
	.section	.AMDGPU.csdata,"",@progbits
; Kernel info:
; codeLenInByte = 520
; NumSgprs: 21
; NumVgprs: 11
; ScratchSize: 0
; MemoryBound: 0
; FloatMode: 240
; IeeeMode: 1
; LDSByteSize: 0 bytes/workgroup (compile time only)
; SGPRBlocks: 2
; VGPRBlocks: 1
; NumSGPRsForWavesPerEU: 21
; NumVGPRsForWavesPerEU: 11
; Occupancy: 16
; WaveLimiterHint : 0
; COMPUTE_PGM_RSRC2:SCRATCH_EN: 0
; COMPUTE_PGM_RSRC2:USER_SGPR: 13
; COMPUTE_PGM_RSRC2:TRAP_HANDLER: 0
; COMPUTE_PGM_RSRC2:TGID_X_EN: 1
; COMPUTE_PGM_RSRC2:TGID_Y_EN: 1
; COMPUTE_PGM_RSRC2:TGID_Z_EN: 1
; COMPUTE_PGM_RSRC2:TIDIG_COMP_CNT: 1
	.section	.text._ZL23rocblas_set_matrix_trsmILi128ELi8E19rocblas_complex_numIdEPKPS1_EvlliT2_llT1_li,"axG",@progbits,_ZL23rocblas_set_matrix_trsmILi128ELi8E19rocblas_complex_numIdEPKPS1_EvlliT2_llT1_li,comdat
	.globl	_ZL23rocblas_set_matrix_trsmILi128ELi8E19rocblas_complex_numIdEPKPS1_EvlliT2_llT1_li ; -- Begin function _ZL23rocblas_set_matrix_trsmILi128ELi8E19rocblas_complex_numIdEPKPS1_EvlliT2_llT1_li
	.p2align	8
	.type	_ZL23rocblas_set_matrix_trsmILi128ELi8E19rocblas_complex_numIdEPKPS1_EvlliT2_llT1_li,@function
_ZL23rocblas_set_matrix_trsmILi128ELi8E19rocblas_complex_numIdEPKPS1_EvlliT2_llT1_li: ; @_ZL23rocblas_set_matrix_trsmILi128ELi8E19rocblas_complex_numIdEPKPS1_EvlliT2_llT1_li
; %bb.0:
	s_load_b128 s[8:11], s[0:1], 0x0
	v_dual_mov_b32 v1, 0 :: v_dual_and_b32 v2, 0x3ff, v0
	v_bfe_u32 v4, v0, 10, 10
	s_mov_b32 s5, 0
	s_delay_alu instid0(VALU_DEP_2) | instskip(NEXT) | instid1(VALU_DEP_3)
	v_mov_b32_e32 v3, v1
	v_lshl_add_u32 v0, s13, 7, v2
	s_delay_alu instid0(VALU_DEP_3) | instskip(SKIP_1) | instid1(VALU_DEP_2)
	v_lshl_add_u32 v2, s14, 3, v4
	s_waitcnt lgkmcnt(0)
	v_cmp_gt_u64_e32 vcc_lo, s[8:9], v[0:1]
	s_delay_alu instid0(VALU_DEP_2) | instskip(NEXT) | instid1(VALU_DEP_1)
	v_cmp_gt_u64_e64 s2, s[10:11], v[2:3]
	s_and_b32 s2, vcc_lo, s2
	s_delay_alu instid0(SALU_CYCLE_1)
	s_and_saveexec_b32 s3, s2
	s_cbranch_execz .LBB198_2
; %bb.1:
	s_clause 0x1
	s_load_b128 s[8:11], s[0:1], 0x18
	s_load_b64 s[0:1], s[0:1], 0x40
	s_mov_b32 s4, s15
	s_delay_alu instid0(SALU_CYCLE_1)
	s_lshl_b64 s[2:3], s[4:5], 3
	s_waitcnt lgkmcnt(0)
	v_mad_u64_u32 v[3:4], null, v2, s10, 0
	s_add_u32 s2, s8, s2
	s_addc_u32 s3, s9, s3
	s_lshl_b64 s[0:1], s[0:1], 4
	s_load_b64 s[2:3], s[2:3], 0x0
	s_delay_alu instid0(VALU_DEP_1) | instskip(NEXT) | instid1(VALU_DEP_1)
	v_mad_u64_u32 v[5:6], null, v2, s11, v[4:5]
	v_mov_b32_e32 v4, v5
	v_lshlrev_b64 v[5:6], 4, v[0:1]
	v_mov_b32_e32 v0, v1
	s_delay_alu instid0(VALU_DEP_3) | instskip(SKIP_3) | instid1(VALU_DEP_1)
	v_lshlrev_b64 v[2:3], 4, v[3:4]
	s_waitcnt lgkmcnt(0)
	s_add_u32 s0, s2, s0
	s_addc_u32 s1, s3, s1
	v_add_co_u32 v4, vcc_lo, s0, v2
	s_delay_alu instid0(VALU_DEP_2) | instskip(SKIP_1) | instid1(VALU_DEP_3)
	v_add_co_ci_u32_e32 v3, vcc_lo, s1, v3, vcc_lo
	v_mov_b32_e32 v2, v1
	v_add_co_u32 v4, vcc_lo, v4, v5
	s_delay_alu instid0(VALU_DEP_3)
	v_add_co_ci_u32_e32 v5, vcc_lo, v3, v6, vcc_lo
	v_mov_b32_e32 v3, v1
	global_store_b128 v[4:5], v[0:3], off
.LBB198_2:
	s_nop 0
	s_sendmsg sendmsg(MSG_DEALLOC_VGPRS)
	s_endpgm
	.section	.rodata,"a",@progbits
	.p2align	6, 0x0
	.amdhsa_kernel _ZL23rocblas_set_matrix_trsmILi128ELi8E19rocblas_complex_numIdEPKPS1_EvlliT2_llT1_li
		.amdhsa_group_segment_fixed_size 0
		.amdhsa_private_segment_fixed_size 0
		.amdhsa_kernarg_size 76
		.amdhsa_user_sgpr_count 13
		.amdhsa_user_sgpr_dispatch_ptr 0
		.amdhsa_user_sgpr_queue_ptr 0
		.amdhsa_user_sgpr_kernarg_segment_ptr 1
		.amdhsa_user_sgpr_dispatch_id 0
		.amdhsa_user_sgpr_private_segment_size 0
		.amdhsa_wavefront_size32 1
		.amdhsa_uses_dynamic_stack 0
		.amdhsa_enable_private_segment 0
		.amdhsa_system_sgpr_workgroup_id_x 1
		.amdhsa_system_sgpr_workgroup_id_y 1
		.amdhsa_system_sgpr_workgroup_id_z 1
		.amdhsa_system_sgpr_workgroup_info 0
		.amdhsa_system_vgpr_workitem_id 1
		.amdhsa_next_free_vgpr 7
		.amdhsa_next_free_sgpr 16
		.amdhsa_reserve_vcc 1
		.amdhsa_float_round_mode_32 0
		.amdhsa_float_round_mode_16_64 0
		.amdhsa_float_denorm_mode_32 3
		.amdhsa_float_denorm_mode_16_64 3
		.amdhsa_dx10_clamp 1
		.amdhsa_ieee_mode 1
		.amdhsa_fp16_overflow 0
		.amdhsa_workgroup_processor_mode 1
		.amdhsa_memory_ordered 1
		.amdhsa_forward_progress 0
		.amdhsa_shared_vgpr_count 0
		.amdhsa_exception_fp_ieee_invalid_op 0
		.amdhsa_exception_fp_denorm_src 0
		.amdhsa_exception_fp_ieee_div_zero 0
		.amdhsa_exception_fp_ieee_overflow 0
		.amdhsa_exception_fp_ieee_underflow 0
		.amdhsa_exception_fp_ieee_inexact 0
		.amdhsa_exception_int_div_zero 0
	.end_amdhsa_kernel
	.section	.text._ZL23rocblas_set_matrix_trsmILi128ELi8E19rocblas_complex_numIdEPKPS1_EvlliT2_llT1_li,"axG",@progbits,_ZL23rocblas_set_matrix_trsmILi128ELi8E19rocblas_complex_numIdEPKPS1_EvlliT2_llT1_li,comdat
.Lfunc_end198:
	.size	_ZL23rocblas_set_matrix_trsmILi128ELi8E19rocblas_complex_numIdEPKPS1_EvlliT2_llT1_li, .Lfunc_end198-_ZL23rocblas_set_matrix_trsmILi128ELi8E19rocblas_complex_numIdEPKPS1_EvlliT2_llT1_li
                                        ; -- End function
	.section	.AMDGPU.csdata,"",@progbits
; Kernel info:
; codeLenInByte = 272
; NumSgprs: 18
; NumVgprs: 7
; ScratchSize: 0
; MemoryBound: 0
; FloatMode: 240
; IeeeMode: 1
; LDSByteSize: 0 bytes/workgroup (compile time only)
; SGPRBlocks: 2
; VGPRBlocks: 0
; NumSGPRsForWavesPerEU: 18
; NumVGPRsForWavesPerEU: 7
; Occupancy: 16
; WaveLimiterHint : 1
; COMPUTE_PGM_RSRC2:SCRATCH_EN: 0
; COMPUTE_PGM_RSRC2:USER_SGPR: 13
; COMPUTE_PGM_RSRC2:TRAP_HANDLER: 0
; COMPUTE_PGM_RSRC2:TGID_X_EN: 1
; COMPUTE_PGM_RSRC2:TGID_Y_EN: 1
; COMPUTE_PGM_RSRC2:TGID_Z_EN: 1
; COMPUTE_PGM_RSRC2:TIDIG_COMP_CNT: 1
	.section	.text._ZL38rocblas_trsm_small_left_device_sharedBILi4ELi4ELb0E19rocblas_complex_numIdES1_PKPKS1_PKPS1_Ev13rocblas_fill_18rocblas_operation_17rocblas_diagonal_iiT3_T4_lilT5_lili,"axG",@progbits,_ZL38rocblas_trsm_small_left_device_sharedBILi4ELi4ELb0E19rocblas_complex_numIdES1_PKPKS1_PKPS1_Ev13rocblas_fill_18rocblas_operation_17rocblas_diagonal_iiT3_T4_lilT5_lili,comdat
	.globl	_ZL38rocblas_trsm_small_left_device_sharedBILi4ELi4ELb0E19rocblas_complex_numIdES1_PKPKS1_PKPS1_Ev13rocblas_fill_18rocblas_operation_17rocblas_diagonal_iiT3_T4_lilT5_lili ; -- Begin function _ZL38rocblas_trsm_small_left_device_sharedBILi4ELi4ELb0E19rocblas_complex_numIdES1_PKPKS1_PKPS1_Ev13rocblas_fill_18rocblas_operation_17rocblas_diagonal_iiT3_T4_lilT5_lili
	.p2align	8
	.type	_ZL38rocblas_trsm_small_left_device_sharedBILi4ELi4ELb0E19rocblas_complex_numIdES1_PKPKS1_PKPS1_Ev13rocblas_fill_18rocblas_operation_17rocblas_diagonal_iiT3_T4_lilT5_lili,@function
_ZL38rocblas_trsm_small_left_device_sharedBILi4ELi4ELb0E19rocblas_complex_numIdES1_PKPKS1_PKPS1_Ev13rocblas_fill_18rocblas_operation_17rocblas_diagonal_iiT3_T4_lilT5_lili: ; @_ZL38rocblas_trsm_small_left_device_sharedBILi4ELi4ELb0E19rocblas_complex_numIdES1_PKPKS1_PKPS1_Ev13rocblas_fill_18rocblas_operation_17rocblas_diagonal_iiT3_T4_lilT5_lili
; %bb.0:
	s_clause 0x1
	s_load_b128 s[4:7], s[2:3], 0x48
	s_load_b128 s[8:11], s[2:3], 0x4
	s_mov_b32 s24, s15
	s_mov_b32 s25, 0
	v_and_b32_e32 v9, 0x3ff, v0
	s_lshl_b64 s[28:29], s[24:25], 3
	s_load_b32 s24, s[2:3], 0x70
	s_mov_b32 s33, exec_lo
	s_waitcnt lgkmcnt(0)
	s_add_u32 s4, s4, s28
	s_addc_u32 s5, s5, s29
	s_load_b256 s[16:23], s[2:3], 0x18
	s_load_b64 s[12:13], s[4:5], 0x0
	s_min_i32 s5, s10, 4
	s_delay_alu instid0(SALU_CYCLE_1)
	s_add_i32 s15, s5, -1
	v_cmpx_gt_i32_e64 s5, v9
	s_cbranch_execz .LBB199_15
; %bb.1:
	s_load_b32 s26, s[2:3], 0x38
	s_waitcnt lgkmcnt(0)
	s_ashr_i32 s27, s26, 31
	s_cmpk_eq_i32 s8, 0x71
	s_cselect_b32 vcc_lo, -1, 0
	s_add_u32 s20, s20, s28
	s_addc_u32 s21, s21, s29
	s_cmp_lt_u32 s15, 3
	s_load_b64 s[20:21], s[20:21], 0x0
	s_cbranch_scc1 .LBB199_4
; %bb.2:
	v_lshlrev_b32_e32 v1, 4, v9
	s_lshl_b64 s[28:29], s[22:23], 4
	s_and_b32 s25, s5, -4
	s_waitcnt lgkmcnt(0)
	s_add_u32 s4, s20, s28
	s_addc_u32 s28, s21, s29
	v_add_co_u32 v1, s4, s4, v1
	s_delay_alu instid0(VALU_DEP_1) | instskip(SKIP_1) | instid1(VALU_DEP_3)
	v_add_co_ci_u32_e64 v2, null, s28, 0, s4
	v_lshlrev_b32_e32 v3, 4, v9
	v_add_co_u32 v1, s4, v1, 8
	s_delay_alu instid0(VALU_DEP_1)
	v_add_co_ci_u32_e64 v2, s4, 0, v2, s4
	s_lshl_b64 s[28:29], s[26:27], 6
	s_lshl_b64 s[30:31], s[26:27], 4
	s_mov_b32 s34, 0
.LBB199_3:                              ; =>This Inner Loop Header: Depth=1
	v_add_co_u32 v10, s4, v1, s30
	s_delay_alu instid0(VALU_DEP_1) | instskip(SKIP_1) | instid1(VALU_DEP_2)
	v_add_co_ci_u32_e64 v11, s4, s31, v2, s4
	s_add_i32 s34, s34, 4
	v_add_co_u32 v14, s4, v10, s30
	s_delay_alu instid0(VALU_DEP_1) | instskip(SKIP_1) | instid1(VALU_DEP_2)
	v_add_co_ci_u32_e64 v15, s4, s31, v11, s4
	s_cmp_eq_u32 s25, s34
	v_add_co_u32 v18, s4, v14, s30
	s_delay_alu instid0(VALU_DEP_1)
	v_add_co_ci_u32_e64 v19, s4, s31, v15, s4
	s_clause 0x3
	global_load_b128 v[4:7], v[1:2], off offset:-8
	global_load_b128 v[10:13], v[10:11], off offset:-8
	;; [unrolled: 1-line block ×4, first 2 shown]
	v_add_co_u32 v1, s4, v1, s28
	s_delay_alu instid0(VALU_DEP_1)
	v_add_co_ci_u32_e64 v2, s4, s29, v2, s4
	s_waitcnt vmcnt(3)
	v_xor_b32_e32 v8, 0x80000000, v7
	s_waitcnt vmcnt(2)
	v_xor_b32_e32 v22, 0x80000000, v13
	;; [unrolled: 2-line block ×4, first 2 shown]
	v_cndmask_b32_e32 v7, v7, v8, vcc_lo
	v_cndmask_b32_e32 v13, v13, v22, vcc_lo
	;; [unrolled: 1-line block ×3, first 2 shown]
	s_delay_alu instid0(VALU_DEP_4)
	v_cndmask_b32_e32 v21, v21, v24, vcc_lo
	ds_store_b128 v3, v[4:7]
	ds_store_b128 v3, v[10:13] offset:64
	ds_store_b128 v3, v[14:17] offset:128
	;; [unrolled: 1-line block ×3, first 2 shown]
	v_add_nc_u32_e32 v3, 0x100, v3
	s_cbranch_scc0 .LBB199_3
.LBB199_4:
	s_and_b32 s28, s5, 3
	s_delay_alu instid0(SALU_CYCLE_1)
	s_cmp_eq_u32 s28, 0
	s_cbranch_scc1 .LBB199_7
; %bb.5:
	s_mul_i32 s4, s27, s25
	s_mul_hi_u32 s29, s26, s25
	s_mul_i32 s30, s26, s25
	s_add_i32 s31, s29, s4
	s_lshl_b64 s[22:23], s[22:23], 4
	s_lshl_b64 s[30:31], s[30:31], 4
	v_lshlrev_b32_e32 v1, 4, v9
	s_add_u32 s4, s30, s22
	s_addc_u32 s22, s31, s23
	s_waitcnt lgkmcnt(0)
	s_add_u32 s4, s20, s4
	s_addc_u32 s20, s21, s22
	v_add_co_u32 v2, s4, s4, v1
	s_delay_alu instid0(VALU_DEP_1) | instskip(SKIP_1) | instid1(VALU_DEP_3)
	v_add_co_ci_u32_e64 v4, null, s20, 0, s4
	v_lshl_or_b32 v3, s25, 6, v1
	v_add_co_u32 v1, s4, v2, 8
	s_delay_alu instid0(VALU_DEP_1)
	v_add_co_ci_u32_e64 v2, s4, 0, v4, s4
	s_lshl_b64 s[20:21], s[26:27], 4
.LBB199_6:                              ; =>This Inner Loop Header: Depth=1
	global_load_b128 v[4:7], v[1:2], off offset:-8
	v_add_co_u32 v1, s4, v1, s20
	s_delay_alu instid0(VALU_DEP_1) | instskip(SKIP_1) | instid1(SALU_CYCLE_1)
	v_add_co_ci_u32_e64 v2, s4, s21, v2, s4
	s_add_i32 s28, s28, -1
	s_cmp_lg_u32 s28, 0
	s_waitcnt vmcnt(0)
	v_xor_b32_e32 v8, 0x80000000, v7
	s_delay_alu instid0(VALU_DEP_1)
	v_cndmask_b32_e32 v7, v7, v8, vcc_lo
	ds_store_b128 v3, v[4:7]
	v_add_nc_u32_e32 v3, 64, v3
	s_cbranch_scc1 .LBB199_6
.LBB199_7:
	v_mul_u32_u24_e32 v1, 5, v9
	s_cmpk_lg_i32 s9, 0x84
	s_delay_alu instid0(VALU_DEP_1)
	v_lshlrev_b32_e32 v10, 4, v1
	s_cbranch_scc0 .LBB199_13
; %bb.8:
	ds_load_b128 v[1:4], v10
	s_waitcnt lgkmcnt(0)
	v_cmp_gt_f64_e32 vcc_lo, 0, v[1:2]
	v_xor_b32_e32 v6, 0x80000000, v2
	v_mov_b32_e32 v5, v1
	v_xor_b32_e32 v7, 0x80000000, v4
	s_delay_alu instid0(VALU_DEP_3) | instskip(SKIP_1) | instid1(VALU_DEP_3)
	v_cndmask_b32_e32 v6, v2, v6, vcc_lo
	v_cmp_gt_f64_e32 vcc_lo, 0, v[3:4]
	v_dual_cndmask_b32 v8, v4, v7 :: v_dual_mov_b32 v7, v3
	s_delay_alu instid0(VALU_DEP_1) | instskip(SKIP_1) | instid1(SALU_CYCLE_1)
	v_cmp_ngt_f64_e32 vcc_lo, v[5:6], v[7:8]
                                        ; implicit-def: $vgpr7_vgpr8
	s_and_saveexec_b32 s4, vcc_lo
	s_xor_b32 s4, exec_lo, s4
	s_cbranch_execz .LBB199_10
; %bb.9:
	v_div_scale_f64 v[5:6], null, v[3:4], v[3:4], v[1:2]
	v_div_scale_f64 v[13:14], vcc_lo, v[1:2], v[3:4], v[1:2]
	s_delay_alu instid0(VALU_DEP_2) | instskip(SKIP_2) | instid1(VALU_DEP_1)
	v_rcp_f64_e32 v[7:8], v[5:6]
	s_waitcnt_depctr 0xfff
	v_fma_f64 v[11:12], -v[5:6], v[7:8], 1.0
	v_fma_f64 v[7:8], v[7:8], v[11:12], v[7:8]
	s_delay_alu instid0(VALU_DEP_1) | instskip(NEXT) | instid1(VALU_DEP_1)
	v_fma_f64 v[11:12], -v[5:6], v[7:8], 1.0
	v_fma_f64 v[7:8], v[7:8], v[11:12], v[7:8]
	s_delay_alu instid0(VALU_DEP_1) | instskip(NEXT) | instid1(VALU_DEP_1)
	v_mul_f64 v[11:12], v[13:14], v[7:8]
	v_fma_f64 v[5:6], -v[5:6], v[11:12], v[13:14]
	s_delay_alu instid0(VALU_DEP_1) | instskip(NEXT) | instid1(VALU_DEP_1)
	v_div_fmas_f64 v[5:6], v[5:6], v[7:8], v[11:12]
	v_div_fixup_f64 v[5:6], v[5:6], v[3:4], v[1:2]
	s_delay_alu instid0(VALU_DEP_1) | instskip(NEXT) | instid1(VALU_DEP_1)
	v_fma_f64 v[1:2], v[1:2], v[5:6], v[3:4]
	v_div_scale_f64 v[3:4], null, v[1:2], v[1:2], 1.0
	v_div_scale_f64 v[13:14], vcc_lo, 1.0, v[1:2], 1.0
	s_delay_alu instid0(VALU_DEP_2) | instskip(SKIP_2) | instid1(VALU_DEP_1)
	v_rcp_f64_e32 v[7:8], v[3:4]
	s_waitcnt_depctr 0xfff
	v_fma_f64 v[11:12], -v[3:4], v[7:8], 1.0
	v_fma_f64 v[7:8], v[7:8], v[11:12], v[7:8]
	s_delay_alu instid0(VALU_DEP_1) | instskip(NEXT) | instid1(VALU_DEP_1)
	v_fma_f64 v[11:12], -v[3:4], v[7:8], 1.0
	v_fma_f64 v[7:8], v[7:8], v[11:12], v[7:8]
	s_delay_alu instid0(VALU_DEP_1) | instskip(NEXT) | instid1(VALU_DEP_1)
	v_mul_f64 v[11:12], v[13:14], v[7:8]
	v_fma_f64 v[3:4], -v[3:4], v[11:12], v[13:14]
	s_delay_alu instid0(VALU_DEP_1) | instskip(SKIP_1) | instid1(VALU_DEP_2)
	v_div_fmas_f64 v[3:4], v[3:4], v[7:8], v[11:12]
	v_add_f64 v[7:8], v[5:6], 0
	v_div_fixup_f64 v[1:2], v[3:4], v[1:2], 1.0
	v_fma_f64 v[3:4], v[5:6], 0, -1.0
	s_delay_alu instid0(VALU_DEP_2) | instskip(NEXT) | instid1(VALU_DEP_2)
	v_mul_f64 v[5:6], v[7:8], v[1:2]
	v_mul_f64 v[7:8], v[3:4], v[1:2]
                                        ; implicit-def: $vgpr1_vgpr2
.LBB199_10:
	s_and_not1_saveexec_b32 s4, s4
	s_cbranch_execz .LBB199_12
; %bb.11:
	v_div_scale_f64 v[5:6], null, v[1:2], v[1:2], v[3:4]
	v_div_scale_f64 v[13:14], vcc_lo, v[3:4], v[1:2], v[3:4]
	s_delay_alu instid0(VALU_DEP_2) | instskip(SKIP_2) | instid1(VALU_DEP_1)
	v_rcp_f64_e32 v[7:8], v[5:6]
	s_waitcnt_depctr 0xfff
	v_fma_f64 v[11:12], -v[5:6], v[7:8], 1.0
	v_fma_f64 v[7:8], v[7:8], v[11:12], v[7:8]
	s_delay_alu instid0(VALU_DEP_1) | instskip(NEXT) | instid1(VALU_DEP_1)
	v_fma_f64 v[11:12], -v[5:6], v[7:8], 1.0
	v_fma_f64 v[7:8], v[7:8], v[11:12], v[7:8]
	s_delay_alu instid0(VALU_DEP_1) | instskip(NEXT) | instid1(VALU_DEP_1)
	v_mul_f64 v[11:12], v[13:14], v[7:8]
	v_fma_f64 v[5:6], -v[5:6], v[11:12], v[13:14]
	s_delay_alu instid0(VALU_DEP_1) | instskip(NEXT) | instid1(VALU_DEP_1)
	v_div_fmas_f64 v[5:6], v[5:6], v[7:8], v[11:12]
	v_div_fixup_f64 v[5:6], v[5:6], v[1:2], v[3:4]
	s_delay_alu instid0(VALU_DEP_1) | instskip(NEXT) | instid1(VALU_DEP_1)
	v_fma_f64 v[1:2], v[3:4], v[5:6], v[1:2]
	v_div_scale_f64 v[3:4], null, v[1:2], v[1:2], 1.0
	v_div_scale_f64 v[13:14], vcc_lo, 1.0, v[1:2], 1.0
	s_delay_alu instid0(VALU_DEP_2) | instskip(SKIP_2) | instid1(VALU_DEP_1)
	v_rcp_f64_e32 v[7:8], v[3:4]
	s_waitcnt_depctr 0xfff
	v_fma_f64 v[11:12], -v[3:4], v[7:8], 1.0
	v_fma_f64 v[7:8], v[7:8], v[11:12], v[7:8]
	s_delay_alu instid0(VALU_DEP_1) | instskip(NEXT) | instid1(VALU_DEP_1)
	v_fma_f64 v[11:12], -v[3:4], v[7:8], 1.0
	v_fma_f64 v[7:8], v[7:8], v[11:12], v[7:8]
	s_delay_alu instid0(VALU_DEP_1) | instskip(NEXT) | instid1(VALU_DEP_1)
	v_mul_f64 v[11:12], v[13:14], v[7:8]
	v_fma_f64 v[3:4], -v[3:4], v[11:12], v[13:14]
	s_delay_alu instid0(VALU_DEP_1) | instskip(SKIP_1) | instid1(VALU_DEP_2)
	v_div_fmas_f64 v[3:4], v[3:4], v[7:8], v[11:12]
	v_fma_f64 v[7:8], v[5:6], 0, 1.0
	v_div_fixup_f64 v[1:2], v[3:4], v[1:2], 1.0
	v_add_f64 v[3:4], -v[5:6], 0
	s_delay_alu instid0(VALU_DEP_2) | instskip(NEXT) | instid1(VALU_DEP_2)
	v_mul_f64 v[5:6], v[7:8], v[1:2]
	v_mul_f64 v[7:8], v[3:4], v[1:2]
.LBB199_12:
	s_or_b32 exec_lo, exec_lo, s4
	s_branch .LBB199_14
.LBB199_13:
	v_mov_b32_e32 v5, 0
	v_dual_mov_b32 v6, 0x3ff00000 :: v_dual_mov_b32 v7, 0
	v_mov_b32_e32 v8, 0
.LBB199_14:
	ds_store_b128 v10, v[5:8]
.LBB199_15:
	s_or_b32 exec_lo, exec_lo, s33
	s_load_b32 s4, s[2:3], 0x58
	s_lshl_b32 s2, s14, 2
	s_add_i32 s24, s24, -1
	s_sub_i32 s3, s11, s2
	s_waitcnt lgkmcnt(0)
	s_ashr_i32 s20, s4, 31
	s_cmp_ge_u32 s14, s24
	s_cselect_b32 s9, s3, 4
	s_ashr_i32 s3, s2, 31
	v_cmp_gt_i32_e32 vcc_lo, s9, v9
	s_cmp_gt_i32 s10, 0
	s_cselect_b32 s9, -1, 0
	s_delay_alu instid0(SALU_CYCLE_1) | instskip(NEXT) | instid1(SALU_CYCLE_1)
	s_and_b32 s9, vcc_lo, s9
	s_and_saveexec_b32 s10, s9
	s_cbranch_execz .LBB199_18
; %bb.16:
	v_lshlrev_b32_e32 v3, 4, v9
	s_lshl_b64 s[22:23], s[2:3], 4
	s_lshl_b64 s[24:25], s[6:7], 4
	s_delay_alu instid0(VALU_DEP_1) | instskip(NEXT) | instid1(VALU_DEP_1)
	v_add_co_u32 v4, s3, s22, v3
	v_add_co_ci_u32_e64 v1, null, s23, 0, s3
	s_add_u32 s22, s12, s24
	s_addc_u32 s23, s13, s25
	s_delay_alu instid0(VALU_DEP_2) | instskip(NEXT) | instid1(VALU_DEP_2)
	v_mul_lo_u32 v5, v4, s20
	v_mul_lo_u32 v6, v1, s4
	v_mad_u64_u32 v[1:2], null, v4, s4, s[22:23]
	v_or_b32_e32 v3, 0x100, v3
	s_mov_b32 s3, s5
	s_delay_alu instid0(VALU_DEP_2) | instskip(NEXT) | instid1(VALU_DEP_3)
	v_add3_u32 v2, v6, v2, v5
	v_add_co_u32 v1, vcc_lo, v1, 8
	s_delay_alu instid0(VALU_DEP_2)
	v_add_co_ci_u32_e32 v2, vcc_lo, 0, v2, vcc_lo
	.p2align	6
.LBB199_17:                             ; =>This Inner Loop Header: Depth=1
	global_load_b128 v[4:7], v[1:2], off offset:-8
	v_add_co_u32 v1, vcc_lo, v1, 16
	v_add_co_ci_u32_e32 v2, vcc_lo, 0, v2, vcc_lo
	s_add_i32 s3, s3, -1
	s_delay_alu instid0(SALU_CYCLE_1) | instskip(SKIP_3) | instid1(VALU_DEP_2)
	s_cmp_lg_u32 s3, 0
	s_waitcnt vmcnt(0)
	v_mul_f64 v[10:11], s[18:19], v[6:7]
	v_mul_f64 v[6:7], s[16:17], v[6:7]
	v_fma_f64 v[10:11], s[16:17], v[4:5], -v[10:11]
	s_delay_alu instid0(VALU_DEP_2)
	v_fma_f64 v[12:13], s[18:19], v[4:5], v[6:7]
	ds_store_b128 v3, v[10:13]
	v_add_nc_u32_e32 v3, 64, v3
	s_cbranch_scc1 .LBB199_17
.LBB199_18:
	s_or_b32 exec_lo, exec_lo, s10
	s_load_b64 s[0:1], s[0:1], 0x4
	v_bfe_u32 v1, v0, 10, 10
	v_bfe_u32 v0, v0, 20, 10
	s_waitcnt vmcnt(0) lgkmcnt(0)
	s_waitcnt_vscnt null, 0x0
	; wave barrier
	s_waitcnt lgkmcnt(0)
	buffer_gl0_inv
	s_lshr_b32 s0, s0, 16
	v_mul_u32_u24_e32 v1, s1, v1
	s_mul_i32 s0, s0, s1
	s_cmpk_eq_i32 s8, 0x6f
	v_mul_u32_u24_e32 v2, s0, v9
	s_mov_b32 s0, -1
	s_delay_alu instid0(VALU_DEP_1) | instskip(NEXT) | instid1(VALU_DEP_1)
	v_add3_u32 v0, v2, v1, v0
	v_lshl_add_u32 v4, v0, 6, 0x200
	s_cbranch_scc1 .LBB199_40
; %bb.19:
	v_lshl_or_b32 v5, v9, 4, 0x100
	v_lshlrev_b32_e32 v6, 4, v9
	s_mov_b32 s1, 0
	s_delay_alu instid0(SALU_CYCLE_1)
	s_mov_b32 s0, s1
	s_mov_b32 s3, s1
	s_branch .LBB199_21
.LBB199_20:                             ;   in Loop: Header=BB199_21 Depth=1
	s_cmp_ge_i32 s3, s5
	s_cselect_b32 s8, -1, 0
	s_add_i32 s0, s0, 1
	s_delay_alu instid0(SALU_CYCLE_1) | instskip(SKIP_1) | instid1(SALU_CYCLE_1)
	s_cmp_eq_u32 s0, 3
	s_cselect_b32 s10, -1, 0
	s_or_b32 s8, s8, s10
	s_delay_alu instid0(SALU_CYCLE_1)
	s_and_not1_b32 vcc_lo, exec_lo, s8
	s_cbranch_vccz .LBB199_39
.LBB199_21:                             ; =>This Loop Header: Depth=1
                                        ;     Child Loop BB199_24 Depth 2
                                        ;       Child Loop BB199_25 Depth 3
                                        ;       Child Loop BB199_28 Depth 3
                                        ;         Child Loop BB199_29 Depth 4
                                        ;       Child Loop BB199_33 Depth 3
                                        ;         Child Loop BB199_35 Depth 4
	s_getpc_b64 s[10:11]
	s_add_u32 s10, s10, __const._ZL38rocblas_trsm_small_left_device_sharedBILi4ELi4ELb0E19rocblas_complex_numIdES1_PKPKS1_PKPS1_Ev13rocblas_fill_18rocblas_operation_17rocblas_diagonal_iiT3_T4_lilT5_lili.step_sizes@rel32@lo+4
	s_addc_u32 s11, s11, __const._ZL38rocblas_trsm_small_left_device_sharedBILi4ELi4ELb0E19rocblas_complex_numIdES1_PKPKS1_PKPS1_Ev13rocblas_fill_18rocblas_operation_17rocblas_diagonal_iiT3_T4_lilT5_lili.step_sizes@rel32@hi+12
	s_lshl_b64 s[16:17], s[0:1], 2
	s_delay_alu instid0(SALU_CYCLE_1) | instskip(SKIP_4) | instid1(SALU_CYCLE_1)
	s_add_u32 s10, s16, s10
	s_addc_u32 s11, s17, s11
	s_load_b32 s8, s[10:11], 0x0
	s_waitcnt lgkmcnt(0)
	s_add_i32 s10, s8, -1
	s_add_i32 s11, s10, s3
	s_delay_alu instid0(SALU_CYCLE_1)
	s_cmp_ge_i32 s11, s5
	s_cbranch_scc1 .LBB199_20
; %bb.22:                               ;   in Loop: Header=BB199_21 Depth=1
	s_lshl_b32 s11, s3, 6
	s_max_i32 s14, s8, 1
	v_add_nc_u32_e32 v7, s11, v5
	s_lshl_b32 s16, s8, 6
	s_mul_i32 s17, s3, 0x50
	s_mul_i32 s18, s8, 0x50
	s_branch .LBB199_24
.LBB199_23:                             ;   in Loop: Header=BB199_24 Depth=2
	s_add_i32 s3, s3, s8
	v_add_nc_u32_e32 v7, s16, v7
	s_add_i32 s19, s10, s3
	s_add_i32 s11, s11, s16
	;; [unrolled: 1-line block ×3, first 2 shown]
	s_cmp_ge_i32 s19, s5
	s_cbranch_scc1 .LBB199_20
.LBB199_24:                             ;   Parent Loop BB199_21 Depth=1
                                        ; =>  This Loop Header: Depth=2
                                        ;       Child Loop BB199_25 Depth 3
                                        ;       Child Loop BB199_28 Depth 3
                                        ;         Child Loop BB199_29 Depth 4
                                        ;       Child Loop BB199_33 Depth 3
                                        ;         Child Loop BB199_35 Depth 4
	v_dual_mov_b32 v0, v4 :: v_dual_mov_b32 v1, v7
	s_mov_b32 s19, s14
.LBB199_25:                             ;   Parent Loop BB199_21 Depth=1
                                        ;     Parent Loop BB199_24 Depth=2
                                        ; =>    This Inner Loop Header: Depth=3
	ds_load_b128 v[10:13], v1
	v_add_nc_u32_e32 v1, 64, v1
	s_add_i32 s19, s19, -1
	s_delay_alu instid0(SALU_CYCLE_1)
	s_cmp_eq_u32 s19, 0
	s_waitcnt lgkmcnt(0)
	ds_store_b128 v0, v[10:13]
	v_add_nc_u32_e32 v0, 16, v0
	s_cbranch_scc0 .LBB199_25
; %bb.26:                               ;   in Loop: Header=BB199_24 Depth=2
	s_cmp_lt_i32 s3, 1
	s_cbranch_scc1 .LBB199_31
; %bb.27:                               ;   in Loop: Header=BB199_24 Depth=2
	s_mov_b32 s19, 0
	s_mov_b32 s20, s11
	s_set_inst_prefetch_distance 0x1
	.p2align	6
.LBB199_28:                             ;   Parent Loop BB199_21 Depth=1
                                        ;     Parent Loop BB199_24 Depth=2
                                        ; =>    This Loop Header: Depth=3
                                        ;         Child Loop BB199_29 Depth 4
	v_lshl_or_b32 v0, s19, 6, v6
	v_mov_b32_e32 v8, v4
	s_mov_b32 s21, s20
	s_mov_b32 s22, s14
	ds_load_b128 v[0:3], v0 offset:256
	.p2align	6
.LBB199_29:                             ;   Parent Loop BB199_21 Depth=1
                                        ;     Parent Loop BB199_24 Depth=2
                                        ;       Parent Loop BB199_28 Depth=3
                                        ; =>      This Inner Loop Header: Depth=4
	v_mov_b32_e32 v10, s21
	s_add_i32 s22, s22, -1
	s_add_i32 s21, s21, 64
	s_cmp_eq_u32 s22, 0
	ds_load_b128 v[10:13], v10
	s_waitcnt lgkmcnt(0)
	v_mul_f64 v[14:15], v[2:3], v[12:13]
	v_mul_f64 v[12:13], v[0:1], v[12:13]
	s_delay_alu instid0(VALU_DEP_2) | instskip(NEXT) | instid1(VALU_DEP_2)
	v_fma_f64 v[14:15], v[0:1], v[10:11], -v[14:15]
	v_fma_f64 v[16:17], v[2:3], v[10:11], v[12:13]
	ds_load_b128 v[10:13], v8
	s_waitcnt lgkmcnt(0)
	v_add_f64 v[10:11], v[10:11], -v[14:15]
	v_add_f64 v[12:13], v[12:13], -v[16:17]
	ds_store_b128 v8, v[10:13]
	v_add_nc_u32_e32 v8, 16, v8
	s_cbranch_scc0 .LBB199_29
; %bb.30:                               ;   in Loop: Header=BB199_28 Depth=3
	s_add_i32 s19, s19, 1
	s_add_i32 s20, s20, 16
	s_cmp_ge_i32 s19, s3
	s_cbranch_scc0 .LBB199_28
.LBB199_31:                             ;   in Loop: Header=BB199_24 Depth=2
	s_set_inst_prefetch_distance 0x2
	s_lshl_b32 s19, s3, 2
	s_mov_b32 s20, 0
	s_mov_b32 s21, s17
	s_branch .LBB199_33
.LBB199_32:                             ;   in Loop: Header=BB199_33 Depth=3
	s_mulk_i32 s23, 0x50
	s_add_i32 s20, s20, 1
	v_mov_b32_e32 v10, s23
	s_add_i32 s21, s21, 64
	s_cmp_eq_u32 s20, s14
	ds_load_b128 v[10:13], v10
	s_waitcnt lgkmcnt(0)
	v_mul_f64 v[14:15], v[12:13], v[2:3]
	v_mul_f64 v[2:3], v[10:11], v[2:3]
	s_delay_alu instid0(VALU_DEP_2) | instskip(NEXT) | instid1(VALU_DEP_2)
	v_fma_f64 v[10:11], v[10:11], v[0:1], -v[14:15]
	v_fma_f64 v[12:13], v[12:13], v[0:1], v[2:3]
	v_add_lshl_u32 v0, s22, v9, 4
	ds_store_b128 v8, v[10:13]
	ds_store_b128 v0, v[10:13] offset:256
	s_cbranch_scc1 .LBB199_23
.LBB199_33:                             ;   Parent Loop BB199_21 Depth=1
                                        ;     Parent Loop BB199_24 Depth=2
                                        ; =>    This Loop Header: Depth=3
                                        ;         Child Loop BB199_35 Depth 4
	v_lshl_add_u32 v8, s20, 4, v4
	s_cmp_lg_u32 s20, 0
	s_cbranch_scc0 .LBB199_37
; %bb.34:                               ;   in Loop: Header=BB199_33 Depth=3
	ds_load_b128 v[0:3], v8
	v_mov_b32_e32 v10, v4
	s_add_i32 s23, s20, s3
	s_mov_b32 s24, 0
	s_lshl_b32 s22, s23, 2
	s_mov_b32 s25, s21
	.p2align	6
.LBB199_35:                             ;   Parent Loop BB199_21 Depth=1
                                        ;     Parent Loop BB199_24 Depth=2
                                        ;       Parent Loop BB199_33 Depth=3
                                        ; =>      This Inner Loop Header: Depth=4
	s_delay_alu instid0(SALU_CYCLE_1)
	v_mov_b32_e32 v15, s25
	s_add_i32 s24, s24, 1
	s_add_i32 s25, s25, 16
	s_cmp_ge_u32 s24, s20
	ds_load_b128 v[11:14], v10
	ds_load_b128 v[15:18], v15
	v_add_nc_u32_e32 v10, 16, v10
	s_waitcnt lgkmcnt(0)
	v_mul_f64 v[19:20], v[17:18], v[13:14]
	v_mul_f64 v[13:14], v[15:16], v[13:14]
	s_delay_alu instid0(VALU_DEP_2) | instskip(NEXT) | instid1(VALU_DEP_2)
	v_fma_f64 v[15:16], v[15:16], v[11:12], -v[19:20]
	v_fma_f64 v[11:12], v[17:18], v[11:12], v[13:14]
	s_delay_alu instid0(VALU_DEP_2) | instskip(NEXT) | instid1(VALU_DEP_2)
	v_add_f64 v[0:1], v[0:1], -v[15:16]
	v_add_f64 v[2:3], v[2:3], -v[11:12]
	ds_store_b128 v8, v[0:3]
	s_cbranch_scc0 .LBB199_35
; %bb.36:                               ;   in Loop: Header=BB199_33 Depth=3
	s_branch .LBB199_32
.LBB199_37:                             ;   in Loop: Header=BB199_33 Depth=3
                                        ; implicit-def: $vgpr0_vgpr1
                                        ; implicit-def: $sgpr23
                                        ; implicit-def: $sgpr22
	s_cbranch_execz .LBB199_32
; %bb.38:                               ;   in Loop: Header=BB199_33 Depth=3
	ds_load_b128 v[0:3], v4
	s_mov_b32 s22, s19
	s_mov_b32 s23, s3
	s_branch .LBB199_32
.LBB199_39:
	s_mov_b32 s0, 0
.LBB199_40:
	s_delay_alu instid0(SALU_CYCLE_1)
	s_and_b32 vcc_lo, exec_lo, s0
	s_cbranch_vccz .LBB199_60
; %bb.41:
	v_lshl_or_b32 v5, v9, 4, 0x100
	v_lshlrev_b32_e32 v6, 4, v9
	s_lshl_b32 s0, s5, 6
	s_mov_b32 s1, 0
	s_sub_i32 s3, s0, 64
	s_mov_b32 s0, s1
	s_mov_b32 s8, s15
	s_branch .LBB199_43
.LBB199_42:                             ;   in Loop: Header=BB199_43 Depth=1
	s_cmp_lt_i32 s8, 0
	s_cselect_b32 s10, -1, 0
	s_add_i32 s0, s0, 1
	s_delay_alu instid0(SALU_CYCLE_1) | instskip(SKIP_1) | instid1(SALU_CYCLE_1)
	s_cmp_eq_u32 s0, 3
	s_cselect_b32 s11, -1, 0
	s_or_b32 s10, s10, s11
	s_delay_alu instid0(SALU_CYCLE_1)
	s_and_b32 vcc_lo, exec_lo, s10
	s_cbranch_vccnz .LBB199_60
.LBB199_43:                             ; =>This Loop Header: Depth=1
                                        ;     Child Loop BB199_46 Depth 2
                                        ;       Child Loop BB199_47 Depth 3
                                        ;       Child Loop BB199_49 Depth 3
                                        ;         Child Loop BB199_50 Depth 4
                                        ;       Child Loop BB199_54 Depth 3
                                        ;         Child Loop BB199_56 Depth 4
	s_getpc_b64 s[10:11]
	s_add_u32 s10, s10, __const._ZL38rocblas_trsm_small_left_device_sharedBILi4ELi4ELb0E19rocblas_complex_numIdES1_PKPKS1_PKPS1_Ev13rocblas_fill_18rocblas_operation_17rocblas_diagonal_iiT3_T4_lilT5_lili.step_sizes@rel32@lo+4
	s_addc_u32 s11, s11, __const._ZL38rocblas_trsm_small_left_device_sharedBILi4ELi4ELb0E19rocblas_complex_numIdES1_PKPKS1_PKPS1_Ev13rocblas_fill_18rocblas_operation_17rocblas_diagonal_iiT3_T4_lilT5_lili.step_sizes@rel32@hi+12
	s_lshl_b64 s[16:17], s[0:1], 2
	s_delay_alu instid0(SALU_CYCLE_1) | instskip(SKIP_4) | instid1(SALU_CYCLE_1)
	s_add_u32 s10, s16, s10
	s_addc_u32 s11, s17, s11
	s_load_b32 s10, s[10:11], 0x0
	s_waitcnt lgkmcnt(0)
	s_add_i32 s11, s10, -1
	s_cmp_lt_i32 s8, s11
	s_cbranch_scc1 .LBB199_42
; %bb.44:                               ;   in Loop: Header=BB199_43 Depth=1
	v_lshl_add_u32 v7, s8, 6, v5
	s_lshl_b32 s16, s10, 6
	s_lshl_b32 s17, s8, 4
	;; [unrolled: 1-line block ×3, first 2 shown]
	s_max_i32 s14, s10, 1
	s_sub_i32 s16, 0, s16
	s_add_i32 s17, s3, s17
	s_sub_i32 s18, 0, s18
	s_mul_i32 s19, s8, 0x50
	s_mul_i32 s20, s10, 0xffffffb0
	s_branch .LBB199_46
.LBB199_45:                             ;   in Loop: Header=BB199_46 Depth=2
	v_add_nc_u32_e32 v7, s16, v7
	s_sub_i32 s8, s8, s10
	s_add_i32 s17, s17, s18
	s_add_i32 s19, s19, s20
	s_cmp_lt_i32 s8, s11
	s_cbranch_scc1 .LBB199_42
.LBB199_46:                             ;   Parent Loop BB199_43 Depth=1
                                        ; =>  This Loop Header: Depth=2
                                        ;       Child Loop BB199_47 Depth 3
                                        ;       Child Loop BB199_49 Depth 3
                                        ;         Child Loop BB199_50 Depth 4
                                        ;       Child Loop BB199_54 Depth 3
                                        ;         Child Loop BB199_56 Depth 4
	v_dual_mov_b32 v0, v4 :: v_dual_mov_b32 v1, v7
	s_mov_b32 s21, s14
.LBB199_47:                             ;   Parent Loop BB199_43 Depth=1
                                        ;     Parent Loop BB199_46 Depth=2
                                        ; =>    This Inner Loop Header: Depth=3
	ds_load_b128 v[10:13], v1
	v_subrev_nc_u32_e32 v1, 64, v1
	s_add_i32 s21, s21, -1
	s_delay_alu instid0(SALU_CYCLE_1)
	s_cmp_eq_u32 s21, 0
	s_waitcnt lgkmcnt(0)
	ds_store_b128 v0, v[10:13]
	v_add_nc_u32_e32 v0, 16, v0
	s_cbranch_scc0 .LBB199_47
; %bb.48:                               ;   in Loop: Header=BB199_46 Depth=2
	s_cmp_le_i32 s15, s8
	s_mov_b32 s21, s17
	s_mov_b32 s22, s15
	s_cbranch_scc1 .LBB199_52
	.p2align	6
.LBB199_49:                             ;   Parent Loop BB199_43 Depth=1
                                        ;     Parent Loop BB199_46 Depth=2
                                        ; =>    This Loop Header: Depth=3
                                        ;         Child Loop BB199_50 Depth 4
	v_lshl_or_b32 v0, s22, 6, v6
	v_mov_b32_e32 v8, v4
	s_mov_b32 s23, s14
	s_mov_b32 s24, s21
	ds_load_b128 v[0:3], v0 offset:256
	.p2align	6
.LBB199_50:                             ;   Parent Loop BB199_43 Depth=1
                                        ;     Parent Loop BB199_46 Depth=2
                                        ;       Parent Loop BB199_49 Depth=3
                                        ; =>      This Inner Loop Header: Depth=4
	v_mov_b32_e32 v10, s24
	s_add_i32 s23, s23, -1
	s_add_i32 s24, s24, -16
	s_cmp_eq_u32 s23, 0
	ds_load_b128 v[10:13], v10
	s_waitcnt lgkmcnt(0)
	v_mul_f64 v[14:15], v[2:3], v[12:13]
	v_mul_f64 v[12:13], v[0:1], v[12:13]
	s_delay_alu instid0(VALU_DEP_2) | instskip(NEXT) | instid1(VALU_DEP_2)
	v_fma_f64 v[14:15], v[0:1], v[10:11], -v[14:15]
	v_fma_f64 v[16:17], v[2:3], v[10:11], v[12:13]
	ds_load_b128 v[10:13], v8
	s_waitcnt lgkmcnt(0)
	v_add_f64 v[10:11], v[10:11], -v[14:15]
	v_add_f64 v[12:13], v[12:13], -v[16:17]
	ds_store_b128 v8, v[10:13]
	v_add_nc_u32_e32 v8, 16, v8
	s_cbranch_scc0 .LBB199_50
; %bb.51:                               ;   in Loop: Header=BB199_49 Depth=3
	s_add_i32 s22, s22, -1
	s_sub_i32 s21, s21, 64
	s_cmp_le_i32 s22, s8
	s_cbranch_scc0 .LBB199_49
.LBB199_52:                             ;   in Loop: Header=BB199_46 Depth=2
	s_mov_b32 s21, 0
	s_mov_b32 s22, s19
	s_branch .LBB199_54
.LBB199_53:                             ;   in Loop: Header=BB199_54 Depth=3
	s_mul_i32 s24, s23, 0x50
	s_add_i32 s21, s21, 1
	v_mov_b32_e32 v10, s24
	s_add_i32 s22, s22, -16
	s_cmp_eq_u32 s21, s14
	ds_load_b128 v[10:13], v10
	s_waitcnt lgkmcnt(0)
	v_mul_f64 v[14:15], v[12:13], v[2:3]
	v_mul_f64 v[2:3], v[10:11], v[2:3]
	s_delay_alu instid0(VALU_DEP_2) | instskip(NEXT) | instid1(VALU_DEP_2)
	v_fma_f64 v[10:11], v[10:11], v[0:1], -v[14:15]
	v_fma_f64 v[12:13], v[12:13], v[0:1], v[2:3]
	v_lshl_or_b32 v0, s23, 6, v6
	ds_store_b128 v8, v[10:13]
	ds_store_b128 v0, v[10:13] offset:256
	s_cbranch_scc1 .LBB199_45
.LBB199_54:                             ;   Parent Loop BB199_43 Depth=1
                                        ;     Parent Loop BB199_46 Depth=2
                                        ; =>    This Loop Header: Depth=3
                                        ;         Child Loop BB199_56 Depth 4
	v_lshl_add_u32 v8, s21, 4, v4
	s_cmp_lg_u32 s21, 0
	s_cbranch_scc0 .LBB199_58
; %bb.55:                               ;   in Loop: Header=BB199_54 Depth=3
	ds_load_b128 v[0:3], v8
	v_mov_b32_e32 v10, v4
	s_sub_i32 s23, s8, s21
	s_mov_b32 s24, 0
	s_mov_b32 s25, s22
	.p2align	6
.LBB199_56:                             ;   Parent Loop BB199_43 Depth=1
                                        ;     Parent Loop BB199_46 Depth=2
                                        ;       Parent Loop BB199_54 Depth=3
                                        ; =>      This Inner Loop Header: Depth=4
	s_delay_alu instid0(SALU_CYCLE_1)
	v_mov_b32_e32 v15, s25
	s_add_i32 s24, s24, 1
	s_sub_i32 s25, s25, 64
	s_cmp_ge_u32 s24, s21
	ds_load_b128 v[11:14], v10
	ds_load_b128 v[15:18], v15
	v_add_nc_u32_e32 v10, 16, v10
	s_waitcnt lgkmcnt(0)
	v_mul_f64 v[19:20], v[17:18], v[13:14]
	v_mul_f64 v[13:14], v[15:16], v[13:14]
	s_delay_alu instid0(VALU_DEP_2) | instskip(NEXT) | instid1(VALU_DEP_2)
	v_fma_f64 v[15:16], v[15:16], v[11:12], -v[19:20]
	v_fma_f64 v[11:12], v[17:18], v[11:12], v[13:14]
	s_delay_alu instid0(VALU_DEP_2) | instskip(NEXT) | instid1(VALU_DEP_2)
	v_add_f64 v[0:1], v[0:1], -v[15:16]
	v_add_f64 v[2:3], v[2:3], -v[11:12]
	ds_store_b128 v8, v[0:3]
	s_cbranch_scc0 .LBB199_56
; %bb.57:                               ;   in Loop: Header=BB199_54 Depth=3
	s_branch .LBB199_53
.LBB199_58:                             ;   in Loop: Header=BB199_54 Depth=3
                                        ; implicit-def: $vgpr0_vgpr1
                                        ; implicit-def: $sgpr23
	s_cbranch_execz .LBB199_53
; %bb.59:                               ;   in Loop: Header=BB199_54 Depth=3
	ds_load_b128 v[0:3], v4
	s_mov_b32 s23, s8
	s_branch .LBB199_53
.LBB199_60:
	s_waitcnt vmcnt(0) lgkmcnt(0)
	s_waitcnt_vscnt null, 0x0
	; wave barrier
	s_waitcnt lgkmcnt(0)
	buffer_gl0_inv
	s_and_saveexec_b32 s0, s9
	s_cbranch_execz .LBB199_63
; %bb.61:
	v_mad_i64_i32 v[0:1], null, s4, v9, 0
	s_lshl_b64 s[0:1], s[6:7], 4
	s_mul_hi_i32 s3, s4, s2
	s_mul_i32 s2, s4, s2
	s_add_u32 s4, s12, s0
	s_addc_u32 s6, s13, s1
	s_lshl_b64 s[0:1], s[2:3], 4
	s_delay_alu instid0(VALU_DEP_1) | instskip(SKIP_3) | instid1(VALU_DEP_2)
	v_lshlrev_b64 v[0:1], 4, v[0:1]
	s_add_u32 s0, s4, s0
	s_addc_u32 s1, s6, s1
	v_lshl_or_b32 v2, v9, 4, 0x100
	v_add_co_u32 v0, vcc_lo, s0, v0
	s_delay_alu instid0(VALU_DEP_3)
	v_add_co_ci_u32_e32 v1, vcc_lo, s1, v1, vcc_lo
.LBB199_62:                             ; =>This Inner Loop Header: Depth=1
	ds_load_2addr_b64 v[3:6], v2 offset1:1
	v_add_nc_u32_e32 v2, 64, v2
	s_add_i32 s5, s5, -1
	s_delay_alu instid0(SALU_CYCLE_1)
	s_cmp_lg_u32 s5, 0
	s_waitcnt lgkmcnt(0)
	global_store_b128 v[0:1], v[3:6], off
	v_add_co_u32 v0, vcc_lo, v0, 16
	v_add_co_ci_u32_e32 v1, vcc_lo, 0, v1, vcc_lo
	s_cbranch_scc1 .LBB199_62
.LBB199_63:
	s_nop 0
	s_sendmsg sendmsg(MSG_DEALLOC_VGPRS)
	s_endpgm
	.section	.rodata,"a",@progbits
	.p2align	6, 0x0
	.amdhsa_kernel _ZL38rocblas_trsm_small_left_device_sharedBILi4ELi4ELb0E19rocblas_complex_numIdES1_PKPKS1_PKPS1_Ev13rocblas_fill_18rocblas_operation_17rocblas_diagonal_iiT3_T4_lilT5_lili
		.amdhsa_group_segment_fixed_size 768
		.amdhsa_private_segment_fixed_size 0
		.amdhsa_kernarg_size 368
		.amdhsa_user_sgpr_count 14
		.amdhsa_user_sgpr_dispatch_ptr 1
		.amdhsa_user_sgpr_queue_ptr 0
		.amdhsa_user_sgpr_kernarg_segment_ptr 1
		.amdhsa_user_sgpr_dispatch_id 0
		.amdhsa_user_sgpr_private_segment_size 0
		.amdhsa_wavefront_size32 1
		.amdhsa_uses_dynamic_stack 0
		.amdhsa_enable_private_segment 0
		.amdhsa_system_sgpr_workgroup_id_x 1
		.amdhsa_system_sgpr_workgroup_id_y 0
		.amdhsa_system_sgpr_workgroup_id_z 1
		.amdhsa_system_sgpr_workgroup_info 0
		.amdhsa_system_vgpr_workitem_id 2
		.amdhsa_next_free_vgpr 25
		.amdhsa_next_free_sgpr 35
		.amdhsa_reserve_vcc 1
		.amdhsa_float_round_mode_32 0
		.amdhsa_float_round_mode_16_64 0
		.amdhsa_float_denorm_mode_32 3
		.amdhsa_float_denorm_mode_16_64 3
		.amdhsa_dx10_clamp 1
		.amdhsa_ieee_mode 1
		.amdhsa_fp16_overflow 0
		.amdhsa_workgroup_processor_mode 1
		.amdhsa_memory_ordered 1
		.amdhsa_forward_progress 0
		.amdhsa_shared_vgpr_count 0
		.amdhsa_exception_fp_ieee_invalid_op 0
		.amdhsa_exception_fp_denorm_src 0
		.amdhsa_exception_fp_ieee_div_zero 0
		.amdhsa_exception_fp_ieee_overflow 0
		.amdhsa_exception_fp_ieee_underflow 0
		.amdhsa_exception_fp_ieee_inexact 0
		.amdhsa_exception_int_div_zero 0
	.end_amdhsa_kernel
	.section	.text._ZL38rocblas_trsm_small_left_device_sharedBILi4ELi4ELb0E19rocblas_complex_numIdES1_PKPKS1_PKPS1_Ev13rocblas_fill_18rocblas_operation_17rocblas_diagonal_iiT3_T4_lilT5_lili,"axG",@progbits,_ZL38rocblas_trsm_small_left_device_sharedBILi4ELi4ELb0E19rocblas_complex_numIdES1_PKPKS1_PKPS1_Ev13rocblas_fill_18rocblas_operation_17rocblas_diagonal_iiT3_T4_lilT5_lili,comdat
.Lfunc_end199:
	.size	_ZL38rocblas_trsm_small_left_device_sharedBILi4ELi4ELb0E19rocblas_complex_numIdES1_PKPKS1_PKPS1_Ev13rocblas_fill_18rocblas_operation_17rocblas_diagonal_iiT3_T4_lilT5_lili, .Lfunc_end199-_ZL38rocblas_trsm_small_left_device_sharedBILi4ELi4ELb0E19rocblas_complex_numIdES1_PKPKS1_PKPS1_Ev13rocblas_fill_18rocblas_operation_17rocblas_diagonal_iiT3_T4_lilT5_lili
                                        ; -- End function
	.section	.AMDGPU.csdata,"",@progbits
; Kernel info:
; codeLenInByte = 3332
; NumSgprs: 37
; NumVgprs: 25
; ScratchSize: 0
; MemoryBound: 0
; FloatMode: 240
; IeeeMode: 1
; LDSByteSize: 768 bytes/workgroup (compile time only)
; SGPRBlocks: 4
; VGPRBlocks: 3
; NumSGPRsForWavesPerEU: 37
; NumVGPRsForWavesPerEU: 25
; Occupancy: 16
; WaveLimiterHint : 0
; COMPUTE_PGM_RSRC2:SCRATCH_EN: 0
; COMPUTE_PGM_RSRC2:USER_SGPR: 14
; COMPUTE_PGM_RSRC2:TRAP_HANDLER: 0
; COMPUTE_PGM_RSRC2:TGID_X_EN: 1
; COMPUTE_PGM_RSRC2:TGID_Y_EN: 0
; COMPUTE_PGM_RSRC2:TGID_Z_EN: 1
; COMPUTE_PGM_RSRC2:TIDIG_COMP_CNT: 2
	.section	.text._ZL30rocblas_trsm_small_left_deviceILi4ELi4ELb0E19rocblas_complex_numIdES1_PKPKS1_PKPS1_Ev13rocblas_fill_18rocblas_operation_17rocblas_diagonal_iiT3_T4_lilT5_lili,"axG",@progbits,_ZL30rocblas_trsm_small_left_deviceILi4ELi4ELb0E19rocblas_complex_numIdES1_PKPKS1_PKPS1_Ev13rocblas_fill_18rocblas_operation_17rocblas_diagonal_iiT3_T4_lilT5_lili,comdat
	.globl	_ZL30rocblas_trsm_small_left_deviceILi4ELi4ELb0E19rocblas_complex_numIdES1_PKPKS1_PKPS1_Ev13rocblas_fill_18rocblas_operation_17rocblas_diagonal_iiT3_T4_lilT5_lili ; -- Begin function _ZL30rocblas_trsm_small_left_deviceILi4ELi4ELb0E19rocblas_complex_numIdES1_PKPKS1_PKPS1_Ev13rocblas_fill_18rocblas_operation_17rocblas_diagonal_iiT3_T4_lilT5_lili
	.p2align	8
	.type	_ZL30rocblas_trsm_small_left_deviceILi4ELi4ELb0E19rocblas_complex_numIdES1_PKPKS1_PKPS1_Ev13rocblas_fill_18rocblas_operation_17rocblas_diagonal_iiT3_T4_lilT5_lili,@function
_ZL30rocblas_trsm_small_left_deviceILi4ELi4ELb0E19rocblas_complex_numIdES1_PKPKS1_PKPS1_Ev13rocblas_fill_18rocblas_operation_17rocblas_diagonal_iiT3_T4_lilT5_lili: ; @_ZL30rocblas_trsm_small_left_deviceILi4ELi4ELb0E19rocblas_complex_numIdES1_PKPKS1_PKPS1_Ev13rocblas_fill_18rocblas_operation_17rocblas_diagonal_iiT3_T4_lilT5_lili
; %bb.0:
	s_clause 0x1
	s_load_b128 s[4:7], s[2:3], 0x48
	s_load_b128 s[8:11], s[2:3], 0x4
	s_mov_b32 s24, s15
	s_mov_b32 s25, 0
	s_load_b32 s15, s[2:3], 0x70
	s_lshl_b64 s[28:29], s[24:25], 3
	v_and_b32_e32 v9, 0x3ff, v0
	s_waitcnt lgkmcnt(0)
	s_add_u32 s4, s4, s28
	s_addc_u32 s5, s5, s29
	s_load_b256 s[16:23], s[2:3], 0x18
	s_load_b64 s[12:13], s[4:5], 0x0
	s_min_i32 s33, s10, 4
	s_mov_b32 s5, exec_lo
	s_add_i32 s24, s33, -1
	v_cmpx_gt_i32_e64 s33, v9
	s_cbranch_execz .LBB200_15
; %bb.1:
	s_load_b32 s26, s[2:3], 0x38
	v_lshlrev_b32_e32 v3, 4, v9
	s_waitcnt lgkmcnt(0)
	s_ashr_i32 s27, s26, 31
	s_cmpk_eq_i32 s8, 0x71
	s_cselect_b32 vcc_lo, -1, 0
	s_add_u32 s20, s20, s28
	s_addc_u32 s21, s21, s29
	s_cmp_lt_u32 s24, 3
	s_load_b64 s[20:21], s[20:21], 0x0
	s_cbranch_scc1 .LBB200_4
; %bb.2:
	v_dual_mov_b32 v4, v3 :: v_dual_lshlrev_b32 v1, 4, v9
	s_lshl_b64 s[28:29], s[22:23], 4
	s_and_b32 s25, s33, -4
	s_waitcnt lgkmcnt(0)
	s_add_u32 s4, s20, s28
	s_addc_u32 s10, s21, s29
	v_add_co_u32 v1, s4, s4, v1
	s_delay_alu instid0(VALU_DEP_1) | instskip(SKIP_1) | instid1(VALU_DEP_2)
	v_add_co_ci_u32_e64 v2, null, s10, 0, s4
	s_lshl_b64 s[28:29], s[26:27], 6
	v_add_co_u32 v1, s4, v1, 8
	s_delay_alu instid0(VALU_DEP_1)
	v_add_co_ci_u32_e64 v2, s4, 0, v2, s4
	s_lshl_b64 s[30:31], s[26:27], 4
	s_mov_b32 s10, 0
.LBB200_3:                              ; =>This Inner Loop Header: Depth=1
	s_delay_alu instid0(VALU_DEP_2) | instskip(NEXT) | instid1(VALU_DEP_1)
	v_add_co_u32 v10, s4, v1, s30
	v_add_co_ci_u32_e64 v11, s4, s31, v2, s4
	s_add_i32 s10, s10, 4
	s_delay_alu instid0(VALU_DEP_2) | instskip(NEXT) | instid1(VALU_DEP_1)
	v_add_co_u32 v14, s4, v10, s30
	v_add_co_ci_u32_e64 v15, s4, s31, v11, s4
	s_cmp_eq_u32 s25, s10
	s_delay_alu instid0(VALU_DEP_2) | instskip(NEXT) | instid1(VALU_DEP_1)
	v_add_co_u32 v18, s4, v14, s30
	v_add_co_ci_u32_e64 v19, s4, s31, v15, s4
	s_clause 0x3
	global_load_b128 v[5:8], v[1:2], off offset:-8
	global_load_b128 v[10:13], v[10:11], off offset:-8
	;; [unrolled: 1-line block ×4, first 2 shown]
	v_add_co_u32 v1, s4, v1, s28
	s_delay_alu instid0(VALU_DEP_1)
	v_add_co_ci_u32_e64 v2, s4, s29, v2, s4
	s_waitcnt vmcnt(3)
	v_xor_b32_e32 v22, 0x80000000, v8
	s_waitcnt vmcnt(2)
	v_xor_b32_e32 v23, 0x80000000, v13
	;; [unrolled: 2-line block ×4, first 2 shown]
	v_dual_cndmask_b32 v8, v8, v22 :: v_dual_cndmask_b32 v13, v13, v23
	s_delay_alu instid0(VALU_DEP_3) | instskip(NEXT) | instid1(VALU_DEP_3)
	v_cndmask_b32_e32 v17, v17, v24, vcc_lo
	v_cndmask_b32_e32 v21, v21, v25, vcc_lo
	ds_store_b128 v4, v[5:8]
	ds_store_b128 v4, v[10:13] offset:64
	ds_store_b128 v4, v[14:17] offset:128
	;; [unrolled: 1-line block ×3, first 2 shown]
	v_add_nc_u32_e32 v4, 0x100, v4
	s_cbranch_scc0 .LBB200_3
.LBB200_4:
	s_and_b32 s10, s33, 3
	s_delay_alu instid0(SALU_CYCLE_1)
	s_cmp_eq_u32 s10, 0
	s_cbranch_scc1 .LBB200_7
; %bb.5:
	s_mul_i32 s4, s27, s25
	s_mul_hi_u32 s28, s26, s25
	s_lshl_b64 s[22:23], s[22:23], 4
	s_add_i32 s29, s28, s4
	s_mul_i32 s28, s26, s25
	s_delay_alu instid0(SALU_CYCLE_1) | instskip(NEXT) | instid1(SALU_CYCLE_1)
	s_lshl_b64 s[28:29], s[28:29], 4
	s_add_u32 s4, s28, s22
	s_addc_u32 s22, s29, s23
	s_waitcnt lgkmcnt(0)
	s_add_u32 s4, s20, s4
	s_addc_u32 s20, s21, s22
	v_add_co_u32 v1, s4, s4, v3
	s_delay_alu instid0(VALU_DEP_1) | instskip(SKIP_1) | instid1(VALU_DEP_3)
	v_add_co_ci_u32_e64 v2, null, s20, 0, s4
	v_lshl_or_b32 v3, s25, 6, v3
	v_add_co_u32 v1, s4, v1, 8
	s_delay_alu instid0(VALU_DEP_1)
	v_add_co_ci_u32_e64 v2, s4, 0, v2, s4
	s_lshl_b64 s[20:21], s[26:27], 4
.LBB200_6:                              ; =>This Inner Loop Header: Depth=1
	global_load_b128 v[4:7], v[1:2], off offset:-8
	v_add_co_u32 v1, s4, v1, s20
	s_delay_alu instid0(VALU_DEP_1) | instskip(SKIP_1) | instid1(SALU_CYCLE_1)
	v_add_co_ci_u32_e64 v2, s4, s21, v2, s4
	s_add_i32 s10, s10, -1
	s_cmp_lg_u32 s10, 0
	s_waitcnt vmcnt(0)
	v_xor_b32_e32 v8, 0x80000000, v7
	s_delay_alu instid0(VALU_DEP_1)
	v_cndmask_b32_e32 v7, v7, v8, vcc_lo
	ds_store_b128 v3, v[4:7]
	v_add_nc_u32_e32 v3, 64, v3
	s_cbranch_scc1 .LBB200_6
.LBB200_7:
	v_mul_u32_u24_e32 v1, 5, v9
	s_cmpk_lg_i32 s9, 0x84
	s_delay_alu instid0(VALU_DEP_1)
	v_lshlrev_b32_e32 v10, 4, v1
	s_cbranch_scc0 .LBB200_13
; %bb.8:
	ds_load_b128 v[1:4], v10
	s_waitcnt lgkmcnt(0)
	v_cmp_gt_f64_e32 vcc_lo, 0, v[1:2]
	v_xor_b32_e32 v6, 0x80000000, v2
	v_mov_b32_e32 v5, v1
	v_xor_b32_e32 v7, 0x80000000, v4
	s_delay_alu instid0(VALU_DEP_3) | instskip(SKIP_1) | instid1(VALU_DEP_3)
	v_cndmask_b32_e32 v6, v2, v6, vcc_lo
	v_cmp_gt_f64_e32 vcc_lo, 0, v[3:4]
	v_dual_cndmask_b32 v8, v4, v7 :: v_dual_mov_b32 v7, v3
	s_delay_alu instid0(VALU_DEP_1) | instskip(SKIP_1) | instid1(SALU_CYCLE_1)
	v_cmp_ngt_f64_e32 vcc_lo, v[5:6], v[7:8]
                                        ; implicit-def: $vgpr7_vgpr8
	s_and_saveexec_b32 s4, vcc_lo
	s_xor_b32 s4, exec_lo, s4
	s_cbranch_execz .LBB200_10
; %bb.9:
	v_div_scale_f64 v[5:6], null, v[3:4], v[3:4], v[1:2]
	v_div_scale_f64 v[13:14], vcc_lo, v[1:2], v[3:4], v[1:2]
	s_delay_alu instid0(VALU_DEP_2) | instskip(SKIP_2) | instid1(VALU_DEP_1)
	v_rcp_f64_e32 v[7:8], v[5:6]
	s_waitcnt_depctr 0xfff
	v_fma_f64 v[11:12], -v[5:6], v[7:8], 1.0
	v_fma_f64 v[7:8], v[7:8], v[11:12], v[7:8]
	s_delay_alu instid0(VALU_DEP_1) | instskip(NEXT) | instid1(VALU_DEP_1)
	v_fma_f64 v[11:12], -v[5:6], v[7:8], 1.0
	v_fma_f64 v[7:8], v[7:8], v[11:12], v[7:8]
	s_delay_alu instid0(VALU_DEP_1) | instskip(NEXT) | instid1(VALU_DEP_1)
	v_mul_f64 v[11:12], v[13:14], v[7:8]
	v_fma_f64 v[5:6], -v[5:6], v[11:12], v[13:14]
	s_delay_alu instid0(VALU_DEP_1) | instskip(NEXT) | instid1(VALU_DEP_1)
	v_div_fmas_f64 v[5:6], v[5:6], v[7:8], v[11:12]
	v_div_fixup_f64 v[5:6], v[5:6], v[3:4], v[1:2]
	s_delay_alu instid0(VALU_DEP_1) | instskip(NEXT) | instid1(VALU_DEP_1)
	v_fma_f64 v[1:2], v[1:2], v[5:6], v[3:4]
	v_div_scale_f64 v[3:4], null, v[1:2], v[1:2], 1.0
	v_div_scale_f64 v[13:14], vcc_lo, 1.0, v[1:2], 1.0
	s_delay_alu instid0(VALU_DEP_2) | instskip(SKIP_2) | instid1(VALU_DEP_1)
	v_rcp_f64_e32 v[7:8], v[3:4]
	s_waitcnt_depctr 0xfff
	v_fma_f64 v[11:12], -v[3:4], v[7:8], 1.0
	v_fma_f64 v[7:8], v[7:8], v[11:12], v[7:8]
	s_delay_alu instid0(VALU_DEP_1) | instskip(NEXT) | instid1(VALU_DEP_1)
	v_fma_f64 v[11:12], -v[3:4], v[7:8], 1.0
	v_fma_f64 v[7:8], v[7:8], v[11:12], v[7:8]
	s_delay_alu instid0(VALU_DEP_1) | instskip(NEXT) | instid1(VALU_DEP_1)
	v_mul_f64 v[11:12], v[13:14], v[7:8]
	v_fma_f64 v[3:4], -v[3:4], v[11:12], v[13:14]
	s_delay_alu instid0(VALU_DEP_1) | instskip(SKIP_1) | instid1(VALU_DEP_2)
	v_div_fmas_f64 v[3:4], v[3:4], v[7:8], v[11:12]
	v_add_f64 v[7:8], v[5:6], 0
	v_div_fixup_f64 v[1:2], v[3:4], v[1:2], 1.0
	v_fma_f64 v[3:4], v[5:6], 0, -1.0
	s_delay_alu instid0(VALU_DEP_2) | instskip(NEXT) | instid1(VALU_DEP_2)
	v_mul_f64 v[5:6], v[7:8], v[1:2]
	v_mul_f64 v[7:8], v[3:4], v[1:2]
                                        ; implicit-def: $vgpr1_vgpr2
.LBB200_10:
	s_and_not1_saveexec_b32 s4, s4
	s_cbranch_execz .LBB200_12
; %bb.11:
	v_div_scale_f64 v[5:6], null, v[1:2], v[1:2], v[3:4]
	v_div_scale_f64 v[13:14], vcc_lo, v[3:4], v[1:2], v[3:4]
	s_delay_alu instid0(VALU_DEP_2) | instskip(SKIP_2) | instid1(VALU_DEP_1)
	v_rcp_f64_e32 v[7:8], v[5:6]
	s_waitcnt_depctr 0xfff
	v_fma_f64 v[11:12], -v[5:6], v[7:8], 1.0
	v_fma_f64 v[7:8], v[7:8], v[11:12], v[7:8]
	s_delay_alu instid0(VALU_DEP_1) | instskip(NEXT) | instid1(VALU_DEP_1)
	v_fma_f64 v[11:12], -v[5:6], v[7:8], 1.0
	v_fma_f64 v[7:8], v[7:8], v[11:12], v[7:8]
	s_delay_alu instid0(VALU_DEP_1) | instskip(NEXT) | instid1(VALU_DEP_1)
	v_mul_f64 v[11:12], v[13:14], v[7:8]
	v_fma_f64 v[5:6], -v[5:6], v[11:12], v[13:14]
	s_delay_alu instid0(VALU_DEP_1) | instskip(NEXT) | instid1(VALU_DEP_1)
	v_div_fmas_f64 v[5:6], v[5:6], v[7:8], v[11:12]
	v_div_fixup_f64 v[5:6], v[5:6], v[1:2], v[3:4]
	s_delay_alu instid0(VALU_DEP_1) | instskip(NEXT) | instid1(VALU_DEP_1)
	v_fma_f64 v[1:2], v[3:4], v[5:6], v[1:2]
	v_div_scale_f64 v[3:4], null, v[1:2], v[1:2], 1.0
	v_div_scale_f64 v[13:14], vcc_lo, 1.0, v[1:2], 1.0
	s_delay_alu instid0(VALU_DEP_2) | instskip(SKIP_2) | instid1(VALU_DEP_1)
	v_rcp_f64_e32 v[7:8], v[3:4]
	s_waitcnt_depctr 0xfff
	v_fma_f64 v[11:12], -v[3:4], v[7:8], 1.0
	v_fma_f64 v[7:8], v[7:8], v[11:12], v[7:8]
	s_delay_alu instid0(VALU_DEP_1) | instskip(NEXT) | instid1(VALU_DEP_1)
	v_fma_f64 v[11:12], -v[3:4], v[7:8], 1.0
	v_fma_f64 v[7:8], v[7:8], v[11:12], v[7:8]
	s_delay_alu instid0(VALU_DEP_1) | instskip(NEXT) | instid1(VALU_DEP_1)
	v_mul_f64 v[11:12], v[13:14], v[7:8]
	v_fma_f64 v[3:4], -v[3:4], v[11:12], v[13:14]
	s_delay_alu instid0(VALU_DEP_1) | instskip(SKIP_1) | instid1(VALU_DEP_2)
	v_div_fmas_f64 v[3:4], v[3:4], v[7:8], v[11:12]
	v_fma_f64 v[7:8], v[5:6], 0, 1.0
	v_div_fixup_f64 v[1:2], v[3:4], v[1:2], 1.0
	v_add_f64 v[3:4], -v[5:6], 0
	s_delay_alu instid0(VALU_DEP_2) | instskip(NEXT) | instid1(VALU_DEP_2)
	v_mul_f64 v[5:6], v[7:8], v[1:2]
	v_mul_f64 v[7:8], v[3:4], v[1:2]
.LBB200_12:
	s_or_b32 exec_lo, exec_lo, s4
	s_branch .LBB200_14
.LBB200_13:
	v_mov_b32_e32 v5, 0
	v_dual_mov_b32 v6, 0x3ff00000 :: v_dual_mov_b32 v7, 0
	v_mov_b32_e32 v8, 0
.LBB200_14:
	ds_store_b128 v10, v[5:8]
.LBB200_15:
	s_or_b32 exec_lo, exec_lo, s5
	s_lshl_b32 s5, s14, 2
	s_add_i32 s15, s15, -1
	s_sub_i32 s4, s11, s5
	s_cmp_ge_u32 s14, s15
	s_waitcnt lgkmcnt(0)
	s_cselect_b32 s4, s4, 4
	; wave barrier
	buffer_gl0_inv
	v_cmp_gt_i32_e32 vcc_lo, s4, v9
	s_mov_b32 s4, -1
	s_and_saveexec_b32 s9, vcc_lo
	s_cbranch_execz .LBB200_58
; %bb.16:
	s_load_b64 s[0:1], s[0:1], 0x4
	s_load_b32 s2, s[2:3], 0x58
	v_add_nc_u32_e32 v2, s5, v9
	v_bfe_u32 v3, v0, 10, 10
	v_bfe_u32 v4, v0, 20, 10
	s_waitcnt lgkmcnt(0)
	s_lshr_b32 s0, s0, 16
	v_mad_i64_i32 v[0:1], null, s2, v2, 0
	s_mul_i32 s0, s0, s1
	v_mul_u32_u24_e32 v2, s1, v3
	v_mul_u32_u24_e32 v3, s0, v9
	s_lshl_b64 s[0:1], s[6:7], 4
	s_delay_alu instid0(SALU_CYCLE_1) | instskip(SKIP_1) | instid1(VALU_DEP_1)
	s_add_u32 s2, s12, s0
	s_addc_u32 s3, s13, s1
	v_add3_u32 v2, v3, v2, v4
	v_lshlrev_b64 v[4:5], 4, v[0:1]
	s_cmpk_eq_i32 s8, 0x6f
	s_delay_alu instid0(VALU_DEP_2) | instskip(NEXT) | instid1(VALU_DEP_2)
	v_lshl_add_u32 v8, v2, 6, 0x100
	v_add_co_u32 v9, vcc_lo, s2, v4
	s_delay_alu instid0(VALU_DEP_3)
	v_add_co_ci_u32_e32 v10, vcc_lo, s3, v5, vcc_lo
	s_cbranch_scc1 .LBB200_38
; %bb.17:
	s_add_u32 s2, s12, s0
	s_addc_u32 s3, s13, s1
	v_add_co_u32 v0, vcc_lo, s2, v4
	v_add_co_ci_u32_e32 v1, vcc_lo, s3, v5, vcc_lo
	s_mov_b32 s3, 0
	s_delay_alu instid0(VALU_DEP_2) | instskip(NEXT) | instid1(VALU_DEP_2)
	v_add_co_u32 v11, vcc_lo, v0, 8
	v_add_co_ci_u32_e32 v12, vcc_lo, 0, v1, vcc_lo
	s_mov_b32 s4, s3
	s_mov_b32 s6, s3
	s_branch .LBB200_19
.LBB200_18:                             ;   in Loop: Header=BB200_19 Depth=1
	s_cmp_ge_i32 s6, s33
	s_cselect_b32 s2, -1, 0
	s_add_i32 s4, s4, 1
	s_delay_alu instid0(SALU_CYCLE_1) | instskip(SKIP_1) | instid1(SALU_CYCLE_1)
	s_cmp_eq_u32 s4, 3
	s_cselect_b32 s5, -1, 0
	s_or_b32 s2, s2, s5
	s_delay_alu instid0(SALU_CYCLE_1)
	s_and_not1_b32 vcc_lo, exec_lo, s2
	s_cbranch_vccz .LBB200_37
.LBB200_19:                             ; =>This Loop Header: Depth=1
                                        ;     Child Loop BB200_22 Depth 2
                                        ;       Child Loop BB200_23 Depth 3
                                        ;       Child Loop BB200_26 Depth 3
                                        ;         Child Loop BB200_27 Depth 4
                                        ;       Child Loop BB200_31 Depth 3
                                        ;         Child Loop BB200_33 Depth 4
	s_mov_b32 s5, s3
	s_getpc_b64 s[8:9]
	s_add_u32 s8, s8, __const._ZL30rocblas_trsm_small_left_deviceILi4ELi4ELb0E19rocblas_complex_numIdES1_PKPKS1_PKPS1_Ev13rocblas_fill_18rocblas_operation_17rocblas_diagonal_iiT3_T4_lilT5_lili.step_sizes@rel32@lo+4
	s_addc_u32 s9, s9, __const._ZL30rocblas_trsm_small_left_deviceILi4ELi4ELb0E19rocblas_complex_numIdES1_PKPKS1_PKPS1_Ev13rocblas_fill_18rocblas_operation_17rocblas_diagonal_iiT3_T4_lilT5_lili.step_sizes@rel32@hi+12
	s_lshl_b64 s[10:11], s[4:5], 2
	s_delay_alu instid0(SALU_CYCLE_1) | instskip(SKIP_4) | instid1(SALU_CYCLE_1)
	s_add_u32 s8, s10, s8
	s_addc_u32 s9, s11, s9
	s_load_b32 s8, s[8:9], 0x0
	s_waitcnt lgkmcnt(0)
	s_add_i32 s5, s8, -1
	s_add_i32 s2, s5, s6
	s_delay_alu instid0(SALU_CYCLE_1)
	s_cmp_ge_i32 s2, s33
	s_cbranch_scc1 .LBB200_18
; %bb.20:                               ;   in Loop: Header=BB200_19 Depth=1
	s_ashr_i32 s7, s6, 31
	s_ashr_i32 s9, s8, 31
	s_lshl_b64 s[10:11], s[6:7], 4
	s_max_i32 s20, s8, 1
	v_add_co_u32 v6, vcc_lo, v11, s10
	v_add_co_ci_u32_e32 v7, vcc_lo, s11, v12, vcc_lo
	s_lshl_b64 s[10:11], s[8:9], 4
	s_lshl_b32 s7, s6, 6
	s_lshl_b32 s9, s8, 6
	s_mul_i32 s21, s6, 0x50
	s_mul_i32 s22, s8, 0x50
	s_branch .LBB200_22
.LBB200_21:                             ;   in Loop: Header=BB200_22 Depth=2
	v_add_co_u32 v6, vcc_lo, v6, s10
	s_add_i32 s6, s6, s8
	v_add_co_ci_u32_e32 v7, vcc_lo, s11, v7, vcc_lo
	s_add_i32 s2, s5, s6
	s_add_i32 s7, s7, s9
	;; [unrolled: 1-line block ×3, first 2 shown]
	s_cmp_ge_i32 s2, s33
	s_cbranch_scc1 .LBB200_18
.LBB200_22:                             ;   Parent Loop BB200_19 Depth=1
                                        ; =>  This Loop Header: Depth=2
                                        ;       Child Loop BB200_23 Depth 3
                                        ;       Child Loop BB200_26 Depth 3
                                        ;         Child Loop BB200_27 Depth 4
                                        ;       Child Loop BB200_31 Depth 3
                                        ;         Child Loop BB200_33 Depth 4
	v_mov_b32_e32 v0, v6
	v_dual_mov_b32 v2, v8 :: v_dual_mov_b32 v1, v7
	s_mov_b32 s2, s20
	.p2align	6
.LBB200_23:                             ;   Parent Loop BB200_19 Depth=1
                                        ;     Parent Loop BB200_22 Depth=2
                                        ; =>    This Inner Loop Header: Depth=3
	global_load_b128 v[13:16], v[0:1], off offset:-8
	v_add_co_u32 v0, vcc_lo, v0, 16
	v_add_co_ci_u32_e32 v1, vcc_lo, 0, v1, vcc_lo
	s_add_i32 s2, s2, -1
	s_delay_alu instid0(SALU_CYCLE_1) | instskip(SKIP_3) | instid1(VALU_DEP_2)
	s_cmp_eq_u32 s2, 0
	s_waitcnt vmcnt(0)
	v_mul_f64 v[17:18], s[18:19], v[15:16]
	v_mul_f64 v[19:20], s[16:17], v[15:16]
	v_fma_f64 v[15:16], s[16:17], v[13:14], -v[17:18]
	s_delay_alu instid0(VALU_DEP_2)
	v_fma_f64 v[17:18], s[18:19], v[13:14], v[19:20]
	ds_store_b128 v2, v[15:18]
	v_add_nc_u32_e32 v2, 16, v2
	s_cbranch_scc0 .LBB200_23
; %bb.24:                               ;   in Loop: Header=BB200_22 Depth=2
	s_cmp_lt_i32 s6, 1
	s_cbranch_scc1 .LBB200_29
; %bb.25:                               ;   in Loop: Header=BB200_22 Depth=2
	s_mov_b32 s2, 0
	s_mov_b32 s14, s7
	s_set_inst_prefetch_distance 0x1
	.p2align	6
.LBB200_26:                             ;   Parent Loop BB200_19 Depth=1
                                        ;     Parent Loop BB200_22 Depth=2
                                        ; =>    This Loop Header: Depth=3
                                        ;         Child Loop BB200_27 Depth 4
	s_lshl_b64 s[26:27], s[2:3], 4
	v_mov_b32_e32 v13, v8
	v_add_co_u32 v0, vcc_lo, v9, s26
	v_add_co_ci_u32_e32 v1, vcc_lo, s27, v10, vcc_lo
	s_mov_b32 s15, s14
	s_mov_b32 s23, s20
	global_load_b128 v[0:3], v[0:1], off
	.p2align	6
.LBB200_27:                             ;   Parent Loop BB200_19 Depth=1
                                        ;     Parent Loop BB200_22 Depth=2
                                        ;       Parent Loop BB200_26 Depth=3
                                        ; =>      This Inner Loop Header: Depth=4
	v_mov_b32_e32 v14, s15
	s_add_i32 s23, s23, -1
	s_add_i32 s15, s15, 64
	s_cmp_eq_u32 s23, 0
	ds_load_b128 v[14:17], v14
	s_waitcnt vmcnt(0) lgkmcnt(0)
	v_mul_f64 v[18:19], v[2:3], v[16:17]
	v_mul_f64 v[16:17], v[0:1], v[16:17]
	s_delay_alu instid0(VALU_DEP_2) | instskip(NEXT) | instid1(VALU_DEP_2)
	v_fma_f64 v[18:19], v[0:1], v[14:15], -v[18:19]
	v_fma_f64 v[20:21], v[2:3], v[14:15], v[16:17]
	ds_load_b128 v[14:17], v13
	s_waitcnt lgkmcnt(0)
	v_add_f64 v[14:15], v[14:15], -v[18:19]
	v_add_f64 v[16:17], v[16:17], -v[20:21]
	ds_store_b128 v13, v[14:17]
	v_add_nc_u32_e32 v13, 16, v13
	s_cbranch_scc0 .LBB200_27
; %bb.28:                               ;   in Loop: Header=BB200_26 Depth=3
	s_add_i32 s2, s2, 1
	s_add_i32 s14, s14, 16
	s_cmp_ge_i32 s2, s6
	s_cbranch_scc0 .LBB200_26
.LBB200_29:                             ;   in Loop: Header=BB200_22 Depth=2
	s_set_inst_prefetch_distance 0x2
	s_mov_b32 s2, 0
	s_mov_b32 s23, s21
	s_branch .LBB200_31
.LBB200_30:                             ;   in Loop: Header=BB200_31 Depth=3
	s_mul_i32 s15, s14, 0x50
	s_add_i32 s2, s2, 1
	v_mov_b32_e32 v14, s15
	s_ashr_i32 s15, s14, 31
	s_add_i32 s23, s23, 64
	s_lshl_b64 s[14:15], s[14:15], 4
	s_cmp_eq_u32 s2, s20
	ds_load_b128 v[14:17], v14
	s_waitcnt lgkmcnt(0)
	v_mul_f64 v[18:19], v[16:17], v[2:3]
	v_mul_f64 v[2:3], v[14:15], v[2:3]
	s_delay_alu instid0(VALU_DEP_2) | instskip(NEXT) | instid1(VALU_DEP_2)
	v_fma_f64 v[14:15], v[14:15], v[0:1], -v[18:19]
	v_fma_f64 v[16:17], v[16:17], v[0:1], v[2:3]
	v_add_co_u32 v0, vcc_lo, v9, s14
	v_add_co_ci_u32_e32 v1, vcc_lo, s15, v10, vcc_lo
	ds_store_b128 v13, v[14:17]
	global_store_b128 v[0:1], v[14:17], off
	s_cbranch_scc1 .LBB200_21
.LBB200_31:                             ;   Parent Loop BB200_19 Depth=1
                                        ;     Parent Loop BB200_22 Depth=2
                                        ; =>    This Loop Header: Depth=3
                                        ;         Child Loop BB200_33 Depth 4
	v_lshl_add_u32 v13, s2, 4, v8
	s_cmp_lg_u32 s2, 0
	s_cbranch_scc0 .LBB200_35
; %bb.32:                               ;   in Loop: Header=BB200_31 Depth=3
	ds_load_b128 v[0:3], v13
	v_mov_b32_e32 v14, v8
	s_add_i32 s14, s2, s6
	s_mov_b32 s15, 0
	s_mov_b32 s25, s23
	.p2align	6
.LBB200_33:                             ;   Parent Loop BB200_19 Depth=1
                                        ;     Parent Loop BB200_22 Depth=2
                                        ;       Parent Loop BB200_31 Depth=3
                                        ; =>      This Inner Loop Header: Depth=4
	s_delay_alu instid0(SALU_CYCLE_1)
	v_mov_b32_e32 v19, s25
	s_add_i32 s15, s15, 1
	s_add_i32 s25, s25, 16
	s_cmp_ge_u32 s15, s2
	ds_load_b128 v[15:18], v14
	ds_load_b128 v[19:22], v19
	v_add_nc_u32_e32 v14, 16, v14
	s_waitcnt lgkmcnt(0)
	v_mul_f64 v[23:24], v[21:22], v[17:18]
	v_mul_f64 v[17:18], v[19:20], v[17:18]
	s_delay_alu instid0(VALU_DEP_2) | instskip(NEXT) | instid1(VALU_DEP_2)
	v_fma_f64 v[19:20], v[19:20], v[15:16], -v[23:24]
	v_fma_f64 v[15:16], v[21:22], v[15:16], v[17:18]
	s_delay_alu instid0(VALU_DEP_2) | instskip(NEXT) | instid1(VALU_DEP_2)
	v_add_f64 v[0:1], v[0:1], -v[19:20]
	v_add_f64 v[2:3], v[2:3], -v[15:16]
	ds_store_b128 v13, v[0:3]
	s_cbranch_scc0 .LBB200_33
; %bb.34:                               ;   in Loop: Header=BB200_31 Depth=3
	s_branch .LBB200_30
.LBB200_35:                             ;   in Loop: Header=BB200_31 Depth=3
                                        ; implicit-def: $vgpr0_vgpr1
                                        ; implicit-def: $sgpr14
	s_cbranch_execz .LBB200_30
; %bb.36:                               ;   in Loop: Header=BB200_31 Depth=3
	ds_load_b128 v[0:3], v8
	s_mov_b32 s14, s6
	s_branch .LBB200_30
.LBB200_37:
	s_mov_b32 s4, 0
.LBB200_38:
	s_delay_alu instid0(SALU_CYCLE_1)
	s_and_b32 vcc_lo, exec_lo, s4
	s_cbranch_vccz .LBB200_58
; %bb.39:
	s_add_u32 s0, s12, s0
	s_addc_u32 s1, s13, s1
	v_add_co_u32 v0, vcc_lo, s0, v4
	v_add_co_ci_u32_e32 v1, vcc_lo, s1, v5, vcc_lo
	s_lshl_b32 s0, s33, 6
	s_delay_alu instid0(VALU_DEP_2) | instskip(NEXT) | instid1(VALU_DEP_2)
	v_add_co_u32 v4, vcc_lo, v0, 8
	v_add_co_ci_u32_e32 v5, vcc_lo, 0, v1, vcc_lo
	s_mov_b32 s1, 0
	s_sub_i32 s8, s0, 64
	s_mov_b32 s2, s24
	s_mov_b32 s0, s1
	s_branch .LBB200_41
.LBB200_40:                             ;   in Loop: Header=BB200_41 Depth=1
	s_cmp_lt_i32 s2, 0
	s_cselect_b32 s3, -1, 0
	s_add_i32 s0, s0, 1
	s_delay_alu instid0(SALU_CYCLE_1) | instskip(SKIP_1) | instid1(SALU_CYCLE_1)
	s_cmp_eq_u32 s0, 3
	s_cselect_b32 s4, -1, 0
	s_or_b32 s3, s3, s4
	s_delay_alu instid0(SALU_CYCLE_1)
	s_and_b32 vcc_lo, exec_lo, s3
	s_cbranch_vccnz .LBB200_58
.LBB200_41:                             ; =>This Loop Header: Depth=1
                                        ;     Child Loop BB200_44 Depth 2
                                        ;       Child Loop BB200_45 Depth 3
                                        ;       Child Loop BB200_47 Depth 3
                                        ;         Child Loop BB200_48 Depth 4
                                        ;       Child Loop BB200_52 Depth 3
                                        ;         Child Loop BB200_54 Depth 4
	s_getpc_b64 s[4:5]
	s_add_u32 s4, s4, __const._ZL30rocblas_trsm_small_left_deviceILi4ELi4ELb0E19rocblas_complex_numIdES1_PKPKS1_PKPS1_Ev13rocblas_fill_18rocblas_operation_17rocblas_diagonal_iiT3_T4_lilT5_lili.step_sizes@rel32@lo+4
	s_addc_u32 s5, s5, __const._ZL30rocblas_trsm_small_left_deviceILi4ELi4ELb0E19rocblas_complex_numIdES1_PKPKS1_PKPS1_Ev13rocblas_fill_18rocblas_operation_17rocblas_diagonal_iiT3_T4_lilT5_lili.step_sizes@rel32@hi+12
	s_lshl_b64 s[6:7], s[0:1], 2
	s_delay_alu instid0(SALU_CYCLE_1) | instskip(SKIP_4) | instid1(SALU_CYCLE_1)
	s_add_u32 s4, s6, s4
	s_addc_u32 s5, s7, s5
	s_load_b32 s9, s[4:5], 0x0
	s_waitcnt lgkmcnt(0)
	s_add_i32 s10, s9, -1
	s_cmp_lt_i32 s2, s10
	s_cbranch_scc1 .LBB200_40
; %bb.42:                               ;   in Loop: Header=BB200_41 Depth=1
	s_lshl_b32 s3, s2, 4
	s_lshl_b32 s4, s9, 4
	s_max_i32 s11, s9, 1
	s_add_i32 s12, s8, s3
	s_sub_i32 s13, 0, s4
	s_mul_i32 s14, s2, 0x50
	s_mul_i32 s15, s9, 0xffffffb0
	s_branch .LBB200_44
.LBB200_43:                             ;   in Loop: Header=BB200_44 Depth=2
	s_sub_i32 s2, s2, s9
	s_add_i32 s12, s12, s13
	s_add_i32 s14, s14, s15
	s_cmp_lt_i32 s2, s10
	s_cbranch_scc1 .LBB200_40
.LBB200_44:                             ;   Parent Loop BB200_41 Depth=1
                                        ; =>  This Loop Header: Depth=2
                                        ;       Child Loop BB200_45 Depth 3
                                        ;       Child Loop BB200_47 Depth 3
                                        ;         Child Loop BB200_48 Depth 4
                                        ;       Child Loop BB200_52 Depth 3
                                        ;         Child Loop BB200_54 Depth 4
	s_ashr_i32 s3, s2, 31
	v_mov_b32_e32 v2, v8
	s_lshl_b64 s[4:5], s[2:3], 4
	s_delay_alu instid0(SALU_CYCLE_1)
	v_add_co_u32 v0, vcc_lo, v4, s4
	v_add_co_ci_u32_e32 v1, vcc_lo, s5, v5, vcc_lo
	s_mov_b32 s4, s11
	.p2align	6
.LBB200_45:                             ;   Parent Loop BB200_41 Depth=1
                                        ;     Parent Loop BB200_44 Depth=2
                                        ; =>    This Inner Loop Header: Depth=3
	global_load_b128 v[11:14], v[0:1], off offset:-8
	v_add_co_u32 v0, vcc_lo, v0, -16
	v_add_co_ci_u32_e32 v1, vcc_lo, -1, v1, vcc_lo
	s_add_i32 s4, s4, -1
	s_delay_alu instid0(SALU_CYCLE_1) | instskip(SKIP_3) | instid1(VALU_DEP_2)
	s_cmp_eq_u32 s4, 0
	s_waitcnt vmcnt(0)
	v_mul_f64 v[6:7], s[18:19], v[13:14]
	v_mul_f64 v[15:16], s[16:17], v[13:14]
	v_fma_f64 v[13:14], s[16:17], v[11:12], -v[6:7]
	s_delay_alu instid0(VALU_DEP_2)
	v_fma_f64 v[15:16], s[18:19], v[11:12], v[15:16]
	ds_store_b128 v2, v[13:16]
	v_add_nc_u32_e32 v2, 16, v2
	s_cbranch_scc0 .LBB200_45
; %bb.46:                               ;   in Loop: Header=BB200_44 Depth=2
	s_cmp_le_i32 s24, s2
	s_mov_b32 s6, s12
	s_mov_b32 s4, s24
	s_cbranch_scc1 .LBB200_50
	.p2align	6
.LBB200_47:                             ;   Parent Loop BB200_41 Depth=1
                                        ;     Parent Loop BB200_44 Depth=2
                                        ; =>    This Loop Header: Depth=3
                                        ;         Child Loop BB200_48 Depth 4
	s_ashr_i32 s5, s4, 31
	v_mov_b32_e32 v6, v8
	s_lshl_b64 s[20:21], s[4:5], 4
	s_mov_b32 s5, s11
	v_add_co_u32 v0, vcc_lo, v9, s20
	v_add_co_ci_u32_e32 v1, vcc_lo, s21, v10, vcc_lo
	s_mov_b32 s7, s6
	global_load_b128 v[0:3], v[0:1], off
	.p2align	6
.LBB200_48:                             ;   Parent Loop BB200_41 Depth=1
                                        ;     Parent Loop BB200_44 Depth=2
                                        ;       Parent Loop BB200_47 Depth=3
                                        ; =>      This Inner Loop Header: Depth=4
	v_mov_b32_e32 v7, s7
	s_add_i32 s5, s5, -1
	s_add_i32 s7, s7, -16
	s_cmp_eq_u32 s5, 0
	ds_load_b128 v[11:14], v7
	s_waitcnt vmcnt(0) lgkmcnt(0)
	v_mul_f64 v[15:16], v[2:3], v[13:14]
	v_mul_f64 v[13:14], v[0:1], v[13:14]
	s_delay_alu instid0(VALU_DEP_2) | instskip(NEXT) | instid1(VALU_DEP_2)
	v_fma_f64 v[15:16], v[0:1], v[11:12], -v[15:16]
	v_fma_f64 v[17:18], v[2:3], v[11:12], v[13:14]
	ds_load_b128 v[11:14], v6
	s_waitcnt lgkmcnt(0)
	v_add_f64 v[11:12], v[11:12], -v[15:16]
	v_add_f64 v[13:14], v[13:14], -v[17:18]
	ds_store_b128 v6, v[11:14]
	v_add_nc_u32_e32 v6, 16, v6
	s_cbranch_scc0 .LBB200_48
; %bb.49:                               ;   in Loop: Header=BB200_47 Depth=3
	s_add_i32 s4, s4, -1
	s_sub_i32 s6, s6, 64
	s_cmp_le_i32 s4, s2
	s_cbranch_scc0 .LBB200_47
.LBB200_50:                             ;   in Loop: Header=BB200_44 Depth=2
	s_mov_b32 s20, 0
	s_mov_b32 s21, s14
	s_branch .LBB200_52
.LBB200_51:                             ;   in Loop: Header=BB200_52 Depth=3
	s_mulk_i32 s6, 0x50
	s_lshl_b64 s[4:5], s[4:5], 4
	v_mov_b32_e32 v7, s6
	s_add_i32 s20, s20, 1
	s_add_i32 s21, s21, -16
	s_cmp_eq_u32 s20, s11
	ds_load_b128 v[11:14], v7
	s_waitcnt lgkmcnt(0)
	v_mul_f64 v[15:16], v[13:14], v[2:3]
	v_mul_f64 v[2:3], v[11:12], v[2:3]
	s_delay_alu instid0(VALU_DEP_2) | instskip(NEXT) | instid1(VALU_DEP_2)
	v_fma_f64 v[11:12], v[11:12], v[0:1], -v[15:16]
	v_fma_f64 v[13:14], v[13:14], v[0:1], v[2:3]
	v_add_co_u32 v0, vcc_lo, v9, s4
	v_add_co_ci_u32_e32 v1, vcc_lo, s5, v10, vcc_lo
	ds_store_b128 v6, v[11:14]
	global_store_b128 v[0:1], v[11:14], off
	s_cbranch_scc1 .LBB200_43
.LBB200_52:                             ;   Parent Loop BB200_41 Depth=1
                                        ;     Parent Loop BB200_44 Depth=2
                                        ; =>    This Loop Header: Depth=3
                                        ;         Child Loop BB200_54 Depth 4
	v_lshl_add_u32 v6, s20, 4, v8
	s_cmp_lg_u32 s20, 0
	s_cbranch_scc0 .LBB200_56
; %bb.53:                               ;   in Loop: Header=BB200_52 Depth=3
	ds_load_b128 v[0:3], v6
	v_mov_b32_e32 v7, v8
	s_mov_b32 s4, 0
	s_mov_b32 s5, s21
	.p2align	6
.LBB200_54:                             ;   Parent Loop BB200_41 Depth=1
                                        ;     Parent Loop BB200_44 Depth=2
                                        ;       Parent Loop BB200_52 Depth=3
                                        ; =>      This Inner Loop Header: Depth=4
	s_delay_alu instid0(SALU_CYCLE_1)
	v_mov_b32_e32 v15, s5
	s_add_i32 s4, s4, 1
	s_sub_i32 s5, s5, 64
	s_cmp_ge_u32 s4, s20
	ds_load_b128 v[11:14], v7
	ds_load_b128 v[15:18], v15
	v_add_nc_u32_e32 v7, 16, v7
	s_waitcnt lgkmcnt(0)
	v_mul_f64 v[19:20], v[17:18], v[13:14]
	v_mul_f64 v[13:14], v[15:16], v[13:14]
	s_delay_alu instid0(VALU_DEP_2) | instskip(NEXT) | instid1(VALU_DEP_2)
	v_fma_f64 v[15:16], v[15:16], v[11:12], -v[19:20]
	v_fma_f64 v[11:12], v[17:18], v[11:12], v[13:14]
	s_delay_alu instid0(VALU_DEP_2) | instskip(NEXT) | instid1(VALU_DEP_2)
	v_add_f64 v[0:1], v[0:1], -v[15:16]
	v_add_f64 v[2:3], v[2:3], -v[11:12]
	ds_store_b128 v6, v[0:3]
	s_cbranch_scc0 .LBB200_54
; %bb.55:                               ;   in Loop: Header=BB200_52 Depth=3
	s_sub_i32 s6, s2, s20
	s_delay_alu instid0(SALU_CYCLE_1) | instskip(NEXT) | instid1(SALU_CYCLE_1)
	s_ashr_i32 s7, s6, 31
	s_mov_b64 s[4:5], s[6:7]
	s_branch .LBB200_51
.LBB200_56:                             ;   in Loop: Header=BB200_52 Depth=3
                                        ; implicit-def: $vgpr0_vgpr1
                                        ; implicit-def: $sgpr6
                                        ; implicit-def: $sgpr4_sgpr5
	s_cbranch_execz .LBB200_51
; %bb.57:                               ;   in Loop: Header=BB200_52 Depth=3
	ds_load_b128 v[0:3], v8
	s_mov_b64 s[4:5], s[2:3]
	s_mov_b32 s6, s2
	s_branch .LBB200_51
.LBB200_58:
	s_nop 0
	s_sendmsg sendmsg(MSG_DEALLOC_VGPRS)
	s_endpgm
	.section	.rodata,"a",@progbits
	.p2align	6, 0x0
	.amdhsa_kernel _ZL30rocblas_trsm_small_left_deviceILi4ELi4ELb0E19rocblas_complex_numIdES1_PKPKS1_PKPS1_Ev13rocblas_fill_18rocblas_operation_17rocblas_diagonal_iiT3_T4_lilT5_lili
		.amdhsa_group_segment_fixed_size 512
		.amdhsa_private_segment_fixed_size 0
		.amdhsa_kernarg_size 368
		.amdhsa_user_sgpr_count 14
		.amdhsa_user_sgpr_dispatch_ptr 1
		.amdhsa_user_sgpr_queue_ptr 0
		.amdhsa_user_sgpr_kernarg_segment_ptr 1
		.amdhsa_user_sgpr_dispatch_id 0
		.amdhsa_user_sgpr_private_segment_size 0
		.amdhsa_wavefront_size32 1
		.amdhsa_uses_dynamic_stack 0
		.amdhsa_enable_private_segment 0
		.amdhsa_system_sgpr_workgroup_id_x 1
		.amdhsa_system_sgpr_workgroup_id_y 0
		.amdhsa_system_sgpr_workgroup_id_z 1
		.amdhsa_system_sgpr_workgroup_info 0
		.amdhsa_system_vgpr_workitem_id 2
		.amdhsa_next_free_vgpr 26
		.amdhsa_next_free_sgpr 34
		.amdhsa_reserve_vcc 1
		.amdhsa_float_round_mode_32 0
		.amdhsa_float_round_mode_16_64 0
		.amdhsa_float_denorm_mode_32 3
		.amdhsa_float_denorm_mode_16_64 3
		.amdhsa_dx10_clamp 1
		.amdhsa_ieee_mode 1
		.amdhsa_fp16_overflow 0
		.amdhsa_workgroup_processor_mode 1
		.amdhsa_memory_ordered 1
		.amdhsa_forward_progress 0
		.amdhsa_shared_vgpr_count 0
		.amdhsa_exception_fp_ieee_invalid_op 0
		.amdhsa_exception_fp_denorm_src 0
		.amdhsa_exception_fp_ieee_div_zero 0
		.amdhsa_exception_fp_ieee_overflow 0
		.amdhsa_exception_fp_ieee_underflow 0
		.amdhsa_exception_fp_ieee_inexact 0
		.amdhsa_exception_int_div_zero 0
	.end_amdhsa_kernel
	.section	.text._ZL30rocblas_trsm_small_left_deviceILi4ELi4ELb0E19rocblas_complex_numIdES1_PKPKS1_PKPS1_Ev13rocblas_fill_18rocblas_operation_17rocblas_diagonal_iiT3_T4_lilT5_lili,"axG",@progbits,_ZL30rocblas_trsm_small_left_deviceILi4ELi4ELb0E19rocblas_complex_numIdES1_PKPKS1_PKPS1_Ev13rocblas_fill_18rocblas_operation_17rocblas_diagonal_iiT3_T4_lilT5_lili,comdat
.Lfunc_end200:
	.size	_ZL30rocblas_trsm_small_left_deviceILi4ELi4ELb0E19rocblas_complex_numIdES1_PKPKS1_PKPS1_Ev13rocblas_fill_18rocblas_operation_17rocblas_diagonal_iiT3_T4_lilT5_lili, .Lfunc_end200-_ZL30rocblas_trsm_small_left_deviceILi4ELi4ELb0E19rocblas_complex_numIdES1_PKPKS1_PKPS1_Ev13rocblas_fill_18rocblas_operation_17rocblas_diagonal_iiT3_T4_lilT5_lili
                                        ; -- End function
	.section	.AMDGPU.csdata,"",@progbits
; Kernel info:
; codeLenInByte = 3200
; NumSgprs: 36
; NumVgprs: 26
; ScratchSize: 0
; MemoryBound: 0
; FloatMode: 240
; IeeeMode: 1
; LDSByteSize: 512 bytes/workgroup (compile time only)
; SGPRBlocks: 4
; VGPRBlocks: 3
; NumSGPRsForWavesPerEU: 36
; NumVGPRsForWavesPerEU: 26
; Occupancy: 16
; WaveLimiterHint : 1
; COMPUTE_PGM_RSRC2:SCRATCH_EN: 0
; COMPUTE_PGM_RSRC2:USER_SGPR: 14
; COMPUTE_PGM_RSRC2:TRAP_HANDLER: 0
; COMPUTE_PGM_RSRC2:TGID_X_EN: 1
; COMPUTE_PGM_RSRC2:TGID_Y_EN: 0
; COMPUTE_PGM_RSRC2:TGID_Z_EN: 1
; COMPUTE_PGM_RSRC2:TIDIG_COMP_CNT: 2
	.section	.text._ZL38rocblas_trsm_small_left_device_sharedBILi4ELi4ELb1E19rocblas_complex_numIdES1_PKPKS1_PKPS1_Ev13rocblas_fill_18rocblas_operation_17rocblas_diagonal_iiT3_T4_lilT5_lili,"axG",@progbits,_ZL38rocblas_trsm_small_left_device_sharedBILi4ELi4ELb1E19rocblas_complex_numIdES1_PKPKS1_PKPS1_Ev13rocblas_fill_18rocblas_operation_17rocblas_diagonal_iiT3_T4_lilT5_lili,comdat
	.globl	_ZL38rocblas_trsm_small_left_device_sharedBILi4ELi4ELb1E19rocblas_complex_numIdES1_PKPKS1_PKPS1_Ev13rocblas_fill_18rocblas_operation_17rocblas_diagonal_iiT3_T4_lilT5_lili ; -- Begin function _ZL38rocblas_trsm_small_left_device_sharedBILi4ELi4ELb1E19rocblas_complex_numIdES1_PKPKS1_PKPS1_Ev13rocblas_fill_18rocblas_operation_17rocblas_diagonal_iiT3_T4_lilT5_lili
	.p2align	8
	.type	_ZL38rocblas_trsm_small_left_device_sharedBILi4ELi4ELb1E19rocblas_complex_numIdES1_PKPKS1_PKPS1_Ev13rocblas_fill_18rocblas_operation_17rocblas_diagonal_iiT3_T4_lilT5_lili,@function
_ZL38rocblas_trsm_small_left_device_sharedBILi4ELi4ELb1E19rocblas_complex_numIdES1_PKPKS1_PKPS1_Ev13rocblas_fill_18rocblas_operation_17rocblas_diagonal_iiT3_T4_lilT5_lili: ; @_ZL38rocblas_trsm_small_left_device_sharedBILi4ELi4ELb1E19rocblas_complex_numIdES1_PKPKS1_PKPS1_Ev13rocblas_fill_18rocblas_operation_17rocblas_diagonal_iiT3_T4_lilT5_lili
; %bb.0:
	s_clause 0x1
	s_load_b128 s[4:7], s[2:3], 0x48
	s_load_b128 s[8:11], s[2:3], 0x4
	s_mov_b32 s24, s15
	s_mov_b32 s25, 0
	v_and_b32_e32 v9, 0x3ff, v0
	s_lshl_b64 s[28:29], s[24:25], 3
	s_load_b32 s24, s[2:3], 0x70
	s_mov_b32 s33, exec_lo
	s_waitcnt lgkmcnt(0)
	s_add_u32 s4, s4, s28
	s_addc_u32 s5, s5, s29
	s_load_b256 s[16:23], s[2:3], 0x18
	s_load_b64 s[12:13], s[4:5], 0x0
	s_min_i32 s5, s10, 4
	s_delay_alu instid0(SALU_CYCLE_1)
	s_add_i32 s15, s5, -1
	v_cmpx_gt_i32_e64 s5, v9
	s_cbranch_execz .LBB201_15
; %bb.1:
	s_load_b32 s26, s[2:3], 0x38
	s_waitcnt lgkmcnt(0)
	s_ashr_i32 s27, s26, 31
	s_cmpk_eq_i32 s8, 0x71
	s_cselect_b32 vcc_lo, -1, 0
	s_add_u32 s20, s20, s28
	s_addc_u32 s21, s21, s29
	s_cmp_lt_u32 s15, 3
	s_load_b64 s[20:21], s[20:21], 0x0
	s_cbranch_scc1 .LBB201_4
; %bb.2:
	v_lshlrev_b32_e32 v1, 4, v9
	s_lshl_b64 s[28:29], s[22:23], 4
	s_and_b32 s25, s5, -4
	s_waitcnt lgkmcnt(0)
	s_add_u32 s4, s20, s28
	s_addc_u32 s28, s21, s29
	v_add_co_u32 v1, s4, s4, v1
	s_delay_alu instid0(VALU_DEP_1) | instskip(SKIP_1) | instid1(VALU_DEP_3)
	v_add_co_ci_u32_e64 v2, null, s28, 0, s4
	v_lshlrev_b32_e32 v3, 4, v9
	v_add_co_u32 v1, s4, v1, 8
	s_delay_alu instid0(VALU_DEP_1)
	v_add_co_ci_u32_e64 v2, s4, 0, v2, s4
	s_lshl_b64 s[28:29], s[26:27], 6
	s_lshl_b64 s[30:31], s[26:27], 4
	s_mov_b32 s34, 0
.LBB201_3:                              ; =>This Inner Loop Header: Depth=1
	v_add_co_u32 v10, s4, v1, s30
	s_delay_alu instid0(VALU_DEP_1) | instskip(SKIP_1) | instid1(VALU_DEP_2)
	v_add_co_ci_u32_e64 v11, s4, s31, v2, s4
	s_add_i32 s34, s34, 4
	v_add_co_u32 v14, s4, v10, s30
	s_delay_alu instid0(VALU_DEP_1) | instskip(SKIP_1) | instid1(VALU_DEP_2)
	v_add_co_ci_u32_e64 v15, s4, s31, v11, s4
	s_cmp_eq_u32 s25, s34
	v_add_co_u32 v18, s4, v14, s30
	s_delay_alu instid0(VALU_DEP_1)
	v_add_co_ci_u32_e64 v19, s4, s31, v15, s4
	s_clause 0x3
	global_load_b128 v[4:7], v[1:2], off offset:-8
	global_load_b128 v[10:13], v[10:11], off offset:-8
	;; [unrolled: 1-line block ×4, first 2 shown]
	v_add_co_u32 v1, s4, v1, s28
	s_delay_alu instid0(VALU_DEP_1)
	v_add_co_ci_u32_e64 v2, s4, s29, v2, s4
	s_waitcnt vmcnt(3)
	v_xor_b32_e32 v8, 0x80000000, v7
	s_waitcnt vmcnt(2)
	v_xor_b32_e32 v22, 0x80000000, v13
	;; [unrolled: 2-line block ×4, first 2 shown]
	v_cndmask_b32_e32 v7, v7, v8, vcc_lo
	v_cndmask_b32_e32 v13, v13, v22, vcc_lo
	;; [unrolled: 1-line block ×3, first 2 shown]
	s_delay_alu instid0(VALU_DEP_4)
	v_cndmask_b32_e32 v21, v21, v24, vcc_lo
	ds_store_b128 v3, v[4:7]
	ds_store_b128 v3, v[10:13] offset:64
	ds_store_b128 v3, v[14:17] offset:128
	;; [unrolled: 1-line block ×3, first 2 shown]
	v_add_nc_u32_e32 v3, 0x100, v3
	s_cbranch_scc0 .LBB201_3
.LBB201_4:
	s_and_b32 s28, s5, 3
	s_delay_alu instid0(SALU_CYCLE_1)
	s_cmp_eq_u32 s28, 0
	s_cbranch_scc1 .LBB201_7
; %bb.5:
	s_mul_i32 s4, s27, s25
	s_mul_hi_u32 s29, s26, s25
	s_mul_i32 s30, s26, s25
	s_add_i32 s31, s29, s4
	s_lshl_b64 s[22:23], s[22:23], 4
	s_lshl_b64 s[30:31], s[30:31], 4
	v_lshlrev_b32_e32 v1, 4, v9
	s_add_u32 s4, s30, s22
	s_addc_u32 s22, s31, s23
	s_waitcnt lgkmcnt(0)
	s_add_u32 s4, s20, s4
	s_addc_u32 s20, s21, s22
	v_add_co_u32 v2, s4, s4, v1
	s_delay_alu instid0(VALU_DEP_1) | instskip(SKIP_1) | instid1(VALU_DEP_3)
	v_add_co_ci_u32_e64 v4, null, s20, 0, s4
	v_lshl_or_b32 v3, s25, 6, v1
	v_add_co_u32 v1, s4, v2, 8
	s_delay_alu instid0(VALU_DEP_1)
	v_add_co_ci_u32_e64 v2, s4, 0, v4, s4
	s_lshl_b64 s[20:21], s[26:27], 4
.LBB201_6:                              ; =>This Inner Loop Header: Depth=1
	global_load_b128 v[4:7], v[1:2], off offset:-8
	v_add_co_u32 v1, s4, v1, s20
	s_delay_alu instid0(VALU_DEP_1) | instskip(SKIP_1) | instid1(SALU_CYCLE_1)
	v_add_co_ci_u32_e64 v2, s4, s21, v2, s4
	s_add_i32 s28, s28, -1
	s_cmp_lg_u32 s28, 0
	s_waitcnt vmcnt(0)
	v_xor_b32_e32 v8, 0x80000000, v7
	s_delay_alu instid0(VALU_DEP_1)
	v_cndmask_b32_e32 v7, v7, v8, vcc_lo
	ds_store_b128 v3, v[4:7]
	v_add_nc_u32_e32 v3, 64, v3
	s_cbranch_scc1 .LBB201_6
.LBB201_7:
	v_mul_u32_u24_e32 v1, 5, v9
	s_cmpk_lg_i32 s9, 0x84
	s_delay_alu instid0(VALU_DEP_1)
	v_lshlrev_b32_e32 v10, 4, v1
	s_cbranch_scc0 .LBB201_13
; %bb.8:
	ds_load_b128 v[1:4], v10
	s_waitcnt lgkmcnt(0)
	v_cmp_gt_f64_e32 vcc_lo, 0, v[1:2]
	v_xor_b32_e32 v6, 0x80000000, v2
	v_mov_b32_e32 v5, v1
	v_xor_b32_e32 v7, 0x80000000, v4
	s_delay_alu instid0(VALU_DEP_3) | instskip(SKIP_1) | instid1(VALU_DEP_3)
	v_cndmask_b32_e32 v6, v2, v6, vcc_lo
	v_cmp_gt_f64_e32 vcc_lo, 0, v[3:4]
	v_dual_cndmask_b32 v8, v4, v7 :: v_dual_mov_b32 v7, v3
	s_delay_alu instid0(VALU_DEP_1) | instskip(SKIP_1) | instid1(SALU_CYCLE_1)
	v_cmp_ngt_f64_e32 vcc_lo, v[5:6], v[7:8]
                                        ; implicit-def: $vgpr7_vgpr8
	s_and_saveexec_b32 s4, vcc_lo
	s_xor_b32 s4, exec_lo, s4
	s_cbranch_execz .LBB201_10
; %bb.9:
	v_div_scale_f64 v[5:6], null, v[3:4], v[3:4], v[1:2]
	v_div_scale_f64 v[13:14], vcc_lo, v[1:2], v[3:4], v[1:2]
	s_delay_alu instid0(VALU_DEP_2) | instskip(SKIP_2) | instid1(VALU_DEP_1)
	v_rcp_f64_e32 v[7:8], v[5:6]
	s_waitcnt_depctr 0xfff
	v_fma_f64 v[11:12], -v[5:6], v[7:8], 1.0
	v_fma_f64 v[7:8], v[7:8], v[11:12], v[7:8]
	s_delay_alu instid0(VALU_DEP_1) | instskip(NEXT) | instid1(VALU_DEP_1)
	v_fma_f64 v[11:12], -v[5:6], v[7:8], 1.0
	v_fma_f64 v[7:8], v[7:8], v[11:12], v[7:8]
	s_delay_alu instid0(VALU_DEP_1) | instskip(NEXT) | instid1(VALU_DEP_1)
	v_mul_f64 v[11:12], v[13:14], v[7:8]
	v_fma_f64 v[5:6], -v[5:6], v[11:12], v[13:14]
	s_delay_alu instid0(VALU_DEP_1) | instskip(NEXT) | instid1(VALU_DEP_1)
	v_div_fmas_f64 v[5:6], v[5:6], v[7:8], v[11:12]
	v_div_fixup_f64 v[5:6], v[5:6], v[3:4], v[1:2]
	s_delay_alu instid0(VALU_DEP_1) | instskip(NEXT) | instid1(VALU_DEP_1)
	v_fma_f64 v[1:2], v[1:2], v[5:6], v[3:4]
	v_div_scale_f64 v[3:4], null, v[1:2], v[1:2], 1.0
	v_div_scale_f64 v[13:14], vcc_lo, 1.0, v[1:2], 1.0
	s_delay_alu instid0(VALU_DEP_2) | instskip(SKIP_2) | instid1(VALU_DEP_1)
	v_rcp_f64_e32 v[7:8], v[3:4]
	s_waitcnt_depctr 0xfff
	v_fma_f64 v[11:12], -v[3:4], v[7:8], 1.0
	v_fma_f64 v[7:8], v[7:8], v[11:12], v[7:8]
	s_delay_alu instid0(VALU_DEP_1) | instskip(NEXT) | instid1(VALU_DEP_1)
	v_fma_f64 v[11:12], -v[3:4], v[7:8], 1.0
	v_fma_f64 v[7:8], v[7:8], v[11:12], v[7:8]
	s_delay_alu instid0(VALU_DEP_1) | instskip(NEXT) | instid1(VALU_DEP_1)
	v_mul_f64 v[11:12], v[13:14], v[7:8]
	v_fma_f64 v[3:4], -v[3:4], v[11:12], v[13:14]
	s_delay_alu instid0(VALU_DEP_1) | instskip(SKIP_1) | instid1(VALU_DEP_2)
	v_div_fmas_f64 v[3:4], v[3:4], v[7:8], v[11:12]
	v_add_f64 v[7:8], v[5:6], 0
	v_div_fixup_f64 v[1:2], v[3:4], v[1:2], 1.0
	v_fma_f64 v[3:4], v[5:6], 0, -1.0
	s_delay_alu instid0(VALU_DEP_2) | instskip(NEXT) | instid1(VALU_DEP_2)
	v_mul_f64 v[5:6], v[7:8], v[1:2]
	v_mul_f64 v[7:8], v[3:4], v[1:2]
                                        ; implicit-def: $vgpr1_vgpr2
.LBB201_10:
	s_and_not1_saveexec_b32 s4, s4
	s_cbranch_execz .LBB201_12
; %bb.11:
	v_div_scale_f64 v[5:6], null, v[1:2], v[1:2], v[3:4]
	v_div_scale_f64 v[13:14], vcc_lo, v[3:4], v[1:2], v[3:4]
	s_delay_alu instid0(VALU_DEP_2) | instskip(SKIP_2) | instid1(VALU_DEP_1)
	v_rcp_f64_e32 v[7:8], v[5:6]
	s_waitcnt_depctr 0xfff
	v_fma_f64 v[11:12], -v[5:6], v[7:8], 1.0
	v_fma_f64 v[7:8], v[7:8], v[11:12], v[7:8]
	s_delay_alu instid0(VALU_DEP_1) | instskip(NEXT) | instid1(VALU_DEP_1)
	v_fma_f64 v[11:12], -v[5:6], v[7:8], 1.0
	v_fma_f64 v[7:8], v[7:8], v[11:12], v[7:8]
	s_delay_alu instid0(VALU_DEP_1) | instskip(NEXT) | instid1(VALU_DEP_1)
	v_mul_f64 v[11:12], v[13:14], v[7:8]
	v_fma_f64 v[5:6], -v[5:6], v[11:12], v[13:14]
	s_delay_alu instid0(VALU_DEP_1) | instskip(NEXT) | instid1(VALU_DEP_1)
	v_div_fmas_f64 v[5:6], v[5:6], v[7:8], v[11:12]
	v_div_fixup_f64 v[5:6], v[5:6], v[1:2], v[3:4]
	s_delay_alu instid0(VALU_DEP_1) | instskip(NEXT) | instid1(VALU_DEP_1)
	v_fma_f64 v[1:2], v[3:4], v[5:6], v[1:2]
	v_div_scale_f64 v[3:4], null, v[1:2], v[1:2], 1.0
	v_div_scale_f64 v[13:14], vcc_lo, 1.0, v[1:2], 1.0
	s_delay_alu instid0(VALU_DEP_2) | instskip(SKIP_2) | instid1(VALU_DEP_1)
	v_rcp_f64_e32 v[7:8], v[3:4]
	s_waitcnt_depctr 0xfff
	v_fma_f64 v[11:12], -v[3:4], v[7:8], 1.0
	v_fma_f64 v[7:8], v[7:8], v[11:12], v[7:8]
	s_delay_alu instid0(VALU_DEP_1) | instskip(NEXT) | instid1(VALU_DEP_1)
	v_fma_f64 v[11:12], -v[3:4], v[7:8], 1.0
	v_fma_f64 v[7:8], v[7:8], v[11:12], v[7:8]
	s_delay_alu instid0(VALU_DEP_1) | instskip(NEXT) | instid1(VALU_DEP_1)
	v_mul_f64 v[11:12], v[13:14], v[7:8]
	v_fma_f64 v[3:4], -v[3:4], v[11:12], v[13:14]
	s_delay_alu instid0(VALU_DEP_1) | instskip(SKIP_1) | instid1(VALU_DEP_2)
	v_div_fmas_f64 v[3:4], v[3:4], v[7:8], v[11:12]
	v_fma_f64 v[7:8], v[5:6], 0, 1.0
	v_div_fixup_f64 v[1:2], v[3:4], v[1:2], 1.0
	v_add_f64 v[3:4], -v[5:6], 0
	s_delay_alu instid0(VALU_DEP_2) | instskip(NEXT) | instid1(VALU_DEP_2)
	v_mul_f64 v[5:6], v[7:8], v[1:2]
	v_mul_f64 v[7:8], v[3:4], v[1:2]
.LBB201_12:
	s_or_b32 exec_lo, exec_lo, s4
	s_branch .LBB201_14
.LBB201_13:
	v_mov_b32_e32 v5, 0
	v_dual_mov_b32 v6, 0x3ff00000 :: v_dual_mov_b32 v7, 0
	v_mov_b32_e32 v8, 0
.LBB201_14:
	ds_store_b128 v10, v[5:8]
.LBB201_15:
	s_or_b32 exec_lo, exec_lo, s33
	s_load_b32 s4, s[2:3], 0x58
	s_lshl_b32 s2, s14, 2
	s_add_i32 s24, s24, -1
	s_sub_i32 s3, s11, s2
	s_waitcnt lgkmcnt(0)
	s_ashr_i32 s20, s4, 31
	s_cmp_ge_u32 s14, s24
	s_cselect_b32 s9, s3, 4
	s_ashr_i32 s3, s2, 31
	v_cmp_gt_i32_e32 vcc_lo, s9, v9
	s_cmp_gt_i32 s10, 0
	s_cselect_b32 s9, -1, 0
	s_delay_alu instid0(SALU_CYCLE_1) | instskip(NEXT) | instid1(SALU_CYCLE_1)
	s_and_b32 s9, vcc_lo, s9
	s_and_saveexec_b32 s10, s9
	s_cbranch_execz .LBB201_18
; %bb.16:
	v_lshlrev_b32_e32 v3, 4, v9
	s_lshl_b64 s[22:23], s[2:3], 4
	s_lshl_b64 s[24:25], s[6:7], 4
	s_delay_alu instid0(VALU_DEP_1) | instskip(NEXT) | instid1(VALU_DEP_1)
	v_add_co_u32 v4, s3, s22, v3
	v_add_co_ci_u32_e64 v1, null, s23, 0, s3
	s_add_u32 s22, s12, s24
	s_addc_u32 s23, s13, s25
	s_delay_alu instid0(VALU_DEP_2) | instskip(NEXT) | instid1(VALU_DEP_2)
	v_mul_lo_u32 v5, v4, s20
	v_mul_lo_u32 v6, v1, s4
	v_mad_u64_u32 v[1:2], null, v4, s4, s[22:23]
	v_or_b32_e32 v3, 0x100, v3
	s_mov_b32 s3, s5
	s_delay_alu instid0(VALU_DEP_2) | instskip(NEXT) | instid1(VALU_DEP_3)
	v_add3_u32 v2, v6, v2, v5
	v_add_co_u32 v1, vcc_lo, v1, 8
	s_delay_alu instid0(VALU_DEP_2)
	v_add_co_ci_u32_e32 v2, vcc_lo, 0, v2, vcc_lo
	.p2align	6
.LBB201_17:                             ; =>This Inner Loop Header: Depth=1
	global_load_b128 v[4:7], v[1:2], off offset:-8
	v_add_co_u32 v1, vcc_lo, v1, 16
	v_add_co_ci_u32_e32 v2, vcc_lo, 0, v2, vcc_lo
	s_add_i32 s3, s3, -1
	s_delay_alu instid0(SALU_CYCLE_1) | instskip(SKIP_3) | instid1(VALU_DEP_2)
	s_cmp_lg_u32 s3, 0
	s_waitcnt vmcnt(0)
	v_mul_f64 v[10:11], s[18:19], v[6:7]
	v_mul_f64 v[6:7], s[16:17], v[6:7]
	v_fma_f64 v[10:11], s[16:17], v[4:5], -v[10:11]
	s_delay_alu instid0(VALU_DEP_2)
	v_fma_f64 v[12:13], s[18:19], v[4:5], v[6:7]
	ds_store_b128 v3, v[10:13]
	v_add_nc_u32_e32 v3, 64, v3
	s_cbranch_scc1 .LBB201_17
.LBB201_18:
	s_or_b32 exec_lo, exec_lo, s10
	s_load_b64 s[0:1], s[0:1], 0x4
	v_bfe_u32 v1, v0, 10, 10
	v_bfe_u32 v0, v0, 20, 10
	s_waitcnt vmcnt(0) lgkmcnt(0)
	s_waitcnt_vscnt null, 0x0
	; wave barrier
	s_waitcnt lgkmcnt(0)
	buffer_gl0_inv
	s_lshr_b32 s0, s0, 16
	v_mul_u32_u24_e32 v1, s1, v1
	s_mul_i32 s0, s0, s1
	s_cmpk_eq_i32 s8, 0x6f
	v_mul_u32_u24_e32 v2, s0, v9
	s_mov_b32 s0, -1
	s_delay_alu instid0(VALU_DEP_1) | instskip(NEXT) | instid1(VALU_DEP_1)
	v_add3_u32 v0, v2, v1, v0
	v_lshl_add_u32 v4, v0, 6, 0x200
	s_cbranch_scc1 .LBB201_39
; %bb.19:
	v_lshl_or_b32 v5, v9, 4, 0x100
	v_lshlrev_b32_e32 v6, 4, v9
	s_lshl_b32 s3, s5, 4
	s_mov_b32 s1, 0
	s_add_i32 s3, s3, -16
	s_mov_b32 s0, s1
	s_mov_b32 s8, s15
	s_branch .LBB201_21
.LBB201_20:                             ;   in Loop: Header=BB201_21 Depth=1
	s_cmp_lt_i32 s8, 0
	s_cselect_b32 s10, -1, 0
	s_add_i32 s0, s0, 1
	s_delay_alu instid0(SALU_CYCLE_1) | instskip(SKIP_1) | instid1(SALU_CYCLE_1)
	s_cmp_eq_u32 s0, 3
	s_cselect_b32 s11, -1, 0
	s_or_b32 s10, s10, s11
	s_delay_alu instid0(SALU_CYCLE_1)
	s_and_not1_b32 vcc_lo, exec_lo, s10
	s_cbranch_vccz .LBB201_38
.LBB201_21:                             ; =>This Loop Header: Depth=1
                                        ;     Child Loop BB201_24 Depth 2
                                        ;       Child Loop BB201_25 Depth 3
                                        ;       Child Loop BB201_27 Depth 3
                                        ;         Child Loop BB201_28 Depth 4
                                        ;       Child Loop BB201_32 Depth 3
                                        ;         Child Loop BB201_34 Depth 4
	s_getpc_b64 s[10:11]
	s_add_u32 s10, s10, __const._ZL38rocblas_trsm_small_left_device_sharedBILi4ELi4ELb1E19rocblas_complex_numIdES1_PKPKS1_PKPS1_Ev13rocblas_fill_18rocblas_operation_17rocblas_diagonal_iiT3_T4_lilT5_lili.step_sizes@rel32@lo+4
	s_addc_u32 s11, s11, __const._ZL38rocblas_trsm_small_left_device_sharedBILi4ELi4ELb1E19rocblas_complex_numIdES1_PKPKS1_PKPS1_Ev13rocblas_fill_18rocblas_operation_17rocblas_diagonal_iiT3_T4_lilT5_lili.step_sizes@rel32@hi+12
	s_lshl_b64 s[16:17], s[0:1], 2
	s_delay_alu instid0(SALU_CYCLE_1) | instskip(SKIP_4) | instid1(SALU_CYCLE_1)
	s_add_u32 s10, s16, s10
	s_addc_u32 s11, s17, s11
	s_load_b32 s10, s[10:11], 0x0
	s_waitcnt lgkmcnt(0)
	s_add_i32 s11, s10, -1
	s_cmp_lt_i32 s8, s11
	s_cbranch_scc1 .LBB201_20
; %bb.22:                               ;   in Loop: Header=BB201_21 Depth=1
	s_lshl_b32 s17, s8, 6
	s_lshl_b32 s16, s10, 6
	v_add_nc_u32_e32 v7, s17, v5
	s_max_i32 s14, s10, 1
	s_sub_i32 s16, 0, s16
	s_add_i32 s17, s3, s17
	s_mul_i32 s18, s8, 0x50
	s_mul_i32 s19, s10, 0xffffffb0
	s_branch .LBB201_24
.LBB201_23:                             ;   in Loop: Header=BB201_24 Depth=2
	v_add_nc_u32_e32 v7, s16, v7
	s_sub_i32 s8, s8, s10
	s_add_i32 s17, s17, s16
	s_add_i32 s18, s18, s19
	s_cmp_lt_i32 s8, s11
	s_cbranch_scc1 .LBB201_20
.LBB201_24:                             ;   Parent Loop BB201_21 Depth=1
                                        ; =>  This Loop Header: Depth=2
                                        ;       Child Loop BB201_25 Depth 3
                                        ;       Child Loop BB201_27 Depth 3
                                        ;         Child Loop BB201_28 Depth 4
                                        ;       Child Loop BB201_32 Depth 3
                                        ;         Child Loop BB201_34 Depth 4
	v_dual_mov_b32 v0, v4 :: v_dual_mov_b32 v1, v7
	s_mov_b32 s20, s14
.LBB201_25:                             ;   Parent Loop BB201_21 Depth=1
                                        ;     Parent Loop BB201_24 Depth=2
                                        ; =>    This Inner Loop Header: Depth=3
	ds_load_b128 v[10:13], v1
	v_subrev_nc_u32_e32 v1, 64, v1
	s_add_i32 s20, s20, -1
	s_delay_alu instid0(SALU_CYCLE_1)
	s_cmp_eq_u32 s20, 0
	s_waitcnt lgkmcnt(0)
	ds_store_b128 v0, v[10:13]
	v_add_nc_u32_e32 v0, 16, v0
	s_cbranch_scc0 .LBB201_25
; %bb.26:                               ;   in Loop: Header=BB201_24 Depth=2
	s_cmp_le_i32 s15, s8
	s_mov_b32 s20, s17
	s_mov_b32 s21, s15
	s_cbranch_scc1 .LBB201_30
	.p2align	6
.LBB201_27:                             ;   Parent Loop BB201_21 Depth=1
                                        ;     Parent Loop BB201_24 Depth=2
                                        ; =>    This Loop Header: Depth=3
                                        ;         Child Loop BB201_28 Depth 4
	v_lshl_or_b32 v0, s21, 6, v6
	v_mov_b32_e32 v8, v4
	s_mov_b32 s22, s20
	s_mov_b32 s23, s14
	ds_load_b128 v[0:3], v0 offset:256
	.p2align	6
.LBB201_28:                             ;   Parent Loop BB201_21 Depth=1
                                        ;     Parent Loop BB201_24 Depth=2
                                        ;       Parent Loop BB201_27 Depth=3
                                        ; =>      This Inner Loop Header: Depth=4
	v_mov_b32_e32 v10, s22
	s_add_i32 s23, s23, -1
	s_sub_i32 s22, s22, 64
	s_cmp_eq_u32 s23, 0
	ds_load_b128 v[10:13], v10
	s_waitcnt lgkmcnt(0)
	v_mul_f64 v[14:15], v[2:3], v[12:13]
	v_mul_f64 v[12:13], v[0:1], v[12:13]
	s_delay_alu instid0(VALU_DEP_2) | instskip(NEXT) | instid1(VALU_DEP_2)
	v_fma_f64 v[14:15], v[0:1], v[10:11], -v[14:15]
	v_fma_f64 v[16:17], v[2:3], v[10:11], v[12:13]
	ds_load_b128 v[10:13], v8
	s_waitcnt lgkmcnt(0)
	v_add_f64 v[10:11], v[10:11], -v[14:15]
	v_add_f64 v[12:13], v[12:13], -v[16:17]
	ds_store_b128 v8, v[10:13]
	v_add_nc_u32_e32 v8, 16, v8
	s_cbranch_scc0 .LBB201_28
; %bb.29:                               ;   in Loop: Header=BB201_27 Depth=3
	s_add_i32 s21, s21, -1
	s_add_i32 s20, s20, -16
	s_cmp_le_i32 s21, s8
	s_cbranch_scc0 .LBB201_27
.LBB201_30:                             ;   in Loop: Header=BB201_24 Depth=2
	s_lshl_b32 s20, s8, 2
	s_mov_b32 s21, 0
	s_mov_b32 s22, s18
	s_branch .LBB201_32
.LBB201_31:                             ;   in Loop: Header=BB201_32 Depth=3
	s_mulk_i32 s24, 0x50
	s_add_i32 s21, s21, 1
	v_mov_b32_e32 v10, s24
	s_sub_i32 s22, s22, 64
	s_cmp_eq_u32 s21, s14
	ds_load_b128 v[10:13], v10
	s_waitcnt lgkmcnt(0)
	v_mul_f64 v[14:15], v[12:13], v[2:3]
	v_mul_f64 v[2:3], v[10:11], v[2:3]
	s_delay_alu instid0(VALU_DEP_2) | instskip(NEXT) | instid1(VALU_DEP_2)
	v_fma_f64 v[10:11], v[10:11], v[0:1], -v[14:15]
	v_fma_f64 v[12:13], v[12:13], v[0:1], v[2:3]
	v_add_lshl_u32 v0, s23, v9, 4
	ds_store_b128 v8, v[10:13]
	ds_store_b128 v0, v[10:13] offset:256
	s_cbranch_scc1 .LBB201_23
.LBB201_32:                             ;   Parent Loop BB201_21 Depth=1
                                        ;     Parent Loop BB201_24 Depth=2
                                        ; =>    This Loop Header: Depth=3
                                        ;         Child Loop BB201_34 Depth 4
	v_lshl_add_u32 v8, s21, 4, v4
	s_cmp_lg_u32 s21, 0
	s_cbranch_scc0 .LBB201_36
; %bb.33:                               ;   in Loop: Header=BB201_32 Depth=3
	ds_load_b128 v[0:3], v8
	v_mov_b32_e32 v10, v4
	s_sub_i32 s24, s8, s21
	s_mov_b32 s25, 0
	s_lshl_b32 s23, s24, 2
	s_mov_b32 s26, s22
	.p2align	6
.LBB201_34:                             ;   Parent Loop BB201_21 Depth=1
                                        ;     Parent Loop BB201_24 Depth=2
                                        ;       Parent Loop BB201_32 Depth=3
                                        ; =>      This Inner Loop Header: Depth=4
	s_delay_alu instid0(SALU_CYCLE_1)
	v_mov_b32_e32 v15, s26
	s_add_i32 s25, s25, 1
	s_add_i32 s26, s26, -16
	s_cmp_ge_u32 s25, s21
	ds_load_b128 v[11:14], v10
	ds_load_b128 v[15:18], v15
	v_add_nc_u32_e32 v10, 16, v10
	s_waitcnt lgkmcnt(0)
	v_mul_f64 v[19:20], v[17:18], v[13:14]
	v_mul_f64 v[13:14], v[15:16], v[13:14]
	s_delay_alu instid0(VALU_DEP_2) | instskip(NEXT) | instid1(VALU_DEP_2)
	v_fma_f64 v[15:16], v[15:16], v[11:12], -v[19:20]
	v_fma_f64 v[11:12], v[17:18], v[11:12], v[13:14]
	s_delay_alu instid0(VALU_DEP_2) | instskip(NEXT) | instid1(VALU_DEP_2)
	v_add_f64 v[0:1], v[0:1], -v[15:16]
	v_add_f64 v[2:3], v[2:3], -v[11:12]
	ds_store_b128 v8, v[0:3]
	s_cbranch_scc0 .LBB201_34
; %bb.35:                               ;   in Loop: Header=BB201_32 Depth=3
	s_branch .LBB201_31
.LBB201_36:                             ;   in Loop: Header=BB201_32 Depth=3
                                        ; implicit-def: $vgpr0_vgpr1
                                        ; implicit-def: $sgpr24
                                        ; implicit-def: $sgpr23
	s_cbranch_execz .LBB201_31
; %bb.37:                               ;   in Loop: Header=BB201_32 Depth=3
	ds_load_b128 v[0:3], v4
	s_mov_b32 s23, s20
	s_mov_b32 s24, s8
	s_branch .LBB201_31
.LBB201_38:
	s_mov_b32 s0, 0
.LBB201_39:
	s_delay_alu instid0(SALU_CYCLE_1)
	s_and_b32 vcc_lo, exec_lo, s0
	s_cbranch_vccz .LBB201_60
; %bb.40:
	v_lshl_or_b32 v5, v9, 4, 0x100
	v_lshlrev_b32_e32 v6, 4, v9
	s_mov_b32 s1, 0
	s_delay_alu instid0(SALU_CYCLE_1)
	s_mov_b32 s0, s1
	s_mov_b32 s3, s1
	s_branch .LBB201_42
.LBB201_41:                             ;   in Loop: Header=BB201_42 Depth=1
	s_cmp_ge_i32 s3, s5
	s_cselect_b32 s8, -1, 0
	s_add_i32 s0, s0, 1
	s_delay_alu instid0(SALU_CYCLE_1) | instskip(SKIP_1) | instid1(SALU_CYCLE_1)
	s_cmp_eq_u32 s0, 3
	s_cselect_b32 s10, -1, 0
	s_or_b32 s8, s8, s10
	s_delay_alu instid0(SALU_CYCLE_1)
	s_and_b32 vcc_lo, exec_lo, s8
	s_cbranch_vccnz .LBB201_60
.LBB201_42:                             ; =>This Loop Header: Depth=1
                                        ;     Child Loop BB201_45 Depth 2
                                        ;       Child Loop BB201_46 Depth 3
                                        ;       Child Loop BB201_49 Depth 3
                                        ;         Child Loop BB201_50 Depth 4
                                        ;       Child Loop BB201_54 Depth 3
                                        ;         Child Loop BB201_56 Depth 4
	s_getpc_b64 s[10:11]
	s_add_u32 s10, s10, __const._ZL38rocblas_trsm_small_left_device_sharedBILi4ELi4ELb1E19rocblas_complex_numIdES1_PKPKS1_PKPS1_Ev13rocblas_fill_18rocblas_operation_17rocblas_diagonal_iiT3_T4_lilT5_lili.step_sizes@rel32@lo+4
	s_addc_u32 s11, s11, __const._ZL38rocblas_trsm_small_left_device_sharedBILi4ELi4ELb1E19rocblas_complex_numIdES1_PKPKS1_PKPS1_Ev13rocblas_fill_18rocblas_operation_17rocblas_diagonal_iiT3_T4_lilT5_lili.step_sizes@rel32@hi+12
	s_lshl_b64 s[14:15], s[0:1], 2
	s_delay_alu instid0(SALU_CYCLE_1) | instskip(SKIP_4) | instid1(SALU_CYCLE_1)
	s_add_u32 s10, s14, s10
	s_addc_u32 s11, s15, s11
	s_load_b32 s8, s[10:11], 0x0
	s_waitcnt lgkmcnt(0)
	s_add_i32 s10, s8, -1
	s_add_i32 s11, s10, s3
	s_delay_alu instid0(SALU_CYCLE_1)
	s_cmp_ge_i32 s11, s5
	s_cbranch_scc1 .LBB201_41
; %bb.43:                               ;   in Loop: Header=BB201_42 Depth=1
	v_lshl_add_u32 v7, s3, 6, v5
	s_max_i32 s11, s8, 1
	s_lshl_b32 s14, s8, 6
	s_lshl_b32 s15, s3, 4
	;; [unrolled: 1-line block ×3, first 2 shown]
	s_mul_i32 s17, s3, 0x50
	s_mul_i32 s18, s8, 0x50
	s_branch .LBB201_45
.LBB201_44:                             ;   in Loop: Header=BB201_45 Depth=2
	s_add_i32 s3, s3, s8
	v_add_nc_u32_e32 v7, s14, v7
	s_add_i32 s19, s10, s3
	s_add_i32 s15, s15, s16
	;; [unrolled: 1-line block ×3, first 2 shown]
	s_cmp_ge_i32 s19, s5
	s_cbranch_scc1 .LBB201_41
.LBB201_45:                             ;   Parent Loop BB201_42 Depth=1
                                        ; =>  This Loop Header: Depth=2
                                        ;       Child Loop BB201_46 Depth 3
                                        ;       Child Loop BB201_49 Depth 3
                                        ;         Child Loop BB201_50 Depth 4
                                        ;       Child Loop BB201_54 Depth 3
                                        ;         Child Loop BB201_56 Depth 4
	v_dual_mov_b32 v0, v4 :: v_dual_mov_b32 v1, v7
	s_mov_b32 s19, s11
.LBB201_46:                             ;   Parent Loop BB201_42 Depth=1
                                        ;     Parent Loop BB201_45 Depth=2
                                        ; =>    This Inner Loop Header: Depth=3
	ds_load_b128 v[10:13], v1
	v_add_nc_u32_e32 v1, 64, v1
	s_add_i32 s19, s19, -1
	s_delay_alu instid0(SALU_CYCLE_1)
	s_cmp_eq_u32 s19, 0
	s_waitcnt lgkmcnt(0)
	ds_store_b128 v0, v[10:13]
	v_add_nc_u32_e32 v0, 16, v0
	s_cbranch_scc0 .LBB201_46
; %bb.47:                               ;   in Loop: Header=BB201_45 Depth=2
	s_cmp_lt_i32 s3, 1
	s_cbranch_scc1 .LBB201_52
; %bb.48:                               ;   in Loop: Header=BB201_45 Depth=2
	s_mov_b32 s19, 0
	s_mov_b32 s20, s15
	s_set_inst_prefetch_distance 0x1
	.p2align	6
.LBB201_49:                             ;   Parent Loop BB201_42 Depth=1
                                        ;     Parent Loop BB201_45 Depth=2
                                        ; =>    This Loop Header: Depth=3
                                        ;         Child Loop BB201_50 Depth 4
	v_lshl_or_b32 v0, s19, 6, v6
	v_mov_b32_e32 v8, v4
	s_mov_b32 s21, s20
	s_mov_b32 s22, s11
	ds_load_b128 v[0:3], v0 offset:256
	.p2align	6
.LBB201_50:                             ;   Parent Loop BB201_42 Depth=1
                                        ;     Parent Loop BB201_45 Depth=2
                                        ;       Parent Loop BB201_49 Depth=3
                                        ; =>      This Inner Loop Header: Depth=4
	v_mov_b32_e32 v10, s21
	s_add_i32 s22, s22, -1
	s_add_i32 s21, s21, 16
	s_cmp_eq_u32 s22, 0
	ds_load_b128 v[10:13], v10
	s_waitcnt lgkmcnt(0)
	v_mul_f64 v[14:15], v[2:3], v[12:13]
	v_mul_f64 v[12:13], v[0:1], v[12:13]
	s_delay_alu instid0(VALU_DEP_2) | instskip(NEXT) | instid1(VALU_DEP_2)
	v_fma_f64 v[14:15], v[0:1], v[10:11], -v[14:15]
	v_fma_f64 v[16:17], v[2:3], v[10:11], v[12:13]
	ds_load_b128 v[10:13], v8
	s_waitcnt lgkmcnt(0)
	v_add_f64 v[10:11], v[10:11], -v[14:15]
	v_add_f64 v[12:13], v[12:13], -v[16:17]
	ds_store_b128 v8, v[10:13]
	v_add_nc_u32_e32 v8, 16, v8
	s_cbranch_scc0 .LBB201_50
; %bb.51:                               ;   in Loop: Header=BB201_49 Depth=3
	s_add_i32 s19, s19, 1
	s_add_i32 s20, s20, 64
	s_cmp_ge_i32 s19, s3
	s_cbranch_scc0 .LBB201_49
.LBB201_52:                             ;   in Loop: Header=BB201_45 Depth=2
	s_set_inst_prefetch_distance 0x2
	s_mov_b32 s19, 0
	s_mov_b32 s20, s17
	s_branch .LBB201_54
.LBB201_53:                             ;   in Loop: Header=BB201_54 Depth=3
	s_mul_i32 s22, s21, 0x50
	s_add_i32 s19, s19, 1
	v_mov_b32_e32 v10, s22
	s_add_i32 s20, s20, 16
	s_cmp_eq_u32 s19, s11
	ds_load_b128 v[10:13], v10
	s_waitcnt lgkmcnt(0)
	v_mul_f64 v[14:15], v[12:13], v[2:3]
	v_mul_f64 v[2:3], v[10:11], v[2:3]
	s_delay_alu instid0(VALU_DEP_2) | instskip(NEXT) | instid1(VALU_DEP_2)
	v_fma_f64 v[10:11], v[10:11], v[0:1], -v[14:15]
	v_fma_f64 v[12:13], v[12:13], v[0:1], v[2:3]
	v_lshl_or_b32 v0, s21, 6, v6
	ds_store_b128 v8, v[10:13]
	ds_store_b128 v0, v[10:13] offset:256
	s_cbranch_scc1 .LBB201_44
.LBB201_54:                             ;   Parent Loop BB201_42 Depth=1
                                        ;     Parent Loop BB201_45 Depth=2
                                        ; =>    This Loop Header: Depth=3
                                        ;         Child Loop BB201_56 Depth 4
	v_lshl_add_u32 v8, s19, 4, v4
	s_cmp_lg_u32 s19, 0
	s_cbranch_scc0 .LBB201_58
; %bb.55:                               ;   in Loop: Header=BB201_54 Depth=3
	ds_load_b128 v[0:3], v8
	v_mov_b32_e32 v10, v4
	s_add_i32 s21, s19, s3
	s_mov_b32 s22, 0
	s_mov_b32 s23, s20
	.p2align	6
.LBB201_56:                             ;   Parent Loop BB201_42 Depth=1
                                        ;     Parent Loop BB201_45 Depth=2
                                        ;       Parent Loop BB201_54 Depth=3
                                        ; =>      This Inner Loop Header: Depth=4
	s_delay_alu instid0(SALU_CYCLE_1)
	v_mov_b32_e32 v15, s23
	s_add_i32 s22, s22, 1
	s_add_i32 s23, s23, 64
	s_cmp_ge_u32 s22, s19
	ds_load_b128 v[11:14], v10
	ds_load_b128 v[15:18], v15
	v_add_nc_u32_e32 v10, 16, v10
	s_waitcnt lgkmcnt(0)
	v_mul_f64 v[19:20], v[17:18], v[13:14]
	v_mul_f64 v[13:14], v[15:16], v[13:14]
	s_delay_alu instid0(VALU_DEP_2) | instskip(NEXT) | instid1(VALU_DEP_2)
	v_fma_f64 v[15:16], v[15:16], v[11:12], -v[19:20]
	v_fma_f64 v[11:12], v[17:18], v[11:12], v[13:14]
	s_delay_alu instid0(VALU_DEP_2) | instskip(NEXT) | instid1(VALU_DEP_2)
	v_add_f64 v[0:1], v[0:1], -v[15:16]
	v_add_f64 v[2:3], v[2:3], -v[11:12]
	ds_store_b128 v8, v[0:3]
	s_cbranch_scc0 .LBB201_56
; %bb.57:                               ;   in Loop: Header=BB201_54 Depth=3
	s_branch .LBB201_53
.LBB201_58:                             ;   in Loop: Header=BB201_54 Depth=3
                                        ; implicit-def: $vgpr0_vgpr1
                                        ; implicit-def: $sgpr21
	s_cbranch_execz .LBB201_53
; %bb.59:                               ;   in Loop: Header=BB201_54 Depth=3
	ds_load_b128 v[0:3], v4
	s_mov_b32 s21, s3
	s_branch .LBB201_53
.LBB201_60:
	s_waitcnt vmcnt(0) lgkmcnt(0)
	s_waitcnt_vscnt null, 0x0
	; wave barrier
	s_waitcnt lgkmcnt(0)
	buffer_gl0_inv
	s_and_saveexec_b32 s0, s9
	s_cbranch_execz .LBB201_63
; %bb.61:
	v_mad_i64_i32 v[0:1], null, s4, v9, 0
	s_lshl_b64 s[0:1], s[6:7], 4
	s_mul_hi_i32 s3, s4, s2
	s_mul_i32 s2, s4, s2
	s_add_u32 s4, s12, s0
	s_addc_u32 s6, s13, s1
	s_lshl_b64 s[0:1], s[2:3], 4
	s_delay_alu instid0(VALU_DEP_1) | instskip(SKIP_3) | instid1(VALU_DEP_2)
	v_lshlrev_b64 v[0:1], 4, v[0:1]
	s_add_u32 s0, s4, s0
	s_addc_u32 s1, s6, s1
	v_lshl_or_b32 v2, v9, 4, 0x100
	v_add_co_u32 v0, vcc_lo, s0, v0
	s_delay_alu instid0(VALU_DEP_3)
	v_add_co_ci_u32_e32 v1, vcc_lo, s1, v1, vcc_lo
.LBB201_62:                             ; =>This Inner Loop Header: Depth=1
	ds_load_2addr_b64 v[3:6], v2 offset1:1
	v_add_nc_u32_e32 v2, 64, v2
	s_add_i32 s5, s5, -1
	s_delay_alu instid0(SALU_CYCLE_1)
	s_cmp_lg_u32 s5, 0
	s_waitcnt lgkmcnt(0)
	global_store_b128 v[0:1], v[3:6], off
	v_add_co_u32 v0, vcc_lo, v0, 16
	v_add_co_ci_u32_e32 v1, vcc_lo, 0, v1, vcc_lo
	s_cbranch_scc1 .LBB201_62
.LBB201_63:
	s_nop 0
	s_sendmsg sendmsg(MSG_DEALLOC_VGPRS)
	s_endpgm
	.section	.rodata,"a",@progbits
	.p2align	6, 0x0
	.amdhsa_kernel _ZL38rocblas_trsm_small_left_device_sharedBILi4ELi4ELb1E19rocblas_complex_numIdES1_PKPKS1_PKPS1_Ev13rocblas_fill_18rocblas_operation_17rocblas_diagonal_iiT3_T4_lilT5_lili
		.amdhsa_group_segment_fixed_size 768
		.amdhsa_private_segment_fixed_size 0
		.amdhsa_kernarg_size 368
		.amdhsa_user_sgpr_count 14
		.amdhsa_user_sgpr_dispatch_ptr 1
		.amdhsa_user_sgpr_queue_ptr 0
		.amdhsa_user_sgpr_kernarg_segment_ptr 1
		.amdhsa_user_sgpr_dispatch_id 0
		.amdhsa_user_sgpr_private_segment_size 0
		.amdhsa_wavefront_size32 1
		.amdhsa_uses_dynamic_stack 0
		.amdhsa_enable_private_segment 0
		.amdhsa_system_sgpr_workgroup_id_x 1
		.amdhsa_system_sgpr_workgroup_id_y 0
		.amdhsa_system_sgpr_workgroup_id_z 1
		.amdhsa_system_sgpr_workgroup_info 0
		.amdhsa_system_vgpr_workitem_id 2
		.amdhsa_next_free_vgpr 25
		.amdhsa_next_free_sgpr 35
		.amdhsa_reserve_vcc 1
		.amdhsa_float_round_mode_32 0
		.amdhsa_float_round_mode_16_64 0
		.amdhsa_float_denorm_mode_32 3
		.amdhsa_float_denorm_mode_16_64 3
		.amdhsa_dx10_clamp 1
		.amdhsa_ieee_mode 1
		.amdhsa_fp16_overflow 0
		.amdhsa_workgroup_processor_mode 1
		.amdhsa_memory_ordered 1
		.amdhsa_forward_progress 0
		.amdhsa_shared_vgpr_count 0
		.amdhsa_exception_fp_ieee_invalid_op 0
		.amdhsa_exception_fp_denorm_src 0
		.amdhsa_exception_fp_ieee_div_zero 0
		.amdhsa_exception_fp_ieee_overflow 0
		.amdhsa_exception_fp_ieee_underflow 0
		.amdhsa_exception_fp_ieee_inexact 0
		.amdhsa_exception_int_div_zero 0
	.end_amdhsa_kernel
	.section	.text._ZL38rocblas_trsm_small_left_device_sharedBILi4ELi4ELb1E19rocblas_complex_numIdES1_PKPKS1_PKPS1_Ev13rocblas_fill_18rocblas_operation_17rocblas_diagonal_iiT3_T4_lilT5_lili,"axG",@progbits,_ZL38rocblas_trsm_small_left_device_sharedBILi4ELi4ELb1E19rocblas_complex_numIdES1_PKPKS1_PKPS1_Ev13rocblas_fill_18rocblas_operation_17rocblas_diagonal_iiT3_T4_lilT5_lili,comdat
.Lfunc_end201:
	.size	_ZL38rocblas_trsm_small_left_device_sharedBILi4ELi4ELb1E19rocblas_complex_numIdES1_PKPKS1_PKPS1_Ev13rocblas_fill_18rocblas_operation_17rocblas_diagonal_iiT3_T4_lilT5_lili, .Lfunc_end201-_ZL38rocblas_trsm_small_left_device_sharedBILi4ELi4ELb1E19rocblas_complex_numIdES1_PKPKS1_PKPS1_Ev13rocblas_fill_18rocblas_operation_17rocblas_diagonal_iiT3_T4_lilT5_lili
                                        ; -- End function
	.section	.AMDGPU.csdata,"",@progbits
; Kernel info:
; codeLenInByte = 3328
; NumSgprs: 37
; NumVgprs: 25
; ScratchSize: 0
; MemoryBound: 0
; FloatMode: 240
; IeeeMode: 1
; LDSByteSize: 768 bytes/workgroup (compile time only)
; SGPRBlocks: 4
; VGPRBlocks: 3
; NumSGPRsForWavesPerEU: 37
; NumVGPRsForWavesPerEU: 25
; Occupancy: 16
; WaveLimiterHint : 0
; COMPUTE_PGM_RSRC2:SCRATCH_EN: 0
; COMPUTE_PGM_RSRC2:USER_SGPR: 14
; COMPUTE_PGM_RSRC2:TRAP_HANDLER: 0
; COMPUTE_PGM_RSRC2:TGID_X_EN: 1
; COMPUTE_PGM_RSRC2:TGID_Y_EN: 0
; COMPUTE_PGM_RSRC2:TGID_Z_EN: 1
; COMPUTE_PGM_RSRC2:TIDIG_COMP_CNT: 2
	.section	.text._ZL30rocblas_trsm_small_left_deviceILi4ELi4ELb1E19rocblas_complex_numIdES1_PKPKS1_PKPS1_Ev13rocblas_fill_18rocblas_operation_17rocblas_diagonal_iiT3_T4_lilT5_lili,"axG",@progbits,_ZL30rocblas_trsm_small_left_deviceILi4ELi4ELb1E19rocblas_complex_numIdES1_PKPKS1_PKPS1_Ev13rocblas_fill_18rocblas_operation_17rocblas_diagonal_iiT3_T4_lilT5_lili,comdat
	.globl	_ZL30rocblas_trsm_small_left_deviceILi4ELi4ELb1E19rocblas_complex_numIdES1_PKPKS1_PKPS1_Ev13rocblas_fill_18rocblas_operation_17rocblas_diagonal_iiT3_T4_lilT5_lili ; -- Begin function _ZL30rocblas_trsm_small_left_deviceILi4ELi4ELb1E19rocblas_complex_numIdES1_PKPKS1_PKPS1_Ev13rocblas_fill_18rocblas_operation_17rocblas_diagonal_iiT3_T4_lilT5_lili
	.p2align	8
	.type	_ZL30rocblas_trsm_small_left_deviceILi4ELi4ELb1E19rocblas_complex_numIdES1_PKPKS1_PKPS1_Ev13rocblas_fill_18rocblas_operation_17rocblas_diagonal_iiT3_T4_lilT5_lili,@function
_ZL30rocblas_trsm_small_left_deviceILi4ELi4ELb1E19rocblas_complex_numIdES1_PKPKS1_PKPS1_Ev13rocblas_fill_18rocblas_operation_17rocblas_diagonal_iiT3_T4_lilT5_lili: ; @_ZL30rocblas_trsm_small_left_deviceILi4ELi4ELb1E19rocblas_complex_numIdES1_PKPKS1_PKPS1_Ev13rocblas_fill_18rocblas_operation_17rocblas_diagonal_iiT3_T4_lilT5_lili
; %bb.0:
	s_clause 0x1
	s_load_b128 s[4:7], s[2:3], 0x48
	s_load_b128 s[8:11], s[2:3], 0x4
	s_mov_b32 s24, s15
	s_mov_b32 s25, 0
	v_and_b32_e32 v9, 0x3ff, v0
	s_lshl_b64 s[28:29], s[24:25], 3
	s_load_b32 s24, s[2:3], 0x70
	s_waitcnt lgkmcnt(0)
	s_add_u32 s4, s4, s28
	s_addc_u32 s5, s5, s29
	s_load_b256 s[16:23], s[2:3], 0x18
	s_load_b64 s[12:13], s[4:5], 0x0
	s_min_i32 s15, s10, 4
	s_mov_b32 s5, exec_lo
	s_add_i32 s10, s15, -1
	v_cmpx_gt_i32_e64 s15, v9
	s_cbranch_execz .LBB202_15
; %bb.1:
	s_load_b32 s26, s[2:3], 0x38
	v_lshlrev_b32_e32 v3, 4, v9
	s_waitcnt lgkmcnt(0)
	s_ashr_i32 s27, s26, 31
	s_cmpk_eq_i32 s8, 0x71
	s_cselect_b32 vcc_lo, -1, 0
	s_add_u32 s20, s20, s28
	s_addc_u32 s21, s21, s29
	s_cmp_lt_u32 s10, 3
	s_load_b64 s[20:21], s[20:21], 0x0
	s_cbranch_scc1 .LBB202_4
; %bb.2:
	v_dual_mov_b32 v4, v3 :: v_dual_lshlrev_b32 v1, 4, v9
	s_lshl_b64 s[28:29], s[22:23], 4
	s_and_b32 s25, s15, -4
	s_waitcnt lgkmcnt(0)
	s_add_u32 s4, s20, s28
	s_addc_u32 s28, s21, s29
	v_add_co_u32 v1, s4, s4, v1
	s_delay_alu instid0(VALU_DEP_1) | instskip(SKIP_1) | instid1(VALU_DEP_2)
	v_add_co_ci_u32_e64 v2, null, s28, 0, s4
	s_lshl_b64 s[28:29], s[26:27], 6
	v_add_co_u32 v1, s4, v1, 8
	s_delay_alu instid0(VALU_DEP_1)
	v_add_co_ci_u32_e64 v2, s4, 0, v2, s4
	s_lshl_b64 s[30:31], s[26:27], 4
	s_mov_b32 s33, 0
.LBB202_3:                              ; =>This Inner Loop Header: Depth=1
	s_delay_alu instid0(VALU_DEP_2) | instskip(NEXT) | instid1(VALU_DEP_1)
	v_add_co_u32 v10, s4, v1, s30
	v_add_co_ci_u32_e64 v11, s4, s31, v2, s4
	s_add_i32 s33, s33, 4
	s_delay_alu instid0(VALU_DEP_2) | instskip(NEXT) | instid1(VALU_DEP_1)
	v_add_co_u32 v14, s4, v10, s30
	v_add_co_ci_u32_e64 v15, s4, s31, v11, s4
	s_cmp_eq_u32 s25, s33
	s_delay_alu instid0(VALU_DEP_2) | instskip(NEXT) | instid1(VALU_DEP_1)
	v_add_co_u32 v18, s4, v14, s30
	v_add_co_ci_u32_e64 v19, s4, s31, v15, s4
	s_clause 0x3
	global_load_b128 v[5:8], v[1:2], off offset:-8
	global_load_b128 v[10:13], v[10:11], off offset:-8
	global_load_b128 v[14:17], v[14:15], off offset:-8
	global_load_b128 v[18:21], v[18:19], off offset:-8
	v_add_co_u32 v1, s4, v1, s28
	s_delay_alu instid0(VALU_DEP_1)
	v_add_co_ci_u32_e64 v2, s4, s29, v2, s4
	s_waitcnt vmcnt(3)
	v_xor_b32_e32 v22, 0x80000000, v8
	s_waitcnt vmcnt(2)
	v_xor_b32_e32 v23, 0x80000000, v13
	s_waitcnt vmcnt(1)
	v_xor_b32_e32 v24, 0x80000000, v17
	s_waitcnt vmcnt(0)
	v_xor_b32_e32 v25, 0x80000000, v21
	v_dual_cndmask_b32 v8, v8, v22 :: v_dual_cndmask_b32 v13, v13, v23
	s_delay_alu instid0(VALU_DEP_3) | instskip(NEXT) | instid1(VALU_DEP_3)
	v_cndmask_b32_e32 v17, v17, v24, vcc_lo
	v_cndmask_b32_e32 v21, v21, v25, vcc_lo
	ds_store_b128 v4, v[5:8]
	ds_store_b128 v4, v[10:13] offset:64
	ds_store_b128 v4, v[14:17] offset:128
	ds_store_b128 v4, v[18:21] offset:192
	v_add_nc_u32_e32 v4, 0x100, v4
	s_cbranch_scc0 .LBB202_3
.LBB202_4:
	s_and_b32 s28, s15, 3
	s_delay_alu instid0(SALU_CYCLE_1)
	s_cmp_eq_u32 s28, 0
	s_cbranch_scc1 .LBB202_7
; %bb.5:
	s_mul_i32 s4, s27, s25
	s_mul_hi_u32 s29, s26, s25
	s_mul_i32 s30, s26, s25
	s_add_i32 s31, s29, s4
	s_lshl_b64 s[22:23], s[22:23], 4
	s_lshl_b64 s[30:31], s[30:31], 4
	s_delay_alu instid0(SALU_CYCLE_1)
	s_add_u32 s4, s30, s22
	s_addc_u32 s22, s31, s23
	s_waitcnt lgkmcnt(0)
	s_add_u32 s4, s20, s4
	s_addc_u32 s20, s21, s22
	v_add_co_u32 v1, s4, s4, v3
	s_delay_alu instid0(VALU_DEP_1) | instskip(SKIP_1) | instid1(VALU_DEP_3)
	v_add_co_ci_u32_e64 v2, null, s20, 0, s4
	v_lshl_or_b32 v3, s25, 6, v3
	v_add_co_u32 v1, s4, v1, 8
	s_delay_alu instid0(VALU_DEP_1)
	v_add_co_ci_u32_e64 v2, s4, 0, v2, s4
	s_lshl_b64 s[20:21], s[26:27], 4
.LBB202_6:                              ; =>This Inner Loop Header: Depth=1
	global_load_b128 v[4:7], v[1:2], off offset:-8
	v_add_co_u32 v1, s4, v1, s20
	s_delay_alu instid0(VALU_DEP_1) | instskip(SKIP_1) | instid1(SALU_CYCLE_1)
	v_add_co_ci_u32_e64 v2, s4, s21, v2, s4
	s_add_i32 s28, s28, -1
	s_cmp_lg_u32 s28, 0
	s_waitcnt vmcnt(0)
	v_xor_b32_e32 v8, 0x80000000, v7
	s_delay_alu instid0(VALU_DEP_1)
	v_cndmask_b32_e32 v7, v7, v8, vcc_lo
	ds_store_b128 v3, v[4:7]
	v_add_nc_u32_e32 v3, 64, v3
	s_cbranch_scc1 .LBB202_6
.LBB202_7:
	v_mul_u32_u24_e32 v1, 5, v9
	s_cmpk_lg_i32 s9, 0x84
	s_delay_alu instid0(VALU_DEP_1)
	v_lshlrev_b32_e32 v10, 4, v1
	s_cbranch_scc0 .LBB202_13
; %bb.8:
	ds_load_b128 v[1:4], v10
	s_waitcnt lgkmcnt(0)
	v_cmp_gt_f64_e32 vcc_lo, 0, v[1:2]
	v_xor_b32_e32 v6, 0x80000000, v2
	v_mov_b32_e32 v5, v1
	v_xor_b32_e32 v7, 0x80000000, v4
	s_delay_alu instid0(VALU_DEP_3) | instskip(SKIP_1) | instid1(VALU_DEP_3)
	v_cndmask_b32_e32 v6, v2, v6, vcc_lo
	v_cmp_gt_f64_e32 vcc_lo, 0, v[3:4]
	v_dual_cndmask_b32 v8, v4, v7 :: v_dual_mov_b32 v7, v3
	s_delay_alu instid0(VALU_DEP_1) | instskip(SKIP_1) | instid1(SALU_CYCLE_1)
	v_cmp_ngt_f64_e32 vcc_lo, v[5:6], v[7:8]
                                        ; implicit-def: $vgpr7_vgpr8
	s_and_saveexec_b32 s4, vcc_lo
	s_xor_b32 s4, exec_lo, s4
	s_cbranch_execz .LBB202_10
; %bb.9:
	v_div_scale_f64 v[5:6], null, v[3:4], v[3:4], v[1:2]
	v_div_scale_f64 v[13:14], vcc_lo, v[1:2], v[3:4], v[1:2]
	s_delay_alu instid0(VALU_DEP_2) | instskip(SKIP_2) | instid1(VALU_DEP_1)
	v_rcp_f64_e32 v[7:8], v[5:6]
	s_waitcnt_depctr 0xfff
	v_fma_f64 v[11:12], -v[5:6], v[7:8], 1.0
	v_fma_f64 v[7:8], v[7:8], v[11:12], v[7:8]
	s_delay_alu instid0(VALU_DEP_1) | instskip(NEXT) | instid1(VALU_DEP_1)
	v_fma_f64 v[11:12], -v[5:6], v[7:8], 1.0
	v_fma_f64 v[7:8], v[7:8], v[11:12], v[7:8]
	s_delay_alu instid0(VALU_DEP_1) | instskip(NEXT) | instid1(VALU_DEP_1)
	v_mul_f64 v[11:12], v[13:14], v[7:8]
	v_fma_f64 v[5:6], -v[5:6], v[11:12], v[13:14]
	s_delay_alu instid0(VALU_DEP_1) | instskip(NEXT) | instid1(VALU_DEP_1)
	v_div_fmas_f64 v[5:6], v[5:6], v[7:8], v[11:12]
	v_div_fixup_f64 v[5:6], v[5:6], v[3:4], v[1:2]
	s_delay_alu instid0(VALU_DEP_1) | instskip(NEXT) | instid1(VALU_DEP_1)
	v_fma_f64 v[1:2], v[1:2], v[5:6], v[3:4]
	v_div_scale_f64 v[3:4], null, v[1:2], v[1:2], 1.0
	v_div_scale_f64 v[13:14], vcc_lo, 1.0, v[1:2], 1.0
	s_delay_alu instid0(VALU_DEP_2) | instskip(SKIP_2) | instid1(VALU_DEP_1)
	v_rcp_f64_e32 v[7:8], v[3:4]
	s_waitcnt_depctr 0xfff
	v_fma_f64 v[11:12], -v[3:4], v[7:8], 1.0
	v_fma_f64 v[7:8], v[7:8], v[11:12], v[7:8]
	s_delay_alu instid0(VALU_DEP_1) | instskip(NEXT) | instid1(VALU_DEP_1)
	v_fma_f64 v[11:12], -v[3:4], v[7:8], 1.0
	v_fma_f64 v[7:8], v[7:8], v[11:12], v[7:8]
	s_delay_alu instid0(VALU_DEP_1) | instskip(NEXT) | instid1(VALU_DEP_1)
	v_mul_f64 v[11:12], v[13:14], v[7:8]
	v_fma_f64 v[3:4], -v[3:4], v[11:12], v[13:14]
	s_delay_alu instid0(VALU_DEP_1) | instskip(SKIP_1) | instid1(VALU_DEP_2)
	v_div_fmas_f64 v[3:4], v[3:4], v[7:8], v[11:12]
	v_add_f64 v[7:8], v[5:6], 0
	v_div_fixup_f64 v[1:2], v[3:4], v[1:2], 1.0
	v_fma_f64 v[3:4], v[5:6], 0, -1.0
	s_delay_alu instid0(VALU_DEP_2) | instskip(NEXT) | instid1(VALU_DEP_2)
	v_mul_f64 v[5:6], v[7:8], v[1:2]
	v_mul_f64 v[7:8], v[3:4], v[1:2]
                                        ; implicit-def: $vgpr1_vgpr2
.LBB202_10:
	s_and_not1_saveexec_b32 s4, s4
	s_cbranch_execz .LBB202_12
; %bb.11:
	v_div_scale_f64 v[5:6], null, v[1:2], v[1:2], v[3:4]
	v_div_scale_f64 v[13:14], vcc_lo, v[3:4], v[1:2], v[3:4]
	s_delay_alu instid0(VALU_DEP_2) | instskip(SKIP_2) | instid1(VALU_DEP_1)
	v_rcp_f64_e32 v[7:8], v[5:6]
	s_waitcnt_depctr 0xfff
	v_fma_f64 v[11:12], -v[5:6], v[7:8], 1.0
	v_fma_f64 v[7:8], v[7:8], v[11:12], v[7:8]
	s_delay_alu instid0(VALU_DEP_1) | instskip(NEXT) | instid1(VALU_DEP_1)
	v_fma_f64 v[11:12], -v[5:6], v[7:8], 1.0
	v_fma_f64 v[7:8], v[7:8], v[11:12], v[7:8]
	s_delay_alu instid0(VALU_DEP_1) | instskip(NEXT) | instid1(VALU_DEP_1)
	v_mul_f64 v[11:12], v[13:14], v[7:8]
	v_fma_f64 v[5:6], -v[5:6], v[11:12], v[13:14]
	s_delay_alu instid0(VALU_DEP_1) | instskip(NEXT) | instid1(VALU_DEP_1)
	v_div_fmas_f64 v[5:6], v[5:6], v[7:8], v[11:12]
	v_div_fixup_f64 v[5:6], v[5:6], v[1:2], v[3:4]
	s_delay_alu instid0(VALU_DEP_1) | instskip(NEXT) | instid1(VALU_DEP_1)
	v_fma_f64 v[1:2], v[3:4], v[5:6], v[1:2]
	v_div_scale_f64 v[3:4], null, v[1:2], v[1:2], 1.0
	v_div_scale_f64 v[13:14], vcc_lo, 1.0, v[1:2], 1.0
	s_delay_alu instid0(VALU_DEP_2) | instskip(SKIP_2) | instid1(VALU_DEP_1)
	v_rcp_f64_e32 v[7:8], v[3:4]
	s_waitcnt_depctr 0xfff
	v_fma_f64 v[11:12], -v[3:4], v[7:8], 1.0
	v_fma_f64 v[7:8], v[7:8], v[11:12], v[7:8]
	s_delay_alu instid0(VALU_DEP_1) | instskip(NEXT) | instid1(VALU_DEP_1)
	v_fma_f64 v[11:12], -v[3:4], v[7:8], 1.0
	v_fma_f64 v[7:8], v[7:8], v[11:12], v[7:8]
	s_delay_alu instid0(VALU_DEP_1) | instskip(NEXT) | instid1(VALU_DEP_1)
	v_mul_f64 v[11:12], v[13:14], v[7:8]
	v_fma_f64 v[3:4], -v[3:4], v[11:12], v[13:14]
	s_delay_alu instid0(VALU_DEP_1) | instskip(SKIP_1) | instid1(VALU_DEP_2)
	v_div_fmas_f64 v[3:4], v[3:4], v[7:8], v[11:12]
	v_fma_f64 v[7:8], v[5:6], 0, 1.0
	v_div_fixup_f64 v[1:2], v[3:4], v[1:2], 1.0
	v_add_f64 v[3:4], -v[5:6], 0
	s_delay_alu instid0(VALU_DEP_2) | instskip(NEXT) | instid1(VALU_DEP_2)
	v_mul_f64 v[5:6], v[7:8], v[1:2]
	v_mul_f64 v[7:8], v[3:4], v[1:2]
.LBB202_12:
	s_or_b32 exec_lo, exec_lo, s4
	s_branch .LBB202_14
.LBB202_13:
	v_mov_b32_e32 v5, 0
	v_dual_mov_b32 v6, 0x3ff00000 :: v_dual_mov_b32 v7, 0
	v_mov_b32_e32 v8, 0
.LBB202_14:
	ds_store_b128 v10, v[5:8]
.LBB202_15:
	s_or_b32 exec_lo, exec_lo, s5
	s_lshl_b32 s5, s14, 2
	s_add_i32 s24, s24, -1
	s_sub_i32 s4, s11, s5
	s_cmp_ge_u32 s14, s24
	s_waitcnt lgkmcnt(0)
	s_cselect_b32 s4, s4, 4
	; wave barrier
	buffer_gl0_inv
	v_cmp_gt_i32_e32 vcc_lo, s4, v9
	s_mov_b32 s4, -1
	s_and_saveexec_b32 s9, vcc_lo
	s_cbranch_execz .LBB202_58
; %bb.16:
	s_load_b64 s[0:1], s[0:1], 0x4
	s_load_b32 s2, s[2:3], 0x58
	v_add_nc_u32_e32 v2, s5, v9
	v_bfe_u32 v3, v0, 10, 10
	v_bfe_u32 v4, v0, 20, 10
	s_waitcnt lgkmcnt(0)
	s_lshr_b32 s0, s0, 16
	v_mad_i64_i32 v[0:1], null, s2, v2, 0
	s_mul_i32 s0, s0, s1
	v_mul_u32_u24_e32 v2, s1, v3
	v_mul_u32_u24_e32 v3, s0, v9
	s_lshl_b64 s[0:1], s[6:7], 4
	s_delay_alu instid0(SALU_CYCLE_1) | instskip(SKIP_1) | instid1(VALU_DEP_1)
	s_add_u32 s2, s12, s0
	s_addc_u32 s3, s13, s1
	v_add3_u32 v2, v3, v2, v4
	v_lshlrev_b64 v[4:5], 4, v[0:1]
	s_cmpk_eq_i32 s8, 0x6f
	s_delay_alu instid0(VALU_DEP_2) | instskip(NEXT) | instid1(VALU_DEP_2)
	v_lshl_add_u32 v6, v2, 6, 0x100
	v_add_co_u32 v7, vcc_lo, s2, v4
	s_delay_alu instid0(VALU_DEP_3)
	v_add_co_ci_u32_e32 v8, vcc_lo, s3, v5, vcc_lo
	s_cbranch_scc1 .LBB202_37
; %bb.17:
	s_add_u32 s2, s12, s0
	s_addc_u32 s3, s13, s1
	v_add_co_u32 v0, vcc_lo, s2, v4
	v_add_co_ci_u32_e32 v1, vcc_lo, s3, v5, vcc_lo
	s_lshl_b32 s11, s15, 4
	s_delay_alu instid0(VALU_DEP_2) | instskip(NEXT) | instid1(VALU_DEP_2)
	v_add_co_u32 v9, vcc_lo, v0, 8
	v_add_co_ci_u32_e32 v10, vcc_lo, 0, v1, vcc_lo
	s_mov_b32 s3, 0
	s_add_i32 s11, s11, -16
	s_mov_b32 s2, s3
	s_mov_b32 s4, s10
	s_branch .LBB202_19
.LBB202_18:                             ;   in Loop: Header=BB202_19 Depth=1
	s_cmp_lt_i32 s4, 0
	s_cselect_b32 s5, -1, 0
	s_add_i32 s2, s2, 1
	s_delay_alu instid0(SALU_CYCLE_1) | instskip(SKIP_1) | instid1(SALU_CYCLE_1)
	s_cmp_eq_u32 s2, 3
	s_cselect_b32 s6, -1, 0
	s_or_b32 s5, s5, s6
	s_delay_alu instid0(SALU_CYCLE_1)
	s_and_not1_b32 vcc_lo, exec_lo, s5
	s_cbranch_vccz .LBB202_36
.LBB202_19:                             ; =>This Loop Header: Depth=1
                                        ;     Child Loop BB202_22 Depth 2
                                        ;       Child Loop BB202_23 Depth 3
                                        ;       Child Loop BB202_25 Depth 3
                                        ;         Child Loop BB202_26 Depth 4
                                        ;       Child Loop BB202_30 Depth 3
                                        ;         Child Loop BB202_32 Depth 4
	s_getpc_b64 s[6:7]
	s_add_u32 s6, s6, __const._ZL30rocblas_trsm_small_left_deviceILi4ELi4ELb1E19rocblas_complex_numIdES1_PKPKS1_PKPS1_Ev13rocblas_fill_18rocblas_operation_17rocblas_diagonal_iiT3_T4_lilT5_lili.step_sizes@rel32@lo+4
	s_addc_u32 s7, s7, __const._ZL30rocblas_trsm_small_left_deviceILi4ELi4ELb1E19rocblas_complex_numIdES1_PKPKS1_PKPS1_Ev13rocblas_fill_18rocblas_operation_17rocblas_diagonal_iiT3_T4_lilT5_lili.step_sizes@rel32@hi+12
	s_lshl_b64 s[8:9], s[2:3], 2
	s_delay_alu instid0(SALU_CYCLE_1) | instskip(SKIP_4) | instid1(SALU_CYCLE_1)
	s_add_u32 s6, s8, s6
	s_addc_u32 s7, s9, s7
	s_load_b32 s14, s[6:7], 0x0
	s_waitcnt lgkmcnt(0)
	s_add_i32 s20, s14, -1
	s_cmp_lt_i32 s4, s20
	s_cbranch_scc1 .LBB202_18
; %bb.20:                               ;   in Loop: Header=BB202_19 Depth=1
	s_lshl_b32 s5, s4, 6
	s_lshl_b32 s6, s14, 6
	s_max_i32 s21, s14, 1
	s_add_i32 s22, s11, s5
	s_sub_i32 s23, 0, s6
	s_mul_i32 s24, s4, 0x50
	s_mul_i32 s25, s14, 0xffffffb0
	s_branch .LBB202_22
.LBB202_21:                             ;   in Loop: Header=BB202_22 Depth=2
	s_sub_i32 s4, s4, s14
	s_add_i32 s22, s22, s23
	s_add_i32 s24, s24, s25
	s_cmp_lt_i32 s4, s20
	s_cbranch_scc1 .LBB202_18
.LBB202_22:                             ;   Parent Loop BB202_19 Depth=1
                                        ; =>  This Loop Header: Depth=2
                                        ;       Child Loop BB202_23 Depth 3
                                        ;       Child Loop BB202_25 Depth 3
                                        ;         Child Loop BB202_26 Depth 4
                                        ;       Child Loop BB202_30 Depth 3
                                        ;         Child Loop BB202_32 Depth 4
	s_ashr_i32 s5, s4, 31
	v_mov_b32_e32 v2, v6
	s_lshl_b64 s[6:7], s[4:5], 4
	s_delay_alu instid0(SALU_CYCLE_1)
	v_add_co_u32 v0, vcc_lo, v9, s6
	v_add_co_ci_u32_e32 v1, vcc_lo, s7, v10, vcc_lo
	s_mov_b32 s6, s21
	.p2align	6
.LBB202_23:                             ;   Parent Loop BB202_19 Depth=1
                                        ;     Parent Loop BB202_22 Depth=2
                                        ; =>    This Inner Loop Header: Depth=3
	global_load_b128 v[11:14], v[0:1], off offset:-8
	v_add_co_u32 v0, vcc_lo, v0, -16
	v_add_co_ci_u32_e32 v1, vcc_lo, -1, v1, vcc_lo
	s_add_i32 s6, s6, -1
	s_delay_alu instid0(SALU_CYCLE_1) | instskip(SKIP_3) | instid1(VALU_DEP_2)
	s_cmp_eq_u32 s6, 0
	s_waitcnt vmcnt(0)
	v_mul_f64 v[15:16], s[18:19], v[13:14]
	v_mul_f64 v[17:18], s[16:17], v[13:14]
	v_fma_f64 v[13:14], s[16:17], v[11:12], -v[15:16]
	s_delay_alu instid0(VALU_DEP_2)
	v_fma_f64 v[15:16], s[18:19], v[11:12], v[17:18]
	ds_store_b128 v2, v[13:16]
	v_add_nc_u32_e32 v2, 16, v2
	s_cbranch_scc0 .LBB202_23
; %bb.24:                               ;   in Loop: Header=BB202_22 Depth=2
	s_cmp_le_i32 s10, s4
	s_mov_b32 s8, s22
	s_mov_b32 s6, s10
	s_cbranch_scc1 .LBB202_28
	.p2align	6
.LBB202_25:                             ;   Parent Loop BB202_19 Depth=1
                                        ;     Parent Loop BB202_22 Depth=2
                                        ; =>    This Loop Header: Depth=3
                                        ;         Child Loop BB202_26 Depth 4
	s_ashr_i32 s7, s6, 31
	v_mov_b32_e32 v11, v6
	s_lshl_b64 s[26:27], s[6:7], 4
	s_mov_b32 s7, s8
	v_add_co_u32 v0, vcc_lo, v7, s26
	v_add_co_ci_u32_e32 v1, vcc_lo, s27, v8, vcc_lo
	s_mov_b32 s9, s21
	global_load_b128 v[0:3], v[0:1], off
	.p2align	6
.LBB202_26:                             ;   Parent Loop BB202_19 Depth=1
                                        ;     Parent Loop BB202_22 Depth=2
                                        ;       Parent Loop BB202_25 Depth=3
                                        ; =>      This Inner Loop Header: Depth=4
	v_mov_b32_e32 v12, s7
	s_add_i32 s9, s9, -1
	s_sub_i32 s7, s7, 64
	s_cmp_eq_u32 s9, 0
	ds_load_b128 v[12:15], v12
	s_waitcnt vmcnt(0) lgkmcnt(0)
	v_mul_f64 v[16:17], v[2:3], v[14:15]
	v_mul_f64 v[14:15], v[0:1], v[14:15]
	s_delay_alu instid0(VALU_DEP_2) | instskip(NEXT) | instid1(VALU_DEP_2)
	v_fma_f64 v[16:17], v[0:1], v[12:13], -v[16:17]
	v_fma_f64 v[18:19], v[2:3], v[12:13], v[14:15]
	ds_load_b128 v[12:15], v11
	s_waitcnt lgkmcnt(0)
	v_add_f64 v[12:13], v[12:13], -v[16:17]
	v_add_f64 v[14:15], v[14:15], -v[18:19]
	ds_store_b128 v11, v[12:15]
	v_add_nc_u32_e32 v11, 16, v11
	s_cbranch_scc0 .LBB202_26
; %bb.27:                               ;   in Loop: Header=BB202_25 Depth=3
	s_add_i32 s6, s6, -1
	s_add_i32 s8, s8, -16
	s_cmp_le_i32 s6, s4
	s_cbranch_scc0 .LBB202_25
.LBB202_28:                             ;   in Loop: Header=BB202_22 Depth=2
	s_mov_b32 s26, 0
	s_mov_b32 s27, s24
	s_branch .LBB202_30
.LBB202_29:                             ;   in Loop: Header=BB202_30 Depth=3
	s_mulk_i32 s8, 0x50
	s_lshl_b64 s[6:7], s[6:7], 4
	v_mov_b32_e32 v12, s8
	s_add_i32 s26, s26, 1
	s_sub_i32 s27, s27, 64
	s_cmp_eq_u32 s26, s21
	ds_load_b128 v[12:15], v12
	s_waitcnt lgkmcnt(0)
	v_mul_f64 v[16:17], v[14:15], v[2:3]
	v_mul_f64 v[2:3], v[12:13], v[2:3]
	s_delay_alu instid0(VALU_DEP_2) | instskip(NEXT) | instid1(VALU_DEP_2)
	v_fma_f64 v[12:13], v[12:13], v[0:1], -v[16:17]
	v_fma_f64 v[14:15], v[14:15], v[0:1], v[2:3]
	v_add_co_u32 v0, vcc_lo, v7, s6
	v_add_co_ci_u32_e32 v1, vcc_lo, s7, v8, vcc_lo
	ds_store_b128 v11, v[12:15]
	global_store_b128 v[0:1], v[12:15], off
	s_cbranch_scc1 .LBB202_21
.LBB202_30:                             ;   Parent Loop BB202_19 Depth=1
                                        ;     Parent Loop BB202_22 Depth=2
                                        ; =>    This Loop Header: Depth=3
                                        ;         Child Loop BB202_32 Depth 4
	v_lshl_add_u32 v11, s26, 4, v6
	s_cmp_lg_u32 s26, 0
	s_cbranch_scc0 .LBB202_34
; %bb.31:                               ;   in Loop: Header=BB202_30 Depth=3
	ds_load_b128 v[0:3], v11
	v_mov_b32_e32 v12, v6
	s_mov_b32 s6, 0
	s_mov_b32 s7, s27
	.p2align	6
.LBB202_32:                             ;   Parent Loop BB202_19 Depth=1
                                        ;     Parent Loop BB202_22 Depth=2
                                        ;       Parent Loop BB202_30 Depth=3
                                        ; =>      This Inner Loop Header: Depth=4
	s_delay_alu instid0(SALU_CYCLE_1)
	v_mov_b32_e32 v17, s7
	s_add_i32 s6, s6, 1
	s_add_i32 s7, s7, -16
	s_cmp_ge_u32 s6, s26
	ds_load_b128 v[13:16], v12
	ds_load_b128 v[17:20], v17
	v_add_nc_u32_e32 v12, 16, v12
	s_waitcnt lgkmcnt(0)
	v_mul_f64 v[21:22], v[19:20], v[15:16]
	v_mul_f64 v[15:16], v[17:18], v[15:16]
	s_delay_alu instid0(VALU_DEP_2) | instskip(NEXT) | instid1(VALU_DEP_2)
	v_fma_f64 v[17:18], v[17:18], v[13:14], -v[21:22]
	v_fma_f64 v[13:14], v[19:20], v[13:14], v[15:16]
	s_delay_alu instid0(VALU_DEP_2) | instskip(NEXT) | instid1(VALU_DEP_2)
	v_add_f64 v[0:1], v[0:1], -v[17:18]
	v_add_f64 v[2:3], v[2:3], -v[13:14]
	ds_store_b128 v11, v[0:3]
	s_cbranch_scc0 .LBB202_32
; %bb.33:                               ;   in Loop: Header=BB202_30 Depth=3
	s_sub_i32 s8, s4, s26
	s_delay_alu instid0(SALU_CYCLE_1) | instskip(NEXT) | instid1(SALU_CYCLE_1)
	s_ashr_i32 s9, s8, 31
	s_mov_b64 s[6:7], s[8:9]
	s_branch .LBB202_29
.LBB202_34:                             ;   in Loop: Header=BB202_30 Depth=3
                                        ; implicit-def: $vgpr0_vgpr1
                                        ; implicit-def: $sgpr8
                                        ; implicit-def: $sgpr6_sgpr7
	s_cbranch_execz .LBB202_29
; %bb.35:                               ;   in Loop: Header=BB202_30 Depth=3
	ds_load_b128 v[0:3], v6
	s_mov_b64 s[6:7], s[4:5]
	s_mov_b32 s8, s4
	s_branch .LBB202_29
.LBB202_36:
	s_mov_b32 s4, 0
.LBB202_37:
	s_delay_alu instid0(SALU_CYCLE_1)
	s_and_b32 vcc_lo, exec_lo, s4
	s_cbranch_vccz .LBB202_58
; %bb.38:
	s_add_u32 s0, s12, s0
	s_addc_u32 s1, s13, s1
	v_add_co_u32 v0, vcc_lo, s0, v4
	v_add_co_ci_u32_e32 v1, vcc_lo, s1, v5, vcc_lo
	s_mov_b32 s1, 0
	s_delay_alu instid0(VALU_DEP_2) | instskip(NEXT) | instid1(VALU_DEP_2)
	v_add_co_u32 v9, vcc_lo, v0, 8
	v_add_co_ci_u32_e32 v10, vcc_lo, 0, v1, vcc_lo
	s_mov_b32 s2, s1
	s_mov_b32 s4, s1
	s_branch .LBB202_40
.LBB202_39:                             ;   in Loop: Header=BB202_40 Depth=1
	s_cmp_ge_i32 s2, s15
	s_cselect_b32 s0, -1, 0
	s_add_i32 s4, s4, 1
	s_delay_alu instid0(SALU_CYCLE_1) | instskip(SKIP_1) | instid1(SALU_CYCLE_1)
	s_cmp_eq_u32 s4, 3
	s_cselect_b32 s3, -1, 0
	s_or_b32 s0, s0, s3
	s_delay_alu instid0(SALU_CYCLE_1)
	s_and_b32 vcc_lo, exec_lo, s0
	s_cbranch_vccnz .LBB202_58
.LBB202_40:                             ; =>This Loop Header: Depth=1
                                        ;     Child Loop BB202_43 Depth 2
                                        ;       Child Loop BB202_44 Depth 3
                                        ;       Child Loop BB202_47 Depth 3
                                        ;         Child Loop BB202_48 Depth 4
                                        ;       Child Loop BB202_52 Depth 3
                                        ;         Child Loop BB202_54 Depth 4
	s_mov_b32 s5, s1
	s_getpc_b64 s[6:7]
	s_add_u32 s6, s6, __const._ZL30rocblas_trsm_small_left_deviceILi4ELi4ELb1E19rocblas_complex_numIdES1_PKPKS1_PKPS1_Ev13rocblas_fill_18rocblas_operation_17rocblas_diagonal_iiT3_T4_lilT5_lili.step_sizes@rel32@lo+4
	s_addc_u32 s7, s7, __const._ZL30rocblas_trsm_small_left_deviceILi4ELi4ELb1E19rocblas_complex_numIdES1_PKPKS1_PKPS1_Ev13rocblas_fill_18rocblas_operation_17rocblas_diagonal_iiT3_T4_lilT5_lili.step_sizes@rel32@hi+12
	s_lshl_b64 s[8:9], s[4:5], 2
	s_delay_alu instid0(SALU_CYCLE_1) | instskip(SKIP_4) | instid1(SALU_CYCLE_1)
	s_add_u32 s6, s8, s6
	s_addc_u32 s7, s9, s7
	s_load_b32 s6, s[6:7], 0x0
	s_waitcnt lgkmcnt(0)
	s_add_i32 s5, s6, -1
	s_add_i32 s0, s5, s2
	s_delay_alu instid0(SALU_CYCLE_1)
	s_cmp_ge_i32 s0, s15
	s_cbranch_scc1 .LBB202_39
; %bb.41:                               ;   in Loop: Header=BB202_40 Depth=1
	s_ashr_i32 s3, s2, 31
	s_ashr_i32 s7, s6, 31
	s_lshl_b64 s[8:9], s[2:3], 4
	s_max_i32 s12, s6, 1
	v_add_co_u32 v4, vcc_lo, v9, s8
	v_add_co_ci_u32_e32 v5, vcc_lo, s9, v10, vcc_lo
	s_lshl_b64 s[8:9], s[6:7], 4
	s_lshl_b32 s3, s2, 4
	s_lshl_b32 s7, s6, 4
	s_mul_i32 s13, s2, 0x50
	s_mul_i32 s14, s6, 0x50
	s_branch .LBB202_43
.LBB202_42:                             ;   in Loop: Header=BB202_43 Depth=2
	v_add_co_u32 v4, vcc_lo, v4, s8
	s_add_i32 s2, s2, s6
	v_add_co_ci_u32_e32 v5, vcc_lo, s9, v5, vcc_lo
	s_add_i32 s0, s5, s2
	s_add_i32 s3, s3, s7
	s_add_i32 s13, s13, s14
	s_cmp_ge_i32 s0, s15
	s_cbranch_scc1 .LBB202_39
.LBB202_43:                             ;   Parent Loop BB202_40 Depth=1
                                        ; =>  This Loop Header: Depth=2
                                        ;       Child Loop BB202_44 Depth 3
                                        ;       Child Loop BB202_47 Depth 3
                                        ;         Child Loop BB202_48 Depth 4
                                        ;       Child Loop BB202_52 Depth 3
                                        ;         Child Loop BB202_54 Depth 4
	v_mov_b32_e32 v0, v4
	v_dual_mov_b32 v2, v6 :: v_dual_mov_b32 v1, v5
	s_mov_b32 s0, s12
	.p2align	6
.LBB202_44:                             ;   Parent Loop BB202_40 Depth=1
                                        ;     Parent Loop BB202_43 Depth=2
                                        ; =>    This Inner Loop Header: Depth=3
	global_load_b128 v[11:14], v[0:1], off offset:-8
	v_add_co_u32 v0, vcc_lo, v0, 16
	v_add_co_ci_u32_e32 v1, vcc_lo, 0, v1, vcc_lo
	s_add_i32 s0, s0, -1
	s_delay_alu instid0(SALU_CYCLE_1) | instskip(SKIP_3) | instid1(VALU_DEP_2)
	s_cmp_eq_u32 s0, 0
	s_waitcnt vmcnt(0)
	v_mul_f64 v[15:16], s[18:19], v[13:14]
	v_mul_f64 v[17:18], s[16:17], v[13:14]
	v_fma_f64 v[13:14], s[16:17], v[11:12], -v[15:16]
	s_delay_alu instid0(VALU_DEP_2)
	v_fma_f64 v[15:16], s[18:19], v[11:12], v[17:18]
	ds_store_b128 v2, v[13:16]
	v_add_nc_u32_e32 v2, 16, v2
	s_cbranch_scc0 .LBB202_44
; %bb.45:                               ;   in Loop: Header=BB202_43 Depth=2
	s_cmp_lt_i32 s2, 1
	s_cbranch_scc1 .LBB202_50
; %bb.46:                               ;   in Loop: Header=BB202_43 Depth=2
	s_mov_b32 s0, 0
	s_mov_b32 s10, s3
	s_set_inst_prefetch_distance 0x1
	.p2align	6
.LBB202_47:                             ;   Parent Loop BB202_40 Depth=1
                                        ;     Parent Loop BB202_43 Depth=2
                                        ; =>    This Loop Header: Depth=3
                                        ;         Child Loop BB202_48 Depth 4
	s_lshl_b64 s[20:21], s[0:1], 4
	v_mov_b32_e32 v11, v6
	v_add_co_u32 v0, vcc_lo, v7, s20
	v_add_co_ci_u32_e32 v1, vcc_lo, s21, v8, vcc_lo
	s_mov_b32 s11, s10
	s_mov_b32 s20, s12
	global_load_b128 v[0:3], v[0:1], off
	.p2align	6
.LBB202_48:                             ;   Parent Loop BB202_40 Depth=1
                                        ;     Parent Loop BB202_43 Depth=2
                                        ;       Parent Loop BB202_47 Depth=3
                                        ; =>      This Inner Loop Header: Depth=4
	v_mov_b32_e32 v12, s11
	s_add_i32 s20, s20, -1
	s_add_i32 s11, s11, 16
	s_cmp_eq_u32 s20, 0
	ds_load_b128 v[12:15], v12
	s_waitcnt vmcnt(0) lgkmcnt(0)
	v_mul_f64 v[16:17], v[2:3], v[14:15]
	v_mul_f64 v[14:15], v[0:1], v[14:15]
	s_delay_alu instid0(VALU_DEP_2) | instskip(NEXT) | instid1(VALU_DEP_2)
	v_fma_f64 v[16:17], v[0:1], v[12:13], -v[16:17]
	v_fma_f64 v[18:19], v[2:3], v[12:13], v[14:15]
	ds_load_b128 v[12:15], v11
	s_waitcnt lgkmcnt(0)
	v_add_f64 v[12:13], v[12:13], -v[16:17]
	v_add_f64 v[14:15], v[14:15], -v[18:19]
	ds_store_b128 v11, v[12:15]
	v_add_nc_u32_e32 v11, 16, v11
	s_cbranch_scc0 .LBB202_48
; %bb.49:                               ;   in Loop: Header=BB202_47 Depth=3
	s_add_i32 s0, s0, 1
	s_add_i32 s10, s10, 64
	s_cmp_ge_i32 s0, s2
	s_cbranch_scc0 .LBB202_47
.LBB202_50:                             ;   in Loop: Header=BB202_43 Depth=2
	s_set_inst_prefetch_distance 0x2
	s_mov_b32 s0, 0
	s_mov_b32 s20, s13
	s_branch .LBB202_52
.LBB202_51:                             ;   in Loop: Header=BB202_52 Depth=3
	s_mul_i32 s11, s10, 0x50
	s_add_i32 s0, s0, 1
	v_mov_b32_e32 v12, s11
	s_ashr_i32 s11, s10, 31
	s_add_i32 s20, s20, 16
	s_lshl_b64 s[10:11], s[10:11], 4
	s_cmp_eq_u32 s0, s12
	ds_load_b128 v[12:15], v12
	s_waitcnt lgkmcnt(0)
	v_mul_f64 v[16:17], v[14:15], v[2:3]
	v_mul_f64 v[2:3], v[12:13], v[2:3]
	s_delay_alu instid0(VALU_DEP_2) | instskip(NEXT) | instid1(VALU_DEP_2)
	v_fma_f64 v[12:13], v[12:13], v[0:1], -v[16:17]
	v_fma_f64 v[14:15], v[14:15], v[0:1], v[2:3]
	v_add_co_u32 v0, vcc_lo, v7, s10
	v_add_co_ci_u32_e32 v1, vcc_lo, s11, v8, vcc_lo
	ds_store_b128 v11, v[12:15]
	global_store_b128 v[0:1], v[12:15], off
	s_cbranch_scc1 .LBB202_42
.LBB202_52:                             ;   Parent Loop BB202_40 Depth=1
                                        ;     Parent Loop BB202_43 Depth=2
                                        ; =>    This Loop Header: Depth=3
                                        ;         Child Loop BB202_54 Depth 4
	v_lshl_add_u32 v11, s0, 4, v6
	s_cmp_lg_u32 s0, 0
	s_cbranch_scc0 .LBB202_56
; %bb.53:                               ;   in Loop: Header=BB202_52 Depth=3
	ds_load_b128 v[0:3], v11
	v_mov_b32_e32 v12, v6
	s_add_i32 s10, s0, s2
	s_mov_b32 s11, 0
	s_mov_b32 s21, s20
	.p2align	6
.LBB202_54:                             ;   Parent Loop BB202_40 Depth=1
                                        ;     Parent Loop BB202_43 Depth=2
                                        ;       Parent Loop BB202_52 Depth=3
                                        ; =>      This Inner Loop Header: Depth=4
	s_delay_alu instid0(SALU_CYCLE_1)
	v_mov_b32_e32 v17, s21
	s_add_i32 s11, s11, 1
	s_add_i32 s21, s21, 64
	s_cmp_ge_u32 s11, s0
	ds_load_b128 v[13:16], v12
	ds_load_b128 v[17:20], v17
	v_add_nc_u32_e32 v12, 16, v12
	s_waitcnt lgkmcnt(0)
	v_mul_f64 v[21:22], v[19:20], v[15:16]
	v_mul_f64 v[15:16], v[17:18], v[15:16]
	s_delay_alu instid0(VALU_DEP_2) | instskip(NEXT) | instid1(VALU_DEP_2)
	v_fma_f64 v[17:18], v[17:18], v[13:14], -v[21:22]
	v_fma_f64 v[13:14], v[19:20], v[13:14], v[15:16]
	s_delay_alu instid0(VALU_DEP_2) | instskip(NEXT) | instid1(VALU_DEP_2)
	v_add_f64 v[0:1], v[0:1], -v[17:18]
	v_add_f64 v[2:3], v[2:3], -v[13:14]
	ds_store_b128 v11, v[0:3]
	s_cbranch_scc0 .LBB202_54
; %bb.55:                               ;   in Loop: Header=BB202_52 Depth=3
	s_branch .LBB202_51
.LBB202_56:                             ;   in Loop: Header=BB202_52 Depth=3
                                        ; implicit-def: $vgpr0_vgpr1
                                        ; implicit-def: $sgpr10
	s_cbranch_execz .LBB202_51
; %bb.57:                               ;   in Loop: Header=BB202_52 Depth=3
	ds_load_b128 v[0:3], v6
	s_mov_b32 s10, s2
	s_branch .LBB202_51
.LBB202_58:
	s_nop 0
	s_sendmsg sendmsg(MSG_DEALLOC_VGPRS)
	s_endpgm
	.section	.rodata,"a",@progbits
	.p2align	6, 0x0
	.amdhsa_kernel _ZL30rocblas_trsm_small_left_deviceILi4ELi4ELb1E19rocblas_complex_numIdES1_PKPKS1_PKPS1_Ev13rocblas_fill_18rocblas_operation_17rocblas_diagonal_iiT3_T4_lilT5_lili
		.amdhsa_group_segment_fixed_size 512
		.amdhsa_private_segment_fixed_size 0
		.amdhsa_kernarg_size 368
		.amdhsa_user_sgpr_count 14
		.amdhsa_user_sgpr_dispatch_ptr 1
		.amdhsa_user_sgpr_queue_ptr 0
		.amdhsa_user_sgpr_kernarg_segment_ptr 1
		.amdhsa_user_sgpr_dispatch_id 0
		.amdhsa_user_sgpr_private_segment_size 0
		.amdhsa_wavefront_size32 1
		.amdhsa_uses_dynamic_stack 0
		.amdhsa_enable_private_segment 0
		.amdhsa_system_sgpr_workgroup_id_x 1
		.amdhsa_system_sgpr_workgroup_id_y 0
		.amdhsa_system_sgpr_workgroup_id_z 1
		.amdhsa_system_sgpr_workgroup_info 0
		.amdhsa_system_vgpr_workitem_id 2
		.amdhsa_next_free_vgpr 26
		.amdhsa_next_free_sgpr 34
		.amdhsa_reserve_vcc 1
		.amdhsa_float_round_mode_32 0
		.amdhsa_float_round_mode_16_64 0
		.amdhsa_float_denorm_mode_32 3
		.amdhsa_float_denorm_mode_16_64 3
		.amdhsa_dx10_clamp 1
		.amdhsa_ieee_mode 1
		.amdhsa_fp16_overflow 0
		.amdhsa_workgroup_processor_mode 1
		.amdhsa_memory_ordered 1
		.amdhsa_forward_progress 0
		.amdhsa_shared_vgpr_count 0
		.amdhsa_exception_fp_ieee_invalid_op 0
		.amdhsa_exception_fp_denorm_src 0
		.amdhsa_exception_fp_ieee_div_zero 0
		.amdhsa_exception_fp_ieee_overflow 0
		.amdhsa_exception_fp_ieee_underflow 0
		.amdhsa_exception_fp_ieee_inexact 0
		.amdhsa_exception_int_div_zero 0
	.end_amdhsa_kernel
	.section	.text._ZL30rocblas_trsm_small_left_deviceILi4ELi4ELb1E19rocblas_complex_numIdES1_PKPKS1_PKPS1_Ev13rocblas_fill_18rocblas_operation_17rocblas_diagonal_iiT3_T4_lilT5_lili,"axG",@progbits,_ZL30rocblas_trsm_small_left_deviceILi4ELi4ELb1E19rocblas_complex_numIdES1_PKPKS1_PKPS1_Ev13rocblas_fill_18rocblas_operation_17rocblas_diagonal_iiT3_T4_lilT5_lili,comdat
.Lfunc_end202:
	.size	_ZL30rocblas_trsm_small_left_deviceILi4ELi4ELb1E19rocblas_complex_numIdES1_PKPKS1_PKPS1_Ev13rocblas_fill_18rocblas_operation_17rocblas_diagonal_iiT3_T4_lilT5_lili, .Lfunc_end202-_ZL30rocblas_trsm_small_left_deviceILi4ELi4ELb1E19rocblas_complex_numIdES1_PKPKS1_PKPS1_Ev13rocblas_fill_18rocblas_operation_17rocblas_diagonal_iiT3_T4_lilT5_lili
                                        ; -- End function
	.section	.AMDGPU.csdata,"",@progbits
; Kernel info:
; codeLenInByte = 3200
; NumSgprs: 36
; NumVgprs: 26
; ScratchSize: 0
; MemoryBound: 0
; FloatMode: 240
; IeeeMode: 1
; LDSByteSize: 512 bytes/workgroup (compile time only)
; SGPRBlocks: 4
; VGPRBlocks: 3
; NumSGPRsForWavesPerEU: 36
; NumVGPRsForWavesPerEU: 26
; Occupancy: 16
; WaveLimiterHint : 1
; COMPUTE_PGM_RSRC2:SCRATCH_EN: 0
; COMPUTE_PGM_RSRC2:USER_SGPR: 14
; COMPUTE_PGM_RSRC2:TRAP_HANDLER: 0
; COMPUTE_PGM_RSRC2:TGID_X_EN: 1
; COMPUTE_PGM_RSRC2:TGID_Y_EN: 0
; COMPUTE_PGM_RSRC2:TGID_Z_EN: 1
; COMPUTE_PGM_RSRC2:TIDIG_COMP_CNT: 2
	.section	.text._ZL31rocblas_trsm_small_right_deviceI19rocblas_complex_numIdES1_PKPKS1_PKPS1_Li4EEv13rocblas_fill_18rocblas_operation_17rocblas_diagonal_iiT0_T1_lilT2_lili,"axG",@progbits,_ZL31rocblas_trsm_small_right_deviceI19rocblas_complex_numIdES1_PKPKS1_PKPS1_Li4EEv13rocblas_fill_18rocblas_operation_17rocblas_diagonal_iiT0_T1_lilT2_lili,comdat
	.globl	_ZL31rocblas_trsm_small_right_deviceI19rocblas_complex_numIdES1_PKPKS1_PKPS1_Li4EEv13rocblas_fill_18rocblas_operation_17rocblas_diagonal_iiT0_T1_lilT2_lili ; -- Begin function _ZL31rocblas_trsm_small_right_deviceI19rocblas_complex_numIdES1_PKPKS1_PKPS1_Li4EEv13rocblas_fill_18rocblas_operation_17rocblas_diagonal_iiT0_T1_lilT2_lili
	.p2align	8
	.type	_ZL31rocblas_trsm_small_right_deviceI19rocblas_complex_numIdES1_PKPKS1_PKPS1_Li4EEv13rocblas_fill_18rocblas_operation_17rocblas_diagonal_iiT0_T1_lilT2_lili,@function
_ZL31rocblas_trsm_small_right_deviceI19rocblas_complex_numIdES1_PKPKS1_PKPS1_Li4EEv13rocblas_fill_18rocblas_operation_17rocblas_diagonal_iiT0_T1_lilT2_lili: ; @_ZL31rocblas_trsm_small_right_deviceI19rocblas_complex_numIdES1_PKPKS1_PKPS1_Li4EEv13rocblas_fill_18rocblas_operation_17rocblas_diagonal_iiT0_T1_lilT2_lili
; %bb.0:
	s_clause 0x1
	s_load_b128 s[20:23], s[0:1], 0x48
	s_load_b32 s28, s[0:1], 0x10
	s_mov_b32 s2, s15
	s_mov_b32 s3, 0
	s_load_b128 s[16:19], s[0:1], 0x0
	s_lshl_b64 s[24:25], s[2:3], 3
	s_mov_b32 s15, exec_lo
	s_waitcnt lgkmcnt(0)
	s_add_u32 s12, s20, s24
	s_addc_u32 s13, s21, s25
	s_load_b256 s[4:11], s[0:1], 0x18
	s_load_b64 s[12:13], s[12:13], 0x0
	s_min_i32 s29, s28, 4
	s_delay_alu instid0(SALU_CYCLE_1)
	s_add_i32 s30, s29, -1
	v_cmpx_gt_i32_e64 s29, v0
	s_cbranch_execz .LBB203_9
; %bb.1:
	s_load_b32 s20, s[0:1], 0x38
	s_waitcnt lgkmcnt(0)
	s_ashr_i32 s21, s20, 31
	s_cmpk_eq_i32 s17, 0x71
	s_cselect_b32 vcc_lo, -1, 0
	s_add_u32 s8, s8, s24
	s_addc_u32 s9, s9, s25
	s_cmp_lt_u32 s30, 3
	s_load_b64 s[8:9], s[8:9], 0x0
	s_cbranch_scc1 .LBB203_4
; %bb.2:
	v_lshlrev_b32_e32 v1, 4, v0
	s_lshl_b64 s[24:25], s[10:11], 4
	s_and_b32 s3, s29, -4
	s_waitcnt lgkmcnt(0)
	s_add_u32 s2, s8, s24
	s_addc_u32 s24, s9, s25
	v_add_co_u32 v1, s2, s2, v1
	s_delay_alu instid0(VALU_DEP_1) | instskip(SKIP_1) | instid1(VALU_DEP_3)
	v_add_co_ci_u32_e64 v2, null, s24, 0, s2
	v_lshlrev_b32_e32 v3, 4, v0
	v_add_co_u32 v1, s2, v1, 8
	s_delay_alu instid0(VALU_DEP_1)
	v_add_co_ci_u32_e64 v2, s2, 0, v2, s2
	s_lshl_b64 s[24:25], s[20:21], 6
	s_lshl_b64 s[26:27], s[20:21], 4
	s_mov_b32 s31, 0
.LBB203_3:                              ; =>This Inner Loop Header: Depth=1
	v_add_co_u32 v8, s2, v1, s26
	s_delay_alu instid0(VALU_DEP_1) | instskip(SKIP_1) | instid1(VALU_DEP_2)
	v_add_co_ci_u32_e64 v9, s2, s27, v2, s2
	s_add_i32 s31, s31, 4
	v_add_co_u32 v12, s2, v8, s26
	s_delay_alu instid0(VALU_DEP_1) | instskip(SKIP_1) | instid1(VALU_DEP_2)
	v_add_co_ci_u32_e64 v13, s2, s27, v9, s2
	s_cmp_eq_u32 s3, s31
	v_add_co_u32 v16, s2, v12, s26
	s_delay_alu instid0(VALU_DEP_1)
	v_add_co_ci_u32_e64 v17, s2, s27, v13, s2
	s_clause 0x3
	global_load_b128 v[4:7], v[1:2], off offset:-8
	global_load_b128 v[8:11], v[8:9], off offset:-8
	;; [unrolled: 1-line block ×4, first 2 shown]
	v_add_co_u32 v1, s2, v1, s24
	s_delay_alu instid0(VALU_DEP_1)
	v_add_co_ci_u32_e64 v2, s2, s25, v2, s2
	s_waitcnt vmcnt(3)
	v_xor_b32_e32 v20, 0x80000000, v7
	s_waitcnt vmcnt(2)
	v_xor_b32_e32 v21, 0x80000000, v11
	;; [unrolled: 2-line block ×4, first 2 shown]
	v_cndmask_b32_e32 v7, v7, v20, vcc_lo
	v_cndmask_b32_e32 v11, v11, v21, vcc_lo
	v_cndmask_b32_e32 v15, v15, v22, vcc_lo
	s_delay_alu instid0(VALU_DEP_4)
	v_cndmask_b32_e32 v19, v19, v23, vcc_lo
	ds_store_b128 v3, v[4:7]
	ds_store_b128 v3, v[8:11] offset:64
	ds_store_b128 v3, v[12:15] offset:128
	;; [unrolled: 1-line block ×3, first 2 shown]
	v_add_nc_u32_e32 v3, 0x100, v3
	s_cbranch_scc0 .LBB203_3
.LBB203_4:
	s_and_b32 s24, s29, 3
	s_delay_alu instid0(SALU_CYCLE_1)
	s_cmp_eq_u32 s24, 0
	s_cbranch_scc1 .LBB203_7
; %bb.5:
	s_mul_i32 s2, s21, s3
	s_mul_hi_u32 s25, s20, s3
	s_mul_i32 s26, s20, s3
	s_add_i32 s27, s25, s2
	s_lshl_b64 s[10:11], s[10:11], 4
	s_lshl_b64 s[26:27], s[26:27], 4
	v_lshlrev_b32_e32 v1, 4, v0
	s_add_u32 s2, s26, s10
	s_addc_u32 s10, s27, s11
	s_waitcnt lgkmcnt(0)
	s_add_u32 s2, s8, s2
	s_addc_u32 s8, s9, s10
	v_add_co_u32 v2, s2, s2, v1
	s_delay_alu instid0(VALU_DEP_1) | instskip(SKIP_1) | instid1(VALU_DEP_3)
	v_add_co_ci_u32_e64 v4, null, s8, 0, s2
	v_lshl_or_b32 v3, s3, 6, v1
	v_add_co_u32 v1, s2, v2, 8
	s_delay_alu instid0(VALU_DEP_1)
	v_add_co_ci_u32_e64 v2, s2, 0, v4, s2
	s_lshl_b64 s[8:9], s[20:21], 4
.LBB203_6:                              ; =>This Inner Loop Header: Depth=1
	global_load_b128 v[4:7], v[1:2], off offset:-8
	v_add_co_u32 v1, s2, v1, s8
	s_delay_alu instid0(VALU_DEP_1) | instskip(SKIP_1) | instid1(SALU_CYCLE_1)
	v_add_co_ci_u32_e64 v2, s2, s9, v2, s2
	s_add_i32 s24, s24, -1
	s_cmp_lg_u32 s24, 0
	s_waitcnt vmcnt(0)
	v_xor_b32_e32 v8, 0x80000000, v7
	s_delay_alu instid0(VALU_DEP_1)
	v_cndmask_b32_e32 v7, v7, v8, vcc_lo
	ds_store_b128 v3, v[4:7]
	v_add_nc_u32_e32 v3, 64, v3
	s_cbranch_scc1 .LBB203_6
.LBB203_7:
	s_cmpk_eq_i32 s18, 0x84
	s_cbranch_scc0 .LBB203_9
; %bb.8:
	v_mul_u32_u24_e32 v3, 5, v0
	v_dual_mov_b32 v1, 0 :: v_dual_mov_b32 v2, 0x3ff00000
	s_delay_alu instid0(VALU_DEP_1)
	v_dual_mov_b32 v4, v1 :: v_dual_lshlrev_b32 v5, 4, v3
	v_mov_b32_e32 v3, v1
	ds_store_b128 v5, v[1:4]
.LBB203_9:
	s_or_b32 exec_lo, exec_lo, s15
	s_waitcnt lgkmcnt(0)
	s_load_b32 s8, s[0:1], 0x70
	s_lshl_b64 s[2:3], s[22:23], 4
	s_load_b32 s0, s[0:1], 0x58
	s_add_u32 s1, s12, s2
	s_addc_u32 s10, s13, s3
	s_lshl_b32 s9, s14, 2
	s_mov_b32 s22, 0
	s_sub_i32 s9, s19, s9
	s_waitcnt lgkmcnt(0)
	s_add_i32 s8, s8, -1
	s_delay_alu instid0(SALU_CYCLE_1) | instskip(SKIP_4) | instid1(SALU_CYCLE_1)
	s_cmp_ge_u32 s14, s8
	s_cselect_b32 s11, s9, 4
	s_ashr_i32 s15, s14, 31
	v_cmp_gt_i32_e32 vcc_lo, s11, v0
	s_lshl_b64 s[8:9], s[14:15], 6
	s_add_u32 s18, s1, s8
	s_addc_u32 s19, s10, s9
	s_cmp_gt_i32 s28, 0
	s_cselect_b32 s1, -1, 0
	s_delay_alu instid0(SALU_CYCLE_1) | instskip(NEXT) | instid1(SALU_CYCLE_1)
	s_and_b32 s20, vcc_lo, s1
	s_and_saveexec_b32 s21, s20
	s_cbranch_execz .LBB203_16
; %bb.10:
	s_ashr_i32 s1, s0, 31
	s_cmp_lt_u32 s28, 4
	s_cbranch_scc1 .LBB203_13
; %bb.11:
	v_lshlrev_b32_e32 v1, 4, v0
	v_lshl_or_b32 v3, v0, 4, 0x100
	s_and_b32 s22, s28, 0x7ffffffc
	s_lshl_b64 s[14:15], s[0:1], 4
	s_mov_b32 s23, 0
	v_add_co_u32 v1, s10, s18, v1
	s_delay_alu instid0(VALU_DEP_1)
	v_add_co_ci_u32_e64 v2, null, s19, 0, s10
	s_lshl_b64 s[10:11], s[0:1], 6
.LBB203_12:                             ; =>This Inner Loop Header: Depth=1
	s_delay_alu instid0(VALU_DEP_2) | instskip(NEXT) | instid1(VALU_DEP_2)
	v_add_co_u32 v8, vcc_lo, v1, s14
	v_add_co_ci_u32_e32 v9, vcc_lo, s15, v2, vcc_lo
	global_load_b128 v[4:7], v[1:2], off
	v_add_co_u32 v12, vcc_lo, v8, s14
	v_add_co_ci_u32_e32 v13, vcc_lo, s15, v9, vcc_lo
	global_load_b128 v[8:11], v[8:9], off
	v_add_co_u32 v16, vcc_lo, v12, s14
	v_add_co_ci_u32_e32 v17, vcc_lo, s15, v13, vcc_lo
	v_add_co_u32 v1, vcc_lo, v1, s10
	s_clause 0x1
	global_load_b128 v[12:15], v[12:13], off
	global_load_b128 v[16:19], v[16:17], off
	v_add_co_ci_u32_e32 v2, vcc_lo, s11, v2, vcc_lo
	s_add_i32 s23, s23, 4
	s_delay_alu instid0(SALU_CYCLE_1)
	s_cmp_lg_u32 s22, s23
	s_waitcnt vmcnt(3)
	v_mul_f64 v[20:21], s[6:7], v[6:7]
	v_mul_f64 v[6:7], s[4:5], v[6:7]
	s_waitcnt vmcnt(2)
	v_mul_f64 v[22:23], s[6:7], v[10:11]
	v_mul_f64 v[10:11], s[4:5], v[10:11]
	;; [unrolled: 3-line block ×4, first 2 shown]
	v_fma_f64 v[18:19], s[4:5], v[4:5], -v[20:21]
	v_fma_f64 v[20:21], s[6:7], v[4:5], v[6:7]
	v_fma_f64 v[4:5], s[4:5], v[8:9], -v[22:23]
	v_fma_f64 v[6:7], s[6:7], v[8:9], v[10:11]
	;; [unrolled: 2-line block ×4, first 2 shown]
	ds_store_b128 v3, v[18:21]
	ds_store_b128 v3, v[4:7] offset:64
	ds_store_b128 v3, v[8:11] offset:128
	;; [unrolled: 1-line block ×3, first 2 shown]
	v_add_nc_u32_e32 v3, 0x100, v3
	s_cbranch_scc1 .LBB203_12
.LBB203_13:
	s_and_b32 s14, s28, 3
	s_delay_alu instid0(SALU_CYCLE_1)
	s_cmp_eq_u32 s14, 0
	s_cbranch_scc1 .LBB203_16
; %bb.14:
	s_mul_hi_i32 s11, s0, s22
	s_mul_i32 s10, s0, s22
	v_lshlrev_b32_e32 v1, 4, v0
	s_lshl_b64 s[10:11], s[10:11], 4
	s_delay_alu instid0(SALU_CYCLE_1)
	s_add_u32 s10, s10, s8
	s_addc_u32 s11, s11, s9
	s_add_u32 s10, s10, s2
	s_addc_u32 s11, s11, s3
	s_add_u32 s10, s12, s10
	v_lshl_or_b32 v2, s22, 6, v1
	s_addc_u32 s11, s13, s11
	v_add_co_u32 v1, s10, s10, v1
	s_delay_alu instid0(VALU_DEP_1) | instskip(NEXT) | instid1(VALU_DEP_3)
	v_add_co_ci_u32_e64 v4, null, s11, 0, s10
	v_add_nc_u32_e32 v3, 0x100, v2
	s_delay_alu instid0(VALU_DEP_3) | instskip(NEXT) | instid1(VALU_DEP_3)
	v_add_co_u32 v1, vcc_lo, v1, 8
	v_add_co_ci_u32_e32 v2, vcc_lo, 0, v4, vcc_lo
	s_lshl_b64 s[10:11], s[0:1], 4
	.p2align	6
.LBB203_15:                             ; =>This Inner Loop Header: Depth=1
	global_load_b128 v[4:7], v[1:2], off offset:-8
	v_add_co_u32 v1, vcc_lo, v1, s10
	v_add_co_ci_u32_e32 v2, vcc_lo, s11, v2, vcc_lo
	s_add_i32 s14, s14, -1
	s_delay_alu instid0(SALU_CYCLE_1) | instskip(SKIP_3) | instid1(VALU_DEP_2)
	s_cmp_lg_u32 s14, 0
	s_waitcnt vmcnt(0)
	v_mul_f64 v[8:9], s[6:7], v[6:7]
	v_mul_f64 v[10:11], s[4:5], v[6:7]
	v_fma_f64 v[6:7], s[4:5], v[4:5], -v[8:9]
	s_delay_alu instid0(VALU_DEP_2)
	v_fma_f64 v[8:9], s[6:7], v[4:5], v[10:11]
	ds_store_b128 v3, v[6:9]
	v_add_nc_u32_e32 v3, 64, v3
	s_cbranch_scc1 .LBB203_15
.LBB203_16:
	s_or_b32 exec_lo, exec_lo, s21
	s_cmpk_eq_i32 s17, 0x6f
	s_waitcnt lgkmcnt(0)
	s_cselect_b32 s1, -1, 0
	s_cmpk_eq_i32 s16, 0x79
	; wave barrier
	buffer_gl0_inv
	s_cselect_b32 s5, -1, 0
	s_cmpk_lg_i32 s16, 0x79
	s_cselect_b32 s4, -1, 0
	s_and_b32 s5, s5, s1
	s_delay_alu instid0(SALU_CYCLE_1)
	s_and_not1_b32 vcc_lo, exec_lo, s5
	s_mov_b32 s5, -1
	s_cbranch_vccz .LBB203_114
; %bb.17:
	s_cmpk_lg_i32 s16, 0x7a
	s_cselect_b32 s5, -1, 0
	s_xor_b32 s1, s1, -1
	s_delay_alu instid0(SALU_CYCLE_1)
	s_or_b32 s5, s5, s1
	s_cmp_gt_i32 s28, 3
	s_cselect_b32 s1, -1, 0
	s_and_b32 vcc_lo, exec_lo, s5
	s_mov_b32 s5, -1
	s_cbranch_vccz .LBB203_85
; %bb.18:
	s_and_not1_b32 vcc_lo, exec_lo, s4
	s_mov_b32 s4, -1
	s_cbranch_vccnz .LBB203_52
; %bb.19:
	s_and_not1_b32 vcc_lo, exec_lo, s1
	s_mov_b32 s4, 0
	s_cbranch_vccnz .LBB203_41
; %bb.20:
	v_mov_b32_e32 v1, 0
	v_lshlrev_b32_e32 v25, 4, v0
	ds_load_b128 v[17:20], v1
	s_waitcnt lgkmcnt(0)
	v_cmp_gt_f64_e32 vcc_lo, 0, v[17:18]
	v_xor_b32_e32 v2, 0x80000000, v18
	v_xor_b32_e32 v3, 0x80000000, v20
	s_delay_alu instid0(VALU_DEP_2) | instskip(SKIP_1) | instid1(VALU_DEP_3)
	v_cndmask_b32_e32 v2, v18, v2, vcc_lo
	v_cmp_gt_f64_e32 vcc_lo, 0, v[19:20]
	v_dual_mov_b32 v1, v17 :: v_dual_cndmask_b32 v4, v20, v3
	v_mov_b32_e32 v3, v19
	s_delay_alu instid0(VALU_DEP_1)
	v_cmp_ngt_f64_e32 vcc_lo, v[1:2], v[3:4]
	ds_load_b128 v[21:24], v25 offset:256
	ds_load_b128 v[13:16], v25 offset:320
	;; [unrolled: 1-line block ×4, first 2 shown]
	s_cbranch_vccz .LBB203_22
; %bb.21:
	v_div_scale_f64 v[5:6], null, v[19:20], v[19:20], v[17:18]
	v_div_scale_f64 v[28:29], vcc_lo, v[17:18], v[19:20], v[17:18]
	s_delay_alu instid0(VALU_DEP_2) | instskip(SKIP_2) | instid1(VALU_DEP_1)
	v_rcp_f64_e32 v[7:8], v[5:6]
	s_waitcnt_depctr 0xfff
	v_fma_f64 v[26:27], -v[5:6], v[7:8], 1.0
	v_fma_f64 v[7:8], v[7:8], v[26:27], v[7:8]
	s_delay_alu instid0(VALU_DEP_1) | instskip(NEXT) | instid1(VALU_DEP_1)
	v_fma_f64 v[26:27], -v[5:6], v[7:8], 1.0
	v_fma_f64 v[7:8], v[7:8], v[26:27], v[7:8]
	s_delay_alu instid0(VALU_DEP_1) | instskip(NEXT) | instid1(VALU_DEP_1)
	v_mul_f64 v[26:27], v[28:29], v[7:8]
	v_fma_f64 v[5:6], -v[5:6], v[26:27], v[28:29]
	s_delay_alu instid0(VALU_DEP_1) | instskip(NEXT) | instid1(VALU_DEP_1)
	v_div_fmas_f64 v[5:6], v[5:6], v[7:8], v[26:27]
	v_div_fixup_f64 v[5:6], v[5:6], v[19:20], v[17:18]
	s_delay_alu instid0(VALU_DEP_1) | instskip(NEXT) | instid1(VALU_DEP_1)
	v_fma_f64 v[7:8], v[17:18], v[5:6], v[19:20]
	v_div_scale_f64 v[26:27], null, v[7:8], v[7:8], 1.0
	v_div_scale_f64 v[32:33], vcc_lo, 1.0, v[7:8], 1.0
	s_delay_alu instid0(VALU_DEP_2) | instskip(SKIP_2) | instid1(VALU_DEP_1)
	v_rcp_f64_e32 v[28:29], v[26:27]
	s_waitcnt_depctr 0xfff
	v_fma_f64 v[30:31], -v[26:27], v[28:29], 1.0
	v_fma_f64 v[28:29], v[28:29], v[30:31], v[28:29]
	s_delay_alu instid0(VALU_DEP_1) | instskip(NEXT) | instid1(VALU_DEP_1)
	v_fma_f64 v[30:31], -v[26:27], v[28:29], 1.0
	v_fma_f64 v[28:29], v[28:29], v[30:31], v[28:29]
	s_delay_alu instid0(VALU_DEP_1) | instskip(NEXT) | instid1(VALU_DEP_1)
	v_mul_f64 v[30:31], v[32:33], v[28:29]
	v_fma_f64 v[26:27], -v[26:27], v[30:31], v[32:33]
	s_delay_alu instid0(VALU_DEP_1) | instskip(SKIP_2) | instid1(VALU_DEP_2)
	v_div_fmas_f64 v[26:27], v[26:27], v[28:29], v[30:31]
	s_waitcnt lgkmcnt(3)
	v_fma_f64 v[28:29], v[21:22], v[5:6], v[23:24]
	v_div_fixup_f64 v[7:8], v[26:27], v[7:8], 1.0
	v_fma_f64 v[26:27], v[23:24], v[5:6], -v[21:22]
	s_delay_alu instid0(VALU_DEP_2) | instskip(NEXT) | instid1(VALU_DEP_2)
	v_mul_f64 v[5:6], v[28:29], v[7:8]
	v_mul_f64 v[7:8], v[26:27], v[7:8]
	s_branch .LBB203_23
.LBB203_22:
	s_mov_b32 s4, -1
                                        ; implicit-def: $vgpr7_vgpr8
.LBB203_23:
	v_or_b32_e32 v25, 0x100, v25
	s_and_not1_b32 vcc_lo, exec_lo, s4
	s_cbranch_vccnz .LBB203_25
; %bb.24:
	v_div_scale_f64 v[5:6], null, v[17:18], v[17:18], v[19:20]
	v_div_scale_f64 v[28:29], vcc_lo, v[19:20], v[17:18], v[19:20]
	s_delay_alu instid0(VALU_DEP_2) | instskip(SKIP_2) | instid1(VALU_DEP_1)
	v_rcp_f64_e32 v[7:8], v[5:6]
	s_waitcnt_depctr 0xfff
	v_fma_f64 v[26:27], -v[5:6], v[7:8], 1.0
	v_fma_f64 v[7:8], v[7:8], v[26:27], v[7:8]
	s_delay_alu instid0(VALU_DEP_1) | instskip(NEXT) | instid1(VALU_DEP_1)
	v_fma_f64 v[26:27], -v[5:6], v[7:8], 1.0
	v_fma_f64 v[7:8], v[7:8], v[26:27], v[7:8]
	s_delay_alu instid0(VALU_DEP_1) | instskip(NEXT) | instid1(VALU_DEP_1)
	v_mul_f64 v[26:27], v[28:29], v[7:8]
	v_fma_f64 v[5:6], -v[5:6], v[26:27], v[28:29]
	s_delay_alu instid0(VALU_DEP_1) | instskip(NEXT) | instid1(VALU_DEP_1)
	v_div_fmas_f64 v[5:6], v[5:6], v[7:8], v[26:27]
	v_div_fixup_f64 v[5:6], v[5:6], v[17:18], v[19:20]
	s_delay_alu instid0(VALU_DEP_1) | instskip(NEXT) | instid1(VALU_DEP_1)
	v_fma_f64 v[7:8], v[19:20], v[5:6], v[17:18]
	v_div_scale_f64 v[17:18], null, v[7:8], v[7:8], 1.0
	v_div_scale_f64 v[28:29], vcc_lo, 1.0, v[7:8], 1.0
	s_delay_alu instid0(VALU_DEP_2) | instskip(SKIP_2) | instid1(VALU_DEP_1)
	v_rcp_f64_e32 v[19:20], v[17:18]
	s_waitcnt_depctr 0xfff
	v_fma_f64 v[26:27], -v[17:18], v[19:20], 1.0
	v_fma_f64 v[19:20], v[19:20], v[26:27], v[19:20]
	s_delay_alu instid0(VALU_DEP_1) | instskip(NEXT) | instid1(VALU_DEP_1)
	v_fma_f64 v[26:27], -v[17:18], v[19:20], 1.0
	v_fma_f64 v[19:20], v[19:20], v[26:27], v[19:20]
	s_delay_alu instid0(VALU_DEP_1) | instskip(NEXT) | instid1(VALU_DEP_1)
	v_mul_f64 v[26:27], v[28:29], v[19:20]
	v_fma_f64 v[17:18], -v[17:18], v[26:27], v[28:29]
	s_delay_alu instid0(VALU_DEP_1) | instskip(SKIP_2) | instid1(VALU_DEP_2)
	v_div_fmas_f64 v[17:18], v[17:18], v[19:20], v[26:27]
	s_waitcnt lgkmcnt(3)
	v_fma_f64 v[19:20], v[23:24], v[5:6], v[21:22]
	v_div_fixup_f64 v[7:8], v[17:18], v[7:8], 1.0
	v_fma_f64 v[17:18], -v[21:22], v[5:6], v[23:24]
	s_delay_alu instid0(VALU_DEP_2) | instskip(NEXT) | instid1(VALU_DEP_2)
	v_mul_f64 v[5:6], v[19:20], v[7:8]
	v_mul_f64 v[7:8], v[17:18], v[7:8]
.LBB203_25:
	v_mov_b32_e32 v17, 0
	s_waitcnt lgkmcnt(3)
	ds_load_b128 v[21:24], v17 offset:16
	ds_load_b128 v[17:20], v17 offset:80
	ds_store_b128 v25, v[5:8]
	s_waitcnt lgkmcnt(2)
	v_mul_f64 v[26:27], v[7:8], v[23:24]
	s_waitcnt lgkmcnt(1)
	v_mov_b32_e32 v28, v19
	v_mul_f64 v[23:24], v[5:6], v[23:24]
	v_cmp_gt_f64_e32 vcc_lo, 0, v[17:18]
	v_xor_b32_e32 v29, 0x80000000, v20
	v_fma_f64 v[26:27], v[5:6], v[21:22], -v[26:27]
	s_delay_alu instid0(VALU_DEP_4) | instskip(SKIP_1) | instid1(VALU_DEP_1)
	v_fma_f64 v[23:24], v[7:8], v[21:22], v[23:24]
	v_xor_b32_e32 v22, 0x80000000, v18
	v_dual_mov_b32 v21, v17 :: v_dual_cndmask_b32 v22, v18, v22
	v_cmp_gt_f64_e32 vcc_lo, 0, v[19:20]
	s_delay_alu instid0(VALU_DEP_4) | instskip(SKIP_1) | instid1(VALU_DEP_1)
	v_add_f64 v[23:24], v[15:16], -v[23:24]
	v_cndmask_b32_e32 v29, v20, v29, vcc_lo
	v_cmp_ngt_f64_e32 vcc_lo, v[21:22], v[28:29]
	v_add_f64 v[21:22], v[13:14], -v[26:27]
	s_cbranch_vccz .LBB203_27
; %bb.26:
	v_div_scale_f64 v[13:14], null, v[19:20], v[19:20], v[17:18]
	v_div_scale_f64 v[28:29], vcc_lo, v[17:18], v[19:20], v[17:18]
	s_mov_b32 s4, 0
	s_delay_alu instid0(VALU_DEP_2) | instskip(SKIP_2) | instid1(VALU_DEP_1)
	v_rcp_f64_e32 v[15:16], v[13:14]
	s_waitcnt_depctr 0xfff
	v_fma_f64 v[26:27], -v[13:14], v[15:16], 1.0
	v_fma_f64 v[15:16], v[15:16], v[26:27], v[15:16]
	s_delay_alu instid0(VALU_DEP_1) | instskip(NEXT) | instid1(VALU_DEP_1)
	v_fma_f64 v[26:27], -v[13:14], v[15:16], 1.0
	v_fma_f64 v[15:16], v[15:16], v[26:27], v[15:16]
	s_delay_alu instid0(VALU_DEP_1) | instskip(NEXT) | instid1(VALU_DEP_1)
	v_mul_f64 v[26:27], v[28:29], v[15:16]
	v_fma_f64 v[13:14], -v[13:14], v[26:27], v[28:29]
	s_delay_alu instid0(VALU_DEP_1) | instskip(NEXT) | instid1(VALU_DEP_1)
	v_div_fmas_f64 v[13:14], v[13:14], v[15:16], v[26:27]
	v_div_fixup_f64 v[13:14], v[13:14], v[19:20], v[17:18]
	s_delay_alu instid0(VALU_DEP_1) | instskip(NEXT) | instid1(VALU_DEP_1)
	v_fma_f64 v[15:16], v[17:18], v[13:14], v[19:20]
	v_div_scale_f64 v[26:27], null, v[15:16], v[15:16], 1.0
	v_div_scale_f64 v[32:33], vcc_lo, 1.0, v[15:16], 1.0
	s_delay_alu instid0(VALU_DEP_2) | instskip(SKIP_2) | instid1(VALU_DEP_1)
	v_rcp_f64_e32 v[28:29], v[26:27]
	s_waitcnt_depctr 0xfff
	v_fma_f64 v[30:31], -v[26:27], v[28:29], 1.0
	v_fma_f64 v[28:29], v[28:29], v[30:31], v[28:29]
	s_delay_alu instid0(VALU_DEP_1) | instskip(NEXT) | instid1(VALU_DEP_1)
	v_fma_f64 v[30:31], -v[26:27], v[28:29], 1.0
	v_fma_f64 v[28:29], v[28:29], v[30:31], v[28:29]
	s_delay_alu instid0(VALU_DEP_1) | instskip(NEXT) | instid1(VALU_DEP_1)
	v_mul_f64 v[30:31], v[32:33], v[28:29]
	v_fma_f64 v[26:27], -v[26:27], v[30:31], v[32:33]
	s_delay_alu instid0(VALU_DEP_1) | instskip(SKIP_1) | instid1(VALU_DEP_2)
	v_div_fmas_f64 v[26:27], v[26:27], v[28:29], v[30:31]
	v_fma_f64 v[28:29], v[13:14], v[21:22], v[23:24]
	v_div_fixup_f64 v[15:16], v[26:27], v[15:16], 1.0
	v_fma_f64 v[26:27], v[13:14], v[23:24], -v[21:22]
	s_delay_alu instid0(VALU_DEP_2) | instskip(NEXT) | instid1(VALU_DEP_2)
	v_mul_f64 v[13:14], v[28:29], v[15:16]
	v_mul_f64 v[15:16], v[26:27], v[15:16]
	s_branch .LBB203_28
.LBB203_27:
	s_mov_b32 s4, -1
                                        ; implicit-def: $vgpr15_vgpr16
.LBB203_28:
	s_delay_alu instid0(SALU_CYCLE_1)
	s_and_not1_b32 vcc_lo, exec_lo, s4
	s_cbranch_vccnz .LBB203_30
; %bb.29:
	v_div_scale_f64 v[13:14], null, v[17:18], v[17:18], v[19:20]
	v_div_scale_f64 v[28:29], vcc_lo, v[19:20], v[17:18], v[19:20]
	s_delay_alu instid0(VALU_DEP_2) | instskip(SKIP_2) | instid1(VALU_DEP_1)
	v_rcp_f64_e32 v[15:16], v[13:14]
	s_waitcnt_depctr 0xfff
	v_fma_f64 v[26:27], -v[13:14], v[15:16], 1.0
	v_fma_f64 v[15:16], v[15:16], v[26:27], v[15:16]
	s_delay_alu instid0(VALU_DEP_1) | instskip(NEXT) | instid1(VALU_DEP_1)
	v_fma_f64 v[26:27], -v[13:14], v[15:16], 1.0
	v_fma_f64 v[15:16], v[15:16], v[26:27], v[15:16]
	s_delay_alu instid0(VALU_DEP_1) | instskip(NEXT) | instid1(VALU_DEP_1)
	v_mul_f64 v[26:27], v[28:29], v[15:16]
	v_fma_f64 v[13:14], -v[13:14], v[26:27], v[28:29]
	s_delay_alu instid0(VALU_DEP_1) | instskip(NEXT) | instid1(VALU_DEP_1)
	v_div_fmas_f64 v[13:14], v[13:14], v[15:16], v[26:27]
	v_div_fixup_f64 v[13:14], v[13:14], v[17:18], v[19:20]
	s_delay_alu instid0(VALU_DEP_1) | instskip(NEXT) | instid1(VALU_DEP_1)
	v_fma_f64 v[15:16], v[19:20], v[13:14], v[17:18]
	v_div_scale_f64 v[17:18], null, v[15:16], v[15:16], 1.0
	v_div_scale_f64 v[28:29], vcc_lo, 1.0, v[15:16], 1.0
	s_delay_alu instid0(VALU_DEP_2) | instskip(SKIP_2) | instid1(VALU_DEP_1)
	v_rcp_f64_e32 v[19:20], v[17:18]
	s_waitcnt_depctr 0xfff
	v_fma_f64 v[26:27], -v[17:18], v[19:20], 1.0
	v_fma_f64 v[19:20], v[19:20], v[26:27], v[19:20]
	s_delay_alu instid0(VALU_DEP_1) | instskip(NEXT) | instid1(VALU_DEP_1)
	v_fma_f64 v[26:27], -v[17:18], v[19:20], 1.0
	v_fma_f64 v[19:20], v[19:20], v[26:27], v[19:20]
	s_delay_alu instid0(VALU_DEP_1) | instskip(NEXT) | instid1(VALU_DEP_1)
	v_mul_f64 v[26:27], v[28:29], v[19:20]
	v_fma_f64 v[17:18], -v[17:18], v[26:27], v[28:29]
	s_delay_alu instid0(VALU_DEP_1) | instskip(SKIP_1) | instid1(VALU_DEP_2)
	v_div_fmas_f64 v[17:18], v[17:18], v[19:20], v[26:27]
	v_fma_f64 v[19:20], v[13:14], v[23:24], v[21:22]
	v_div_fixup_f64 v[15:16], v[17:18], v[15:16], 1.0
	v_fma_f64 v[17:18], -v[13:14], v[21:22], v[23:24]
	s_delay_alu instid0(VALU_DEP_2) | instskip(NEXT) | instid1(VALU_DEP_2)
	v_mul_f64 v[13:14], v[19:20], v[15:16]
	v_mul_f64 v[15:16], v[17:18], v[15:16]
.LBB203_30:
	v_mov_b32_e32 v30, 0
	ds_load_b128 v[17:20], v30 offset:32
	ds_load_b128 v[21:24], v30 offset:96
	ds_store_b128 v25, v[13:16] offset:64
	s_waitcnt lgkmcnt(2)
	v_mul_f64 v[26:27], v[7:8], v[19:20]
	v_mul_f64 v[19:20], v[5:6], v[19:20]
	s_waitcnt lgkmcnt(1)
	v_mul_f64 v[28:29], v[15:16], v[23:24]
	v_mul_f64 v[23:24], v[13:14], v[23:24]
	s_delay_alu instid0(VALU_DEP_4) | instskip(NEXT) | instid1(VALU_DEP_4)
	v_fma_f64 v[26:27], v[5:6], v[17:18], -v[26:27]
	v_fma_f64 v[17:18], v[7:8], v[17:18], v[19:20]
	s_delay_alu instid0(VALU_DEP_4) | instskip(NEXT) | instid1(VALU_DEP_4)
	v_fma_f64 v[28:29], v[13:14], v[21:22], -v[28:29]
	v_fma_f64 v[23:24], v[15:16], v[21:22], v[23:24]
	s_delay_alu instid0(VALU_DEP_4) | instskip(NEXT) | instid1(VALU_DEP_4)
	v_add_f64 v[9:10], v[9:10], -v[26:27]
	v_add_f64 v[11:12], v[11:12], -v[17:18]
	ds_load_b128 v[17:20], v30 offset:160
	s_waitcnt lgkmcnt(0)
	v_mov_b32_e32 v21, v17
	v_cmp_gt_f64_e32 vcc_lo, 0, v[17:18]
	v_xor_b32_e32 v22, 0x80000000, v18
	v_xor_b32_e32 v27, 0x80000000, v20
	v_add_f64 v[23:24], v[11:12], -v[23:24]
	s_delay_alu instid0(VALU_DEP_3) | instskip(SKIP_1) | instid1(VALU_DEP_4)
	v_cndmask_b32_e32 v22, v18, v22, vcc_lo
	v_cmp_gt_f64_e32 vcc_lo, 0, v[19:20]
	v_dual_mov_b32 v26, v19 :: v_dual_cndmask_b32 v27, v20, v27
	s_delay_alu instid0(VALU_DEP_1)
	v_cmp_ngt_f64_e32 vcc_lo, v[21:22], v[26:27]
	v_add_f64 v[21:22], v[9:10], -v[28:29]
	s_cbranch_vccz .LBB203_32
; %bb.31:
	v_div_scale_f64 v[9:10], null, v[19:20], v[19:20], v[17:18]
	v_div_scale_f64 v[28:29], vcc_lo, v[17:18], v[19:20], v[17:18]
	s_mov_b32 s4, 0
	s_delay_alu instid0(VALU_DEP_2) | instskip(SKIP_2) | instid1(VALU_DEP_1)
	v_rcp_f64_e32 v[11:12], v[9:10]
	s_waitcnt_depctr 0xfff
	v_fma_f64 v[26:27], -v[9:10], v[11:12], 1.0
	v_fma_f64 v[11:12], v[11:12], v[26:27], v[11:12]
	s_delay_alu instid0(VALU_DEP_1) | instskip(NEXT) | instid1(VALU_DEP_1)
	v_fma_f64 v[26:27], -v[9:10], v[11:12], 1.0
	v_fma_f64 v[11:12], v[11:12], v[26:27], v[11:12]
	s_delay_alu instid0(VALU_DEP_1) | instskip(NEXT) | instid1(VALU_DEP_1)
	v_mul_f64 v[26:27], v[28:29], v[11:12]
	v_fma_f64 v[9:10], -v[9:10], v[26:27], v[28:29]
	s_delay_alu instid0(VALU_DEP_1) | instskip(NEXT) | instid1(VALU_DEP_1)
	v_div_fmas_f64 v[9:10], v[9:10], v[11:12], v[26:27]
	v_div_fixup_f64 v[9:10], v[9:10], v[19:20], v[17:18]
	s_delay_alu instid0(VALU_DEP_1) | instskip(NEXT) | instid1(VALU_DEP_1)
	v_fma_f64 v[11:12], v[17:18], v[9:10], v[19:20]
	v_div_scale_f64 v[26:27], null, v[11:12], v[11:12], 1.0
	v_div_scale_f64 v[32:33], vcc_lo, 1.0, v[11:12], 1.0
	s_delay_alu instid0(VALU_DEP_2) | instskip(SKIP_2) | instid1(VALU_DEP_1)
	v_rcp_f64_e32 v[28:29], v[26:27]
	s_waitcnt_depctr 0xfff
	v_fma_f64 v[30:31], -v[26:27], v[28:29], 1.0
	v_fma_f64 v[28:29], v[28:29], v[30:31], v[28:29]
	s_delay_alu instid0(VALU_DEP_1) | instskip(NEXT) | instid1(VALU_DEP_1)
	v_fma_f64 v[30:31], -v[26:27], v[28:29], 1.0
	v_fma_f64 v[28:29], v[28:29], v[30:31], v[28:29]
	s_delay_alu instid0(VALU_DEP_1) | instskip(NEXT) | instid1(VALU_DEP_1)
	v_mul_f64 v[30:31], v[32:33], v[28:29]
	v_fma_f64 v[26:27], -v[26:27], v[30:31], v[32:33]
	s_delay_alu instid0(VALU_DEP_1) | instskip(SKIP_1) | instid1(VALU_DEP_2)
	v_div_fmas_f64 v[26:27], v[26:27], v[28:29], v[30:31]
	v_fma_f64 v[28:29], v[9:10], v[21:22], v[23:24]
	v_div_fixup_f64 v[11:12], v[26:27], v[11:12], 1.0
	v_fma_f64 v[26:27], v[9:10], v[23:24], -v[21:22]
	s_delay_alu instid0(VALU_DEP_2) | instskip(NEXT) | instid1(VALU_DEP_2)
	v_mul_f64 v[9:10], v[28:29], v[11:12]
	v_mul_f64 v[11:12], v[26:27], v[11:12]
	s_branch .LBB203_33
.LBB203_32:
	s_mov_b32 s4, -1
                                        ; implicit-def: $vgpr11_vgpr12
.LBB203_33:
	s_delay_alu instid0(SALU_CYCLE_1)
	s_and_not1_b32 vcc_lo, exec_lo, s4
	s_cbranch_vccnz .LBB203_35
; %bb.34:
	v_div_scale_f64 v[9:10], null, v[17:18], v[17:18], v[19:20]
	v_div_scale_f64 v[28:29], vcc_lo, v[19:20], v[17:18], v[19:20]
	s_delay_alu instid0(VALU_DEP_2) | instskip(SKIP_2) | instid1(VALU_DEP_1)
	v_rcp_f64_e32 v[11:12], v[9:10]
	s_waitcnt_depctr 0xfff
	v_fma_f64 v[26:27], -v[9:10], v[11:12], 1.0
	v_fma_f64 v[11:12], v[11:12], v[26:27], v[11:12]
	s_delay_alu instid0(VALU_DEP_1) | instskip(NEXT) | instid1(VALU_DEP_1)
	v_fma_f64 v[26:27], -v[9:10], v[11:12], 1.0
	v_fma_f64 v[11:12], v[11:12], v[26:27], v[11:12]
	s_delay_alu instid0(VALU_DEP_1) | instskip(NEXT) | instid1(VALU_DEP_1)
	v_mul_f64 v[26:27], v[28:29], v[11:12]
	v_fma_f64 v[9:10], -v[9:10], v[26:27], v[28:29]
	s_delay_alu instid0(VALU_DEP_1) | instskip(NEXT) | instid1(VALU_DEP_1)
	v_div_fmas_f64 v[9:10], v[9:10], v[11:12], v[26:27]
	v_div_fixup_f64 v[9:10], v[9:10], v[17:18], v[19:20]
	s_delay_alu instid0(VALU_DEP_1) | instskip(NEXT) | instid1(VALU_DEP_1)
	v_fma_f64 v[11:12], v[19:20], v[9:10], v[17:18]
	v_div_scale_f64 v[17:18], null, v[11:12], v[11:12], 1.0
	v_div_scale_f64 v[28:29], vcc_lo, 1.0, v[11:12], 1.0
	s_delay_alu instid0(VALU_DEP_2) | instskip(SKIP_2) | instid1(VALU_DEP_1)
	v_rcp_f64_e32 v[19:20], v[17:18]
	s_waitcnt_depctr 0xfff
	v_fma_f64 v[26:27], -v[17:18], v[19:20], 1.0
	v_fma_f64 v[19:20], v[19:20], v[26:27], v[19:20]
	s_delay_alu instid0(VALU_DEP_1) | instskip(NEXT) | instid1(VALU_DEP_1)
	v_fma_f64 v[26:27], -v[17:18], v[19:20], 1.0
	v_fma_f64 v[19:20], v[19:20], v[26:27], v[19:20]
	s_delay_alu instid0(VALU_DEP_1) | instskip(NEXT) | instid1(VALU_DEP_1)
	v_mul_f64 v[26:27], v[28:29], v[19:20]
	v_fma_f64 v[17:18], -v[17:18], v[26:27], v[28:29]
	s_delay_alu instid0(VALU_DEP_1) | instskip(SKIP_1) | instid1(VALU_DEP_2)
	v_div_fmas_f64 v[17:18], v[17:18], v[19:20], v[26:27]
	v_fma_f64 v[19:20], v[9:10], v[23:24], v[21:22]
	v_div_fixup_f64 v[11:12], v[17:18], v[11:12], 1.0
	v_fma_f64 v[17:18], -v[9:10], v[21:22], v[23:24]
	s_delay_alu instid0(VALU_DEP_2) | instskip(NEXT) | instid1(VALU_DEP_2)
	v_mul_f64 v[9:10], v[19:20], v[11:12]
	v_mul_f64 v[11:12], v[17:18], v[11:12]
.LBB203_35:
	v_mov_b32_e32 v32, 0
	ds_load_b128 v[17:20], v32 offset:48
	ds_load_b128 v[21:24], v32 offset:112
	s_waitcnt lgkmcnt(1)
	v_mul_f64 v[26:27], v[7:8], v[19:20]
	v_mul_f64 v[19:20], v[5:6], v[19:20]
	s_waitcnt lgkmcnt(0)
	v_mul_f64 v[28:29], v[15:16], v[23:24]
	v_mul_f64 v[23:24], v[13:14], v[23:24]
	s_delay_alu instid0(VALU_DEP_4) | instskip(NEXT) | instid1(VALU_DEP_4)
	v_fma_f64 v[26:27], v[5:6], v[17:18], -v[26:27]
	v_fma_f64 v[30:31], v[7:8], v[17:18], v[19:20]
	ds_load_b128 v[17:20], v32 offset:176
	ds_load_b128 v[5:8], v32 offset:240
	v_fma_f64 v[13:14], v[13:14], v[21:22], -v[28:29]
	v_fma_f64 v[15:16], v[15:16], v[21:22], v[23:24]
	ds_store_b128 v25, v[9:12] offset:128
	s_waitcnt lgkmcnt(2)
	v_mul_f64 v[32:33], v[11:12], v[19:20]
	s_waitcnt lgkmcnt(1)
	v_cmp_gt_f64_e32 vcc_lo, 0, v[5:6]
	v_mul_f64 v[19:20], v[9:10], v[19:20]
	v_add_f64 v[1:2], v[1:2], -v[26:27]
	v_add_f64 v[3:4], v[3:4], -v[30:31]
	v_fma_f64 v[21:22], v[9:10], v[17:18], -v[32:33]
	s_delay_alu instid0(VALU_DEP_4) | instskip(NEXT) | instid1(VALU_DEP_4)
	v_fma_f64 v[17:18], v[11:12], v[17:18], v[19:20]
	v_add_f64 v[1:2], v[1:2], -v[13:14]
	v_mov_b32_e32 v13, v5
	v_xor_b32_e32 v14, 0x80000000, v6
	v_add_f64 v[3:4], v[3:4], -v[15:16]
	v_mov_b32_e32 v15, v7
	v_xor_b32_e32 v16, 0x80000000, v8
	s_delay_alu instid0(VALU_DEP_4) | instskip(SKIP_1) | instid1(VALU_DEP_3)
	v_cndmask_b32_e32 v14, v6, v14, vcc_lo
	v_cmp_gt_f64_e32 vcc_lo, 0, v[7:8]
	v_cndmask_b32_e32 v16, v8, v16, vcc_lo
	s_delay_alu instid0(VALU_DEP_1)
	v_cmp_ngt_f64_e32 vcc_lo, v[13:14], v[15:16]
	v_add_f64 v[13:14], v[1:2], -v[21:22]
	v_add_f64 v[15:16], v[3:4], -v[17:18]
	s_cbranch_vccz .LBB203_37
; %bb.36:
	v_div_scale_f64 v[1:2], null, v[7:8], v[7:8], v[5:6]
	v_div_scale_f64 v[11:12], vcc_lo, v[5:6], v[7:8], v[5:6]
	s_mov_b32 s4, 0
	s_delay_alu instid0(VALU_DEP_2) | instskip(SKIP_2) | instid1(VALU_DEP_1)
	v_rcp_f64_e32 v[3:4], v[1:2]
	s_waitcnt_depctr 0xfff
	v_fma_f64 v[9:10], -v[1:2], v[3:4], 1.0
	v_fma_f64 v[3:4], v[3:4], v[9:10], v[3:4]
	s_delay_alu instid0(VALU_DEP_1) | instskip(NEXT) | instid1(VALU_DEP_1)
	v_fma_f64 v[9:10], -v[1:2], v[3:4], 1.0
	v_fma_f64 v[3:4], v[3:4], v[9:10], v[3:4]
	s_delay_alu instid0(VALU_DEP_1) | instskip(NEXT) | instid1(VALU_DEP_1)
	v_mul_f64 v[9:10], v[11:12], v[3:4]
	v_fma_f64 v[1:2], -v[1:2], v[9:10], v[11:12]
	s_delay_alu instid0(VALU_DEP_1) | instskip(NEXT) | instid1(VALU_DEP_1)
	v_div_fmas_f64 v[1:2], v[1:2], v[3:4], v[9:10]
	v_div_fixup_f64 v[1:2], v[1:2], v[7:8], v[5:6]
	s_delay_alu instid0(VALU_DEP_1) | instskip(NEXT) | instid1(VALU_DEP_1)
	v_fma_f64 v[3:4], v[5:6], v[1:2], v[7:8]
	v_div_scale_f64 v[9:10], null, v[3:4], v[3:4], 1.0
	v_div_scale_f64 v[19:20], vcc_lo, 1.0, v[3:4], 1.0
	s_delay_alu instid0(VALU_DEP_2) | instskip(SKIP_2) | instid1(VALU_DEP_1)
	v_rcp_f64_e32 v[11:12], v[9:10]
	s_waitcnt_depctr 0xfff
	v_fma_f64 v[17:18], -v[9:10], v[11:12], 1.0
	v_fma_f64 v[11:12], v[11:12], v[17:18], v[11:12]
	s_delay_alu instid0(VALU_DEP_1) | instskip(NEXT) | instid1(VALU_DEP_1)
	v_fma_f64 v[17:18], -v[9:10], v[11:12], 1.0
	v_fma_f64 v[11:12], v[11:12], v[17:18], v[11:12]
	s_delay_alu instid0(VALU_DEP_1) | instskip(NEXT) | instid1(VALU_DEP_1)
	v_mul_f64 v[17:18], v[19:20], v[11:12]
	v_fma_f64 v[9:10], -v[9:10], v[17:18], v[19:20]
	s_delay_alu instid0(VALU_DEP_1) | instskip(SKIP_1) | instid1(VALU_DEP_2)
	v_div_fmas_f64 v[9:10], v[9:10], v[11:12], v[17:18]
	v_fma_f64 v[11:12], v[1:2], v[13:14], v[15:16]
	v_div_fixup_f64 v[3:4], v[9:10], v[3:4], 1.0
	v_fma_f64 v[9:10], v[1:2], v[15:16], -v[13:14]
	s_delay_alu instid0(VALU_DEP_2) | instskip(NEXT) | instid1(VALU_DEP_2)
	v_mul_f64 v[1:2], v[11:12], v[3:4]
	v_mul_f64 v[3:4], v[9:10], v[3:4]
	s_branch .LBB203_38
.LBB203_37:
	s_mov_b32 s4, -1
                                        ; implicit-def: $vgpr3_vgpr4
.LBB203_38:
	s_delay_alu instid0(SALU_CYCLE_1)
	s_and_not1_b32 vcc_lo, exec_lo, s4
	s_cbranch_vccnz .LBB203_40
; %bb.39:
	v_div_scale_f64 v[1:2], null, v[5:6], v[5:6], v[7:8]
	v_div_scale_f64 v[11:12], vcc_lo, v[7:8], v[5:6], v[7:8]
	s_delay_alu instid0(VALU_DEP_2) | instskip(SKIP_2) | instid1(VALU_DEP_1)
	v_rcp_f64_e32 v[3:4], v[1:2]
	s_waitcnt_depctr 0xfff
	v_fma_f64 v[9:10], -v[1:2], v[3:4], 1.0
	v_fma_f64 v[3:4], v[3:4], v[9:10], v[3:4]
	s_delay_alu instid0(VALU_DEP_1) | instskip(NEXT) | instid1(VALU_DEP_1)
	v_fma_f64 v[9:10], -v[1:2], v[3:4], 1.0
	v_fma_f64 v[3:4], v[3:4], v[9:10], v[3:4]
	s_delay_alu instid0(VALU_DEP_1) | instskip(NEXT) | instid1(VALU_DEP_1)
	v_mul_f64 v[9:10], v[11:12], v[3:4]
	v_fma_f64 v[1:2], -v[1:2], v[9:10], v[11:12]
	s_delay_alu instid0(VALU_DEP_1) | instskip(NEXT) | instid1(VALU_DEP_1)
	v_div_fmas_f64 v[1:2], v[1:2], v[3:4], v[9:10]
	v_div_fixup_f64 v[1:2], v[1:2], v[5:6], v[7:8]
	s_delay_alu instid0(VALU_DEP_1) | instskip(NEXT) | instid1(VALU_DEP_1)
	v_fma_f64 v[3:4], v[7:8], v[1:2], v[5:6]
	v_div_scale_f64 v[5:6], null, v[3:4], v[3:4], 1.0
	v_div_scale_f64 v[11:12], vcc_lo, 1.0, v[3:4], 1.0
	s_delay_alu instid0(VALU_DEP_2) | instskip(SKIP_2) | instid1(VALU_DEP_1)
	v_rcp_f64_e32 v[7:8], v[5:6]
	s_waitcnt_depctr 0xfff
	v_fma_f64 v[9:10], -v[5:6], v[7:8], 1.0
	v_fma_f64 v[7:8], v[7:8], v[9:10], v[7:8]
	s_delay_alu instid0(VALU_DEP_1) | instskip(NEXT) | instid1(VALU_DEP_1)
	v_fma_f64 v[9:10], -v[5:6], v[7:8], 1.0
	v_fma_f64 v[7:8], v[7:8], v[9:10], v[7:8]
	s_delay_alu instid0(VALU_DEP_1) | instskip(NEXT) | instid1(VALU_DEP_1)
	v_mul_f64 v[9:10], v[11:12], v[7:8]
	v_fma_f64 v[5:6], -v[5:6], v[9:10], v[11:12]
	s_delay_alu instid0(VALU_DEP_1) | instskip(SKIP_1) | instid1(VALU_DEP_2)
	v_div_fmas_f64 v[5:6], v[5:6], v[7:8], v[9:10]
	v_fma_f64 v[7:8], v[1:2], v[15:16], v[13:14]
	v_div_fixup_f64 v[3:4], v[5:6], v[3:4], 1.0
	v_fma_f64 v[5:6], -v[1:2], v[13:14], v[15:16]
	s_delay_alu instid0(VALU_DEP_2) | instskip(NEXT) | instid1(VALU_DEP_2)
	v_mul_f64 v[1:2], v[7:8], v[3:4]
	v_mul_f64 v[3:4], v[5:6], v[3:4]
.LBB203_40:
	s_mov_b32 s4, 4
	ds_store_b128 v25, v[1:4] offset:192
.LBB203_41:
	s_cmp_ge_i32 s4, s29
	s_cbranch_scc1 .LBB203_51
; %bb.42:
	v_lshl_or_b32 v13, v0, 4, 0x100
	v_lshlrev_b32_e32 v14, 4, v0
	s_lshl_b32 s5, s4, 4
	s_branch .LBB203_44
.LBB203_43:                             ;   in Loop: Header=BB203_44 Depth=1
	s_add_i32 s4, s4, 1
	s_add_i32 s5, s5, 16
	s_cmp_ge_i32 s4, s29
	ds_store_b128 v15, v[9:12]
	s_cbranch_scc1 .LBB203_51
.LBB203_44:                             ; =>This Loop Header: Depth=1
                                        ;     Child Loop BB203_46 Depth 2
	s_delay_alu instid0(VALU_DEP_1)
	v_lshl_or_b32 v5, s4, 6, v14
	s_cmp_eq_u32 s4, 0
	ds_load_b128 v[1:4], v5 offset:256
	s_cbranch_scc1 .LBB203_47
; %bb.45:                               ;   in Loop: Header=BB203_44 Depth=1
	v_mov_b32_e32 v6, v13
	s_mov_b32 s6, 0
	s_mov_b32 s7, s5
	.p2align	6
.LBB203_46:                             ;   Parent Loop BB203_44 Depth=1
                                        ; =>  This Inner Loop Header: Depth=2
	s_delay_alu instid0(SALU_CYCLE_1)
	v_mov_b32_e32 v11, s7
	s_add_i32 s6, s6, 1
	s_add_i32 s7, s7, 64
	s_cmp_ge_u32 s6, s4
	ds_load_b128 v[7:10], v6
	ds_load_b128 v[15:18], v11
	v_add_nc_u32_e32 v6, 64, v6
	s_waitcnt lgkmcnt(0)
	v_mul_f64 v[11:12], v[17:18], v[9:10]
	v_mul_f64 v[9:10], v[15:16], v[9:10]
	s_delay_alu instid0(VALU_DEP_2) | instskip(NEXT) | instid1(VALU_DEP_2)
	v_fma_f64 v[11:12], v[15:16], v[7:8], -v[11:12]
	v_fma_f64 v[7:8], v[17:18], v[7:8], v[9:10]
	s_delay_alu instid0(VALU_DEP_2) | instskip(NEXT) | instid1(VALU_DEP_2)
	v_add_f64 v[1:2], v[1:2], -v[11:12]
	v_add_f64 v[3:4], v[3:4], -v[7:8]
	s_cbranch_scc0 .LBB203_46
.LBB203_47:                             ;   in Loop: Header=BB203_44 Depth=1
	s_mul_i32 s6, s4, 0x50
	v_add_nc_u32_e32 v15, 0x100, v5
	v_mov_b32_e32 v5, s6
	ds_load_b128 v[5:8], v5
	s_waitcnt lgkmcnt(0)
	v_cmp_gt_f64_e32 vcc_lo, 0, v[5:6]
	v_xor_b32_e32 v10, 0x80000000, v6
	v_xor_b32_e32 v11, 0x80000000, v8
	s_delay_alu instid0(VALU_DEP_2) | instskip(SKIP_1) | instid1(VALU_DEP_3)
	v_dual_mov_b32 v9, v5 :: v_dual_cndmask_b32 v10, v6, v10
	v_cmp_gt_f64_e32 vcc_lo, 0, v[7:8]
	v_dual_cndmask_b32 v12, v8, v11 :: v_dual_mov_b32 v11, v7
	s_delay_alu instid0(VALU_DEP_1)
	v_cmp_ngt_f64_e32 vcc_lo, v[9:10], v[11:12]
	s_cbranch_vccz .LBB203_49
; %bb.48:                               ;   in Loop: Header=BB203_44 Depth=1
	v_div_scale_f64 v[9:10], null, v[7:8], v[7:8], v[5:6]
	v_div_scale_f64 v[18:19], vcc_lo, v[5:6], v[7:8], v[5:6]
	s_delay_alu instid0(VALU_DEP_2) | instskip(SKIP_2) | instid1(VALU_DEP_1)
	v_rcp_f64_e32 v[11:12], v[9:10]
	s_waitcnt_depctr 0xfff
	v_fma_f64 v[16:17], -v[9:10], v[11:12], 1.0
	v_fma_f64 v[11:12], v[11:12], v[16:17], v[11:12]
	s_delay_alu instid0(VALU_DEP_1) | instskip(NEXT) | instid1(VALU_DEP_1)
	v_fma_f64 v[16:17], -v[9:10], v[11:12], 1.0
	v_fma_f64 v[11:12], v[11:12], v[16:17], v[11:12]
	s_delay_alu instid0(VALU_DEP_1) | instskip(NEXT) | instid1(VALU_DEP_1)
	v_mul_f64 v[16:17], v[18:19], v[11:12]
	v_fma_f64 v[9:10], -v[9:10], v[16:17], v[18:19]
	s_delay_alu instid0(VALU_DEP_1) | instskip(NEXT) | instid1(VALU_DEP_1)
	v_div_fmas_f64 v[9:10], v[9:10], v[11:12], v[16:17]
	v_div_fixup_f64 v[9:10], v[9:10], v[7:8], v[5:6]
	s_delay_alu instid0(VALU_DEP_1) | instskip(NEXT) | instid1(VALU_DEP_1)
	v_fma_f64 v[11:12], v[5:6], v[9:10], v[7:8]
	v_div_scale_f64 v[16:17], null, v[11:12], v[11:12], 1.0
	v_div_scale_f64 v[22:23], vcc_lo, 1.0, v[11:12], 1.0
	s_delay_alu instid0(VALU_DEP_2) | instskip(SKIP_2) | instid1(VALU_DEP_1)
	v_rcp_f64_e32 v[18:19], v[16:17]
	s_waitcnt_depctr 0xfff
	v_fma_f64 v[20:21], -v[16:17], v[18:19], 1.0
	v_fma_f64 v[18:19], v[18:19], v[20:21], v[18:19]
	s_delay_alu instid0(VALU_DEP_1) | instskip(NEXT) | instid1(VALU_DEP_1)
	v_fma_f64 v[20:21], -v[16:17], v[18:19], 1.0
	v_fma_f64 v[18:19], v[18:19], v[20:21], v[18:19]
	s_delay_alu instid0(VALU_DEP_1) | instskip(NEXT) | instid1(VALU_DEP_1)
	v_mul_f64 v[20:21], v[22:23], v[18:19]
	v_fma_f64 v[16:17], -v[16:17], v[20:21], v[22:23]
	s_delay_alu instid0(VALU_DEP_1) | instskip(SKIP_1) | instid1(VALU_DEP_2)
	v_div_fmas_f64 v[16:17], v[16:17], v[18:19], v[20:21]
	v_fma_f64 v[18:19], v[1:2], v[9:10], v[3:4]
	v_div_fixup_f64 v[11:12], v[16:17], v[11:12], 1.0
	v_fma_f64 v[16:17], v[3:4], v[9:10], -v[1:2]
	s_delay_alu instid0(VALU_DEP_2) | instskip(NEXT) | instid1(VALU_DEP_2)
	v_mul_f64 v[9:10], v[18:19], v[11:12]
	v_mul_f64 v[11:12], v[16:17], v[11:12]
	s_cbranch_execnz .LBB203_43
	s_branch .LBB203_50
.LBB203_49:                             ;   in Loop: Header=BB203_44 Depth=1
                                        ; implicit-def: $vgpr9_vgpr10
.LBB203_50:                             ;   in Loop: Header=BB203_44 Depth=1
	v_div_scale_f64 v[9:10], null, v[5:6], v[5:6], v[7:8]
	v_div_scale_f64 v[18:19], vcc_lo, v[7:8], v[5:6], v[7:8]
	s_delay_alu instid0(VALU_DEP_2) | instskip(SKIP_2) | instid1(VALU_DEP_1)
	v_rcp_f64_e32 v[11:12], v[9:10]
	s_waitcnt_depctr 0xfff
	v_fma_f64 v[16:17], -v[9:10], v[11:12], 1.0
	v_fma_f64 v[11:12], v[11:12], v[16:17], v[11:12]
	s_delay_alu instid0(VALU_DEP_1) | instskip(NEXT) | instid1(VALU_DEP_1)
	v_fma_f64 v[16:17], -v[9:10], v[11:12], 1.0
	v_fma_f64 v[11:12], v[11:12], v[16:17], v[11:12]
	s_delay_alu instid0(VALU_DEP_1) | instskip(NEXT) | instid1(VALU_DEP_1)
	v_mul_f64 v[16:17], v[18:19], v[11:12]
	v_fma_f64 v[9:10], -v[9:10], v[16:17], v[18:19]
	s_delay_alu instid0(VALU_DEP_1) | instskip(NEXT) | instid1(VALU_DEP_1)
	v_div_fmas_f64 v[9:10], v[9:10], v[11:12], v[16:17]
	v_div_fixup_f64 v[9:10], v[9:10], v[5:6], v[7:8]
	s_delay_alu instid0(VALU_DEP_1) | instskip(NEXT) | instid1(VALU_DEP_1)
	v_fma_f64 v[5:6], v[7:8], v[9:10], v[5:6]
	v_div_scale_f64 v[7:8], null, v[5:6], v[5:6], 1.0
	v_div_scale_f64 v[18:19], vcc_lo, 1.0, v[5:6], 1.0
	s_delay_alu instid0(VALU_DEP_2) | instskip(SKIP_2) | instid1(VALU_DEP_1)
	v_rcp_f64_e32 v[11:12], v[7:8]
	s_waitcnt_depctr 0xfff
	v_fma_f64 v[16:17], -v[7:8], v[11:12], 1.0
	v_fma_f64 v[11:12], v[11:12], v[16:17], v[11:12]
	s_delay_alu instid0(VALU_DEP_1) | instskip(NEXT) | instid1(VALU_DEP_1)
	v_fma_f64 v[16:17], -v[7:8], v[11:12], 1.0
	v_fma_f64 v[11:12], v[11:12], v[16:17], v[11:12]
	s_delay_alu instid0(VALU_DEP_1) | instskip(NEXT) | instid1(VALU_DEP_1)
	v_mul_f64 v[16:17], v[18:19], v[11:12]
	v_fma_f64 v[7:8], -v[7:8], v[16:17], v[18:19]
	s_delay_alu instid0(VALU_DEP_1) | instskip(SKIP_2) | instid1(VALU_DEP_3)
	v_div_fmas_f64 v[7:8], v[7:8], v[11:12], v[16:17]
	v_fma_f64 v[11:12], v[3:4], v[9:10], v[1:2]
	v_fma_f64 v[1:2], -v[1:2], v[9:10], v[3:4]
	v_div_fixup_f64 v[5:6], v[7:8], v[5:6], 1.0
	s_delay_alu instid0(VALU_DEP_1) | instskip(NEXT) | instid1(VALU_DEP_3)
	v_mul_f64 v[9:10], v[11:12], v[5:6]
	v_mul_f64 v[11:12], v[1:2], v[5:6]
	s_branch .LBB203_43
.LBB203_51:
	s_mov_b32 s4, 0
.LBB203_52:
	s_delay_alu instid0(SALU_CYCLE_1)
	s_and_b32 vcc_lo, exec_lo, s4
	s_cbranch_vccz .LBB203_84
; %bb.53:
	s_and_b32 vcc_lo, exec_lo, s1
	s_mov_b32 s4, s30
	s_cbranch_vccz .LBB203_75
; %bb.54:
	s_mul_i32 s11, s30, 0x50
	s_add_i32 s14, s29, -2
	v_mov_b32_e32 v1, s11
	s_lshl_b32 s7, s30, 2
	s_add_i32 s10, s29, -3
	s_lshl_b32 s6, s14, 2
	s_lshl_b32 s4, s10, 2
	ds_load_b128 v[17:20], v1
	s_add_i32 s5, s29, -4
	s_waitcnt lgkmcnt(0)
	v_cmp_gt_f64_e32 vcc_lo, 0, v[17:18]
	v_xor_b32_e32 v2, 0x80000000, v18
	v_xor_b32_e32 v3, 0x80000000, v20
	s_delay_alu instid0(VALU_DEP_2) | instskip(SKIP_1) | instid1(VALU_DEP_3)
	v_cndmask_b32_e32 v2, v18, v2, vcc_lo
	v_cmp_gt_f64_e32 vcc_lo, 0, v[19:20]
	v_dual_mov_b32 v1, v17 :: v_dual_cndmask_b32 v4, v20, v3
	v_mov_b32_e32 v3, v19
	s_delay_alu instid0(VALU_DEP_1) | instskip(SKIP_4) | instid1(VALU_DEP_4)
	v_cmp_ngt_f64_e32 vcc_lo, v[1:2], v[3:4]
	v_lshlrev_b32_e32 v4, 4, v0
	v_or_b32_e32 v1, s7, v0
	v_or_b32_e32 v2, s6, v0
	v_or_b32_e32 v3, s4, v0
	v_lshl_or_b32 v25, s5, 6, v4
	s_delay_alu instid0(VALU_DEP_4) | instskip(NEXT) | instid1(VALU_DEP_4)
	v_lshlrev_b32_e32 v28, 4, v1
	v_lshlrev_b32_e32 v27, 4, v2
	s_delay_alu instid0(VALU_DEP_4)
	v_lshlrev_b32_e32 v26, 4, v3
	ds_load_b128 v[21:24], v28 offset:256
	ds_load_b128 v[13:16], v27 offset:256
	;; [unrolled: 1-line block ×4, first 2 shown]
	s_cbranch_vccz .LBB203_56
; %bb.55:
	v_div_scale_f64 v[5:6], null, v[19:20], v[19:20], v[17:18]
	v_div_scale_f64 v[31:32], vcc_lo, v[17:18], v[19:20], v[17:18]
	s_mov_b32 s15, 0
	s_delay_alu instid0(VALU_DEP_2) | instskip(SKIP_2) | instid1(VALU_DEP_1)
	v_rcp_f64_e32 v[7:8], v[5:6]
	s_waitcnt_depctr 0xfff
	v_fma_f64 v[29:30], -v[5:6], v[7:8], 1.0
	v_fma_f64 v[7:8], v[7:8], v[29:30], v[7:8]
	s_delay_alu instid0(VALU_DEP_1) | instskip(NEXT) | instid1(VALU_DEP_1)
	v_fma_f64 v[29:30], -v[5:6], v[7:8], 1.0
	v_fma_f64 v[7:8], v[7:8], v[29:30], v[7:8]
	s_delay_alu instid0(VALU_DEP_1) | instskip(NEXT) | instid1(VALU_DEP_1)
	v_mul_f64 v[29:30], v[31:32], v[7:8]
	v_fma_f64 v[5:6], -v[5:6], v[29:30], v[31:32]
	s_delay_alu instid0(VALU_DEP_1) | instskip(NEXT) | instid1(VALU_DEP_1)
	v_div_fmas_f64 v[5:6], v[5:6], v[7:8], v[29:30]
	v_div_fixup_f64 v[5:6], v[5:6], v[19:20], v[17:18]
	s_delay_alu instid0(VALU_DEP_1) | instskip(NEXT) | instid1(VALU_DEP_1)
	v_fma_f64 v[7:8], v[17:18], v[5:6], v[19:20]
	v_div_scale_f64 v[29:30], null, v[7:8], v[7:8], 1.0
	v_div_scale_f64 v[35:36], vcc_lo, 1.0, v[7:8], 1.0
	s_delay_alu instid0(VALU_DEP_2) | instskip(SKIP_2) | instid1(VALU_DEP_1)
	v_rcp_f64_e32 v[31:32], v[29:30]
	s_waitcnt_depctr 0xfff
	v_fma_f64 v[33:34], -v[29:30], v[31:32], 1.0
	v_fma_f64 v[31:32], v[31:32], v[33:34], v[31:32]
	s_delay_alu instid0(VALU_DEP_1) | instskip(NEXT) | instid1(VALU_DEP_1)
	v_fma_f64 v[33:34], -v[29:30], v[31:32], 1.0
	v_fma_f64 v[31:32], v[31:32], v[33:34], v[31:32]
	s_delay_alu instid0(VALU_DEP_1) | instskip(NEXT) | instid1(VALU_DEP_1)
	v_mul_f64 v[33:34], v[35:36], v[31:32]
	v_fma_f64 v[29:30], -v[29:30], v[33:34], v[35:36]
	s_delay_alu instid0(VALU_DEP_1) | instskip(SKIP_2) | instid1(VALU_DEP_2)
	v_div_fmas_f64 v[29:30], v[29:30], v[31:32], v[33:34]
	s_waitcnt lgkmcnt(3)
	v_fma_f64 v[31:32], v[21:22], v[5:6], v[23:24]
	v_div_fixup_f64 v[7:8], v[29:30], v[7:8], 1.0
	v_fma_f64 v[29:30], v[23:24], v[5:6], -v[21:22]
	s_delay_alu instid0(VALU_DEP_2) | instskip(NEXT) | instid1(VALU_DEP_2)
	v_mul_f64 v[5:6], v[31:32], v[7:8]
	v_mul_f64 v[7:8], v[29:30], v[7:8]
	s_branch .LBB203_57
.LBB203_56:
	s_mov_b32 s15, -1
                                        ; implicit-def: $vgpr7_vgpr8
.LBB203_57:
	v_add_nc_u32_e32 v28, 0x100, v28
	s_and_not1_b32 vcc_lo, exec_lo, s15
	s_cbranch_vccnz .LBB203_59
; %bb.58:
	v_div_scale_f64 v[5:6], null, v[17:18], v[17:18], v[19:20]
	v_div_scale_f64 v[31:32], vcc_lo, v[19:20], v[17:18], v[19:20]
	s_delay_alu instid0(VALU_DEP_2) | instskip(SKIP_2) | instid1(VALU_DEP_1)
	v_rcp_f64_e32 v[7:8], v[5:6]
	s_waitcnt_depctr 0xfff
	v_fma_f64 v[29:30], -v[5:6], v[7:8], 1.0
	v_fma_f64 v[7:8], v[7:8], v[29:30], v[7:8]
	s_delay_alu instid0(VALU_DEP_1) | instskip(NEXT) | instid1(VALU_DEP_1)
	v_fma_f64 v[29:30], -v[5:6], v[7:8], 1.0
	v_fma_f64 v[7:8], v[7:8], v[29:30], v[7:8]
	s_delay_alu instid0(VALU_DEP_1) | instskip(NEXT) | instid1(VALU_DEP_1)
	v_mul_f64 v[29:30], v[31:32], v[7:8]
	v_fma_f64 v[5:6], -v[5:6], v[29:30], v[31:32]
	s_delay_alu instid0(VALU_DEP_1) | instskip(NEXT) | instid1(VALU_DEP_1)
	v_div_fmas_f64 v[5:6], v[5:6], v[7:8], v[29:30]
	v_div_fixup_f64 v[5:6], v[5:6], v[17:18], v[19:20]
	s_delay_alu instid0(VALU_DEP_1) | instskip(NEXT) | instid1(VALU_DEP_1)
	v_fma_f64 v[7:8], v[19:20], v[5:6], v[17:18]
	v_div_scale_f64 v[17:18], null, v[7:8], v[7:8], 1.0
	v_div_scale_f64 v[31:32], vcc_lo, 1.0, v[7:8], 1.0
	s_delay_alu instid0(VALU_DEP_2) | instskip(SKIP_2) | instid1(VALU_DEP_1)
	v_rcp_f64_e32 v[19:20], v[17:18]
	s_waitcnt_depctr 0xfff
	v_fma_f64 v[29:30], -v[17:18], v[19:20], 1.0
	v_fma_f64 v[19:20], v[19:20], v[29:30], v[19:20]
	s_delay_alu instid0(VALU_DEP_1) | instskip(NEXT) | instid1(VALU_DEP_1)
	v_fma_f64 v[29:30], -v[17:18], v[19:20], 1.0
	v_fma_f64 v[19:20], v[19:20], v[29:30], v[19:20]
	s_delay_alu instid0(VALU_DEP_1) | instskip(NEXT) | instid1(VALU_DEP_1)
	v_mul_f64 v[29:30], v[31:32], v[19:20]
	v_fma_f64 v[17:18], -v[17:18], v[29:30], v[31:32]
	s_delay_alu instid0(VALU_DEP_1) | instskip(SKIP_2) | instid1(VALU_DEP_2)
	v_div_fmas_f64 v[17:18], v[17:18], v[19:20], v[29:30]
	s_waitcnt lgkmcnt(3)
	v_fma_f64 v[19:20], v[23:24], v[5:6], v[21:22]
	v_div_fixup_f64 v[7:8], v[17:18], v[7:8], 1.0
	v_fma_f64 v[17:18], -v[21:22], v[5:6], v[23:24]
	s_delay_alu instid0(VALU_DEP_2) | instskip(NEXT) | instid1(VALU_DEP_2)
	v_mul_f64 v[5:6], v[19:20], v[7:8]
	v_mul_f64 v[7:8], v[17:18], v[7:8]
.LBB203_59:
	s_add_i32 s14, s7, s14
	s_addk_i32 s11, 0xffb0
	s_lshl_b32 s14, s14, 4
	ds_store_b128 v28, v[5:8]
	v_mov_b32_e32 v17, s14
	s_waitcnt lgkmcnt(4)
	ds_load_b128 v[21:24], v17
	v_mov_b32_e32 v17, s11
	ds_load_b128 v[17:20], v17
	s_waitcnt lgkmcnt(1)
	v_mul_f64 v[29:30], v[7:8], v[23:24]
	v_mul_f64 v[23:24], v[5:6], v[23:24]
	s_waitcnt lgkmcnt(0)
	v_cmp_gt_f64_e32 vcc_lo, 0, v[17:18]
	v_xor_b32_e32 v32, 0x80000000, v20
	v_mov_b32_e32 v31, v19
	v_fma_f64 v[29:30], v[5:6], v[21:22], -v[29:30]
	v_fma_f64 v[23:24], v[7:8], v[21:22], v[23:24]
	v_xor_b32_e32 v22, 0x80000000, v18
	s_delay_alu instid0(VALU_DEP_1) | instskip(SKIP_1) | instid1(VALU_DEP_4)
	v_dual_mov_b32 v21, v17 :: v_dual_cndmask_b32 v22, v18, v22
	v_cmp_gt_f64_e32 vcc_lo, 0, v[19:20]
	v_add_f64 v[23:24], v[15:16], -v[23:24]
	v_cndmask_b32_e32 v32, v20, v32, vcc_lo
	s_delay_alu instid0(VALU_DEP_1)
	v_cmp_ngt_f64_e32 vcc_lo, v[21:22], v[31:32]
	v_add_f64 v[21:22], v[13:14], -v[29:30]
	s_cbranch_vccz .LBB203_61
; %bb.60:
	v_div_scale_f64 v[13:14], null, v[19:20], v[19:20], v[17:18]
	v_div_scale_f64 v[30:31], vcc_lo, v[17:18], v[19:20], v[17:18]
	s_mov_b32 s14, 0
	s_delay_alu instid0(VALU_DEP_2) | instskip(SKIP_2) | instid1(VALU_DEP_1)
	v_rcp_f64_e32 v[15:16], v[13:14]
	s_waitcnt_depctr 0xfff
	v_fma_f64 v[28:29], -v[13:14], v[15:16], 1.0
	v_fma_f64 v[15:16], v[15:16], v[28:29], v[15:16]
	s_delay_alu instid0(VALU_DEP_1) | instskip(NEXT) | instid1(VALU_DEP_1)
	v_fma_f64 v[28:29], -v[13:14], v[15:16], 1.0
	v_fma_f64 v[15:16], v[15:16], v[28:29], v[15:16]
	s_delay_alu instid0(VALU_DEP_1) | instskip(NEXT) | instid1(VALU_DEP_1)
	v_mul_f64 v[28:29], v[30:31], v[15:16]
	v_fma_f64 v[13:14], -v[13:14], v[28:29], v[30:31]
	s_delay_alu instid0(VALU_DEP_1) | instskip(NEXT) | instid1(VALU_DEP_1)
	v_div_fmas_f64 v[13:14], v[13:14], v[15:16], v[28:29]
	v_div_fixup_f64 v[13:14], v[13:14], v[19:20], v[17:18]
	s_delay_alu instid0(VALU_DEP_1) | instskip(NEXT) | instid1(VALU_DEP_1)
	v_fma_f64 v[15:16], v[17:18], v[13:14], v[19:20]
	v_div_scale_f64 v[28:29], null, v[15:16], v[15:16], 1.0
	v_div_scale_f64 v[34:35], vcc_lo, 1.0, v[15:16], 1.0
	s_delay_alu instid0(VALU_DEP_2) | instskip(SKIP_2) | instid1(VALU_DEP_1)
	v_rcp_f64_e32 v[30:31], v[28:29]
	s_waitcnt_depctr 0xfff
	v_fma_f64 v[32:33], -v[28:29], v[30:31], 1.0
	v_fma_f64 v[30:31], v[30:31], v[32:33], v[30:31]
	s_delay_alu instid0(VALU_DEP_1) | instskip(NEXT) | instid1(VALU_DEP_1)
	v_fma_f64 v[32:33], -v[28:29], v[30:31], 1.0
	v_fma_f64 v[30:31], v[30:31], v[32:33], v[30:31]
	s_delay_alu instid0(VALU_DEP_1) | instskip(NEXT) | instid1(VALU_DEP_1)
	v_mul_f64 v[32:33], v[34:35], v[30:31]
	v_fma_f64 v[28:29], -v[28:29], v[32:33], v[34:35]
	s_delay_alu instid0(VALU_DEP_1) | instskip(SKIP_1) | instid1(VALU_DEP_2)
	v_div_fmas_f64 v[28:29], v[28:29], v[30:31], v[32:33]
	v_fma_f64 v[30:31], v[13:14], v[21:22], v[23:24]
	v_div_fixup_f64 v[15:16], v[28:29], v[15:16], 1.0
	v_fma_f64 v[28:29], v[13:14], v[23:24], -v[21:22]
	s_delay_alu instid0(VALU_DEP_2) | instskip(NEXT) | instid1(VALU_DEP_2)
	v_mul_f64 v[13:14], v[30:31], v[15:16]
	v_mul_f64 v[15:16], v[28:29], v[15:16]
	s_branch .LBB203_62
.LBB203_61:
	s_mov_b32 s14, -1
                                        ; implicit-def: $vgpr15_vgpr16
.LBB203_62:
	v_add_nc_u32_e32 v27, 0x100, v27
	s_and_not1_b32 vcc_lo, exec_lo, s14
	s_cbranch_vccnz .LBB203_64
; %bb.63:
	v_div_scale_f64 v[13:14], null, v[17:18], v[17:18], v[19:20]
	v_div_scale_f64 v[30:31], vcc_lo, v[19:20], v[17:18], v[19:20]
	s_delay_alu instid0(VALU_DEP_2) | instskip(SKIP_2) | instid1(VALU_DEP_1)
	v_rcp_f64_e32 v[15:16], v[13:14]
	s_waitcnt_depctr 0xfff
	v_fma_f64 v[28:29], -v[13:14], v[15:16], 1.0
	v_fma_f64 v[15:16], v[15:16], v[28:29], v[15:16]
	s_delay_alu instid0(VALU_DEP_1) | instskip(NEXT) | instid1(VALU_DEP_1)
	v_fma_f64 v[28:29], -v[13:14], v[15:16], 1.0
	v_fma_f64 v[15:16], v[15:16], v[28:29], v[15:16]
	s_delay_alu instid0(VALU_DEP_1) | instskip(NEXT) | instid1(VALU_DEP_1)
	v_mul_f64 v[28:29], v[30:31], v[15:16]
	v_fma_f64 v[13:14], -v[13:14], v[28:29], v[30:31]
	s_delay_alu instid0(VALU_DEP_1) | instskip(NEXT) | instid1(VALU_DEP_1)
	v_div_fmas_f64 v[13:14], v[13:14], v[15:16], v[28:29]
	v_div_fixup_f64 v[13:14], v[13:14], v[17:18], v[19:20]
	s_delay_alu instid0(VALU_DEP_1) | instskip(NEXT) | instid1(VALU_DEP_1)
	v_fma_f64 v[15:16], v[19:20], v[13:14], v[17:18]
	v_div_scale_f64 v[17:18], null, v[15:16], v[15:16], 1.0
	v_div_scale_f64 v[30:31], vcc_lo, 1.0, v[15:16], 1.0
	s_delay_alu instid0(VALU_DEP_2) | instskip(SKIP_2) | instid1(VALU_DEP_1)
	v_rcp_f64_e32 v[19:20], v[17:18]
	s_waitcnt_depctr 0xfff
	v_fma_f64 v[28:29], -v[17:18], v[19:20], 1.0
	v_fma_f64 v[19:20], v[19:20], v[28:29], v[19:20]
	s_delay_alu instid0(VALU_DEP_1) | instskip(NEXT) | instid1(VALU_DEP_1)
	v_fma_f64 v[28:29], -v[17:18], v[19:20], 1.0
	v_fma_f64 v[19:20], v[19:20], v[28:29], v[19:20]
	s_delay_alu instid0(VALU_DEP_1) | instskip(NEXT) | instid1(VALU_DEP_1)
	v_mul_f64 v[28:29], v[30:31], v[19:20]
	v_fma_f64 v[17:18], -v[17:18], v[28:29], v[30:31]
	s_delay_alu instid0(VALU_DEP_1) | instskip(SKIP_1) | instid1(VALU_DEP_2)
	v_div_fmas_f64 v[17:18], v[17:18], v[19:20], v[28:29]
	v_fma_f64 v[19:20], v[13:14], v[23:24], v[21:22]
	v_div_fixup_f64 v[15:16], v[17:18], v[15:16], 1.0
	v_fma_f64 v[17:18], -v[13:14], v[21:22], v[23:24]
	s_delay_alu instid0(VALU_DEP_2) | instskip(NEXT) | instid1(VALU_DEP_2)
	v_mul_f64 v[13:14], v[19:20], v[15:16]
	v_mul_f64 v[15:16], v[17:18], v[15:16]
.LBB203_64:
	s_add_i32 s14, s7, s10
	s_add_i32 s10, s6, s10
	s_lshl_b32 s14, s14, 4
	s_lshl_b32 s10, s10, 4
	v_mov_b32_e32 v17, s14
	v_mov_b32_e32 v21, s10
	s_add_i32 s10, s11, 0xffffffb0
	ds_store_b128 v27, v[13:16]
	ds_load_b128 v[17:20], v17
	ds_load_b128 v[21:24], v21
	s_waitcnt lgkmcnt(1)
	v_mul_f64 v[28:29], v[7:8], v[19:20]
	v_mul_f64 v[19:20], v[5:6], v[19:20]
	s_waitcnt lgkmcnt(0)
	v_mul_f64 v[30:31], v[15:16], v[23:24]
	v_mul_f64 v[23:24], v[13:14], v[23:24]
	s_delay_alu instid0(VALU_DEP_4) | instskip(NEXT) | instid1(VALU_DEP_4)
	v_fma_f64 v[28:29], v[5:6], v[17:18], -v[28:29]
	v_fma_f64 v[17:18], v[7:8], v[17:18], v[19:20]
	v_mov_b32_e32 v19, s10
	v_fma_f64 v[30:31], v[13:14], v[21:22], -v[30:31]
	v_fma_f64 v[23:24], v[15:16], v[21:22], v[23:24]
	v_add_f64 v[9:10], v[9:10], -v[28:29]
	v_add_f64 v[11:12], v[11:12], -v[17:18]
	ds_load_b128 v[17:20], v19
	s_waitcnt lgkmcnt(0)
	v_cmp_gt_f64_e32 vcc_lo, 0, v[17:18]
	v_xor_b32_e32 v22, 0x80000000, v18
	v_xor_b32_e32 v29, 0x80000000, v20
	v_dual_mov_b32 v21, v17 :: v_dual_mov_b32 v28, v19
	v_add_f64 v[23:24], v[11:12], -v[23:24]
	s_delay_alu instid0(VALU_DEP_4) | instskip(SKIP_2) | instid1(VALU_DEP_1)
	v_cndmask_b32_e32 v22, v18, v22, vcc_lo
	v_cmp_gt_f64_e32 vcc_lo, 0, v[19:20]
	v_cndmask_b32_e32 v29, v20, v29, vcc_lo
	v_cmp_ngt_f64_e32 vcc_lo, v[21:22], v[28:29]
	v_add_f64 v[21:22], v[9:10], -v[30:31]
	s_cbranch_vccz .LBB203_66
; %bb.65:
	v_div_scale_f64 v[9:10], null, v[19:20], v[19:20], v[17:18]
	v_div_scale_f64 v[29:30], vcc_lo, v[17:18], v[19:20], v[17:18]
	s_mov_b32 s11, 0
	s_delay_alu instid0(VALU_DEP_2) | instskip(SKIP_2) | instid1(VALU_DEP_1)
	v_rcp_f64_e32 v[11:12], v[9:10]
	s_waitcnt_depctr 0xfff
	v_fma_f64 v[27:28], -v[9:10], v[11:12], 1.0
	v_fma_f64 v[11:12], v[11:12], v[27:28], v[11:12]
	s_delay_alu instid0(VALU_DEP_1) | instskip(NEXT) | instid1(VALU_DEP_1)
	v_fma_f64 v[27:28], -v[9:10], v[11:12], 1.0
	v_fma_f64 v[11:12], v[11:12], v[27:28], v[11:12]
	s_delay_alu instid0(VALU_DEP_1) | instskip(NEXT) | instid1(VALU_DEP_1)
	v_mul_f64 v[27:28], v[29:30], v[11:12]
	v_fma_f64 v[9:10], -v[9:10], v[27:28], v[29:30]
	s_delay_alu instid0(VALU_DEP_1) | instskip(NEXT) | instid1(VALU_DEP_1)
	v_div_fmas_f64 v[9:10], v[9:10], v[11:12], v[27:28]
	v_div_fixup_f64 v[9:10], v[9:10], v[19:20], v[17:18]
	s_delay_alu instid0(VALU_DEP_1) | instskip(NEXT) | instid1(VALU_DEP_1)
	v_fma_f64 v[11:12], v[17:18], v[9:10], v[19:20]
	v_div_scale_f64 v[27:28], null, v[11:12], v[11:12], 1.0
	v_div_scale_f64 v[33:34], vcc_lo, 1.0, v[11:12], 1.0
	s_delay_alu instid0(VALU_DEP_2) | instskip(SKIP_2) | instid1(VALU_DEP_1)
	v_rcp_f64_e32 v[29:30], v[27:28]
	s_waitcnt_depctr 0xfff
	v_fma_f64 v[31:32], -v[27:28], v[29:30], 1.0
	v_fma_f64 v[29:30], v[29:30], v[31:32], v[29:30]
	s_delay_alu instid0(VALU_DEP_1) | instskip(NEXT) | instid1(VALU_DEP_1)
	v_fma_f64 v[31:32], -v[27:28], v[29:30], 1.0
	v_fma_f64 v[29:30], v[29:30], v[31:32], v[29:30]
	s_delay_alu instid0(VALU_DEP_1) | instskip(NEXT) | instid1(VALU_DEP_1)
	v_mul_f64 v[31:32], v[33:34], v[29:30]
	v_fma_f64 v[27:28], -v[27:28], v[31:32], v[33:34]
	s_delay_alu instid0(VALU_DEP_1) | instskip(SKIP_1) | instid1(VALU_DEP_2)
	v_div_fmas_f64 v[27:28], v[27:28], v[29:30], v[31:32]
	v_fma_f64 v[29:30], v[9:10], v[21:22], v[23:24]
	v_div_fixup_f64 v[11:12], v[27:28], v[11:12], 1.0
	v_fma_f64 v[27:28], v[9:10], v[23:24], -v[21:22]
	s_delay_alu instid0(VALU_DEP_2) | instskip(NEXT) | instid1(VALU_DEP_2)
	v_mul_f64 v[9:10], v[29:30], v[11:12]
	v_mul_f64 v[11:12], v[27:28], v[11:12]
	s_branch .LBB203_67
.LBB203_66:
	s_mov_b32 s11, -1
                                        ; implicit-def: $vgpr11_vgpr12
.LBB203_67:
	v_add_nc_u32_e32 v26, 0x100, v26
	s_and_not1_b32 vcc_lo, exec_lo, s11
	s_cbranch_vccnz .LBB203_69
; %bb.68:
	v_div_scale_f64 v[9:10], null, v[17:18], v[17:18], v[19:20]
	v_div_scale_f64 v[29:30], vcc_lo, v[19:20], v[17:18], v[19:20]
	s_delay_alu instid0(VALU_DEP_2) | instskip(SKIP_2) | instid1(VALU_DEP_1)
	v_rcp_f64_e32 v[11:12], v[9:10]
	s_waitcnt_depctr 0xfff
	v_fma_f64 v[27:28], -v[9:10], v[11:12], 1.0
	v_fma_f64 v[11:12], v[11:12], v[27:28], v[11:12]
	s_delay_alu instid0(VALU_DEP_1) | instskip(NEXT) | instid1(VALU_DEP_1)
	v_fma_f64 v[27:28], -v[9:10], v[11:12], 1.0
	v_fma_f64 v[11:12], v[11:12], v[27:28], v[11:12]
	s_delay_alu instid0(VALU_DEP_1) | instskip(NEXT) | instid1(VALU_DEP_1)
	v_mul_f64 v[27:28], v[29:30], v[11:12]
	v_fma_f64 v[9:10], -v[9:10], v[27:28], v[29:30]
	s_delay_alu instid0(VALU_DEP_1) | instskip(NEXT) | instid1(VALU_DEP_1)
	v_div_fmas_f64 v[9:10], v[9:10], v[11:12], v[27:28]
	v_div_fixup_f64 v[9:10], v[9:10], v[17:18], v[19:20]
	s_delay_alu instid0(VALU_DEP_1) | instskip(NEXT) | instid1(VALU_DEP_1)
	v_fma_f64 v[11:12], v[19:20], v[9:10], v[17:18]
	v_div_scale_f64 v[17:18], null, v[11:12], v[11:12], 1.0
	v_div_scale_f64 v[29:30], vcc_lo, 1.0, v[11:12], 1.0
	s_delay_alu instid0(VALU_DEP_2) | instskip(SKIP_2) | instid1(VALU_DEP_1)
	v_rcp_f64_e32 v[19:20], v[17:18]
	s_waitcnt_depctr 0xfff
	v_fma_f64 v[27:28], -v[17:18], v[19:20], 1.0
	v_fma_f64 v[19:20], v[19:20], v[27:28], v[19:20]
	s_delay_alu instid0(VALU_DEP_1) | instskip(NEXT) | instid1(VALU_DEP_1)
	v_fma_f64 v[27:28], -v[17:18], v[19:20], 1.0
	v_fma_f64 v[19:20], v[19:20], v[27:28], v[19:20]
	s_delay_alu instid0(VALU_DEP_1) | instskip(NEXT) | instid1(VALU_DEP_1)
	v_mul_f64 v[27:28], v[29:30], v[19:20]
	v_fma_f64 v[17:18], -v[17:18], v[27:28], v[29:30]
	s_delay_alu instid0(VALU_DEP_1) | instskip(SKIP_1) | instid1(VALU_DEP_2)
	v_div_fmas_f64 v[17:18], v[17:18], v[19:20], v[27:28]
	v_fma_f64 v[19:20], v[9:10], v[23:24], v[21:22]
	v_div_fixup_f64 v[11:12], v[17:18], v[11:12], 1.0
	v_fma_f64 v[17:18], -v[9:10], v[21:22], v[23:24]
	s_delay_alu instid0(VALU_DEP_2) | instskip(NEXT) | instid1(VALU_DEP_2)
	v_mul_f64 v[9:10], v[19:20], v[11:12]
	v_mul_f64 v[11:12], v[17:18], v[11:12]
.LBB203_69:
	s_add_i32 s7, s7, s5
	s_add_i32 s6, s6, s5
	s_lshl_b32 s7, s7, 4
	s_lshl_b32 s6, s6, 4
	v_mov_b32_e32 v17, s7
	v_mov_b32_e32 v21, s6
	s_add_i32 s4, s4, s5
	ds_store_b128 v26, v[9:12]
	s_lshl_b32 s4, s4, 4
	ds_load_b128 v[17:20], v17
	ds_load_b128 v[21:24], v21
	s_waitcnt lgkmcnt(1)
	v_mul_f64 v[27:28], v[7:8], v[19:20]
	v_mul_f64 v[19:20], v[5:6], v[19:20]
	s_delay_alu instid0(VALU_DEP_2) | instskip(SKIP_1) | instid1(VALU_DEP_3)
	v_fma_f64 v[27:28], v[5:6], v[17:18], -v[27:28]
	v_mov_b32_e32 v5, s4
	v_fma_f64 v[31:32], v[7:8], v[17:18], v[19:20]
	s_add_i32 s4, s10, 0xffffffb0
	ds_load_b128 v[17:20], v5
	s_waitcnt lgkmcnt(1)
	v_mul_f64 v[29:30], v[15:16], v[23:24]
	v_mul_f64 v[23:24], v[13:14], v[23:24]
	v_mov_b32_e32 v5, s4
	ds_load_b128 v[5:8], v5
	s_waitcnt lgkmcnt(1)
	v_mul_f64 v[33:34], v[11:12], v[19:20]
	v_mul_f64 v[19:20], v[9:10], v[19:20]
	s_waitcnt lgkmcnt(0)
	v_cmp_gt_f64_e32 vcc_lo, 0, v[5:6]
	v_add_f64 v[1:2], v[1:2], -v[27:28]
	v_add_f64 v[3:4], v[3:4], -v[31:32]
	v_fma_f64 v[13:14], v[13:14], v[21:22], -v[29:30]
	v_fma_f64 v[15:16], v[15:16], v[21:22], v[23:24]
	v_fma_f64 v[21:22], v[9:10], v[17:18], -v[33:34]
	v_fma_f64 v[17:18], v[11:12], v[17:18], v[19:20]
	s_delay_alu instid0(VALU_DEP_4) | instskip(SKIP_4) | instid1(VALU_DEP_4)
	v_add_f64 v[1:2], v[1:2], -v[13:14]
	v_xor_b32_e32 v14, 0x80000000, v6
	v_add_f64 v[3:4], v[3:4], -v[15:16]
	v_xor_b32_e32 v16, 0x80000000, v8
	v_mov_b32_e32 v13, v5
	v_dual_mov_b32 v15, v7 :: v_dual_cndmask_b32 v14, v6, v14
	v_cmp_gt_f64_e32 vcc_lo, 0, v[7:8]
	s_delay_alu instid0(VALU_DEP_4) | instskip(NEXT) | instid1(VALU_DEP_1)
	v_cndmask_b32_e32 v16, v8, v16, vcc_lo
	v_cmp_ngt_f64_e32 vcc_lo, v[13:14], v[15:16]
	v_add_f64 v[13:14], v[1:2], -v[21:22]
	v_add_f64 v[15:16], v[3:4], -v[17:18]
	s_cbranch_vccz .LBB203_71
; %bb.70:
	v_div_scale_f64 v[1:2], null, v[7:8], v[7:8], v[5:6]
	v_div_scale_f64 v[11:12], vcc_lo, v[5:6], v[7:8], v[5:6]
	s_mov_b32 s4, 0
	s_delay_alu instid0(VALU_DEP_2) | instskip(SKIP_2) | instid1(VALU_DEP_1)
	v_rcp_f64_e32 v[3:4], v[1:2]
	s_waitcnt_depctr 0xfff
	v_fma_f64 v[9:10], -v[1:2], v[3:4], 1.0
	v_fma_f64 v[3:4], v[3:4], v[9:10], v[3:4]
	s_delay_alu instid0(VALU_DEP_1) | instskip(NEXT) | instid1(VALU_DEP_1)
	v_fma_f64 v[9:10], -v[1:2], v[3:4], 1.0
	v_fma_f64 v[3:4], v[3:4], v[9:10], v[3:4]
	s_delay_alu instid0(VALU_DEP_1) | instskip(NEXT) | instid1(VALU_DEP_1)
	v_mul_f64 v[9:10], v[11:12], v[3:4]
	v_fma_f64 v[1:2], -v[1:2], v[9:10], v[11:12]
	s_delay_alu instid0(VALU_DEP_1) | instskip(NEXT) | instid1(VALU_DEP_1)
	v_div_fmas_f64 v[1:2], v[1:2], v[3:4], v[9:10]
	v_div_fixup_f64 v[1:2], v[1:2], v[7:8], v[5:6]
	s_delay_alu instid0(VALU_DEP_1) | instskip(NEXT) | instid1(VALU_DEP_1)
	v_fma_f64 v[3:4], v[5:6], v[1:2], v[7:8]
	v_div_scale_f64 v[9:10], null, v[3:4], v[3:4], 1.0
	v_div_scale_f64 v[19:20], vcc_lo, 1.0, v[3:4], 1.0
	s_delay_alu instid0(VALU_DEP_2) | instskip(SKIP_2) | instid1(VALU_DEP_1)
	v_rcp_f64_e32 v[11:12], v[9:10]
	s_waitcnt_depctr 0xfff
	v_fma_f64 v[17:18], -v[9:10], v[11:12], 1.0
	v_fma_f64 v[11:12], v[11:12], v[17:18], v[11:12]
	s_delay_alu instid0(VALU_DEP_1) | instskip(NEXT) | instid1(VALU_DEP_1)
	v_fma_f64 v[17:18], -v[9:10], v[11:12], 1.0
	v_fma_f64 v[11:12], v[11:12], v[17:18], v[11:12]
	s_delay_alu instid0(VALU_DEP_1) | instskip(NEXT) | instid1(VALU_DEP_1)
	v_mul_f64 v[17:18], v[19:20], v[11:12]
	v_fma_f64 v[9:10], -v[9:10], v[17:18], v[19:20]
	s_delay_alu instid0(VALU_DEP_1) | instskip(SKIP_1) | instid1(VALU_DEP_2)
	v_div_fmas_f64 v[9:10], v[9:10], v[11:12], v[17:18]
	v_fma_f64 v[11:12], v[1:2], v[13:14], v[15:16]
	v_div_fixup_f64 v[3:4], v[9:10], v[3:4], 1.0
	v_fma_f64 v[9:10], v[1:2], v[15:16], -v[13:14]
	s_delay_alu instid0(VALU_DEP_2) | instskip(NEXT) | instid1(VALU_DEP_2)
	v_mul_f64 v[1:2], v[11:12], v[3:4]
	v_mul_f64 v[3:4], v[9:10], v[3:4]
	s_branch .LBB203_72
.LBB203_71:
	s_mov_b32 s4, -1
                                        ; implicit-def: $vgpr3_vgpr4
.LBB203_72:
	v_add_nc_u32_e32 v9, 0x100, v25
	s_and_not1_b32 vcc_lo, exec_lo, s4
	s_cbranch_vccnz .LBB203_74
; %bb.73:
	v_div_scale_f64 v[1:2], null, v[5:6], v[5:6], v[7:8]
	v_div_scale_f64 v[17:18], vcc_lo, v[7:8], v[5:6], v[7:8]
	s_delay_alu instid0(VALU_DEP_2) | instskip(SKIP_2) | instid1(VALU_DEP_1)
	v_rcp_f64_e32 v[3:4], v[1:2]
	s_waitcnt_depctr 0xfff
	v_fma_f64 v[10:11], -v[1:2], v[3:4], 1.0
	v_fma_f64 v[3:4], v[3:4], v[10:11], v[3:4]
	s_delay_alu instid0(VALU_DEP_1) | instskip(NEXT) | instid1(VALU_DEP_1)
	v_fma_f64 v[10:11], -v[1:2], v[3:4], 1.0
	v_fma_f64 v[3:4], v[3:4], v[10:11], v[3:4]
	s_delay_alu instid0(VALU_DEP_1) | instskip(NEXT) | instid1(VALU_DEP_1)
	v_mul_f64 v[10:11], v[17:18], v[3:4]
	v_fma_f64 v[1:2], -v[1:2], v[10:11], v[17:18]
	s_delay_alu instid0(VALU_DEP_1) | instskip(NEXT) | instid1(VALU_DEP_1)
	v_div_fmas_f64 v[1:2], v[1:2], v[3:4], v[10:11]
	v_div_fixup_f64 v[1:2], v[1:2], v[5:6], v[7:8]
	s_delay_alu instid0(VALU_DEP_1) | instskip(NEXT) | instid1(VALU_DEP_1)
	v_fma_f64 v[3:4], v[7:8], v[1:2], v[5:6]
	v_div_scale_f64 v[5:6], null, v[3:4], v[3:4], 1.0
	v_div_scale_f64 v[17:18], vcc_lo, 1.0, v[3:4], 1.0
	s_delay_alu instid0(VALU_DEP_2) | instskip(SKIP_2) | instid1(VALU_DEP_1)
	v_rcp_f64_e32 v[7:8], v[5:6]
	s_waitcnt_depctr 0xfff
	v_fma_f64 v[10:11], -v[5:6], v[7:8], 1.0
	v_fma_f64 v[7:8], v[7:8], v[10:11], v[7:8]
	s_delay_alu instid0(VALU_DEP_1) | instskip(NEXT) | instid1(VALU_DEP_1)
	v_fma_f64 v[10:11], -v[5:6], v[7:8], 1.0
	v_fma_f64 v[7:8], v[7:8], v[10:11], v[7:8]
	s_delay_alu instid0(VALU_DEP_1) | instskip(NEXT) | instid1(VALU_DEP_1)
	v_mul_f64 v[10:11], v[17:18], v[7:8]
	v_fma_f64 v[5:6], -v[5:6], v[10:11], v[17:18]
	s_delay_alu instid0(VALU_DEP_1) | instskip(SKIP_1) | instid1(VALU_DEP_2)
	v_div_fmas_f64 v[5:6], v[5:6], v[7:8], v[10:11]
	v_fma_f64 v[7:8], v[1:2], v[15:16], v[13:14]
	v_div_fixup_f64 v[3:4], v[5:6], v[3:4], 1.0
	v_fma_f64 v[5:6], -v[1:2], v[13:14], v[15:16]
	s_delay_alu instid0(VALU_DEP_2) | instskip(NEXT) | instid1(VALU_DEP_2)
	v_mul_f64 v[1:2], v[7:8], v[3:4]
	v_mul_f64 v[3:4], v[5:6], v[3:4]
.LBB203_74:
	s_add_i32 s4, s29, -5
	ds_store_b128 v9, v[1:4]
.LBB203_75:
	s_cmp_lt_i32 s4, 0
	s_cbranch_scc1 .LBB203_84
; %bb.76:
	s_lshl_b32 s5, s29, 6
	s_lshl_b32 s6, s4, 4
	v_lshl_or_b32 v1, v0, 4, s5
	v_lshlrev_b32_e32 v14, 4, v0
	s_add_i32 s5, s5, s6
	s_delay_alu instid0(SALU_CYCLE_1) | instskip(NEXT) | instid1(VALU_DEP_2)
	s_sub_i32 s5, s5, 64
	v_add_nc_u32_e32 v13, 0xc0, v1
	s_branch .LBB203_78
.LBB203_77:                             ;   in Loop: Header=BB203_78 Depth=1
	s_add_i32 s6, s4, -1
	s_add_i32 s5, s5, -16
	s_cmp_lt_i32 s4, 1
	s_mov_b32 s4, s6
	ds_store_b128 v15, v[9:12]
	s_cbranch_scc1 .LBB203_84
.LBB203_78:                             ; =>This Loop Header: Depth=1
                                        ;     Child Loop BB203_79 Depth 2
	v_lshl_or_b32 v5, s4, 6, v14
	s_delay_alu instid0(VALU_DEP_2)
	v_mov_b32_e32 v6, v13
	s_cmp_le_i32 s30, s4
	s_mov_b32 s6, s5
	s_mov_b32 s7, s30
	ds_load_b128 v[1:4], v5 offset:256
	s_cbranch_scc1 .LBB203_80
	.p2align	6
.LBB203_79:                             ;   Parent Loop BB203_78 Depth=1
                                        ; =>  This Inner Loop Header: Depth=2
	v_mov_b32_e32 v11, s6
	s_add_i32 s7, s7, -1
	s_sub_i32 s6, s6, 64
	s_cmp_le_i32 s7, s4
	ds_load_b128 v[7:10], v6
	ds_load_b128 v[15:18], v11
	v_subrev_nc_u32_e32 v6, 64, v6
	s_waitcnt lgkmcnt(0)
	v_mul_f64 v[11:12], v[17:18], v[9:10]
	v_mul_f64 v[9:10], v[15:16], v[9:10]
	s_delay_alu instid0(VALU_DEP_2) | instskip(NEXT) | instid1(VALU_DEP_2)
	v_fma_f64 v[11:12], v[15:16], v[7:8], -v[11:12]
	v_fma_f64 v[7:8], v[17:18], v[7:8], v[9:10]
	s_delay_alu instid0(VALU_DEP_2) | instskip(NEXT) | instid1(VALU_DEP_2)
	v_add_f64 v[1:2], v[1:2], -v[11:12]
	v_add_f64 v[3:4], v[3:4], -v[7:8]
	s_cbranch_scc0 .LBB203_79
.LBB203_80:                             ;   in Loop: Header=BB203_78 Depth=1
	s_mul_i32 s6, s4, 0x50
	v_add_nc_u32_e32 v15, 0x100, v5
	v_mov_b32_e32 v5, s6
	ds_load_b128 v[5:8], v5
	s_waitcnt lgkmcnt(0)
	v_cmp_gt_f64_e32 vcc_lo, 0, v[5:6]
	v_xor_b32_e32 v10, 0x80000000, v6
	v_xor_b32_e32 v11, 0x80000000, v8
	s_delay_alu instid0(VALU_DEP_2) | instskip(SKIP_1) | instid1(VALU_DEP_3)
	v_dual_mov_b32 v9, v5 :: v_dual_cndmask_b32 v10, v6, v10
	v_cmp_gt_f64_e32 vcc_lo, 0, v[7:8]
	v_dual_cndmask_b32 v12, v8, v11 :: v_dual_mov_b32 v11, v7
	s_delay_alu instid0(VALU_DEP_1)
	v_cmp_ngt_f64_e32 vcc_lo, v[9:10], v[11:12]
	s_cbranch_vccz .LBB203_82
; %bb.81:                               ;   in Loop: Header=BB203_78 Depth=1
	v_div_scale_f64 v[9:10], null, v[7:8], v[7:8], v[5:6]
	v_div_scale_f64 v[18:19], vcc_lo, v[5:6], v[7:8], v[5:6]
	s_delay_alu instid0(VALU_DEP_2) | instskip(SKIP_2) | instid1(VALU_DEP_1)
	v_rcp_f64_e32 v[11:12], v[9:10]
	s_waitcnt_depctr 0xfff
	v_fma_f64 v[16:17], -v[9:10], v[11:12], 1.0
	v_fma_f64 v[11:12], v[11:12], v[16:17], v[11:12]
	s_delay_alu instid0(VALU_DEP_1) | instskip(NEXT) | instid1(VALU_DEP_1)
	v_fma_f64 v[16:17], -v[9:10], v[11:12], 1.0
	v_fma_f64 v[11:12], v[11:12], v[16:17], v[11:12]
	s_delay_alu instid0(VALU_DEP_1) | instskip(NEXT) | instid1(VALU_DEP_1)
	v_mul_f64 v[16:17], v[18:19], v[11:12]
	v_fma_f64 v[9:10], -v[9:10], v[16:17], v[18:19]
	s_delay_alu instid0(VALU_DEP_1) | instskip(NEXT) | instid1(VALU_DEP_1)
	v_div_fmas_f64 v[9:10], v[9:10], v[11:12], v[16:17]
	v_div_fixup_f64 v[9:10], v[9:10], v[7:8], v[5:6]
	s_delay_alu instid0(VALU_DEP_1) | instskip(NEXT) | instid1(VALU_DEP_1)
	v_fma_f64 v[11:12], v[5:6], v[9:10], v[7:8]
	v_div_scale_f64 v[16:17], null, v[11:12], v[11:12], 1.0
	v_div_scale_f64 v[22:23], vcc_lo, 1.0, v[11:12], 1.0
	s_delay_alu instid0(VALU_DEP_2) | instskip(SKIP_2) | instid1(VALU_DEP_1)
	v_rcp_f64_e32 v[18:19], v[16:17]
	s_waitcnt_depctr 0xfff
	v_fma_f64 v[20:21], -v[16:17], v[18:19], 1.0
	v_fma_f64 v[18:19], v[18:19], v[20:21], v[18:19]
	s_delay_alu instid0(VALU_DEP_1) | instskip(NEXT) | instid1(VALU_DEP_1)
	v_fma_f64 v[20:21], -v[16:17], v[18:19], 1.0
	v_fma_f64 v[18:19], v[18:19], v[20:21], v[18:19]
	s_delay_alu instid0(VALU_DEP_1) | instskip(NEXT) | instid1(VALU_DEP_1)
	v_mul_f64 v[20:21], v[22:23], v[18:19]
	v_fma_f64 v[16:17], -v[16:17], v[20:21], v[22:23]
	s_delay_alu instid0(VALU_DEP_1) | instskip(SKIP_1) | instid1(VALU_DEP_2)
	v_div_fmas_f64 v[16:17], v[16:17], v[18:19], v[20:21]
	v_fma_f64 v[18:19], v[1:2], v[9:10], v[3:4]
	v_div_fixup_f64 v[11:12], v[16:17], v[11:12], 1.0
	v_fma_f64 v[16:17], v[3:4], v[9:10], -v[1:2]
	s_delay_alu instid0(VALU_DEP_2) | instskip(NEXT) | instid1(VALU_DEP_2)
	v_mul_f64 v[9:10], v[18:19], v[11:12]
	v_mul_f64 v[11:12], v[16:17], v[11:12]
	s_cbranch_execnz .LBB203_77
	s_branch .LBB203_83
.LBB203_82:                             ;   in Loop: Header=BB203_78 Depth=1
                                        ; implicit-def: $vgpr9_vgpr10
.LBB203_83:                             ;   in Loop: Header=BB203_78 Depth=1
	v_div_scale_f64 v[9:10], null, v[5:6], v[5:6], v[7:8]
	v_div_scale_f64 v[18:19], vcc_lo, v[7:8], v[5:6], v[7:8]
	s_delay_alu instid0(VALU_DEP_2) | instskip(SKIP_2) | instid1(VALU_DEP_1)
	v_rcp_f64_e32 v[11:12], v[9:10]
	s_waitcnt_depctr 0xfff
	v_fma_f64 v[16:17], -v[9:10], v[11:12], 1.0
	v_fma_f64 v[11:12], v[11:12], v[16:17], v[11:12]
	s_delay_alu instid0(VALU_DEP_1) | instskip(NEXT) | instid1(VALU_DEP_1)
	v_fma_f64 v[16:17], -v[9:10], v[11:12], 1.0
	v_fma_f64 v[11:12], v[11:12], v[16:17], v[11:12]
	s_delay_alu instid0(VALU_DEP_1) | instskip(NEXT) | instid1(VALU_DEP_1)
	v_mul_f64 v[16:17], v[18:19], v[11:12]
	v_fma_f64 v[9:10], -v[9:10], v[16:17], v[18:19]
	s_delay_alu instid0(VALU_DEP_1) | instskip(NEXT) | instid1(VALU_DEP_1)
	v_div_fmas_f64 v[9:10], v[9:10], v[11:12], v[16:17]
	v_div_fixup_f64 v[9:10], v[9:10], v[5:6], v[7:8]
	s_delay_alu instid0(VALU_DEP_1) | instskip(NEXT) | instid1(VALU_DEP_1)
	v_fma_f64 v[5:6], v[7:8], v[9:10], v[5:6]
	v_div_scale_f64 v[7:8], null, v[5:6], v[5:6], 1.0
	v_div_scale_f64 v[18:19], vcc_lo, 1.0, v[5:6], 1.0
	s_delay_alu instid0(VALU_DEP_2) | instskip(SKIP_2) | instid1(VALU_DEP_1)
	v_rcp_f64_e32 v[11:12], v[7:8]
	s_waitcnt_depctr 0xfff
	v_fma_f64 v[16:17], -v[7:8], v[11:12], 1.0
	v_fma_f64 v[11:12], v[11:12], v[16:17], v[11:12]
	s_delay_alu instid0(VALU_DEP_1) | instskip(NEXT) | instid1(VALU_DEP_1)
	v_fma_f64 v[16:17], -v[7:8], v[11:12], 1.0
	v_fma_f64 v[11:12], v[11:12], v[16:17], v[11:12]
	s_delay_alu instid0(VALU_DEP_1) | instskip(NEXT) | instid1(VALU_DEP_1)
	v_mul_f64 v[16:17], v[18:19], v[11:12]
	v_fma_f64 v[7:8], -v[7:8], v[16:17], v[18:19]
	s_delay_alu instid0(VALU_DEP_1) | instskip(SKIP_2) | instid1(VALU_DEP_3)
	v_div_fmas_f64 v[7:8], v[7:8], v[11:12], v[16:17]
	v_fma_f64 v[11:12], v[3:4], v[9:10], v[1:2]
	v_fma_f64 v[1:2], -v[1:2], v[9:10], v[3:4]
	v_div_fixup_f64 v[5:6], v[7:8], v[5:6], 1.0
	s_delay_alu instid0(VALU_DEP_1) | instskip(NEXT) | instid1(VALU_DEP_3)
	v_mul_f64 v[9:10], v[11:12], v[5:6]
	v_mul_f64 v[11:12], v[1:2], v[5:6]
	s_branch .LBB203_77
.LBB203_84:
	s_mov_b32 s5, 0
.LBB203_85:
	s_delay_alu instid0(SALU_CYCLE_1)
	s_and_not1_b32 vcc_lo, exec_lo, s5
	s_cbranch_vccnz .LBB203_113
; %bb.86:
	s_and_b32 vcc_lo, exec_lo, s1
	s_mov_b32 s1, s30
	s_cbranch_vccz .LBB203_104
; %bb.87:
	s_mul_i32 s7, s30, 0x50
	s_add_i32 s5, s29, -2
	v_mov_b32_e32 v1, s7
	s_add_i32 s1, s29, -3
	s_lshl_b32 s10, s5, 2
	s_lshl_b32 s4, s29, 2
	;; [unrolled: 1-line block ×3, first 2 shown]
	ds_load_b128 v[17:20], v1
	s_add_i32 s4, s4, -16
	s_waitcnt lgkmcnt(0)
	v_cmp_gt_f64_e32 vcc_lo, 0, v[17:18]
	v_xor_b32_e32 v2, 0x80000000, v18
	v_xor_b32_e32 v3, 0x80000000, v20
	s_delay_alu instid0(VALU_DEP_2) | instskip(SKIP_1) | instid1(VALU_DEP_3)
	v_cndmask_b32_e32 v2, v18, v2, vcc_lo
	v_cmp_gt_f64_e32 vcc_lo, 0, v[19:20]
	v_dual_mov_b32 v1, v17 :: v_dual_cndmask_b32 v4, v20, v3
	v_mov_b32_e32 v3, v19
	s_delay_alu instid0(VALU_DEP_1) | instskip(SKIP_4) | instid1(VALU_DEP_4)
	v_cmp_ngt_f64_e32 vcc_lo, v[1:2], v[3:4]
	v_lshlrev_b32_e32 v1, 4, v0
	v_or_b32_e32 v2, s10, v0
	v_or_b32_e32 v3, s6, v0
	;; [unrolled: 1-line block ×3, first 2 shown]
	v_lshl_or_b32 v28, s30, 6, v1
	s_delay_alu instid0(VALU_DEP_4) | instskip(NEXT) | instid1(VALU_DEP_4)
	v_lshlrev_b32_e32 v27, 4, v2
	v_lshlrev_b32_e32 v26, 4, v3
	s_delay_alu instid0(VALU_DEP_4)
	v_lshlrev_b32_e32 v25, 4, v4
	ds_load_b128 v[21:24], v28 offset:256
	ds_load_b128 v[13:16], v27 offset:256
	;; [unrolled: 1-line block ×4, first 2 shown]
	s_cbranch_vccz .LBB203_89
; %bb.88:
	v_div_scale_f64 v[5:6], null, v[19:20], v[19:20], v[17:18]
	v_div_scale_f64 v[31:32], vcc_lo, v[17:18], v[19:20], v[17:18]
	s_delay_alu instid0(VALU_DEP_2) | instskip(SKIP_2) | instid1(VALU_DEP_1)
	v_rcp_f64_e32 v[7:8], v[5:6]
	s_waitcnt_depctr 0xfff
	v_fma_f64 v[29:30], -v[5:6], v[7:8], 1.0
	v_fma_f64 v[7:8], v[7:8], v[29:30], v[7:8]
	s_delay_alu instid0(VALU_DEP_1) | instskip(NEXT) | instid1(VALU_DEP_1)
	v_fma_f64 v[29:30], -v[5:6], v[7:8], 1.0
	v_fma_f64 v[7:8], v[7:8], v[29:30], v[7:8]
	s_delay_alu instid0(VALU_DEP_1) | instskip(NEXT) | instid1(VALU_DEP_1)
	v_mul_f64 v[29:30], v[31:32], v[7:8]
	v_fma_f64 v[5:6], -v[5:6], v[29:30], v[31:32]
	s_delay_alu instid0(VALU_DEP_1) | instskip(NEXT) | instid1(VALU_DEP_1)
	v_div_fmas_f64 v[5:6], v[5:6], v[7:8], v[29:30]
	v_div_fixup_f64 v[5:6], v[5:6], v[19:20], v[17:18]
	s_delay_alu instid0(VALU_DEP_1) | instskip(NEXT) | instid1(VALU_DEP_1)
	v_fma_f64 v[7:8], v[17:18], v[5:6], v[19:20]
	v_div_scale_f64 v[29:30], null, v[7:8], v[7:8], 1.0
	v_div_scale_f64 v[35:36], vcc_lo, 1.0, v[7:8], 1.0
	s_delay_alu instid0(VALU_DEP_2) | instskip(SKIP_2) | instid1(VALU_DEP_1)
	v_rcp_f64_e32 v[31:32], v[29:30]
	s_waitcnt_depctr 0xfff
	v_fma_f64 v[33:34], -v[29:30], v[31:32], 1.0
	v_fma_f64 v[31:32], v[31:32], v[33:34], v[31:32]
	s_delay_alu instid0(VALU_DEP_1) | instskip(NEXT) | instid1(VALU_DEP_1)
	v_fma_f64 v[33:34], -v[29:30], v[31:32], 1.0
	v_fma_f64 v[31:32], v[31:32], v[33:34], v[31:32]
	s_delay_alu instid0(VALU_DEP_1) | instskip(NEXT) | instid1(VALU_DEP_1)
	v_mul_f64 v[33:34], v[35:36], v[31:32]
	v_fma_f64 v[29:30], -v[29:30], v[33:34], v[35:36]
	s_delay_alu instid0(VALU_DEP_1) | instskip(SKIP_2) | instid1(VALU_DEP_2)
	v_div_fmas_f64 v[29:30], v[29:30], v[31:32], v[33:34]
	s_waitcnt lgkmcnt(3)
	v_fma_f64 v[31:32], v[21:22], v[5:6], v[23:24]
	v_div_fixup_f64 v[7:8], v[29:30], v[7:8], 1.0
	v_fma_f64 v[29:30], v[23:24], v[5:6], -v[21:22]
	s_delay_alu instid0(VALU_DEP_2) | instskip(NEXT) | instid1(VALU_DEP_2)
	v_mul_f64 v[5:6], v[31:32], v[7:8]
	v_mul_f64 v[7:8], v[29:30], v[7:8]
	v_add_nc_u32_e32 v28, 0x100, v28
	s_cbranch_execz .LBB203_90
	s_branch .LBB203_91
.LBB203_89:
                                        ; implicit-def: $vgpr7_vgpr8
	v_add_nc_u32_e32 v28, 0x100, v28
.LBB203_90:
	v_div_scale_f64 v[5:6], null, v[17:18], v[17:18], v[19:20]
	v_div_scale_f64 v[31:32], vcc_lo, v[19:20], v[17:18], v[19:20]
	s_delay_alu instid0(VALU_DEP_2) | instskip(SKIP_2) | instid1(VALU_DEP_1)
	v_rcp_f64_e32 v[7:8], v[5:6]
	s_waitcnt_depctr 0xfff
	v_fma_f64 v[29:30], -v[5:6], v[7:8], 1.0
	v_fma_f64 v[7:8], v[7:8], v[29:30], v[7:8]
	s_delay_alu instid0(VALU_DEP_1) | instskip(NEXT) | instid1(VALU_DEP_1)
	v_fma_f64 v[29:30], -v[5:6], v[7:8], 1.0
	v_fma_f64 v[7:8], v[7:8], v[29:30], v[7:8]
	s_delay_alu instid0(VALU_DEP_1) | instskip(NEXT) | instid1(VALU_DEP_1)
	v_mul_f64 v[29:30], v[31:32], v[7:8]
	v_fma_f64 v[5:6], -v[5:6], v[29:30], v[31:32]
	s_delay_alu instid0(VALU_DEP_1) | instskip(NEXT) | instid1(VALU_DEP_1)
	v_div_fmas_f64 v[5:6], v[5:6], v[7:8], v[29:30]
	v_div_fixup_f64 v[5:6], v[5:6], v[17:18], v[19:20]
	s_delay_alu instid0(VALU_DEP_1) | instskip(NEXT) | instid1(VALU_DEP_1)
	v_fma_f64 v[7:8], v[19:20], v[5:6], v[17:18]
	v_div_scale_f64 v[17:18], null, v[7:8], v[7:8], 1.0
	v_div_scale_f64 v[31:32], vcc_lo, 1.0, v[7:8], 1.0
	s_delay_alu instid0(VALU_DEP_2) | instskip(SKIP_2) | instid1(VALU_DEP_1)
	v_rcp_f64_e32 v[19:20], v[17:18]
	s_waitcnt_depctr 0xfff
	v_fma_f64 v[29:30], -v[17:18], v[19:20], 1.0
	v_fma_f64 v[19:20], v[19:20], v[29:30], v[19:20]
	s_delay_alu instid0(VALU_DEP_1) | instskip(NEXT) | instid1(VALU_DEP_1)
	v_fma_f64 v[29:30], -v[17:18], v[19:20], 1.0
	v_fma_f64 v[19:20], v[19:20], v[29:30], v[19:20]
	s_delay_alu instid0(VALU_DEP_1) | instskip(NEXT) | instid1(VALU_DEP_1)
	v_mul_f64 v[29:30], v[31:32], v[19:20]
	v_fma_f64 v[17:18], -v[17:18], v[29:30], v[31:32]
	s_delay_alu instid0(VALU_DEP_1) | instskip(SKIP_2) | instid1(VALU_DEP_2)
	v_div_fmas_f64 v[17:18], v[17:18], v[19:20], v[29:30]
	s_waitcnt lgkmcnt(3)
	v_fma_f64 v[19:20], v[23:24], v[5:6], v[21:22]
	v_div_fixup_f64 v[7:8], v[17:18], v[7:8], 1.0
	v_fma_f64 v[17:18], -v[21:22], v[5:6], v[23:24]
	s_delay_alu instid0(VALU_DEP_2) | instskip(NEXT) | instid1(VALU_DEP_2)
	v_mul_f64 v[5:6], v[19:20], v[7:8]
	v_mul_f64 v[7:8], v[17:18], v[7:8]
.LBB203_91:
	s_add_i32 s10, s10, s30
	s_addk_i32 s7, 0xffb0
	s_lshl_b32 s10, s10, 4
	ds_store_b128 v28, v[5:8]
	v_mov_b32_e32 v17, s10
	s_waitcnt lgkmcnt(4)
	ds_load_b128 v[21:24], v17
	v_mov_b32_e32 v17, s7
	ds_load_b128 v[17:20], v17
	s_waitcnt lgkmcnt(1)
	v_mul_f64 v[29:30], v[7:8], v[23:24]
	v_mul_f64 v[23:24], v[5:6], v[23:24]
	s_waitcnt lgkmcnt(0)
	v_cmp_gt_f64_e32 vcc_lo, 0, v[17:18]
	v_xor_b32_e32 v32, 0x80000000, v20
	v_mov_b32_e32 v31, v19
	v_fma_f64 v[29:30], v[5:6], v[21:22], -v[29:30]
	v_fma_f64 v[23:24], v[7:8], v[21:22], v[23:24]
	v_xor_b32_e32 v22, 0x80000000, v18
	s_delay_alu instid0(VALU_DEP_1) | instskip(SKIP_1) | instid1(VALU_DEP_4)
	v_dual_mov_b32 v21, v17 :: v_dual_cndmask_b32 v22, v18, v22
	v_cmp_gt_f64_e32 vcc_lo, 0, v[19:20]
	v_add_f64 v[23:24], v[15:16], -v[23:24]
	v_cndmask_b32_e32 v32, v20, v32, vcc_lo
	s_delay_alu instid0(VALU_DEP_1)
	v_cmp_ngt_f64_e32 vcc_lo, v[21:22], v[31:32]
	v_add_f64 v[21:22], v[13:14], -v[29:30]
	s_cbranch_vccz .LBB203_93
; %bb.92:
	v_div_scale_f64 v[13:14], null, v[19:20], v[19:20], v[17:18]
	v_div_scale_f64 v[30:31], vcc_lo, v[17:18], v[19:20], v[17:18]
	s_delay_alu instid0(VALU_DEP_2) | instskip(SKIP_2) | instid1(VALU_DEP_1)
	v_rcp_f64_e32 v[15:16], v[13:14]
	s_waitcnt_depctr 0xfff
	v_fma_f64 v[28:29], -v[13:14], v[15:16], 1.0
	v_fma_f64 v[15:16], v[15:16], v[28:29], v[15:16]
	s_delay_alu instid0(VALU_DEP_1) | instskip(NEXT) | instid1(VALU_DEP_1)
	v_fma_f64 v[28:29], -v[13:14], v[15:16], 1.0
	v_fma_f64 v[15:16], v[15:16], v[28:29], v[15:16]
	s_delay_alu instid0(VALU_DEP_1) | instskip(NEXT) | instid1(VALU_DEP_1)
	v_mul_f64 v[28:29], v[30:31], v[15:16]
	v_fma_f64 v[13:14], -v[13:14], v[28:29], v[30:31]
	s_delay_alu instid0(VALU_DEP_1) | instskip(NEXT) | instid1(VALU_DEP_1)
	v_div_fmas_f64 v[13:14], v[13:14], v[15:16], v[28:29]
	v_div_fixup_f64 v[13:14], v[13:14], v[19:20], v[17:18]
	s_delay_alu instid0(VALU_DEP_1) | instskip(NEXT) | instid1(VALU_DEP_1)
	v_fma_f64 v[15:16], v[17:18], v[13:14], v[19:20]
	v_div_scale_f64 v[28:29], null, v[15:16], v[15:16], 1.0
	v_div_scale_f64 v[34:35], vcc_lo, 1.0, v[15:16], 1.0
	s_delay_alu instid0(VALU_DEP_2) | instskip(SKIP_2) | instid1(VALU_DEP_1)
	v_rcp_f64_e32 v[30:31], v[28:29]
	s_waitcnt_depctr 0xfff
	v_fma_f64 v[32:33], -v[28:29], v[30:31], 1.0
	v_fma_f64 v[30:31], v[30:31], v[32:33], v[30:31]
	s_delay_alu instid0(VALU_DEP_1) | instskip(NEXT) | instid1(VALU_DEP_1)
	v_fma_f64 v[32:33], -v[28:29], v[30:31], 1.0
	v_fma_f64 v[30:31], v[30:31], v[32:33], v[30:31]
	s_delay_alu instid0(VALU_DEP_1) | instskip(NEXT) | instid1(VALU_DEP_1)
	v_mul_f64 v[32:33], v[34:35], v[30:31]
	v_fma_f64 v[28:29], -v[28:29], v[32:33], v[34:35]
	s_delay_alu instid0(VALU_DEP_1) | instskip(SKIP_1) | instid1(VALU_DEP_2)
	v_div_fmas_f64 v[28:29], v[28:29], v[30:31], v[32:33]
	v_fma_f64 v[30:31], v[13:14], v[21:22], v[23:24]
	v_div_fixup_f64 v[15:16], v[28:29], v[15:16], 1.0
	v_fma_f64 v[28:29], v[13:14], v[23:24], -v[21:22]
	s_delay_alu instid0(VALU_DEP_2) | instskip(NEXT) | instid1(VALU_DEP_2)
	v_mul_f64 v[13:14], v[30:31], v[15:16]
	v_mul_f64 v[15:16], v[28:29], v[15:16]
	v_add_nc_u32_e32 v27, 0x100, v27
	s_cbranch_execz .LBB203_94
	s_branch .LBB203_95
.LBB203_93:
                                        ; implicit-def: $vgpr15_vgpr16
	v_add_nc_u32_e32 v27, 0x100, v27
.LBB203_94:
	v_div_scale_f64 v[13:14], null, v[17:18], v[17:18], v[19:20]
	v_div_scale_f64 v[30:31], vcc_lo, v[19:20], v[17:18], v[19:20]
	s_delay_alu instid0(VALU_DEP_2) | instskip(SKIP_2) | instid1(VALU_DEP_1)
	v_rcp_f64_e32 v[15:16], v[13:14]
	s_waitcnt_depctr 0xfff
	v_fma_f64 v[28:29], -v[13:14], v[15:16], 1.0
	v_fma_f64 v[15:16], v[15:16], v[28:29], v[15:16]
	s_delay_alu instid0(VALU_DEP_1) | instskip(NEXT) | instid1(VALU_DEP_1)
	v_fma_f64 v[28:29], -v[13:14], v[15:16], 1.0
	v_fma_f64 v[15:16], v[15:16], v[28:29], v[15:16]
	s_delay_alu instid0(VALU_DEP_1) | instskip(NEXT) | instid1(VALU_DEP_1)
	v_mul_f64 v[28:29], v[30:31], v[15:16]
	v_fma_f64 v[13:14], -v[13:14], v[28:29], v[30:31]
	s_delay_alu instid0(VALU_DEP_1) | instskip(NEXT) | instid1(VALU_DEP_1)
	v_div_fmas_f64 v[13:14], v[13:14], v[15:16], v[28:29]
	v_div_fixup_f64 v[13:14], v[13:14], v[17:18], v[19:20]
	s_delay_alu instid0(VALU_DEP_1) | instskip(NEXT) | instid1(VALU_DEP_1)
	v_fma_f64 v[15:16], v[19:20], v[13:14], v[17:18]
	v_div_scale_f64 v[17:18], null, v[15:16], v[15:16], 1.0
	v_div_scale_f64 v[30:31], vcc_lo, 1.0, v[15:16], 1.0
	s_delay_alu instid0(VALU_DEP_2) | instskip(SKIP_2) | instid1(VALU_DEP_1)
	v_rcp_f64_e32 v[19:20], v[17:18]
	s_waitcnt_depctr 0xfff
	v_fma_f64 v[28:29], -v[17:18], v[19:20], 1.0
	v_fma_f64 v[19:20], v[19:20], v[28:29], v[19:20]
	s_delay_alu instid0(VALU_DEP_1) | instskip(NEXT) | instid1(VALU_DEP_1)
	v_fma_f64 v[28:29], -v[17:18], v[19:20], 1.0
	v_fma_f64 v[19:20], v[19:20], v[28:29], v[19:20]
	s_delay_alu instid0(VALU_DEP_1) | instskip(NEXT) | instid1(VALU_DEP_1)
	v_mul_f64 v[28:29], v[30:31], v[19:20]
	v_fma_f64 v[17:18], -v[17:18], v[28:29], v[30:31]
	s_delay_alu instid0(VALU_DEP_1) | instskip(SKIP_1) | instid1(VALU_DEP_2)
	v_div_fmas_f64 v[17:18], v[17:18], v[19:20], v[28:29]
	v_fma_f64 v[19:20], v[13:14], v[23:24], v[21:22]
	v_div_fixup_f64 v[15:16], v[17:18], v[15:16], 1.0
	v_fma_f64 v[17:18], -v[13:14], v[21:22], v[23:24]
	s_delay_alu instid0(VALU_DEP_2) | instskip(NEXT) | instid1(VALU_DEP_2)
	v_mul_f64 v[13:14], v[19:20], v[15:16]
	v_mul_f64 v[15:16], v[17:18], v[15:16]
.LBB203_95:
	s_add_i32 s10, s6, s30
	s_add_i32 s6, s6, s5
	s_lshl_b32 s10, s10, 4
	s_lshl_b32 s6, s6, 4
	v_mov_b32_e32 v17, s10
	v_mov_b32_e32 v21, s6
	s_add_i32 s6, s7, 0xffffffb0
	ds_store_b128 v27, v[13:16]
	ds_load_b128 v[17:20], v17
	ds_load_b128 v[21:24], v21
	s_waitcnt lgkmcnt(1)
	v_mul_f64 v[28:29], v[7:8], v[19:20]
	v_mul_f64 v[19:20], v[5:6], v[19:20]
	s_waitcnt lgkmcnt(0)
	v_mul_f64 v[30:31], v[15:16], v[23:24]
	v_mul_f64 v[23:24], v[13:14], v[23:24]
	s_delay_alu instid0(VALU_DEP_4) | instskip(NEXT) | instid1(VALU_DEP_4)
	v_fma_f64 v[28:29], v[5:6], v[17:18], -v[28:29]
	v_fma_f64 v[17:18], v[7:8], v[17:18], v[19:20]
	v_mov_b32_e32 v19, s6
	v_fma_f64 v[30:31], v[13:14], v[21:22], -v[30:31]
	v_fma_f64 v[23:24], v[15:16], v[21:22], v[23:24]
	v_add_f64 v[9:10], v[9:10], -v[28:29]
	v_add_f64 v[11:12], v[11:12], -v[17:18]
	ds_load_b128 v[17:20], v19
	s_waitcnt lgkmcnt(0)
	v_cmp_gt_f64_e32 vcc_lo, 0, v[17:18]
	v_xor_b32_e32 v22, 0x80000000, v18
	v_xor_b32_e32 v29, 0x80000000, v20
	v_dual_mov_b32 v21, v17 :: v_dual_mov_b32 v28, v19
	v_add_f64 v[23:24], v[11:12], -v[23:24]
	s_delay_alu instid0(VALU_DEP_4) | instskip(SKIP_2) | instid1(VALU_DEP_1)
	v_cndmask_b32_e32 v22, v18, v22, vcc_lo
	v_cmp_gt_f64_e32 vcc_lo, 0, v[19:20]
	v_cndmask_b32_e32 v29, v20, v29, vcc_lo
	v_cmp_ngt_f64_e32 vcc_lo, v[21:22], v[28:29]
	v_add_f64 v[21:22], v[9:10], -v[30:31]
	s_cbranch_vccz .LBB203_97
; %bb.96:
	v_div_scale_f64 v[9:10], null, v[19:20], v[19:20], v[17:18]
	v_div_scale_f64 v[29:30], vcc_lo, v[17:18], v[19:20], v[17:18]
	s_delay_alu instid0(VALU_DEP_2) | instskip(SKIP_2) | instid1(VALU_DEP_1)
	v_rcp_f64_e32 v[11:12], v[9:10]
	s_waitcnt_depctr 0xfff
	v_fma_f64 v[27:28], -v[9:10], v[11:12], 1.0
	v_fma_f64 v[11:12], v[11:12], v[27:28], v[11:12]
	s_delay_alu instid0(VALU_DEP_1) | instskip(NEXT) | instid1(VALU_DEP_1)
	v_fma_f64 v[27:28], -v[9:10], v[11:12], 1.0
	v_fma_f64 v[11:12], v[11:12], v[27:28], v[11:12]
	s_delay_alu instid0(VALU_DEP_1) | instskip(NEXT) | instid1(VALU_DEP_1)
	v_mul_f64 v[27:28], v[29:30], v[11:12]
	v_fma_f64 v[9:10], -v[9:10], v[27:28], v[29:30]
	s_delay_alu instid0(VALU_DEP_1) | instskip(NEXT) | instid1(VALU_DEP_1)
	v_div_fmas_f64 v[9:10], v[9:10], v[11:12], v[27:28]
	v_div_fixup_f64 v[9:10], v[9:10], v[19:20], v[17:18]
	s_delay_alu instid0(VALU_DEP_1) | instskip(NEXT) | instid1(VALU_DEP_1)
	v_fma_f64 v[11:12], v[17:18], v[9:10], v[19:20]
	v_div_scale_f64 v[27:28], null, v[11:12], v[11:12], 1.0
	v_div_scale_f64 v[33:34], vcc_lo, 1.0, v[11:12], 1.0
	s_delay_alu instid0(VALU_DEP_2) | instskip(SKIP_2) | instid1(VALU_DEP_1)
	v_rcp_f64_e32 v[29:30], v[27:28]
	s_waitcnt_depctr 0xfff
	v_fma_f64 v[31:32], -v[27:28], v[29:30], 1.0
	v_fma_f64 v[29:30], v[29:30], v[31:32], v[29:30]
	s_delay_alu instid0(VALU_DEP_1) | instskip(NEXT) | instid1(VALU_DEP_1)
	v_fma_f64 v[31:32], -v[27:28], v[29:30], 1.0
	v_fma_f64 v[29:30], v[29:30], v[31:32], v[29:30]
	s_delay_alu instid0(VALU_DEP_1) | instskip(NEXT) | instid1(VALU_DEP_1)
	v_mul_f64 v[31:32], v[33:34], v[29:30]
	v_fma_f64 v[27:28], -v[27:28], v[31:32], v[33:34]
	s_delay_alu instid0(VALU_DEP_1) | instskip(SKIP_1) | instid1(VALU_DEP_2)
	v_div_fmas_f64 v[27:28], v[27:28], v[29:30], v[31:32]
	v_fma_f64 v[29:30], v[9:10], v[21:22], v[23:24]
	v_div_fixup_f64 v[11:12], v[27:28], v[11:12], 1.0
	v_fma_f64 v[27:28], v[9:10], v[23:24], -v[21:22]
	s_delay_alu instid0(VALU_DEP_2) | instskip(NEXT) | instid1(VALU_DEP_2)
	v_mul_f64 v[9:10], v[29:30], v[11:12]
	v_mul_f64 v[11:12], v[27:28], v[11:12]
	v_add_nc_u32_e32 v26, 0x100, v26
	s_cbranch_execz .LBB203_98
	s_branch .LBB203_99
.LBB203_97:
                                        ; implicit-def: $vgpr11_vgpr12
	v_add_nc_u32_e32 v26, 0x100, v26
.LBB203_98:
	v_div_scale_f64 v[9:10], null, v[17:18], v[17:18], v[19:20]
	v_div_scale_f64 v[29:30], vcc_lo, v[19:20], v[17:18], v[19:20]
	s_delay_alu instid0(VALU_DEP_2) | instskip(SKIP_2) | instid1(VALU_DEP_1)
	v_rcp_f64_e32 v[11:12], v[9:10]
	s_waitcnt_depctr 0xfff
	v_fma_f64 v[27:28], -v[9:10], v[11:12], 1.0
	v_fma_f64 v[11:12], v[11:12], v[27:28], v[11:12]
	s_delay_alu instid0(VALU_DEP_1) | instskip(NEXT) | instid1(VALU_DEP_1)
	v_fma_f64 v[27:28], -v[9:10], v[11:12], 1.0
	v_fma_f64 v[11:12], v[11:12], v[27:28], v[11:12]
	s_delay_alu instid0(VALU_DEP_1) | instskip(NEXT) | instid1(VALU_DEP_1)
	v_mul_f64 v[27:28], v[29:30], v[11:12]
	v_fma_f64 v[9:10], -v[9:10], v[27:28], v[29:30]
	s_delay_alu instid0(VALU_DEP_1) | instskip(NEXT) | instid1(VALU_DEP_1)
	v_div_fmas_f64 v[9:10], v[9:10], v[11:12], v[27:28]
	v_div_fixup_f64 v[9:10], v[9:10], v[17:18], v[19:20]
	s_delay_alu instid0(VALU_DEP_1) | instskip(NEXT) | instid1(VALU_DEP_1)
	v_fma_f64 v[11:12], v[19:20], v[9:10], v[17:18]
	v_div_scale_f64 v[17:18], null, v[11:12], v[11:12], 1.0
	v_div_scale_f64 v[29:30], vcc_lo, 1.0, v[11:12], 1.0
	s_delay_alu instid0(VALU_DEP_2) | instskip(SKIP_2) | instid1(VALU_DEP_1)
	v_rcp_f64_e32 v[19:20], v[17:18]
	s_waitcnt_depctr 0xfff
	v_fma_f64 v[27:28], -v[17:18], v[19:20], 1.0
	v_fma_f64 v[19:20], v[19:20], v[27:28], v[19:20]
	s_delay_alu instid0(VALU_DEP_1) | instskip(NEXT) | instid1(VALU_DEP_1)
	v_fma_f64 v[27:28], -v[17:18], v[19:20], 1.0
	v_fma_f64 v[19:20], v[19:20], v[27:28], v[19:20]
	s_delay_alu instid0(VALU_DEP_1) | instskip(NEXT) | instid1(VALU_DEP_1)
	v_mul_f64 v[27:28], v[29:30], v[19:20]
	v_fma_f64 v[17:18], -v[17:18], v[27:28], v[29:30]
	s_delay_alu instid0(VALU_DEP_1) | instskip(SKIP_1) | instid1(VALU_DEP_2)
	v_div_fmas_f64 v[17:18], v[17:18], v[19:20], v[27:28]
	v_fma_f64 v[19:20], v[9:10], v[23:24], v[21:22]
	v_div_fixup_f64 v[11:12], v[17:18], v[11:12], 1.0
	v_fma_f64 v[17:18], -v[9:10], v[21:22], v[23:24]
	s_delay_alu instid0(VALU_DEP_2) | instskip(NEXT) | instid1(VALU_DEP_2)
	v_mul_f64 v[9:10], v[19:20], v[11:12]
	v_mul_f64 v[11:12], v[17:18], v[11:12]
.LBB203_99:
	s_add_i32 s7, s4, s30
	s_add_i32 s5, s4, s5
	s_lshl_b32 s7, s7, 4
	s_lshl_b32 s5, s5, 4
	v_mov_b32_e32 v17, s7
	v_mov_b32_e32 v21, s5
	s_add_i32 s4, s4, s1
	ds_store_b128 v26, v[9:12]
	s_lshl_b32 s1, s4, 4
	ds_load_b128 v[17:20], v17
	ds_load_b128 v[21:24], v21
	s_waitcnt lgkmcnt(1)
	v_mul_f64 v[27:28], v[7:8], v[19:20]
	v_mul_f64 v[19:20], v[5:6], v[19:20]
	s_delay_alu instid0(VALU_DEP_2) | instskip(SKIP_1) | instid1(VALU_DEP_3)
	v_fma_f64 v[27:28], v[5:6], v[17:18], -v[27:28]
	v_mov_b32_e32 v5, s1
	v_fma_f64 v[31:32], v[7:8], v[17:18], v[19:20]
	s_add_i32 s1, s6, 0xffffffb0
	ds_load_b128 v[17:20], v5
	s_waitcnt lgkmcnt(1)
	v_mul_f64 v[29:30], v[15:16], v[23:24]
	v_mul_f64 v[23:24], v[13:14], v[23:24]
	v_mov_b32_e32 v5, s1
	ds_load_b128 v[5:8], v5
	s_waitcnt lgkmcnt(1)
	v_mul_f64 v[33:34], v[11:12], v[19:20]
	v_mul_f64 v[19:20], v[9:10], v[19:20]
	s_waitcnt lgkmcnt(0)
	v_cmp_gt_f64_e32 vcc_lo, 0, v[5:6]
	v_add_f64 v[1:2], v[1:2], -v[27:28]
	v_add_f64 v[3:4], v[3:4], -v[31:32]
	v_fma_f64 v[13:14], v[13:14], v[21:22], -v[29:30]
	v_fma_f64 v[15:16], v[15:16], v[21:22], v[23:24]
	v_fma_f64 v[21:22], v[9:10], v[17:18], -v[33:34]
	v_fma_f64 v[17:18], v[11:12], v[17:18], v[19:20]
	s_delay_alu instid0(VALU_DEP_4) | instskip(SKIP_4) | instid1(VALU_DEP_4)
	v_add_f64 v[1:2], v[1:2], -v[13:14]
	v_xor_b32_e32 v14, 0x80000000, v6
	v_add_f64 v[3:4], v[3:4], -v[15:16]
	v_xor_b32_e32 v16, 0x80000000, v8
	v_mov_b32_e32 v13, v5
	v_dual_mov_b32 v15, v7 :: v_dual_cndmask_b32 v14, v6, v14
	v_cmp_gt_f64_e32 vcc_lo, 0, v[7:8]
	s_delay_alu instid0(VALU_DEP_4) | instskip(NEXT) | instid1(VALU_DEP_1)
	v_cndmask_b32_e32 v16, v8, v16, vcc_lo
	v_cmp_ngt_f64_e32 vcc_lo, v[13:14], v[15:16]
	v_add_f64 v[13:14], v[1:2], -v[21:22]
	v_add_f64 v[15:16], v[3:4], -v[17:18]
	s_cbranch_vccz .LBB203_101
; %bb.100:
	v_div_scale_f64 v[1:2], null, v[7:8], v[7:8], v[5:6]
	v_div_scale_f64 v[11:12], vcc_lo, v[5:6], v[7:8], v[5:6]
	s_delay_alu instid0(VALU_DEP_2) | instskip(SKIP_2) | instid1(VALU_DEP_1)
	v_rcp_f64_e32 v[3:4], v[1:2]
	s_waitcnt_depctr 0xfff
	v_fma_f64 v[9:10], -v[1:2], v[3:4], 1.0
	v_fma_f64 v[3:4], v[3:4], v[9:10], v[3:4]
	s_delay_alu instid0(VALU_DEP_1) | instskip(NEXT) | instid1(VALU_DEP_1)
	v_fma_f64 v[9:10], -v[1:2], v[3:4], 1.0
	v_fma_f64 v[3:4], v[3:4], v[9:10], v[3:4]
	s_delay_alu instid0(VALU_DEP_1) | instskip(NEXT) | instid1(VALU_DEP_1)
	v_mul_f64 v[9:10], v[11:12], v[3:4]
	v_fma_f64 v[1:2], -v[1:2], v[9:10], v[11:12]
	s_delay_alu instid0(VALU_DEP_1) | instskip(NEXT) | instid1(VALU_DEP_1)
	v_div_fmas_f64 v[1:2], v[1:2], v[3:4], v[9:10]
	v_div_fixup_f64 v[1:2], v[1:2], v[7:8], v[5:6]
	s_delay_alu instid0(VALU_DEP_1) | instskip(NEXT) | instid1(VALU_DEP_1)
	v_fma_f64 v[3:4], v[5:6], v[1:2], v[7:8]
	v_div_scale_f64 v[9:10], null, v[3:4], v[3:4], 1.0
	v_div_scale_f64 v[19:20], vcc_lo, 1.0, v[3:4], 1.0
	s_delay_alu instid0(VALU_DEP_2) | instskip(SKIP_2) | instid1(VALU_DEP_1)
	v_rcp_f64_e32 v[11:12], v[9:10]
	s_waitcnt_depctr 0xfff
	v_fma_f64 v[17:18], -v[9:10], v[11:12], 1.0
	v_fma_f64 v[11:12], v[11:12], v[17:18], v[11:12]
	s_delay_alu instid0(VALU_DEP_1) | instskip(NEXT) | instid1(VALU_DEP_1)
	v_fma_f64 v[17:18], -v[9:10], v[11:12], 1.0
	v_fma_f64 v[11:12], v[11:12], v[17:18], v[11:12]
	s_delay_alu instid0(VALU_DEP_1) | instskip(NEXT) | instid1(VALU_DEP_1)
	v_mul_f64 v[17:18], v[19:20], v[11:12]
	v_fma_f64 v[9:10], -v[9:10], v[17:18], v[19:20]
	s_delay_alu instid0(VALU_DEP_1) | instskip(SKIP_1) | instid1(VALU_DEP_2)
	v_div_fmas_f64 v[9:10], v[9:10], v[11:12], v[17:18]
	v_fma_f64 v[11:12], v[1:2], v[13:14], v[15:16]
	v_div_fixup_f64 v[3:4], v[9:10], v[3:4], 1.0
	v_fma_f64 v[9:10], v[1:2], v[15:16], -v[13:14]
	s_delay_alu instid0(VALU_DEP_2) | instskip(NEXT) | instid1(VALU_DEP_2)
	v_mul_f64 v[1:2], v[11:12], v[3:4]
	v_mul_f64 v[3:4], v[9:10], v[3:4]
	v_add_nc_u32_e32 v9, 0x100, v25
	s_cbranch_execz .LBB203_102
	s_branch .LBB203_103
.LBB203_101:
                                        ; implicit-def: $vgpr3_vgpr4
	v_add_nc_u32_e32 v9, 0x100, v25
.LBB203_102:
	v_div_scale_f64 v[1:2], null, v[5:6], v[5:6], v[7:8]
	v_div_scale_f64 v[17:18], vcc_lo, v[7:8], v[5:6], v[7:8]
	s_delay_alu instid0(VALU_DEP_2) | instskip(SKIP_2) | instid1(VALU_DEP_1)
	v_rcp_f64_e32 v[3:4], v[1:2]
	s_waitcnt_depctr 0xfff
	v_fma_f64 v[10:11], -v[1:2], v[3:4], 1.0
	v_fma_f64 v[3:4], v[3:4], v[10:11], v[3:4]
	s_delay_alu instid0(VALU_DEP_1) | instskip(NEXT) | instid1(VALU_DEP_1)
	v_fma_f64 v[10:11], -v[1:2], v[3:4], 1.0
	v_fma_f64 v[3:4], v[3:4], v[10:11], v[3:4]
	s_delay_alu instid0(VALU_DEP_1) | instskip(NEXT) | instid1(VALU_DEP_1)
	v_mul_f64 v[10:11], v[17:18], v[3:4]
	v_fma_f64 v[1:2], -v[1:2], v[10:11], v[17:18]
	s_delay_alu instid0(VALU_DEP_1) | instskip(NEXT) | instid1(VALU_DEP_1)
	v_div_fmas_f64 v[1:2], v[1:2], v[3:4], v[10:11]
	v_div_fixup_f64 v[1:2], v[1:2], v[5:6], v[7:8]
	s_delay_alu instid0(VALU_DEP_1) | instskip(NEXT) | instid1(VALU_DEP_1)
	v_fma_f64 v[3:4], v[7:8], v[1:2], v[5:6]
	v_div_scale_f64 v[5:6], null, v[3:4], v[3:4], 1.0
	v_div_scale_f64 v[17:18], vcc_lo, 1.0, v[3:4], 1.0
	s_delay_alu instid0(VALU_DEP_2) | instskip(SKIP_2) | instid1(VALU_DEP_1)
	v_rcp_f64_e32 v[7:8], v[5:6]
	s_waitcnt_depctr 0xfff
	v_fma_f64 v[10:11], -v[5:6], v[7:8], 1.0
	v_fma_f64 v[7:8], v[7:8], v[10:11], v[7:8]
	s_delay_alu instid0(VALU_DEP_1) | instskip(NEXT) | instid1(VALU_DEP_1)
	v_fma_f64 v[10:11], -v[5:6], v[7:8], 1.0
	v_fma_f64 v[7:8], v[7:8], v[10:11], v[7:8]
	s_delay_alu instid0(VALU_DEP_1) | instskip(NEXT) | instid1(VALU_DEP_1)
	v_mul_f64 v[10:11], v[17:18], v[7:8]
	v_fma_f64 v[5:6], -v[5:6], v[10:11], v[17:18]
	s_delay_alu instid0(VALU_DEP_1) | instskip(SKIP_1) | instid1(VALU_DEP_2)
	v_div_fmas_f64 v[5:6], v[5:6], v[7:8], v[10:11]
	v_fma_f64 v[7:8], v[1:2], v[15:16], v[13:14]
	v_div_fixup_f64 v[3:4], v[5:6], v[3:4], 1.0
	v_fma_f64 v[5:6], -v[1:2], v[13:14], v[15:16]
	s_delay_alu instid0(VALU_DEP_2) | instskip(NEXT) | instid1(VALU_DEP_2)
	v_mul_f64 v[1:2], v[7:8], v[3:4]
	v_mul_f64 v[3:4], v[5:6], v[3:4]
.LBB203_103:
	s_add_i32 s1, s29, -5
	ds_store_b128 v9, v[1:4]
.LBB203_104:
	s_cmp_lt_i32 s1, 0
	s_cbranch_scc1 .LBB203_113
; %bb.105:
	v_lshlrev_b32_e32 v13, 4, v0
	s_lshl_b32 s4, s1, 6
	s_lshl_b32 s5, s29, 4
	s_delay_alu instid0(SALU_CYCLE_1) | instskip(NEXT) | instid1(VALU_DEP_1)
	s_add_i32 s4, s4, s5
	v_lshl_or_b32 v1, s29, 6, v13
	s_add_i32 s4, s4, -16
	s_delay_alu instid0(VALU_DEP_1)
	v_add_nc_u32_e32 v14, 0xc0, v1
	s_branch .LBB203_107
.LBB203_106:                            ;   in Loop: Header=BB203_107 Depth=1
	s_add_i32 s5, s1, -1
	s_sub_i32 s4, s4, 64
	s_cmp_lt_i32 s1, 1
	s_mov_b32 s1, s5
	ds_store_b128 v15, v[9:12]
	s_cbranch_scc1 .LBB203_113
.LBB203_107:                            ; =>This Loop Header: Depth=1
                                        ;     Child Loop BB203_108 Depth 2
	v_lshl_or_b32 v5, s1, 6, v13
	s_delay_alu instid0(VALU_DEP_2)
	v_mov_b32_e32 v6, v14
	s_cmp_le_i32 s30, s1
	s_mov_b32 s5, s4
	s_mov_b32 s6, s30
	ds_load_b128 v[1:4], v5 offset:256
	s_cbranch_scc1 .LBB203_109
	.p2align	6
.LBB203_108:                            ;   Parent Loop BB203_107 Depth=1
                                        ; =>  This Inner Loop Header: Depth=2
	v_mov_b32_e32 v11, s5
	s_add_i32 s6, s6, -1
	s_add_i32 s5, s5, -16
	s_cmp_le_i32 s6, s1
	ds_load_b128 v[7:10], v6
	ds_load_b128 v[15:18], v11
	v_subrev_nc_u32_e32 v6, 64, v6
	s_waitcnt lgkmcnt(0)
	v_mul_f64 v[11:12], v[17:18], v[9:10]
	v_mul_f64 v[9:10], v[15:16], v[9:10]
	s_delay_alu instid0(VALU_DEP_2) | instskip(NEXT) | instid1(VALU_DEP_2)
	v_fma_f64 v[11:12], v[15:16], v[7:8], -v[11:12]
	v_fma_f64 v[7:8], v[17:18], v[7:8], v[9:10]
	s_delay_alu instid0(VALU_DEP_2) | instskip(NEXT) | instid1(VALU_DEP_2)
	v_add_f64 v[1:2], v[1:2], -v[11:12]
	v_add_f64 v[3:4], v[3:4], -v[7:8]
	s_cbranch_scc0 .LBB203_108
.LBB203_109:                            ;   in Loop: Header=BB203_107 Depth=1
	s_mul_i32 s5, s1, 0x50
	v_add_nc_u32_e32 v15, 0x100, v5
	v_mov_b32_e32 v5, s5
	ds_load_b128 v[5:8], v5
	s_waitcnt lgkmcnt(0)
	v_cmp_gt_f64_e32 vcc_lo, 0, v[5:6]
	v_xor_b32_e32 v10, 0x80000000, v6
	v_xor_b32_e32 v11, 0x80000000, v8
	s_delay_alu instid0(VALU_DEP_2) | instskip(SKIP_1) | instid1(VALU_DEP_3)
	v_dual_mov_b32 v9, v5 :: v_dual_cndmask_b32 v10, v6, v10
	v_cmp_gt_f64_e32 vcc_lo, 0, v[7:8]
	v_dual_cndmask_b32 v12, v8, v11 :: v_dual_mov_b32 v11, v7
	s_delay_alu instid0(VALU_DEP_1)
	v_cmp_ngt_f64_e32 vcc_lo, v[9:10], v[11:12]
	s_cbranch_vccz .LBB203_111
; %bb.110:                              ;   in Loop: Header=BB203_107 Depth=1
	v_div_scale_f64 v[9:10], null, v[7:8], v[7:8], v[5:6]
	v_div_scale_f64 v[18:19], vcc_lo, v[5:6], v[7:8], v[5:6]
	s_delay_alu instid0(VALU_DEP_2) | instskip(SKIP_2) | instid1(VALU_DEP_1)
	v_rcp_f64_e32 v[11:12], v[9:10]
	s_waitcnt_depctr 0xfff
	v_fma_f64 v[16:17], -v[9:10], v[11:12], 1.0
	v_fma_f64 v[11:12], v[11:12], v[16:17], v[11:12]
	s_delay_alu instid0(VALU_DEP_1) | instskip(NEXT) | instid1(VALU_DEP_1)
	v_fma_f64 v[16:17], -v[9:10], v[11:12], 1.0
	v_fma_f64 v[11:12], v[11:12], v[16:17], v[11:12]
	s_delay_alu instid0(VALU_DEP_1) | instskip(NEXT) | instid1(VALU_DEP_1)
	v_mul_f64 v[16:17], v[18:19], v[11:12]
	v_fma_f64 v[9:10], -v[9:10], v[16:17], v[18:19]
	s_delay_alu instid0(VALU_DEP_1) | instskip(NEXT) | instid1(VALU_DEP_1)
	v_div_fmas_f64 v[9:10], v[9:10], v[11:12], v[16:17]
	v_div_fixup_f64 v[9:10], v[9:10], v[7:8], v[5:6]
	s_delay_alu instid0(VALU_DEP_1) | instskip(NEXT) | instid1(VALU_DEP_1)
	v_fma_f64 v[11:12], v[5:6], v[9:10], v[7:8]
	v_div_scale_f64 v[16:17], null, v[11:12], v[11:12], 1.0
	v_div_scale_f64 v[22:23], vcc_lo, 1.0, v[11:12], 1.0
	s_delay_alu instid0(VALU_DEP_2) | instskip(SKIP_2) | instid1(VALU_DEP_1)
	v_rcp_f64_e32 v[18:19], v[16:17]
	s_waitcnt_depctr 0xfff
	v_fma_f64 v[20:21], -v[16:17], v[18:19], 1.0
	v_fma_f64 v[18:19], v[18:19], v[20:21], v[18:19]
	s_delay_alu instid0(VALU_DEP_1) | instskip(NEXT) | instid1(VALU_DEP_1)
	v_fma_f64 v[20:21], -v[16:17], v[18:19], 1.0
	v_fma_f64 v[18:19], v[18:19], v[20:21], v[18:19]
	s_delay_alu instid0(VALU_DEP_1) | instskip(NEXT) | instid1(VALU_DEP_1)
	v_mul_f64 v[20:21], v[22:23], v[18:19]
	v_fma_f64 v[16:17], -v[16:17], v[20:21], v[22:23]
	s_delay_alu instid0(VALU_DEP_1) | instskip(SKIP_1) | instid1(VALU_DEP_2)
	v_div_fmas_f64 v[16:17], v[16:17], v[18:19], v[20:21]
	v_fma_f64 v[18:19], v[1:2], v[9:10], v[3:4]
	v_div_fixup_f64 v[11:12], v[16:17], v[11:12], 1.0
	v_fma_f64 v[16:17], v[3:4], v[9:10], -v[1:2]
	s_delay_alu instid0(VALU_DEP_2) | instskip(NEXT) | instid1(VALU_DEP_2)
	v_mul_f64 v[9:10], v[18:19], v[11:12]
	v_mul_f64 v[11:12], v[16:17], v[11:12]
	s_cbranch_execnz .LBB203_106
	s_branch .LBB203_112
.LBB203_111:                            ;   in Loop: Header=BB203_107 Depth=1
                                        ; implicit-def: $vgpr9_vgpr10
.LBB203_112:                            ;   in Loop: Header=BB203_107 Depth=1
	v_div_scale_f64 v[9:10], null, v[5:6], v[5:6], v[7:8]
	v_div_scale_f64 v[18:19], vcc_lo, v[7:8], v[5:6], v[7:8]
	s_delay_alu instid0(VALU_DEP_2) | instskip(SKIP_2) | instid1(VALU_DEP_1)
	v_rcp_f64_e32 v[11:12], v[9:10]
	s_waitcnt_depctr 0xfff
	v_fma_f64 v[16:17], -v[9:10], v[11:12], 1.0
	v_fma_f64 v[11:12], v[11:12], v[16:17], v[11:12]
	s_delay_alu instid0(VALU_DEP_1) | instskip(NEXT) | instid1(VALU_DEP_1)
	v_fma_f64 v[16:17], -v[9:10], v[11:12], 1.0
	v_fma_f64 v[11:12], v[11:12], v[16:17], v[11:12]
	s_delay_alu instid0(VALU_DEP_1) | instskip(NEXT) | instid1(VALU_DEP_1)
	v_mul_f64 v[16:17], v[18:19], v[11:12]
	v_fma_f64 v[9:10], -v[9:10], v[16:17], v[18:19]
	s_delay_alu instid0(VALU_DEP_1) | instskip(NEXT) | instid1(VALU_DEP_1)
	v_div_fmas_f64 v[9:10], v[9:10], v[11:12], v[16:17]
	v_div_fixup_f64 v[9:10], v[9:10], v[5:6], v[7:8]
	s_delay_alu instid0(VALU_DEP_1) | instskip(NEXT) | instid1(VALU_DEP_1)
	v_fma_f64 v[5:6], v[7:8], v[9:10], v[5:6]
	v_div_scale_f64 v[7:8], null, v[5:6], v[5:6], 1.0
	v_div_scale_f64 v[18:19], vcc_lo, 1.0, v[5:6], 1.0
	s_delay_alu instid0(VALU_DEP_2) | instskip(SKIP_2) | instid1(VALU_DEP_1)
	v_rcp_f64_e32 v[11:12], v[7:8]
	s_waitcnt_depctr 0xfff
	v_fma_f64 v[16:17], -v[7:8], v[11:12], 1.0
	v_fma_f64 v[11:12], v[11:12], v[16:17], v[11:12]
	s_delay_alu instid0(VALU_DEP_1) | instskip(NEXT) | instid1(VALU_DEP_1)
	v_fma_f64 v[16:17], -v[7:8], v[11:12], 1.0
	v_fma_f64 v[11:12], v[11:12], v[16:17], v[11:12]
	s_delay_alu instid0(VALU_DEP_1) | instskip(NEXT) | instid1(VALU_DEP_1)
	v_mul_f64 v[16:17], v[18:19], v[11:12]
	v_fma_f64 v[7:8], -v[7:8], v[16:17], v[18:19]
	s_delay_alu instid0(VALU_DEP_1) | instskip(SKIP_2) | instid1(VALU_DEP_3)
	v_div_fmas_f64 v[7:8], v[7:8], v[11:12], v[16:17]
	v_fma_f64 v[11:12], v[3:4], v[9:10], v[1:2]
	v_fma_f64 v[1:2], -v[1:2], v[9:10], v[3:4]
	v_div_fixup_f64 v[5:6], v[7:8], v[5:6], 1.0
	s_delay_alu instid0(VALU_DEP_1) | instskip(NEXT) | instid1(VALU_DEP_3)
	v_mul_f64 v[9:10], v[11:12], v[5:6]
	v_mul_f64 v[11:12], v[1:2], v[5:6]
	s_branch .LBB203_106
.LBB203_113:
	s_mov_b32 s5, 0
.LBB203_114:
	s_delay_alu instid0(SALU_CYCLE_1)
	s_and_not1_b32 vcc_lo, exec_lo, s5
	s_cbranch_vccnz .LBB203_143
; %bb.115:
	s_cmp_lt_i32 s28, 4
	s_mov_b32 s1, 0
	s_cbranch_scc1 .LBB203_133
; %bb.116:
	v_mov_b32_e32 v1, 0
	v_lshlrev_b32_e32 v25, 4, v0
	ds_load_b128 v[17:20], v1
	s_waitcnt lgkmcnt(0)
	v_cmp_gt_f64_e32 vcc_lo, 0, v[17:18]
	v_xor_b32_e32 v2, 0x80000000, v18
	v_xor_b32_e32 v3, 0x80000000, v20
	s_delay_alu instid0(VALU_DEP_2) | instskip(SKIP_1) | instid1(VALU_DEP_3)
	v_cndmask_b32_e32 v2, v18, v2, vcc_lo
	v_cmp_gt_f64_e32 vcc_lo, 0, v[19:20]
	v_dual_mov_b32 v1, v17 :: v_dual_cndmask_b32 v4, v20, v3
	v_mov_b32_e32 v3, v19
	s_delay_alu instid0(VALU_DEP_1)
	v_cmp_ngt_f64_e32 vcc_lo, v[1:2], v[3:4]
	ds_load_b128 v[21:24], v25 offset:256
	ds_load_b128 v[13:16], v25 offset:320
	;; [unrolled: 1-line block ×4, first 2 shown]
	s_cbranch_vccz .LBB203_118
; %bb.117:
	v_div_scale_f64 v[5:6], null, v[19:20], v[19:20], v[17:18]
	v_div_scale_f64 v[28:29], vcc_lo, v[17:18], v[19:20], v[17:18]
	s_delay_alu instid0(VALU_DEP_2) | instskip(SKIP_2) | instid1(VALU_DEP_1)
	v_rcp_f64_e32 v[7:8], v[5:6]
	s_waitcnt_depctr 0xfff
	v_fma_f64 v[26:27], -v[5:6], v[7:8], 1.0
	v_fma_f64 v[7:8], v[7:8], v[26:27], v[7:8]
	s_delay_alu instid0(VALU_DEP_1) | instskip(NEXT) | instid1(VALU_DEP_1)
	v_fma_f64 v[26:27], -v[5:6], v[7:8], 1.0
	v_fma_f64 v[7:8], v[7:8], v[26:27], v[7:8]
	s_delay_alu instid0(VALU_DEP_1) | instskip(NEXT) | instid1(VALU_DEP_1)
	v_mul_f64 v[26:27], v[28:29], v[7:8]
	v_fma_f64 v[5:6], -v[5:6], v[26:27], v[28:29]
	s_delay_alu instid0(VALU_DEP_1) | instskip(NEXT) | instid1(VALU_DEP_1)
	v_div_fmas_f64 v[5:6], v[5:6], v[7:8], v[26:27]
	v_div_fixup_f64 v[5:6], v[5:6], v[19:20], v[17:18]
	s_delay_alu instid0(VALU_DEP_1) | instskip(NEXT) | instid1(VALU_DEP_1)
	v_fma_f64 v[7:8], v[17:18], v[5:6], v[19:20]
	v_div_scale_f64 v[26:27], null, v[7:8], v[7:8], 1.0
	v_div_scale_f64 v[32:33], vcc_lo, 1.0, v[7:8], 1.0
	s_delay_alu instid0(VALU_DEP_2) | instskip(SKIP_2) | instid1(VALU_DEP_1)
	v_rcp_f64_e32 v[28:29], v[26:27]
	s_waitcnt_depctr 0xfff
	v_fma_f64 v[30:31], -v[26:27], v[28:29], 1.0
	v_fma_f64 v[28:29], v[28:29], v[30:31], v[28:29]
	s_delay_alu instid0(VALU_DEP_1) | instskip(NEXT) | instid1(VALU_DEP_1)
	v_fma_f64 v[30:31], -v[26:27], v[28:29], 1.0
	v_fma_f64 v[28:29], v[28:29], v[30:31], v[28:29]
	s_delay_alu instid0(VALU_DEP_1) | instskip(NEXT) | instid1(VALU_DEP_1)
	v_mul_f64 v[30:31], v[32:33], v[28:29]
	v_fma_f64 v[26:27], -v[26:27], v[30:31], v[32:33]
	s_delay_alu instid0(VALU_DEP_1) | instskip(SKIP_2) | instid1(VALU_DEP_2)
	v_div_fmas_f64 v[26:27], v[26:27], v[28:29], v[30:31]
	s_waitcnt lgkmcnt(3)
	v_fma_f64 v[28:29], v[21:22], v[5:6], v[23:24]
	v_div_fixup_f64 v[7:8], v[26:27], v[7:8], 1.0
	v_fma_f64 v[26:27], v[23:24], v[5:6], -v[21:22]
	s_delay_alu instid0(VALU_DEP_2) | instskip(NEXT) | instid1(VALU_DEP_2)
	v_mul_f64 v[5:6], v[28:29], v[7:8]
	v_mul_f64 v[7:8], v[26:27], v[7:8]
	v_or_b32_e32 v25, 0x100, v25
	s_and_not1_b32 vcc_lo, exec_lo, s1
	s_cbranch_vccz .LBB203_119
	s_branch .LBB203_120
.LBB203_118:
                                        ; implicit-def: $vgpr7_vgpr8
	v_or_b32_e32 v25, 0x100, v25
.LBB203_119:
	v_div_scale_f64 v[5:6], null, v[17:18], v[17:18], v[19:20]
	v_div_scale_f64 v[28:29], vcc_lo, v[19:20], v[17:18], v[19:20]
	s_delay_alu instid0(VALU_DEP_2) | instskip(SKIP_2) | instid1(VALU_DEP_1)
	v_rcp_f64_e32 v[7:8], v[5:6]
	s_waitcnt_depctr 0xfff
	v_fma_f64 v[26:27], -v[5:6], v[7:8], 1.0
	v_fma_f64 v[7:8], v[7:8], v[26:27], v[7:8]
	s_delay_alu instid0(VALU_DEP_1) | instskip(NEXT) | instid1(VALU_DEP_1)
	v_fma_f64 v[26:27], -v[5:6], v[7:8], 1.0
	v_fma_f64 v[7:8], v[7:8], v[26:27], v[7:8]
	s_delay_alu instid0(VALU_DEP_1) | instskip(NEXT) | instid1(VALU_DEP_1)
	v_mul_f64 v[26:27], v[28:29], v[7:8]
	v_fma_f64 v[5:6], -v[5:6], v[26:27], v[28:29]
	s_delay_alu instid0(VALU_DEP_1) | instskip(NEXT) | instid1(VALU_DEP_1)
	v_div_fmas_f64 v[5:6], v[5:6], v[7:8], v[26:27]
	v_div_fixup_f64 v[5:6], v[5:6], v[17:18], v[19:20]
	s_delay_alu instid0(VALU_DEP_1) | instskip(NEXT) | instid1(VALU_DEP_1)
	v_fma_f64 v[7:8], v[19:20], v[5:6], v[17:18]
	v_div_scale_f64 v[17:18], null, v[7:8], v[7:8], 1.0
	v_div_scale_f64 v[28:29], vcc_lo, 1.0, v[7:8], 1.0
	s_delay_alu instid0(VALU_DEP_2) | instskip(SKIP_2) | instid1(VALU_DEP_1)
	v_rcp_f64_e32 v[19:20], v[17:18]
	s_waitcnt_depctr 0xfff
	v_fma_f64 v[26:27], -v[17:18], v[19:20], 1.0
	v_fma_f64 v[19:20], v[19:20], v[26:27], v[19:20]
	s_delay_alu instid0(VALU_DEP_1) | instskip(NEXT) | instid1(VALU_DEP_1)
	v_fma_f64 v[26:27], -v[17:18], v[19:20], 1.0
	v_fma_f64 v[19:20], v[19:20], v[26:27], v[19:20]
	s_delay_alu instid0(VALU_DEP_1) | instskip(NEXT) | instid1(VALU_DEP_1)
	v_mul_f64 v[26:27], v[28:29], v[19:20]
	v_fma_f64 v[17:18], -v[17:18], v[26:27], v[28:29]
	s_delay_alu instid0(VALU_DEP_1) | instskip(SKIP_2) | instid1(VALU_DEP_2)
	v_div_fmas_f64 v[17:18], v[17:18], v[19:20], v[26:27]
	s_waitcnt lgkmcnt(3)
	v_fma_f64 v[19:20], v[23:24], v[5:6], v[21:22]
	v_div_fixup_f64 v[7:8], v[17:18], v[7:8], 1.0
	v_fma_f64 v[17:18], -v[21:22], v[5:6], v[23:24]
	s_delay_alu instid0(VALU_DEP_2) | instskip(NEXT) | instid1(VALU_DEP_2)
	v_mul_f64 v[5:6], v[19:20], v[7:8]
	v_mul_f64 v[7:8], v[17:18], v[7:8]
.LBB203_120:
	v_mov_b32_e32 v17, 0
	s_waitcnt lgkmcnt(3)
	ds_load_b128 v[21:24], v17 offset:64
	ds_load_b128 v[17:20], v17 offset:80
	ds_store_b128 v25, v[5:8]
	s_waitcnt lgkmcnt(2)
	v_mul_f64 v[26:27], v[7:8], v[23:24]
	s_waitcnt lgkmcnt(1)
	v_mov_b32_e32 v28, v19
	v_mul_f64 v[23:24], v[5:6], v[23:24]
	v_cmp_gt_f64_e32 vcc_lo, 0, v[17:18]
	v_xor_b32_e32 v29, 0x80000000, v20
	v_fma_f64 v[26:27], v[5:6], v[21:22], -v[26:27]
	s_delay_alu instid0(VALU_DEP_4) | instskip(SKIP_1) | instid1(VALU_DEP_1)
	v_fma_f64 v[23:24], v[7:8], v[21:22], v[23:24]
	v_xor_b32_e32 v22, 0x80000000, v18
	v_dual_mov_b32 v21, v17 :: v_dual_cndmask_b32 v22, v18, v22
	v_cmp_gt_f64_e32 vcc_lo, 0, v[19:20]
	s_delay_alu instid0(VALU_DEP_4) | instskip(SKIP_1) | instid1(VALU_DEP_1)
	v_add_f64 v[23:24], v[15:16], -v[23:24]
	v_cndmask_b32_e32 v29, v20, v29, vcc_lo
	v_cmp_ngt_f64_e32 vcc_lo, v[21:22], v[28:29]
	v_add_f64 v[21:22], v[13:14], -v[26:27]
	s_cbranch_vccz .LBB203_122
; %bb.121:
	v_div_scale_f64 v[13:14], null, v[19:20], v[19:20], v[17:18]
	v_div_scale_f64 v[28:29], vcc_lo, v[17:18], v[19:20], v[17:18]
	s_delay_alu instid0(VALU_DEP_2) | instskip(SKIP_2) | instid1(VALU_DEP_1)
	v_rcp_f64_e32 v[15:16], v[13:14]
	s_waitcnt_depctr 0xfff
	v_fma_f64 v[26:27], -v[13:14], v[15:16], 1.0
	v_fma_f64 v[15:16], v[15:16], v[26:27], v[15:16]
	s_delay_alu instid0(VALU_DEP_1) | instskip(NEXT) | instid1(VALU_DEP_1)
	v_fma_f64 v[26:27], -v[13:14], v[15:16], 1.0
	v_fma_f64 v[15:16], v[15:16], v[26:27], v[15:16]
	s_delay_alu instid0(VALU_DEP_1) | instskip(NEXT) | instid1(VALU_DEP_1)
	v_mul_f64 v[26:27], v[28:29], v[15:16]
	v_fma_f64 v[13:14], -v[13:14], v[26:27], v[28:29]
	s_delay_alu instid0(VALU_DEP_1) | instskip(NEXT) | instid1(VALU_DEP_1)
	v_div_fmas_f64 v[13:14], v[13:14], v[15:16], v[26:27]
	v_div_fixup_f64 v[13:14], v[13:14], v[19:20], v[17:18]
	s_delay_alu instid0(VALU_DEP_1) | instskip(NEXT) | instid1(VALU_DEP_1)
	v_fma_f64 v[15:16], v[17:18], v[13:14], v[19:20]
	v_div_scale_f64 v[26:27], null, v[15:16], v[15:16], 1.0
	v_div_scale_f64 v[32:33], vcc_lo, 1.0, v[15:16], 1.0
	s_delay_alu instid0(VALU_DEP_2) | instskip(SKIP_2) | instid1(VALU_DEP_1)
	v_rcp_f64_e32 v[28:29], v[26:27]
	s_waitcnt_depctr 0xfff
	v_fma_f64 v[30:31], -v[26:27], v[28:29], 1.0
	v_fma_f64 v[28:29], v[28:29], v[30:31], v[28:29]
	s_delay_alu instid0(VALU_DEP_1) | instskip(NEXT) | instid1(VALU_DEP_1)
	v_fma_f64 v[30:31], -v[26:27], v[28:29], 1.0
	v_fma_f64 v[28:29], v[28:29], v[30:31], v[28:29]
	s_delay_alu instid0(VALU_DEP_1) | instskip(NEXT) | instid1(VALU_DEP_1)
	v_mul_f64 v[30:31], v[32:33], v[28:29]
	v_fma_f64 v[26:27], -v[26:27], v[30:31], v[32:33]
	s_delay_alu instid0(VALU_DEP_1) | instskip(SKIP_1) | instid1(VALU_DEP_2)
	v_div_fmas_f64 v[26:27], v[26:27], v[28:29], v[30:31]
	v_fma_f64 v[28:29], v[13:14], v[21:22], v[23:24]
	v_div_fixup_f64 v[15:16], v[26:27], v[15:16], 1.0
	v_fma_f64 v[26:27], v[13:14], v[23:24], -v[21:22]
	s_delay_alu instid0(VALU_DEP_2) | instskip(NEXT) | instid1(VALU_DEP_2)
	v_mul_f64 v[13:14], v[28:29], v[15:16]
	v_mul_f64 v[15:16], v[26:27], v[15:16]
	s_cbranch_execz .LBB203_123
	s_branch .LBB203_124
.LBB203_122:
                                        ; implicit-def: $vgpr15_vgpr16
.LBB203_123:
	v_div_scale_f64 v[13:14], null, v[17:18], v[17:18], v[19:20]
	v_div_scale_f64 v[28:29], vcc_lo, v[19:20], v[17:18], v[19:20]
	s_delay_alu instid0(VALU_DEP_2) | instskip(SKIP_2) | instid1(VALU_DEP_1)
	v_rcp_f64_e32 v[15:16], v[13:14]
	s_waitcnt_depctr 0xfff
	v_fma_f64 v[26:27], -v[13:14], v[15:16], 1.0
	v_fma_f64 v[15:16], v[15:16], v[26:27], v[15:16]
	s_delay_alu instid0(VALU_DEP_1) | instskip(NEXT) | instid1(VALU_DEP_1)
	v_fma_f64 v[26:27], -v[13:14], v[15:16], 1.0
	v_fma_f64 v[15:16], v[15:16], v[26:27], v[15:16]
	s_delay_alu instid0(VALU_DEP_1) | instskip(NEXT) | instid1(VALU_DEP_1)
	v_mul_f64 v[26:27], v[28:29], v[15:16]
	v_fma_f64 v[13:14], -v[13:14], v[26:27], v[28:29]
	s_delay_alu instid0(VALU_DEP_1) | instskip(NEXT) | instid1(VALU_DEP_1)
	v_div_fmas_f64 v[13:14], v[13:14], v[15:16], v[26:27]
	v_div_fixup_f64 v[13:14], v[13:14], v[17:18], v[19:20]
	s_delay_alu instid0(VALU_DEP_1) | instskip(NEXT) | instid1(VALU_DEP_1)
	v_fma_f64 v[15:16], v[19:20], v[13:14], v[17:18]
	v_div_scale_f64 v[17:18], null, v[15:16], v[15:16], 1.0
	v_div_scale_f64 v[28:29], vcc_lo, 1.0, v[15:16], 1.0
	s_delay_alu instid0(VALU_DEP_2) | instskip(SKIP_2) | instid1(VALU_DEP_1)
	v_rcp_f64_e32 v[19:20], v[17:18]
	s_waitcnt_depctr 0xfff
	v_fma_f64 v[26:27], -v[17:18], v[19:20], 1.0
	v_fma_f64 v[19:20], v[19:20], v[26:27], v[19:20]
	s_delay_alu instid0(VALU_DEP_1) | instskip(NEXT) | instid1(VALU_DEP_1)
	v_fma_f64 v[26:27], -v[17:18], v[19:20], 1.0
	v_fma_f64 v[19:20], v[19:20], v[26:27], v[19:20]
	s_delay_alu instid0(VALU_DEP_1) | instskip(NEXT) | instid1(VALU_DEP_1)
	v_mul_f64 v[26:27], v[28:29], v[19:20]
	v_fma_f64 v[17:18], -v[17:18], v[26:27], v[28:29]
	s_delay_alu instid0(VALU_DEP_1) | instskip(SKIP_1) | instid1(VALU_DEP_2)
	v_div_fmas_f64 v[17:18], v[17:18], v[19:20], v[26:27]
	v_fma_f64 v[19:20], v[13:14], v[23:24], v[21:22]
	v_div_fixup_f64 v[15:16], v[17:18], v[15:16], 1.0
	v_fma_f64 v[17:18], -v[13:14], v[21:22], v[23:24]
	s_delay_alu instid0(VALU_DEP_2) | instskip(NEXT) | instid1(VALU_DEP_2)
	v_mul_f64 v[13:14], v[19:20], v[15:16]
	v_mul_f64 v[15:16], v[17:18], v[15:16]
.LBB203_124:
	v_mov_b32_e32 v30, 0
	ds_load_b128 v[17:20], v30 offset:128
	ds_load_b128 v[21:24], v30 offset:144
	ds_store_b128 v25, v[13:16] offset:64
	s_waitcnt lgkmcnt(2)
	v_mul_f64 v[26:27], v[7:8], v[19:20]
	v_mul_f64 v[19:20], v[5:6], v[19:20]
	s_waitcnt lgkmcnt(1)
	v_mul_f64 v[28:29], v[15:16], v[23:24]
	v_mul_f64 v[23:24], v[13:14], v[23:24]
	s_delay_alu instid0(VALU_DEP_4) | instskip(NEXT) | instid1(VALU_DEP_4)
	v_fma_f64 v[26:27], v[5:6], v[17:18], -v[26:27]
	v_fma_f64 v[17:18], v[7:8], v[17:18], v[19:20]
	s_delay_alu instid0(VALU_DEP_4) | instskip(NEXT) | instid1(VALU_DEP_4)
	v_fma_f64 v[28:29], v[13:14], v[21:22], -v[28:29]
	v_fma_f64 v[23:24], v[15:16], v[21:22], v[23:24]
	s_delay_alu instid0(VALU_DEP_4) | instskip(NEXT) | instid1(VALU_DEP_4)
	v_add_f64 v[9:10], v[9:10], -v[26:27]
	v_add_f64 v[11:12], v[11:12], -v[17:18]
	ds_load_b128 v[17:20], v30 offset:160
	s_waitcnt lgkmcnt(0)
	v_mov_b32_e32 v21, v17
	v_cmp_gt_f64_e32 vcc_lo, 0, v[17:18]
	v_xor_b32_e32 v22, 0x80000000, v18
	v_xor_b32_e32 v27, 0x80000000, v20
	v_add_f64 v[23:24], v[11:12], -v[23:24]
	s_delay_alu instid0(VALU_DEP_3) | instskip(SKIP_1) | instid1(VALU_DEP_4)
	v_cndmask_b32_e32 v22, v18, v22, vcc_lo
	v_cmp_gt_f64_e32 vcc_lo, 0, v[19:20]
	v_dual_mov_b32 v26, v19 :: v_dual_cndmask_b32 v27, v20, v27
	s_delay_alu instid0(VALU_DEP_1)
	v_cmp_ngt_f64_e32 vcc_lo, v[21:22], v[26:27]
	v_add_f64 v[21:22], v[9:10], -v[28:29]
	s_cbranch_vccz .LBB203_126
; %bb.125:
	v_div_scale_f64 v[9:10], null, v[19:20], v[19:20], v[17:18]
	v_div_scale_f64 v[28:29], vcc_lo, v[17:18], v[19:20], v[17:18]
	s_delay_alu instid0(VALU_DEP_2) | instskip(SKIP_2) | instid1(VALU_DEP_1)
	v_rcp_f64_e32 v[11:12], v[9:10]
	s_waitcnt_depctr 0xfff
	v_fma_f64 v[26:27], -v[9:10], v[11:12], 1.0
	v_fma_f64 v[11:12], v[11:12], v[26:27], v[11:12]
	s_delay_alu instid0(VALU_DEP_1) | instskip(NEXT) | instid1(VALU_DEP_1)
	v_fma_f64 v[26:27], -v[9:10], v[11:12], 1.0
	v_fma_f64 v[11:12], v[11:12], v[26:27], v[11:12]
	s_delay_alu instid0(VALU_DEP_1) | instskip(NEXT) | instid1(VALU_DEP_1)
	v_mul_f64 v[26:27], v[28:29], v[11:12]
	v_fma_f64 v[9:10], -v[9:10], v[26:27], v[28:29]
	s_delay_alu instid0(VALU_DEP_1) | instskip(NEXT) | instid1(VALU_DEP_1)
	v_div_fmas_f64 v[9:10], v[9:10], v[11:12], v[26:27]
	v_div_fixup_f64 v[9:10], v[9:10], v[19:20], v[17:18]
	s_delay_alu instid0(VALU_DEP_1) | instskip(NEXT) | instid1(VALU_DEP_1)
	v_fma_f64 v[11:12], v[17:18], v[9:10], v[19:20]
	v_div_scale_f64 v[26:27], null, v[11:12], v[11:12], 1.0
	v_div_scale_f64 v[32:33], vcc_lo, 1.0, v[11:12], 1.0
	s_delay_alu instid0(VALU_DEP_2) | instskip(SKIP_2) | instid1(VALU_DEP_1)
	v_rcp_f64_e32 v[28:29], v[26:27]
	s_waitcnt_depctr 0xfff
	v_fma_f64 v[30:31], -v[26:27], v[28:29], 1.0
	v_fma_f64 v[28:29], v[28:29], v[30:31], v[28:29]
	s_delay_alu instid0(VALU_DEP_1) | instskip(NEXT) | instid1(VALU_DEP_1)
	v_fma_f64 v[30:31], -v[26:27], v[28:29], 1.0
	v_fma_f64 v[28:29], v[28:29], v[30:31], v[28:29]
	s_delay_alu instid0(VALU_DEP_1) | instskip(NEXT) | instid1(VALU_DEP_1)
	v_mul_f64 v[30:31], v[32:33], v[28:29]
	v_fma_f64 v[26:27], -v[26:27], v[30:31], v[32:33]
	s_delay_alu instid0(VALU_DEP_1) | instskip(SKIP_1) | instid1(VALU_DEP_2)
	v_div_fmas_f64 v[26:27], v[26:27], v[28:29], v[30:31]
	v_fma_f64 v[28:29], v[9:10], v[21:22], v[23:24]
	v_div_fixup_f64 v[11:12], v[26:27], v[11:12], 1.0
	v_fma_f64 v[26:27], v[9:10], v[23:24], -v[21:22]
	s_delay_alu instid0(VALU_DEP_2) | instskip(NEXT) | instid1(VALU_DEP_2)
	v_mul_f64 v[9:10], v[28:29], v[11:12]
	v_mul_f64 v[11:12], v[26:27], v[11:12]
	s_cbranch_execz .LBB203_127
	s_branch .LBB203_128
.LBB203_126:
                                        ; implicit-def: $vgpr11_vgpr12
.LBB203_127:
	v_div_scale_f64 v[9:10], null, v[17:18], v[17:18], v[19:20]
	v_div_scale_f64 v[28:29], vcc_lo, v[19:20], v[17:18], v[19:20]
	s_delay_alu instid0(VALU_DEP_2) | instskip(SKIP_2) | instid1(VALU_DEP_1)
	v_rcp_f64_e32 v[11:12], v[9:10]
	s_waitcnt_depctr 0xfff
	v_fma_f64 v[26:27], -v[9:10], v[11:12], 1.0
	v_fma_f64 v[11:12], v[11:12], v[26:27], v[11:12]
	s_delay_alu instid0(VALU_DEP_1) | instskip(NEXT) | instid1(VALU_DEP_1)
	v_fma_f64 v[26:27], -v[9:10], v[11:12], 1.0
	v_fma_f64 v[11:12], v[11:12], v[26:27], v[11:12]
	s_delay_alu instid0(VALU_DEP_1) | instskip(NEXT) | instid1(VALU_DEP_1)
	v_mul_f64 v[26:27], v[28:29], v[11:12]
	v_fma_f64 v[9:10], -v[9:10], v[26:27], v[28:29]
	s_delay_alu instid0(VALU_DEP_1) | instskip(NEXT) | instid1(VALU_DEP_1)
	v_div_fmas_f64 v[9:10], v[9:10], v[11:12], v[26:27]
	v_div_fixup_f64 v[9:10], v[9:10], v[17:18], v[19:20]
	s_delay_alu instid0(VALU_DEP_1) | instskip(NEXT) | instid1(VALU_DEP_1)
	v_fma_f64 v[11:12], v[19:20], v[9:10], v[17:18]
	v_div_scale_f64 v[17:18], null, v[11:12], v[11:12], 1.0
	v_div_scale_f64 v[28:29], vcc_lo, 1.0, v[11:12], 1.0
	s_delay_alu instid0(VALU_DEP_2) | instskip(SKIP_2) | instid1(VALU_DEP_1)
	v_rcp_f64_e32 v[19:20], v[17:18]
	s_waitcnt_depctr 0xfff
	v_fma_f64 v[26:27], -v[17:18], v[19:20], 1.0
	v_fma_f64 v[19:20], v[19:20], v[26:27], v[19:20]
	s_delay_alu instid0(VALU_DEP_1) | instskip(NEXT) | instid1(VALU_DEP_1)
	v_fma_f64 v[26:27], -v[17:18], v[19:20], 1.0
	v_fma_f64 v[19:20], v[19:20], v[26:27], v[19:20]
	s_delay_alu instid0(VALU_DEP_1) | instskip(NEXT) | instid1(VALU_DEP_1)
	v_mul_f64 v[26:27], v[28:29], v[19:20]
	v_fma_f64 v[17:18], -v[17:18], v[26:27], v[28:29]
	s_delay_alu instid0(VALU_DEP_1) | instskip(SKIP_1) | instid1(VALU_DEP_2)
	v_div_fmas_f64 v[17:18], v[17:18], v[19:20], v[26:27]
	v_fma_f64 v[19:20], v[9:10], v[23:24], v[21:22]
	v_div_fixup_f64 v[11:12], v[17:18], v[11:12], 1.0
	v_fma_f64 v[17:18], -v[9:10], v[21:22], v[23:24]
	s_delay_alu instid0(VALU_DEP_2) | instskip(NEXT) | instid1(VALU_DEP_2)
	v_mul_f64 v[9:10], v[19:20], v[11:12]
	v_mul_f64 v[11:12], v[17:18], v[11:12]
.LBB203_128:
	v_mov_b32_e32 v32, 0
	ds_load_b128 v[17:20], v32 offset:192
	ds_load_b128 v[21:24], v32 offset:208
	s_waitcnt lgkmcnt(1)
	v_mul_f64 v[26:27], v[7:8], v[19:20]
	v_mul_f64 v[19:20], v[5:6], v[19:20]
	s_waitcnt lgkmcnt(0)
	v_mul_f64 v[28:29], v[15:16], v[23:24]
	v_mul_f64 v[23:24], v[13:14], v[23:24]
	s_delay_alu instid0(VALU_DEP_4) | instskip(NEXT) | instid1(VALU_DEP_4)
	v_fma_f64 v[26:27], v[5:6], v[17:18], -v[26:27]
	v_fma_f64 v[30:31], v[7:8], v[17:18], v[19:20]
	ds_load_b128 v[17:20], v32 offset:224
	ds_load_b128 v[5:8], v32 offset:240
	v_fma_f64 v[13:14], v[13:14], v[21:22], -v[28:29]
	v_fma_f64 v[15:16], v[15:16], v[21:22], v[23:24]
	ds_store_b128 v25, v[9:12] offset:128
	s_waitcnt lgkmcnt(2)
	v_mul_f64 v[32:33], v[11:12], v[19:20]
	s_waitcnt lgkmcnt(1)
	v_cmp_gt_f64_e32 vcc_lo, 0, v[5:6]
	v_mul_f64 v[19:20], v[9:10], v[19:20]
	v_add_f64 v[1:2], v[1:2], -v[26:27]
	v_add_f64 v[3:4], v[3:4], -v[30:31]
	v_fma_f64 v[21:22], v[9:10], v[17:18], -v[32:33]
	s_delay_alu instid0(VALU_DEP_4) | instskip(NEXT) | instid1(VALU_DEP_4)
	v_fma_f64 v[17:18], v[11:12], v[17:18], v[19:20]
	v_add_f64 v[1:2], v[1:2], -v[13:14]
	v_mov_b32_e32 v13, v5
	v_xor_b32_e32 v14, 0x80000000, v6
	v_add_f64 v[3:4], v[3:4], -v[15:16]
	v_mov_b32_e32 v15, v7
	v_xor_b32_e32 v16, 0x80000000, v8
	s_delay_alu instid0(VALU_DEP_4) | instskip(SKIP_1) | instid1(VALU_DEP_3)
	v_cndmask_b32_e32 v14, v6, v14, vcc_lo
	v_cmp_gt_f64_e32 vcc_lo, 0, v[7:8]
	v_cndmask_b32_e32 v16, v8, v16, vcc_lo
	s_delay_alu instid0(VALU_DEP_1)
	v_cmp_ngt_f64_e32 vcc_lo, v[13:14], v[15:16]
	v_add_f64 v[13:14], v[1:2], -v[21:22]
	v_add_f64 v[15:16], v[3:4], -v[17:18]
	s_cbranch_vccz .LBB203_130
; %bb.129:
	v_div_scale_f64 v[1:2], null, v[7:8], v[7:8], v[5:6]
	v_div_scale_f64 v[11:12], vcc_lo, v[5:6], v[7:8], v[5:6]
	s_delay_alu instid0(VALU_DEP_2) | instskip(SKIP_2) | instid1(VALU_DEP_1)
	v_rcp_f64_e32 v[3:4], v[1:2]
	s_waitcnt_depctr 0xfff
	v_fma_f64 v[9:10], -v[1:2], v[3:4], 1.0
	v_fma_f64 v[3:4], v[3:4], v[9:10], v[3:4]
	s_delay_alu instid0(VALU_DEP_1) | instskip(NEXT) | instid1(VALU_DEP_1)
	v_fma_f64 v[9:10], -v[1:2], v[3:4], 1.0
	v_fma_f64 v[3:4], v[3:4], v[9:10], v[3:4]
	s_delay_alu instid0(VALU_DEP_1) | instskip(NEXT) | instid1(VALU_DEP_1)
	v_mul_f64 v[9:10], v[11:12], v[3:4]
	v_fma_f64 v[1:2], -v[1:2], v[9:10], v[11:12]
	s_delay_alu instid0(VALU_DEP_1) | instskip(NEXT) | instid1(VALU_DEP_1)
	v_div_fmas_f64 v[1:2], v[1:2], v[3:4], v[9:10]
	v_div_fixup_f64 v[1:2], v[1:2], v[7:8], v[5:6]
	s_delay_alu instid0(VALU_DEP_1) | instskip(NEXT) | instid1(VALU_DEP_1)
	v_fma_f64 v[3:4], v[5:6], v[1:2], v[7:8]
	v_div_scale_f64 v[9:10], null, v[3:4], v[3:4], 1.0
	v_div_scale_f64 v[19:20], vcc_lo, 1.0, v[3:4], 1.0
	s_delay_alu instid0(VALU_DEP_2) | instskip(SKIP_2) | instid1(VALU_DEP_1)
	v_rcp_f64_e32 v[11:12], v[9:10]
	s_waitcnt_depctr 0xfff
	v_fma_f64 v[17:18], -v[9:10], v[11:12], 1.0
	v_fma_f64 v[11:12], v[11:12], v[17:18], v[11:12]
	s_delay_alu instid0(VALU_DEP_1) | instskip(NEXT) | instid1(VALU_DEP_1)
	v_fma_f64 v[17:18], -v[9:10], v[11:12], 1.0
	v_fma_f64 v[11:12], v[11:12], v[17:18], v[11:12]
	s_delay_alu instid0(VALU_DEP_1) | instskip(NEXT) | instid1(VALU_DEP_1)
	v_mul_f64 v[17:18], v[19:20], v[11:12]
	v_fma_f64 v[9:10], -v[9:10], v[17:18], v[19:20]
	s_delay_alu instid0(VALU_DEP_1) | instskip(SKIP_1) | instid1(VALU_DEP_2)
	v_div_fmas_f64 v[9:10], v[9:10], v[11:12], v[17:18]
	v_fma_f64 v[11:12], v[1:2], v[13:14], v[15:16]
	v_div_fixup_f64 v[3:4], v[9:10], v[3:4], 1.0
	v_fma_f64 v[9:10], v[1:2], v[15:16], -v[13:14]
	s_delay_alu instid0(VALU_DEP_2) | instskip(NEXT) | instid1(VALU_DEP_2)
	v_mul_f64 v[1:2], v[11:12], v[3:4]
	v_mul_f64 v[3:4], v[9:10], v[3:4]
	s_cbranch_execz .LBB203_131
	s_branch .LBB203_132
.LBB203_130:
                                        ; implicit-def: $vgpr3_vgpr4
.LBB203_131:
	v_div_scale_f64 v[1:2], null, v[5:6], v[5:6], v[7:8]
	v_div_scale_f64 v[11:12], vcc_lo, v[7:8], v[5:6], v[7:8]
	s_delay_alu instid0(VALU_DEP_2) | instskip(SKIP_2) | instid1(VALU_DEP_1)
	v_rcp_f64_e32 v[3:4], v[1:2]
	s_waitcnt_depctr 0xfff
	v_fma_f64 v[9:10], -v[1:2], v[3:4], 1.0
	v_fma_f64 v[3:4], v[3:4], v[9:10], v[3:4]
	s_delay_alu instid0(VALU_DEP_1) | instskip(NEXT) | instid1(VALU_DEP_1)
	v_fma_f64 v[9:10], -v[1:2], v[3:4], 1.0
	v_fma_f64 v[3:4], v[3:4], v[9:10], v[3:4]
	s_delay_alu instid0(VALU_DEP_1) | instskip(NEXT) | instid1(VALU_DEP_1)
	v_mul_f64 v[9:10], v[11:12], v[3:4]
	v_fma_f64 v[1:2], -v[1:2], v[9:10], v[11:12]
	s_delay_alu instid0(VALU_DEP_1) | instskip(NEXT) | instid1(VALU_DEP_1)
	v_div_fmas_f64 v[1:2], v[1:2], v[3:4], v[9:10]
	v_div_fixup_f64 v[1:2], v[1:2], v[5:6], v[7:8]
	s_delay_alu instid0(VALU_DEP_1) | instskip(NEXT) | instid1(VALU_DEP_1)
	v_fma_f64 v[3:4], v[7:8], v[1:2], v[5:6]
	v_div_scale_f64 v[5:6], null, v[3:4], v[3:4], 1.0
	v_div_scale_f64 v[11:12], vcc_lo, 1.0, v[3:4], 1.0
	s_delay_alu instid0(VALU_DEP_2) | instskip(SKIP_2) | instid1(VALU_DEP_1)
	v_rcp_f64_e32 v[7:8], v[5:6]
	s_waitcnt_depctr 0xfff
	v_fma_f64 v[9:10], -v[5:6], v[7:8], 1.0
	v_fma_f64 v[7:8], v[7:8], v[9:10], v[7:8]
	s_delay_alu instid0(VALU_DEP_1) | instskip(NEXT) | instid1(VALU_DEP_1)
	v_fma_f64 v[9:10], -v[5:6], v[7:8], 1.0
	v_fma_f64 v[7:8], v[7:8], v[9:10], v[7:8]
	s_delay_alu instid0(VALU_DEP_1) | instskip(NEXT) | instid1(VALU_DEP_1)
	v_mul_f64 v[9:10], v[11:12], v[7:8]
	v_fma_f64 v[5:6], -v[5:6], v[9:10], v[11:12]
	s_delay_alu instid0(VALU_DEP_1) | instskip(SKIP_1) | instid1(VALU_DEP_2)
	v_div_fmas_f64 v[5:6], v[5:6], v[7:8], v[9:10]
	v_fma_f64 v[7:8], v[1:2], v[15:16], v[13:14]
	v_div_fixup_f64 v[3:4], v[5:6], v[3:4], 1.0
	v_fma_f64 v[5:6], -v[1:2], v[13:14], v[15:16]
	s_delay_alu instid0(VALU_DEP_2) | instskip(NEXT) | instid1(VALU_DEP_2)
	v_mul_f64 v[1:2], v[7:8], v[3:4]
	v_mul_f64 v[3:4], v[5:6], v[3:4]
.LBB203_132:
	s_mov_b32 s1, 4
	ds_store_b128 v25, v[1:4] offset:192
.LBB203_133:
	s_cmp_ge_i32 s1, s29
	s_cbranch_scc1 .LBB203_143
; %bb.134:
	v_lshl_or_b32 v13, v0, 4, 0x100
	v_lshlrev_b32_e32 v14, 4, v0
	s_lshl_b32 s4, s1, 6
	s_branch .LBB203_136
.LBB203_135:                            ;   in Loop: Header=BB203_136 Depth=1
	s_add_i32 s1, s1, 1
	s_add_i32 s4, s4, 64
	s_cmp_ge_i32 s1, s29
	ds_store_b128 v15, v[9:12]
	s_cbranch_scc1 .LBB203_143
.LBB203_136:                            ; =>This Loop Header: Depth=1
                                        ;     Child Loop BB203_138 Depth 2
	s_delay_alu instid0(VALU_DEP_1)
	v_lshl_or_b32 v5, s1, 6, v14
	s_cmp_eq_u32 s1, 0
	ds_load_b128 v[1:4], v5 offset:256
	s_cbranch_scc1 .LBB203_139
; %bb.137:                              ;   in Loop: Header=BB203_136 Depth=1
	v_mov_b32_e32 v6, v13
	s_mov_b32 s5, 0
	s_mov_b32 s6, s4
	.p2align	6
.LBB203_138:                            ;   Parent Loop BB203_136 Depth=1
                                        ; =>  This Inner Loop Header: Depth=2
	s_delay_alu instid0(SALU_CYCLE_1)
	v_mov_b32_e32 v11, s6
	s_add_i32 s5, s5, 1
	s_add_i32 s6, s6, 16
	s_cmp_ge_u32 s5, s1
	ds_load_b128 v[7:10], v6
	ds_load_b128 v[15:18], v11
	v_add_nc_u32_e32 v6, 64, v6
	s_waitcnt lgkmcnt(0)
	v_mul_f64 v[11:12], v[17:18], v[9:10]
	v_mul_f64 v[9:10], v[15:16], v[9:10]
	s_delay_alu instid0(VALU_DEP_2) | instskip(NEXT) | instid1(VALU_DEP_2)
	v_fma_f64 v[11:12], v[15:16], v[7:8], -v[11:12]
	v_fma_f64 v[7:8], v[17:18], v[7:8], v[9:10]
	s_delay_alu instid0(VALU_DEP_2) | instskip(NEXT) | instid1(VALU_DEP_2)
	v_add_f64 v[1:2], v[1:2], -v[11:12]
	v_add_f64 v[3:4], v[3:4], -v[7:8]
	s_cbranch_scc0 .LBB203_138
.LBB203_139:                            ;   in Loop: Header=BB203_136 Depth=1
	s_mul_i32 s5, s1, 0x50
	v_add_nc_u32_e32 v15, 0x100, v5
	v_mov_b32_e32 v5, s5
	ds_load_b128 v[5:8], v5
	s_waitcnt lgkmcnt(0)
	v_cmp_gt_f64_e32 vcc_lo, 0, v[5:6]
	v_xor_b32_e32 v10, 0x80000000, v6
	v_xor_b32_e32 v11, 0x80000000, v8
	s_delay_alu instid0(VALU_DEP_2) | instskip(SKIP_1) | instid1(VALU_DEP_3)
	v_dual_mov_b32 v9, v5 :: v_dual_cndmask_b32 v10, v6, v10
	v_cmp_gt_f64_e32 vcc_lo, 0, v[7:8]
	v_dual_cndmask_b32 v12, v8, v11 :: v_dual_mov_b32 v11, v7
	s_delay_alu instid0(VALU_DEP_1)
	v_cmp_ngt_f64_e32 vcc_lo, v[9:10], v[11:12]
	s_cbranch_vccz .LBB203_141
; %bb.140:                              ;   in Loop: Header=BB203_136 Depth=1
	v_div_scale_f64 v[9:10], null, v[7:8], v[7:8], v[5:6]
	v_div_scale_f64 v[18:19], vcc_lo, v[5:6], v[7:8], v[5:6]
	s_delay_alu instid0(VALU_DEP_2) | instskip(SKIP_2) | instid1(VALU_DEP_1)
	v_rcp_f64_e32 v[11:12], v[9:10]
	s_waitcnt_depctr 0xfff
	v_fma_f64 v[16:17], -v[9:10], v[11:12], 1.0
	v_fma_f64 v[11:12], v[11:12], v[16:17], v[11:12]
	s_delay_alu instid0(VALU_DEP_1) | instskip(NEXT) | instid1(VALU_DEP_1)
	v_fma_f64 v[16:17], -v[9:10], v[11:12], 1.0
	v_fma_f64 v[11:12], v[11:12], v[16:17], v[11:12]
	s_delay_alu instid0(VALU_DEP_1) | instskip(NEXT) | instid1(VALU_DEP_1)
	v_mul_f64 v[16:17], v[18:19], v[11:12]
	v_fma_f64 v[9:10], -v[9:10], v[16:17], v[18:19]
	s_delay_alu instid0(VALU_DEP_1) | instskip(NEXT) | instid1(VALU_DEP_1)
	v_div_fmas_f64 v[9:10], v[9:10], v[11:12], v[16:17]
	v_div_fixup_f64 v[9:10], v[9:10], v[7:8], v[5:6]
	s_delay_alu instid0(VALU_DEP_1) | instskip(NEXT) | instid1(VALU_DEP_1)
	v_fma_f64 v[11:12], v[5:6], v[9:10], v[7:8]
	v_div_scale_f64 v[16:17], null, v[11:12], v[11:12], 1.0
	v_div_scale_f64 v[22:23], vcc_lo, 1.0, v[11:12], 1.0
	s_delay_alu instid0(VALU_DEP_2) | instskip(SKIP_2) | instid1(VALU_DEP_1)
	v_rcp_f64_e32 v[18:19], v[16:17]
	s_waitcnt_depctr 0xfff
	v_fma_f64 v[20:21], -v[16:17], v[18:19], 1.0
	v_fma_f64 v[18:19], v[18:19], v[20:21], v[18:19]
	s_delay_alu instid0(VALU_DEP_1) | instskip(NEXT) | instid1(VALU_DEP_1)
	v_fma_f64 v[20:21], -v[16:17], v[18:19], 1.0
	v_fma_f64 v[18:19], v[18:19], v[20:21], v[18:19]
	s_delay_alu instid0(VALU_DEP_1) | instskip(NEXT) | instid1(VALU_DEP_1)
	v_mul_f64 v[20:21], v[22:23], v[18:19]
	v_fma_f64 v[16:17], -v[16:17], v[20:21], v[22:23]
	s_delay_alu instid0(VALU_DEP_1) | instskip(SKIP_1) | instid1(VALU_DEP_2)
	v_div_fmas_f64 v[16:17], v[16:17], v[18:19], v[20:21]
	v_fma_f64 v[18:19], v[1:2], v[9:10], v[3:4]
	v_div_fixup_f64 v[11:12], v[16:17], v[11:12], 1.0
	v_fma_f64 v[16:17], v[3:4], v[9:10], -v[1:2]
	s_delay_alu instid0(VALU_DEP_2) | instskip(NEXT) | instid1(VALU_DEP_2)
	v_mul_f64 v[9:10], v[18:19], v[11:12]
	v_mul_f64 v[11:12], v[16:17], v[11:12]
	s_cbranch_execnz .LBB203_135
	s_branch .LBB203_142
.LBB203_141:                            ;   in Loop: Header=BB203_136 Depth=1
                                        ; implicit-def: $vgpr9_vgpr10
.LBB203_142:                            ;   in Loop: Header=BB203_136 Depth=1
	v_div_scale_f64 v[9:10], null, v[5:6], v[5:6], v[7:8]
	v_div_scale_f64 v[18:19], vcc_lo, v[7:8], v[5:6], v[7:8]
	s_delay_alu instid0(VALU_DEP_2) | instskip(SKIP_2) | instid1(VALU_DEP_1)
	v_rcp_f64_e32 v[11:12], v[9:10]
	s_waitcnt_depctr 0xfff
	v_fma_f64 v[16:17], -v[9:10], v[11:12], 1.0
	v_fma_f64 v[11:12], v[11:12], v[16:17], v[11:12]
	s_delay_alu instid0(VALU_DEP_1) | instskip(NEXT) | instid1(VALU_DEP_1)
	v_fma_f64 v[16:17], -v[9:10], v[11:12], 1.0
	v_fma_f64 v[11:12], v[11:12], v[16:17], v[11:12]
	s_delay_alu instid0(VALU_DEP_1) | instskip(NEXT) | instid1(VALU_DEP_1)
	v_mul_f64 v[16:17], v[18:19], v[11:12]
	v_fma_f64 v[9:10], -v[9:10], v[16:17], v[18:19]
	s_delay_alu instid0(VALU_DEP_1) | instskip(NEXT) | instid1(VALU_DEP_1)
	v_div_fmas_f64 v[9:10], v[9:10], v[11:12], v[16:17]
	v_div_fixup_f64 v[9:10], v[9:10], v[5:6], v[7:8]
	s_delay_alu instid0(VALU_DEP_1) | instskip(NEXT) | instid1(VALU_DEP_1)
	v_fma_f64 v[5:6], v[7:8], v[9:10], v[5:6]
	v_div_scale_f64 v[7:8], null, v[5:6], v[5:6], 1.0
	v_div_scale_f64 v[18:19], vcc_lo, 1.0, v[5:6], 1.0
	s_delay_alu instid0(VALU_DEP_2) | instskip(SKIP_2) | instid1(VALU_DEP_1)
	v_rcp_f64_e32 v[11:12], v[7:8]
	s_waitcnt_depctr 0xfff
	v_fma_f64 v[16:17], -v[7:8], v[11:12], 1.0
	v_fma_f64 v[11:12], v[11:12], v[16:17], v[11:12]
	s_delay_alu instid0(VALU_DEP_1) | instskip(NEXT) | instid1(VALU_DEP_1)
	v_fma_f64 v[16:17], -v[7:8], v[11:12], 1.0
	v_fma_f64 v[11:12], v[11:12], v[16:17], v[11:12]
	s_delay_alu instid0(VALU_DEP_1) | instskip(NEXT) | instid1(VALU_DEP_1)
	v_mul_f64 v[16:17], v[18:19], v[11:12]
	v_fma_f64 v[7:8], -v[7:8], v[16:17], v[18:19]
	s_delay_alu instid0(VALU_DEP_1) | instskip(SKIP_2) | instid1(VALU_DEP_3)
	v_div_fmas_f64 v[7:8], v[7:8], v[11:12], v[16:17]
	v_fma_f64 v[11:12], v[3:4], v[9:10], v[1:2]
	v_fma_f64 v[1:2], -v[1:2], v[9:10], v[3:4]
	v_div_fixup_f64 v[5:6], v[7:8], v[5:6], 1.0
	s_delay_alu instid0(VALU_DEP_1) | instskip(NEXT) | instid1(VALU_DEP_3)
	v_mul_f64 v[9:10], v[11:12], v[5:6]
	v_mul_f64 v[11:12], v[1:2], v[5:6]
	s_branch .LBB203_135
.LBB203_143:
	s_and_saveexec_b32 s1, s20
	s_cbranch_execz .LBB203_150
; %bb.144:
	v_lshlrev_b32_e32 v3, 4, v0
	s_ashr_i32 s1, s0, 31
	s_cmp_lt_u32 s28, 4
	s_mov_b32 s14, 0
	s_cbranch_scc1 .LBB203_147
; %bb.145:
	v_add_co_u32 v1, s4, s18, v3
	s_delay_alu instid0(VALU_DEP_1)
	v_add_co_ci_u32_e64 v2, null, s19, 0, s4
	v_lshl_or_b32 v0, v0, 4, 0x100
	s_and_b32 s14, s28, 0x7ffffffc
	s_mul_hi_i32 s15, s0, 48
	s_mul_i32 s16, s0, 48
	s_lshl_b64 s[4:5], s[0:1], 6
	s_lshl_b64 s[6:7], s[0:1], 5
	;; [unrolled: 1-line block ×3, first 2 shown]
	s_mov_b32 s17, 0
	s_set_inst_prefetch_distance 0x1
	.p2align	6
.LBB203_146:                            ; =>This Inner Loop Header: Depth=1
	ds_load_2addr_b64 v[4:7], v0 offset1:1
	ds_load_2addr_b64 v[8:11], v0 offset0:8 offset1:9
	ds_load_2addr_b64 v[12:15], v0 offset0:16 offset1:17
	;; [unrolled: 1-line block ×3, first 2 shown]
	v_add_co_u32 v20, vcc_lo, v1, s10
	v_add_co_ci_u32_e32 v21, vcc_lo, s11, v2, vcc_lo
	v_add_co_u32 v22, vcc_lo, v1, s6
	v_add_co_ci_u32_e32 v23, vcc_lo, s7, v2, vcc_lo
	v_add_co_u32 v24, vcc_lo, v1, s16
	v_add_co_ci_u32_e32 v25, vcc_lo, s15, v2, vcc_lo
	v_add_nc_u32_e32 v0, 0x100, v0
	s_add_i32 s17, s17, 4
	s_delay_alu instid0(SALU_CYCLE_1)
	s_cmp_lg_u32 s14, s17
	s_waitcnt lgkmcnt(3)
	global_store_b128 v[1:2], v[4:7], off
	v_add_co_u32 v1, vcc_lo, v1, s4
	v_add_co_ci_u32_e32 v2, vcc_lo, s5, v2, vcc_lo
	s_waitcnt lgkmcnt(2)
	global_store_b128 v[20:21], v[8:11], off
	s_waitcnt lgkmcnt(1)
	global_store_b128 v[22:23], v[12:15], off
	;; [unrolled: 2-line block ×3, first 2 shown]
	s_cbranch_scc1 .LBB203_146
.LBB203_147:
	s_set_inst_prefetch_distance 0x2
	s_and_b32 s4, s28, 3
	s_delay_alu instid0(SALU_CYCLE_1)
	s_cmp_eq_u32 s4, 0
	s_cbranch_scc1 .LBB203_150
; %bb.148:
	s_mul_hi_i32 s7, s0, s14
	s_mul_i32 s6, s0, s14
	v_lshl_or_b32 v2, s14, 6, v3
	s_lshl_b64 s[6:7], s[6:7], 4
	s_delay_alu instid0(SALU_CYCLE_1)
	s_add_u32 s5, s6, s8
	s_addc_u32 s6, s7, s9
	s_add_u32 s2, s5, s2
	s_addc_u32 s3, s6, s3
	s_add_u32 s2, s12, s2
	s_addc_u32 s3, s13, s3
	v_add_co_u32 v0, s2, s2, v3
	s_delay_alu instid0(VALU_DEP_1)
	v_add_co_ci_u32_e64 v1, null, s3, 0, s2
	v_add_nc_u32_e32 v2, 0x100, v2
	s_lshl_b64 s[0:1], s[0:1], 4
.LBB203_149:                            ; =>This Inner Loop Header: Depth=1
	ds_load_2addr_b64 v[3:6], v2 offset1:1
	v_add_nc_u32_e32 v2, 64, v2
	s_add_i32 s4, s4, -1
	s_delay_alu instid0(SALU_CYCLE_1)
	s_cmp_lg_u32 s4, 0
	s_waitcnt lgkmcnt(0)
	global_store_b128 v[0:1], v[3:6], off
	v_add_co_u32 v0, vcc_lo, v0, s0
	v_add_co_ci_u32_e32 v1, vcc_lo, s1, v1, vcc_lo
	s_cbranch_scc1 .LBB203_149
.LBB203_150:
	s_nop 0
	s_sendmsg sendmsg(MSG_DEALLOC_VGPRS)
	s_endpgm
	.section	.rodata,"a",@progbits
	.p2align	6, 0x0
	.amdhsa_kernel _ZL31rocblas_trsm_small_right_deviceI19rocblas_complex_numIdES1_PKPKS1_PKPS1_Li4EEv13rocblas_fill_18rocblas_operation_17rocblas_diagonal_iiT0_T1_lilT2_lili
		.amdhsa_group_segment_fixed_size 512
		.amdhsa_private_segment_fixed_size 0
		.amdhsa_kernarg_size 368
		.amdhsa_user_sgpr_count 14
		.amdhsa_user_sgpr_dispatch_ptr 0
		.amdhsa_user_sgpr_queue_ptr 0
		.amdhsa_user_sgpr_kernarg_segment_ptr 1
		.amdhsa_user_sgpr_dispatch_id 0
		.amdhsa_user_sgpr_private_segment_size 0
		.amdhsa_wavefront_size32 1
		.amdhsa_uses_dynamic_stack 0
		.amdhsa_enable_private_segment 0
		.amdhsa_system_sgpr_workgroup_id_x 1
		.amdhsa_system_sgpr_workgroup_id_y 0
		.amdhsa_system_sgpr_workgroup_id_z 1
		.amdhsa_system_sgpr_workgroup_info 0
		.amdhsa_system_vgpr_workitem_id 0
		.amdhsa_next_free_vgpr 37
		.amdhsa_next_free_sgpr 32
		.amdhsa_reserve_vcc 1
		.amdhsa_float_round_mode_32 0
		.amdhsa_float_round_mode_16_64 0
		.amdhsa_float_denorm_mode_32 3
		.amdhsa_float_denorm_mode_16_64 3
		.amdhsa_dx10_clamp 1
		.amdhsa_ieee_mode 1
		.amdhsa_fp16_overflow 0
		.amdhsa_workgroup_processor_mode 1
		.amdhsa_memory_ordered 1
		.amdhsa_forward_progress 0
		.amdhsa_shared_vgpr_count 0
		.amdhsa_exception_fp_ieee_invalid_op 0
		.amdhsa_exception_fp_denorm_src 0
		.amdhsa_exception_fp_ieee_div_zero 0
		.amdhsa_exception_fp_ieee_overflow 0
		.amdhsa_exception_fp_ieee_underflow 0
		.amdhsa_exception_fp_ieee_inexact 0
		.amdhsa_exception_int_div_zero 0
	.end_amdhsa_kernel
	.section	.text._ZL31rocblas_trsm_small_right_deviceI19rocblas_complex_numIdES1_PKPKS1_PKPS1_Li4EEv13rocblas_fill_18rocblas_operation_17rocblas_diagonal_iiT0_T1_lilT2_lili,"axG",@progbits,_ZL31rocblas_trsm_small_right_deviceI19rocblas_complex_numIdES1_PKPKS1_PKPS1_Li4EEv13rocblas_fill_18rocblas_operation_17rocblas_diagonal_iiT0_T1_lilT2_lili,comdat
.Lfunc_end203:
	.size	_ZL31rocblas_trsm_small_right_deviceI19rocblas_complex_numIdES1_PKPKS1_PKPS1_Li4EEv13rocblas_fill_18rocblas_operation_17rocblas_diagonal_iiT0_T1_lilT2_lili, .Lfunc_end203-_ZL31rocblas_trsm_small_right_deviceI19rocblas_complex_numIdES1_PKPKS1_PKPS1_Li4EEv13rocblas_fill_18rocblas_operation_17rocblas_diagonal_iiT0_T1_lilT2_lili
                                        ; -- End function
	.section	.AMDGPU.csdata,"",@progbits
; Kernel info:
; codeLenInByte = 17132
; NumSgprs: 34
; NumVgprs: 37
; ScratchSize: 0
; MemoryBound: 0
; FloatMode: 240
; IeeeMode: 1
; LDSByteSize: 512 bytes/workgroup (compile time only)
; SGPRBlocks: 4
; VGPRBlocks: 4
; NumSGPRsForWavesPerEU: 34
; NumVGPRsForWavesPerEU: 37
; Occupancy: 16
; WaveLimiterHint : 0
; COMPUTE_PGM_RSRC2:SCRATCH_EN: 0
; COMPUTE_PGM_RSRC2:USER_SGPR: 14
; COMPUTE_PGM_RSRC2:TRAP_HANDLER: 0
; COMPUTE_PGM_RSRC2:TGID_X_EN: 1
; COMPUTE_PGM_RSRC2:TGID_Y_EN: 0
; COMPUTE_PGM_RSRC2:TGID_Z_EN: 1
; COMPUTE_PGM_RSRC2:TIDIG_COMP_CNT: 0
	.section	.text._ZL38rocblas_trsm_small_left_device_sharedBILi8ELi8ELb0E19rocblas_complex_numIdES1_PKPKS1_PKPS1_Ev13rocblas_fill_18rocblas_operation_17rocblas_diagonal_iiT3_T4_lilT5_lili,"axG",@progbits,_ZL38rocblas_trsm_small_left_device_sharedBILi8ELi8ELb0E19rocblas_complex_numIdES1_PKPKS1_PKPS1_Ev13rocblas_fill_18rocblas_operation_17rocblas_diagonal_iiT3_T4_lilT5_lili,comdat
	.globl	_ZL38rocblas_trsm_small_left_device_sharedBILi8ELi8ELb0E19rocblas_complex_numIdES1_PKPKS1_PKPS1_Ev13rocblas_fill_18rocblas_operation_17rocblas_diagonal_iiT3_T4_lilT5_lili ; -- Begin function _ZL38rocblas_trsm_small_left_device_sharedBILi8ELi8ELb0E19rocblas_complex_numIdES1_PKPKS1_PKPS1_Ev13rocblas_fill_18rocblas_operation_17rocblas_diagonal_iiT3_T4_lilT5_lili
	.p2align	8
	.type	_ZL38rocblas_trsm_small_left_device_sharedBILi8ELi8ELb0E19rocblas_complex_numIdES1_PKPKS1_PKPS1_Ev13rocblas_fill_18rocblas_operation_17rocblas_diagonal_iiT3_T4_lilT5_lili,@function
_ZL38rocblas_trsm_small_left_device_sharedBILi8ELi8ELb0E19rocblas_complex_numIdES1_PKPKS1_PKPS1_Ev13rocblas_fill_18rocblas_operation_17rocblas_diagonal_iiT3_T4_lilT5_lili: ; @_ZL38rocblas_trsm_small_left_device_sharedBILi8ELi8ELb0E19rocblas_complex_numIdES1_PKPKS1_PKPS1_Ev13rocblas_fill_18rocblas_operation_17rocblas_diagonal_iiT3_T4_lilT5_lili
; %bb.0:
	s_clause 0x1
	s_load_b128 s[20:23], s[0:1], 0x48
	s_load_b128 s[16:19], s[0:1], 0x4
	s_mov_b32 s2, s15
	s_mov_b32 s3, 0
	s_load_b32 s29, s[0:1], 0x70
	s_lshl_b64 s[24:25], s[2:3], 3
	s_mov_b32 s30, exec_lo
	s_waitcnt lgkmcnt(0)
	s_add_u32 s12, s20, s24
	s_addc_u32 s13, s21, s25
	s_load_b256 s[4:11], s[0:1], 0x18
	s_load_b64 s[12:13], s[12:13], 0x0
	s_min_i32 s28, s18, 8
	s_delay_alu instid0(SALU_CYCLE_1)
	s_add_i32 s15, s28, -1
	v_cmpx_gt_i32_e64 s28, v0
	s_cbranch_execz .LBB204_15
; %bb.1:
	s_load_b32 s20, s[0:1], 0x38
	s_waitcnt lgkmcnt(0)
	s_ashr_i32 s21, s20, 31
	s_cmpk_eq_i32 s16, 0x71
	s_cselect_b32 vcc_lo, -1, 0
	s_add_u32 s8, s8, s24
	s_addc_u32 s9, s9, s25
	s_cmp_lt_u32 s15, 3
	s_load_b64 s[8:9], s[8:9], 0x0
	s_cbranch_scc1 .LBB204_4
; %bb.2:
	v_lshlrev_b32_e32 v1, 4, v0
	s_lshl_b64 s[24:25], s[10:11], 4
	s_and_b32 s3, s28, -4
	s_waitcnt lgkmcnt(0)
	s_add_u32 s2, s8, s24
	s_addc_u32 s24, s9, s25
	v_add_co_u32 v1, s2, s2, v1
	s_delay_alu instid0(VALU_DEP_1) | instskip(SKIP_1) | instid1(VALU_DEP_3)
	v_add_co_ci_u32_e64 v2, null, s24, 0, s2
	v_lshlrev_b32_e32 v3, 4, v0
	v_add_co_u32 v1, s2, v1, 8
	s_delay_alu instid0(VALU_DEP_1)
	v_add_co_ci_u32_e64 v2, s2, 0, v2, s2
	s_lshl_b64 s[24:25], s[20:21], 6
	s_lshl_b64 s[26:27], s[20:21], 4
	s_mov_b32 s31, 0
.LBB204_3:                              ; =>This Inner Loop Header: Depth=1
	v_add_co_u32 v8, s2, v1, s26
	s_delay_alu instid0(VALU_DEP_1) | instskip(SKIP_1) | instid1(VALU_DEP_2)
	v_add_co_ci_u32_e64 v9, s2, s27, v2, s2
	s_add_i32 s31, s31, 4
	v_add_co_u32 v12, s2, v8, s26
	s_delay_alu instid0(VALU_DEP_1) | instskip(SKIP_1) | instid1(VALU_DEP_2)
	v_add_co_ci_u32_e64 v13, s2, s27, v9, s2
	s_cmp_eq_u32 s3, s31
	v_add_co_u32 v16, s2, v12, s26
	s_delay_alu instid0(VALU_DEP_1)
	v_add_co_ci_u32_e64 v17, s2, s27, v13, s2
	s_clause 0x3
	global_load_b128 v[4:7], v[1:2], off offset:-8
	global_load_b128 v[8:11], v[8:9], off offset:-8
	;; [unrolled: 1-line block ×4, first 2 shown]
	v_add_co_u32 v1, s2, v1, s24
	s_delay_alu instid0(VALU_DEP_1)
	v_add_co_ci_u32_e64 v2, s2, s25, v2, s2
	s_waitcnt vmcnt(3)
	v_xor_b32_e32 v20, 0x80000000, v7
	s_waitcnt vmcnt(2)
	v_xor_b32_e32 v21, 0x80000000, v11
	;; [unrolled: 2-line block ×4, first 2 shown]
	v_cndmask_b32_e32 v7, v7, v20, vcc_lo
	v_cndmask_b32_e32 v11, v11, v21, vcc_lo
	;; [unrolled: 1-line block ×3, first 2 shown]
	s_delay_alu instid0(VALU_DEP_4)
	v_cndmask_b32_e32 v19, v19, v23, vcc_lo
	ds_store_b128 v3, v[4:7]
	ds_store_b128 v3, v[8:11] offset:128
	ds_store_b128 v3, v[12:15] offset:256
	;; [unrolled: 1-line block ×3, first 2 shown]
	v_add_nc_u32_e32 v3, 0x200, v3
	s_cbranch_scc0 .LBB204_3
.LBB204_4:
	s_and_b32 s24, s28, 3
	s_delay_alu instid0(SALU_CYCLE_1)
	s_cmp_eq_u32 s24, 0
	s_cbranch_scc1 .LBB204_7
; %bb.5:
	s_mul_i32 s2, s21, s3
	s_mul_hi_u32 s25, s20, s3
	s_mul_i32 s26, s20, s3
	s_add_i32 s27, s25, s2
	s_lshl_b64 s[10:11], s[10:11], 4
	s_lshl_b64 s[26:27], s[26:27], 4
	v_lshlrev_b32_e32 v1, 4, v0
	s_add_u32 s2, s26, s10
	s_addc_u32 s10, s27, s11
	s_waitcnt lgkmcnt(0)
	s_add_u32 s2, s8, s2
	s_addc_u32 s8, s9, s10
	v_add_co_u32 v2, s2, s2, v1
	s_delay_alu instid0(VALU_DEP_1) | instskip(SKIP_1) | instid1(VALU_DEP_3)
	v_add_co_ci_u32_e64 v4, null, s8, 0, s2
	v_lshl_or_b32 v3, s3, 7, v1
	v_add_co_u32 v1, s2, v2, 8
	s_delay_alu instid0(VALU_DEP_1)
	v_add_co_ci_u32_e64 v2, s2, 0, v4, s2
	s_lshl_b64 s[8:9], s[20:21], 4
.LBB204_6:                              ; =>This Inner Loop Header: Depth=1
	global_load_b128 v[4:7], v[1:2], off offset:-8
	v_add_co_u32 v1, s2, v1, s8
	s_delay_alu instid0(VALU_DEP_1) | instskip(SKIP_1) | instid1(SALU_CYCLE_1)
	v_add_co_ci_u32_e64 v2, s2, s9, v2, s2
	s_add_i32 s24, s24, -1
	s_cmp_lg_u32 s24, 0
	s_waitcnt vmcnt(0)
	v_xor_b32_e32 v8, 0x80000000, v7
	s_delay_alu instid0(VALU_DEP_1)
	v_cndmask_b32_e32 v7, v7, v8, vcc_lo
	ds_store_b128 v3, v[4:7]
	v_add_nc_u32_e32 v3, 0x80, v3
	s_cbranch_scc1 .LBB204_6
.LBB204_7:
	v_mul_u32_u24_e32 v1, 9, v0
	s_cmpk_lg_i32 s17, 0x84
	s_delay_alu instid0(VALU_DEP_1)
	v_lshlrev_b32_e32 v9, 4, v1
	s_cbranch_scc0 .LBB204_13
; %bb.8:
	ds_load_b128 v[1:4], v9
	s_waitcnt lgkmcnt(0)
	v_cmp_gt_f64_e32 vcc_lo, 0, v[1:2]
	v_xor_b32_e32 v6, 0x80000000, v2
	v_mov_b32_e32 v5, v1
	v_xor_b32_e32 v7, 0x80000000, v4
	s_delay_alu instid0(VALU_DEP_3) | instskip(SKIP_1) | instid1(VALU_DEP_3)
	v_cndmask_b32_e32 v6, v2, v6, vcc_lo
	v_cmp_gt_f64_e32 vcc_lo, 0, v[3:4]
	v_dual_cndmask_b32 v8, v4, v7 :: v_dual_mov_b32 v7, v3
	s_delay_alu instid0(VALU_DEP_1) | instskip(SKIP_1) | instid1(SALU_CYCLE_1)
	v_cmp_ngt_f64_e32 vcc_lo, v[5:6], v[7:8]
                                        ; implicit-def: $vgpr7_vgpr8
	s_and_saveexec_b32 s2, vcc_lo
	s_xor_b32 s2, exec_lo, s2
	s_cbranch_execz .LBB204_10
; %bb.9:
	v_div_scale_f64 v[5:6], null, v[3:4], v[3:4], v[1:2]
	v_div_scale_f64 v[12:13], vcc_lo, v[1:2], v[3:4], v[1:2]
	s_delay_alu instid0(VALU_DEP_2) | instskip(SKIP_2) | instid1(VALU_DEP_1)
	v_rcp_f64_e32 v[7:8], v[5:6]
	s_waitcnt_depctr 0xfff
	v_fma_f64 v[10:11], -v[5:6], v[7:8], 1.0
	v_fma_f64 v[7:8], v[7:8], v[10:11], v[7:8]
	s_delay_alu instid0(VALU_DEP_1) | instskip(NEXT) | instid1(VALU_DEP_1)
	v_fma_f64 v[10:11], -v[5:6], v[7:8], 1.0
	v_fma_f64 v[7:8], v[7:8], v[10:11], v[7:8]
	s_delay_alu instid0(VALU_DEP_1) | instskip(NEXT) | instid1(VALU_DEP_1)
	v_mul_f64 v[10:11], v[12:13], v[7:8]
	v_fma_f64 v[5:6], -v[5:6], v[10:11], v[12:13]
	s_delay_alu instid0(VALU_DEP_1) | instskip(NEXT) | instid1(VALU_DEP_1)
	v_div_fmas_f64 v[5:6], v[5:6], v[7:8], v[10:11]
	v_div_fixup_f64 v[5:6], v[5:6], v[3:4], v[1:2]
	s_delay_alu instid0(VALU_DEP_1) | instskip(NEXT) | instid1(VALU_DEP_1)
	v_fma_f64 v[1:2], v[1:2], v[5:6], v[3:4]
	v_div_scale_f64 v[3:4], null, v[1:2], v[1:2], 1.0
	v_div_scale_f64 v[12:13], vcc_lo, 1.0, v[1:2], 1.0
	s_delay_alu instid0(VALU_DEP_2) | instskip(SKIP_2) | instid1(VALU_DEP_1)
	v_rcp_f64_e32 v[7:8], v[3:4]
	s_waitcnt_depctr 0xfff
	v_fma_f64 v[10:11], -v[3:4], v[7:8], 1.0
	v_fma_f64 v[7:8], v[7:8], v[10:11], v[7:8]
	s_delay_alu instid0(VALU_DEP_1) | instskip(NEXT) | instid1(VALU_DEP_1)
	v_fma_f64 v[10:11], -v[3:4], v[7:8], 1.0
	v_fma_f64 v[7:8], v[7:8], v[10:11], v[7:8]
	s_delay_alu instid0(VALU_DEP_1) | instskip(NEXT) | instid1(VALU_DEP_1)
	v_mul_f64 v[10:11], v[12:13], v[7:8]
	v_fma_f64 v[3:4], -v[3:4], v[10:11], v[12:13]
	s_delay_alu instid0(VALU_DEP_1) | instskip(SKIP_1) | instid1(VALU_DEP_2)
	v_div_fmas_f64 v[3:4], v[3:4], v[7:8], v[10:11]
	v_add_f64 v[7:8], v[5:6], 0
	v_div_fixup_f64 v[1:2], v[3:4], v[1:2], 1.0
	v_fma_f64 v[3:4], v[5:6], 0, -1.0
	s_delay_alu instid0(VALU_DEP_2) | instskip(NEXT) | instid1(VALU_DEP_2)
	v_mul_f64 v[5:6], v[7:8], v[1:2]
	v_mul_f64 v[7:8], v[3:4], v[1:2]
                                        ; implicit-def: $vgpr1_vgpr2
.LBB204_10:
	s_and_not1_saveexec_b32 s2, s2
	s_cbranch_execz .LBB204_12
; %bb.11:
	v_div_scale_f64 v[5:6], null, v[1:2], v[1:2], v[3:4]
	v_div_scale_f64 v[12:13], vcc_lo, v[3:4], v[1:2], v[3:4]
	s_delay_alu instid0(VALU_DEP_2) | instskip(SKIP_2) | instid1(VALU_DEP_1)
	v_rcp_f64_e32 v[7:8], v[5:6]
	s_waitcnt_depctr 0xfff
	v_fma_f64 v[10:11], -v[5:6], v[7:8], 1.0
	v_fma_f64 v[7:8], v[7:8], v[10:11], v[7:8]
	s_delay_alu instid0(VALU_DEP_1) | instskip(NEXT) | instid1(VALU_DEP_1)
	v_fma_f64 v[10:11], -v[5:6], v[7:8], 1.0
	v_fma_f64 v[7:8], v[7:8], v[10:11], v[7:8]
	s_delay_alu instid0(VALU_DEP_1) | instskip(NEXT) | instid1(VALU_DEP_1)
	v_mul_f64 v[10:11], v[12:13], v[7:8]
	v_fma_f64 v[5:6], -v[5:6], v[10:11], v[12:13]
	s_delay_alu instid0(VALU_DEP_1) | instskip(NEXT) | instid1(VALU_DEP_1)
	v_div_fmas_f64 v[5:6], v[5:6], v[7:8], v[10:11]
	v_div_fixup_f64 v[5:6], v[5:6], v[1:2], v[3:4]
	s_delay_alu instid0(VALU_DEP_1) | instskip(NEXT) | instid1(VALU_DEP_1)
	v_fma_f64 v[1:2], v[3:4], v[5:6], v[1:2]
	v_div_scale_f64 v[3:4], null, v[1:2], v[1:2], 1.0
	v_div_scale_f64 v[12:13], vcc_lo, 1.0, v[1:2], 1.0
	s_delay_alu instid0(VALU_DEP_2) | instskip(SKIP_2) | instid1(VALU_DEP_1)
	v_rcp_f64_e32 v[7:8], v[3:4]
	s_waitcnt_depctr 0xfff
	v_fma_f64 v[10:11], -v[3:4], v[7:8], 1.0
	v_fma_f64 v[7:8], v[7:8], v[10:11], v[7:8]
	s_delay_alu instid0(VALU_DEP_1) | instskip(NEXT) | instid1(VALU_DEP_1)
	v_fma_f64 v[10:11], -v[3:4], v[7:8], 1.0
	v_fma_f64 v[7:8], v[7:8], v[10:11], v[7:8]
	s_delay_alu instid0(VALU_DEP_1) | instskip(NEXT) | instid1(VALU_DEP_1)
	v_mul_f64 v[10:11], v[12:13], v[7:8]
	v_fma_f64 v[3:4], -v[3:4], v[10:11], v[12:13]
	s_delay_alu instid0(VALU_DEP_1) | instskip(SKIP_1) | instid1(VALU_DEP_2)
	v_div_fmas_f64 v[3:4], v[3:4], v[7:8], v[10:11]
	v_fma_f64 v[7:8], v[5:6], 0, 1.0
	v_div_fixup_f64 v[1:2], v[3:4], v[1:2], 1.0
	v_add_f64 v[3:4], -v[5:6], 0
	s_delay_alu instid0(VALU_DEP_2) | instskip(NEXT) | instid1(VALU_DEP_2)
	v_mul_f64 v[5:6], v[7:8], v[1:2]
	v_mul_f64 v[7:8], v[3:4], v[1:2]
.LBB204_12:
	s_or_b32 exec_lo, exec_lo, s2
	s_branch .LBB204_14
.LBB204_13:
	v_mov_b32_e32 v5, 0
	v_dual_mov_b32 v6, 0x3ff00000 :: v_dual_mov_b32 v7, 0
	v_mov_b32_e32 v8, 0
.LBB204_14:
	ds_store_b128 v9, v[5:8]
.LBB204_15:
	s_or_b32 exec_lo, exec_lo, s30
	s_load_b32 s2, s[0:1], 0x58
	s_lshl_b64 s[0:1], s[22:23], 4
	s_waitcnt lgkmcnt(0)
	s_add_u32 s3, s12, s0
	s_addc_u32 s8, s13, s1
	s_lshl_b32 s0, s14, 3
	s_add_i32 s29, s29, -1
	s_sub_i32 s9, s19, s0
	s_cmp_ge_u32 s14, s29
	s_cselect_b32 s9, s9, 8
	s_delay_alu instid0(SALU_CYCLE_1) | instskip(SKIP_2) | instid1(SALU_CYCLE_1)
	v_cmp_gt_i32_e32 vcc_lo, s9, v0
	s_mul_hi_i32 s1, s2, s0
	s_mul_i32 s0, s2, s0
	s_lshl_b64 s[0:1], s[0:1], 4
	s_delay_alu instid0(SALU_CYCLE_1) | instskip(SKIP_4) | instid1(SALU_CYCLE_1)
	s_add_u32 s3, s3, s0
	s_addc_u32 s8, s8, s1
	s_cmp_gt_i32 s18, 0
	s_mov_b32 s0, -1
	s_cselect_b32 s1, -1, 0
	s_and_b32 s9, vcc_lo, s1
	s_delay_alu instid0(SALU_CYCLE_1)
	s_and_saveexec_b32 s1, s9
	s_cbranch_execz .LBB204_24
; %bb.16:
	v_mad_i64_i32 v[1:2], null, s2, v0, 0
	s_cmp_eq_u32 s18, 1
	s_delay_alu instid0(VALU_DEP_1) | instskip(NEXT) | instid1(VALU_DEP_1)
	v_lshlrev_b64 v[1:2], 4, v[1:2]
	v_add_co_u32 v1, vcc_lo, s3, v1
	s_delay_alu instid0(VALU_DEP_2) | instskip(SKIP_4) | instid1(VALU_DEP_2)
	v_add_co_ci_u32_e32 v2, vcc_lo, s8, v2, vcc_lo
	global_load_b128 v[3:6], v[1:2], off
	s_waitcnt vmcnt(0)
	v_mul_f64 v[7:8], s[6:7], v[5:6]
	v_mul_f64 v[9:10], s[4:5], v[5:6]
	v_fma_f64 v[5:6], s[4:5], v[3:4], -v[7:8]
	s_delay_alu instid0(VALU_DEP_2)
	v_fma_f64 v[7:8], s[6:7], v[3:4], v[9:10]
	v_lshlrev_b32_e32 v3, 4, v0
	ds_store_b128 v3, v[5:8] offset:1024
	s_cbranch_scc1 .LBB204_24
; %bb.17:
	global_load_b128 v[4:7], v[1:2], off offset:16
	v_or_b32_e32 v3, 0x400, v3
	s_cmp_eq_u32 s18, 2
	s_waitcnt vmcnt(0)
	v_mul_f64 v[8:9], s[6:7], v[6:7]
	v_mul_f64 v[10:11], s[4:5], v[6:7]
	s_delay_alu instid0(VALU_DEP_2) | instskip(NEXT) | instid1(VALU_DEP_2)
	v_fma_f64 v[6:7], s[4:5], v[4:5], -v[8:9]
	v_fma_f64 v[8:9], s[6:7], v[4:5], v[10:11]
	ds_store_b128 v3, v[6:9] offset:128
	s_cbranch_scc1 .LBB204_24
; %bb.18:
	global_load_b128 v[4:7], v[1:2], off offset:32
	s_cmp_eq_u32 s18, 3
	s_waitcnt vmcnt(0)
	v_mul_f64 v[8:9], s[6:7], v[6:7]
	v_mul_f64 v[10:11], s[4:5], v[6:7]
	s_delay_alu instid0(VALU_DEP_2) | instskip(NEXT) | instid1(VALU_DEP_2)
	v_fma_f64 v[6:7], s[4:5], v[4:5], -v[8:9]
	v_fma_f64 v[8:9], s[6:7], v[4:5], v[10:11]
	ds_store_b128 v3, v[6:9] offset:256
	s_cbranch_scc1 .LBB204_24
; %bb.19:
	global_load_b128 v[4:7], v[1:2], off offset:48
	;; [unrolled: 11-line block ×6, first 2 shown]
	s_waitcnt vmcnt(0)
	v_mul_f64 v[1:2], s[6:7], v[6:7]
	v_mul_f64 v[8:9], s[4:5], v[6:7]
	s_delay_alu instid0(VALU_DEP_2) | instskip(NEXT) | instid1(VALU_DEP_2)
	v_fma_f64 v[6:7], s[4:5], v[4:5], -v[1:2]
	v_fma_f64 v[8:9], s[6:7], v[4:5], v[8:9]
	ds_store_b128 v3, v[6:9] offset:896
.LBB204_24:
	s_or_b32 exec_lo, exec_lo, s1
	s_or_b32 s4, 0, 8
	s_cmpk_eq_i32 s16, 0x6f
	s_waitcnt vmcnt(0) lgkmcnt(0)
	s_waitcnt_vscnt null, 0x0
	; wave barrier
	s_waitcnt lgkmcnt(0)
	buffer_gl0_inv
	s_cbranch_scc1 .LBB204_46
; %bb.25:
	v_lshl_or_b32 v5, v0, 4, 0x400
	v_lshlrev_b32_e32 v6, 4, v0
	s_mov_b32 s1, 0
	s_delay_alu instid0(SALU_CYCLE_1)
	s_mov_b32 s0, s1
	s_mov_b32 s5, s1
	s_branch .LBB204_27
.LBB204_26:                             ;   in Loop: Header=BB204_27 Depth=1
	s_cmp_ge_i32 s5, s28
	s_cselect_b32 s6, -1, 0
	s_add_i32 s0, s0, 1
	s_delay_alu instid0(SALU_CYCLE_1) | instskip(SKIP_1) | instid1(SALU_CYCLE_1)
	s_cmp_eq_u32 s0, 3
	s_cselect_b32 s7, -1, 0
	s_or_b32 s6, s6, s7
	s_delay_alu instid0(SALU_CYCLE_1)
	s_and_not1_b32 vcc_lo, exec_lo, s6
	s_cbranch_vccz .LBB204_45
.LBB204_27:                             ; =>This Loop Header: Depth=1
                                        ;     Child Loop BB204_30 Depth 2
                                        ;       Child Loop BB204_31 Depth 3
                                        ;       Child Loop BB204_34 Depth 3
                                        ;         Child Loop BB204_35 Depth 4
                                        ;       Child Loop BB204_39 Depth 3
                                        ;         Child Loop BB204_41 Depth 4
	s_getpc_b64 s[6:7]
	s_add_u32 s6, s6, __const._ZL38rocblas_trsm_small_left_device_sharedBILi8ELi8ELb0E19rocblas_complex_numIdES1_PKPKS1_PKPS1_Ev13rocblas_fill_18rocblas_operation_17rocblas_diagonal_iiT3_T4_lilT5_lili.step_sizes@rel32@lo+4
	s_addc_u32 s7, s7, __const._ZL38rocblas_trsm_small_left_device_sharedBILi8ELi8ELb0E19rocblas_complex_numIdES1_PKPKS1_PKPS1_Ev13rocblas_fill_18rocblas_operation_17rocblas_diagonal_iiT3_T4_lilT5_lili.step_sizes@rel32@hi+12
	s_lshl_b64 s[10:11], s[0:1], 2
	s_delay_alu instid0(SALU_CYCLE_1) | instskip(SKIP_4) | instid1(SALU_CYCLE_1)
	s_add_u32 s6, s10, s6
	s_addc_u32 s7, s11, s7
	s_load_b32 s6, s[6:7], 0x0
	s_waitcnt lgkmcnt(0)
	s_add_i32 s7, s6, -1
	s_add_i32 s10, s7, s5
	s_delay_alu instid0(SALU_CYCLE_1)
	s_cmp_ge_i32 s10, s28
	s_cbranch_scc1 .LBB204_26
; %bb.28:                               ;   in Loop: Header=BB204_27 Depth=1
	s_lshl_b32 s10, s5, 7
	s_max_i32 s11, s6, 1
	v_add_nc_u32_e32 v7, s10, v5
	s_lshl_b32 s12, s6, 7
	s_mul_i32 s13, s5, 0x90
	s_mul_i32 s14, s6, 0x90
	s_branch .LBB204_30
.LBB204_29:                             ;   in Loop: Header=BB204_30 Depth=2
	s_add_i32 s5, s5, s6
	v_add_nc_u32_e32 v7, s12, v7
	s_add_i32 s16, s7, s5
	s_add_i32 s10, s10, s12
	s_add_i32 s13, s13, s14
	s_cmp_ge_i32 s16, s28
	s_cbranch_scc1 .LBB204_26
.LBB204_30:                             ;   Parent Loop BB204_27 Depth=1
                                        ; =>  This Loop Header: Depth=2
                                        ;       Child Loop BB204_31 Depth 3
                                        ;       Child Loop BB204_34 Depth 3
                                        ;         Child Loop BB204_35 Depth 4
                                        ;       Child Loop BB204_39 Depth 3
                                        ;         Child Loop BB204_41 Depth 4
	v_dual_mov_b32 v1, 0 :: v_dual_mov_b32 v2, v7
	s_mov_b32 s16, s11
.LBB204_31:                             ;   Parent Loop BB204_27 Depth=1
                                        ;     Parent Loop BB204_30 Depth=2
                                        ; =>    This Inner Loop Header: Depth=3
	ds_load_b128 v[8:11], v2
	v_add_nc_u32_e32 v2, 0x80, v2
	s_add_i32 s16, s16, -1
	s_delay_alu instid0(SALU_CYCLE_1)
	s_cmp_eq_u32 s16, 0
	s_waitcnt lgkmcnt(0)
	scratch_store_b128 v1, v[8:11], off
	v_add_nc_u32_e32 v1, 16, v1
	s_cbranch_scc0 .LBB204_31
; %bb.32:                               ;   in Loop: Header=BB204_30 Depth=2
	s_cmp_lt_i32 s5, 1
	s_cbranch_scc1 .LBB204_37
; %bb.33:                               ;   in Loop: Header=BB204_30 Depth=2
	s_mov_b32 s16, 0
	s_mov_b32 s17, s10
	s_set_inst_prefetch_distance 0x1
	.p2align	6
.LBB204_34:                             ;   Parent Loop BB204_27 Depth=1
                                        ;     Parent Loop BB204_30 Depth=2
                                        ; =>    This Loop Header: Depth=3
                                        ;         Child Loop BB204_35 Depth 4
	v_lshl_or_b32 v1, s16, 7, v6
	s_mov_b32 s19, s4
	s_mov_b32 s20, s17
	;; [unrolled: 1-line block ×3, first 2 shown]
	ds_load_b128 v[1:4], v1 offset:1024
	.p2align	6
.LBB204_35:                             ;   Parent Loop BB204_27 Depth=1
                                        ;     Parent Loop BB204_30 Depth=2
                                        ;       Parent Loop BB204_34 Depth=3
                                        ; =>      This Inner Loop Header: Depth=4
	scratch_load_b128 v[8:11], off, s19 offset:-8
	v_mov_b32_e32 v12, s20
	s_add_i32 s21, s21, -1
	s_addk_i32 s20, 0x80
	ds_load_b128 v[12:15], v12
	s_waitcnt lgkmcnt(0)
	v_mul_f64 v[16:17], v[3:4], v[14:15]
	v_mul_f64 v[14:15], v[1:2], v[14:15]
	s_delay_alu instid0(VALU_DEP_2) | instskip(NEXT) | instid1(VALU_DEP_2)
	v_fma_f64 v[16:17], v[1:2], v[12:13], -v[16:17]
	v_fma_f64 v[12:13], v[3:4], v[12:13], v[14:15]
	s_waitcnt vmcnt(0)
	s_delay_alu instid0(VALU_DEP_2) | instskip(NEXT) | instid1(VALU_DEP_2)
	v_add_f64 v[8:9], v[8:9], -v[16:17]
	v_add_f64 v[10:11], v[10:11], -v[12:13]
	scratch_store_b128 off, v[8:11], s19 offset:-8
	s_add_i32 s19, s19, 16
	s_cmp_eq_u32 s21, 0
	s_cbranch_scc0 .LBB204_35
; %bb.36:                               ;   in Loop: Header=BB204_34 Depth=3
	s_add_i32 s16, s16, 1
	s_add_i32 s17, s17, 16
	s_cmp_ge_i32 s16, s5
	s_cbranch_scc0 .LBB204_34
.LBB204_37:                             ;   in Loop: Header=BB204_30 Depth=2
	s_set_inst_prefetch_distance 0x2
	s_lshl_b32 s16, s5, 3
	s_mov_b32 s17, 0
	s_mov_b32 s19, s13
	s_branch .LBB204_39
.LBB204_38:                             ;   in Loop: Header=BB204_39 Depth=3
	s_mulk_i32 s21, 0x90
	s_addk_i32 s19, 0x80
	v_mov_b32_e32 v8, s21
	s_lshl_b32 s21, s17, 4
	s_add_i32 s17, s17, 1
	ds_load_b128 v[8:11], v8
	s_waitcnt vmcnt(0) lgkmcnt(0)
	v_mul_f64 v[12:13], v[10:11], v[3:4]
	v_mul_f64 v[3:4], v[8:9], v[3:4]
	s_delay_alu instid0(VALU_DEP_2) | instskip(NEXT) | instid1(VALU_DEP_2)
	v_fma_f64 v[8:9], v[8:9], v[1:2], -v[12:13]
	v_fma_f64 v[10:11], v[10:11], v[1:2], v[3:4]
	v_add_lshl_u32 v1, s20, v0, 4
	s_add_i32 s20, s21, 0
	s_cmp_eq_u32 s17, s11
	scratch_store_b128 off, v[8:11], s20
	ds_store_b128 v1, v[8:11] offset:1024
	s_cbranch_scc1 .LBB204_29
.LBB204_39:                             ;   Parent Loop BB204_27 Depth=1
                                        ;     Parent Loop BB204_30 Depth=2
                                        ; =>    This Loop Header: Depth=3
                                        ;         Child Loop BB204_41 Depth 4
	s_cmp_lg_u32 s17, 0
	s_cbranch_scc0 .LBB204_43
; %bb.40:                               ;   in Loop: Header=BB204_39 Depth=3
	s_lshl_b32 s22, s17, 4
	s_add_i32 s21, s17, s5
	s_add_i32 s20, s22, 0
	v_add_nc_u32_e64 v8, s22, 0
	scratch_load_b128 v[1:4], off, s20
	s_lshl_b32 s20, s21, 3
	s_mov_b32 s22, 0
	s_mov_b32 s23, s19
	;; [unrolled: 1-line block ×3, first 2 shown]
	.p2align	6
.LBB204_41:                             ;   Parent Loop BB204_27 Depth=1
                                        ;     Parent Loop BB204_30 Depth=2
                                        ;       Parent Loop BB204_39 Depth=3
                                        ; =>      This Inner Loop Header: Depth=4
	scratch_load_b128 v[9:12], off, s24 offset:-8
	v_mov_b32_e32 v13, s23
	s_add_i32 s22, s22, 1
	s_add_i32 s24, s24, 16
	;; [unrolled: 1-line block ×3, first 2 shown]
	s_cmp_ge_u32 s22, s17
	ds_load_b128 v[13:16], v13
	s_waitcnt vmcnt(0) lgkmcnt(0)
	v_mul_f64 v[17:18], v[15:16], v[11:12]
	v_mul_f64 v[11:12], v[13:14], v[11:12]
	s_delay_alu instid0(VALU_DEP_2) | instskip(NEXT) | instid1(VALU_DEP_2)
	v_fma_f64 v[13:14], v[13:14], v[9:10], -v[17:18]
	v_fma_f64 v[9:10], v[15:16], v[9:10], v[11:12]
	s_delay_alu instid0(VALU_DEP_2) | instskip(NEXT) | instid1(VALU_DEP_2)
	v_add_f64 v[1:2], v[1:2], -v[13:14]
	v_add_f64 v[3:4], v[3:4], -v[9:10]
	scratch_store_b128 v8, v[1:4], off
	s_cbranch_scc0 .LBB204_41
; %bb.42:                               ;   in Loop: Header=BB204_39 Depth=3
	s_branch .LBB204_38
.LBB204_43:                             ;   in Loop: Header=BB204_39 Depth=3
                                        ; implicit-def: $vgpr1_vgpr2
                                        ; implicit-def: $sgpr21
                                        ; implicit-def: $sgpr20
	s_cbranch_execz .LBB204_38
; %bb.44:                               ;   in Loop: Header=BB204_39 Depth=3
	scratch_load_b128 v[1:4], off, off
	s_mov_b32 s20, s16
	s_mov_b32 s21, s5
	s_branch .LBB204_38
.LBB204_45:
	s_mov_b32 s0, 0
.LBB204_46:
	s_delay_alu instid0(SALU_CYCLE_1)
	s_and_b32 vcc_lo, exec_lo, s0
	s_cbranch_vccz .LBB204_66
; %bb.47:
	v_lshl_or_b32 v5, v0, 4, 0x400
	v_lshlrev_b32_e32 v6, 4, v0
	s_lshl_b32 s5, s28, 7
	s_mov_b32 s1, 0
	s_addk_i32 s5, 0xff80
	s_mov_b32 s0, s1
	s_mov_b32 s6, s15
	s_branch .LBB204_49
.LBB204_48:                             ;   in Loop: Header=BB204_49 Depth=1
	s_cmp_lt_i32 s6, 0
	s_cselect_b32 s7, -1, 0
	s_add_i32 s0, s0, 1
	s_delay_alu instid0(SALU_CYCLE_1) | instskip(SKIP_1) | instid1(SALU_CYCLE_1)
	s_cmp_eq_u32 s0, 3
	s_cselect_b32 s10, -1, 0
	s_or_b32 s7, s7, s10
	s_delay_alu instid0(SALU_CYCLE_1)
	s_and_b32 vcc_lo, exec_lo, s7
	s_cbranch_vccnz .LBB204_66
.LBB204_49:                             ; =>This Loop Header: Depth=1
                                        ;     Child Loop BB204_52 Depth 2
                                        ;       Child Loop BB204_53 Depth 3
                                        ;       Child Loop BB204_55 Depth 3
                                        ;         Child Loop BB204_56 Depth 4
                                        ;       Child Loop BB204_60 Depth 3
                                        ;         Child Loop BB204_62 Depth 4
	s_getpc_b64 s[10:11]
	s_add_u32 s10, s10, __const._ZL38rocblas_trsm_small_left_device_sharedBILi8ELi8ELb0E19rocblas_complex_numIdES1_PKPKS1_PKPS1_Ev13rocblas_fill_18rocblas_operation_17rocblas_diagonal_iiT3_T4_lilT5_lili.step_sizes@rel32@lo+4
	s_addc_u32 s11, s11, __const._ZL38rocblas_trsm_small_left_device_sharedBILi8ELi8ELb0E19rocblas_complex_numIdES1_PKPKS1_PKPS1_Ev13rocblas_fill_18rocblas_operation_17rocblas_diagonal_iiT3_T4_lilT5_lili.step_sizes@rel32@hi+12
	s_lshl_b64 s[12:13], s[0:1], 2
	s_delay_alu instid0(SALU_CYCLE_1) | instskip(SKIP_4) | instid1(SALU_CYCLE_1)
	s_add_u32 s10, s12, s10
	s_addc_u32 s11, s13, s11
	s_load_b32 s7, s[10:11], 0x0
	s_waitcnt lgkmcnt(0)
	s_add_i32 s10, s7, -1
	s_cmp_lt_i32 s6, s10
	s_cbranch_scc1 .LBB204_48
; %bb.50:                               ;   in Loop: Header=BB204_49 Depth=1
	v_lshl_add_u32 v7, s6, 7, v5
	s_lshl_b32 s12, s7, 7
	s_lshl_b32 s13, s6, 4
	;; [unrolled: 1-line block ×3, first 2 shown]
	s_max_i32 s11, s7, 1
	s_sub_i32 s12, 0, s12
	s_add_i32 s13, s5, s13
	s_sub_i32 s14, 0, s14
	s_mul_i32 s16, s6, 0x90
	s_mul_i32 s17, s7, 0xffffff70
	s_branch .LBB204_52
.LBB204_51:                             ;   in Loop: Header=BB204_52 Depth=2
	v_add_nc_u32_e32 v7, s12, v7
	s_sub_i32 s6, s6, s7
	s_add_i32 s13, s13, s14
	s_add_i32 s16, s16, s17
	s_cmp_lt_i32 s6, s10
	s_cbranch_scc1 .LBB204_48
.LBB204_52:                             ;   Parent Loop BB204_49 Depth=1
                                        ; =>  This Loop Header: Depth=2
                                        ;       Child Loop BB204_53 Depth 3
                                        ;       Child Loop BB204_55 Depth 3
                                        ;         Child Loop BB204_56 Depth 4
                                        ;       Child Loop BB204_60 Depth 3
                                        ;         Child Loop BB204_62 Depth 4
	v_dual_mov_b32 v1, 0 :: v_dual_mov_b32 v2, v7
	s_mov_b32 s19, s11
.LBB204_53:                             ;   Parent Loop BB204_49 Depth=1
                                        ;     Parent Loop BB204_52 Depth=2
                                        ; =>    This Inner Loop Header: Depth=3
	ds_load_b128 v[8:11], v2
	v_add_nc_u32_e32 v2, 0xffffff80, v2
	s_add_i32 s19, s19, -1
	s_delay_alu instid0(SALU_CYCLE_1)
	s_cmp_eq_u32 s19, 0
	s_waitcnt lgkmcnt(0)
	scratch_store_b128 v1, v[8:11], off
	v_add_nc_u32_e32 v1, 16, v1
	s_cbranch_scc0 .LBB204_53
; %bb.54:                               ;   in Loop: Header=BB204_52 Depth=2
	s_cmp_le_i32 s15, s6
	s_mov_b32 s19, s13
	s_mov_b32 s20, s15
	s_cbranch_scc1 .LBB204_58
	.p2align	6
.LBB204_55:                             ;   Parent Loop BB204_49 Depth=1
                                        ;     Parent Loop BB204_52 Depth=2
                                        ; =>    This Loop Header: Depth=3
                                        ;         Child Loop BB204_56 Depth 4
	v_lshl_or_b32 v1, s20, 7, v6
	s_mov_b32 s21, s4
	s_mov_b32 s22, s11
	;; [unrolled: 1-line block ×3, first 2 shown]
	ds_load_b128 v[1:4], v1 offset:1024
	.p2align	6
.LBB204_56:                             ;   Parent Loop BB204_49 Depth=1
                                        ;     Parent Loop BB204_52 Depth=2
                                        ;       Parent Loop BB204_55 Depth=3
                                        ; =>      This Inner Loop Header: Depth=4
	scratch_load_b128 v[8:11], off, s21 offset:-8
	v_mov_b32_e32 v12, s23
	s_add_i32 s22, s22, -1
	s_add_i32 s23, s23, -16
	ds_load_b128 v[12:15], v12
	s_waitcnt lgkmcnt(0)
	v_mul_f64 v[16:17], v[3:4], v[14:15]
	v_mul_f64 v[14:15], v[1:2], v[14:15]
	s_delay_alu instid0(VALU_DEP_2) | instskip(NEXT) | instid1(VALU_DEP_2)
	v_fma_f64 v[16:17], v[1:2], v[12:13], -v[16:17]
	v_fma_f64 v[12:13], v[3:4], v[12:13], v[14:15]
	s_waitcnt vmcnt(0)
	s_delay_alu instid0(VALU_DEP_2) | instskip(NEXT) | instid1(VALU_DEP_2)
	v_add_f64 v[8:9], v[8:9], -v[16:17]
	v_add_f64 v[10:11], v[10:11], -v[12:13]
	scratch_store_b128 off, v[8:11], s21 offset:-8
	s_add_i32 s21, s21, 16
	s_cmp_eq_u32 s22, 0
	s_cbranch_scc0 .LBB204_56
; %bb.57:                               ;   in Loop: Header=BB204_55 Depth=3
	s_add_i32 s20, s20, -1
	s_addk_i32 s19, 0xff80
	s_cmp_le_i32 s20, s6
	s_cbranch_scc0 .LBB204_55
.LBB204_58:                             ;   in Loop: Header=BB204_52 Depth=2
	s_mov_b32 s19, 0
	s_mov_b32 s20, s16
	s_branch .LBB204_60
.LBB204_59:                             ;   in Loop: Header=BB204_60 Depth=3
	s_mul_i32 s22, s21, 0x90
	s_add_i32 s20, s20, -16
	v_mov_b32_e32 v8, s22
	s_lshl_b32 s22, s19, 4
	s_add_i32 s19, s19, 1
	ds_load_b128 v[8:11], v8
	s_waitcnt vmcnt(0) lgkmcnt(0)
	v_mul_f64 v[12:13], v[10:11], v[3:4]
	v_mul_f64 v[3:4], v[8:9], v[3:4]
	s_delay_alu instid0(VALU_DEP_2) | instskip(NEXT) | instid1(VALU_DEP_2)
	v_fma_f64 v[8:9], v[8:9], v[1:2], -v[12:13]
	v_fma_f64 v[10:11], v[10:11], v[1:2], v[3:4]
	v_lshl_or_b32 v1, s21, 7, v6
	s_add_i32 s21, s22, 0
	s_cmp_eq_u32 s19, s11
	scratch_store_b128 off, v[8:11], s21
	ds_store_b128 v1, v[8:11] offset:1024
	s_cbranch_scc1 .LBB204_51
.LBB204_60:                             ;   Parent Loop BB204_49 Depth=1
                                        ;     Parent Loop BB204_52 Depth=2
                                        ; =>    This Loop Header: Depth=3
                                        ;         Child Loop BB204_62 Depth 4
	s_cmp_lg_u32 s19, 0
	s_cbranch_scc0 .LBB204_64
; %bb.61:                               ;   in Loop: Header=BB204_60 Depth=3
	s_lshl_b32 s22, s19, 4
	s_mov_b32 s23, s4
	s_add_i32 s21, s22, 0
	v_add_nc_u32_e64 v8, s22, 0
	scratch_load_b128 v[1:4], off, s21
	s_sub_i32 s21, s6, s19
	s_mov_b32 s22, 0
	s_mov_b32 s24, s20
	.p2align	6
.LBB204_62:                             ;   Parent Loop BB204_49 Depth=1
                                        ;     Parent Loop BB204_52 Depth=2
                                        ;       Parent Loop BB204_60 Depth=3
                                        ; =>      This Inner Loop Header: Depth=4
	scratch_load_b128 v[9:12], off, s23 offset:-8
	v_mov_b32_e32 v13, s24
	s_add_i32 s22, s22, 1
	s_addk_i32 s24, 0xff80
	s_add_i32 s23, s23, 16
	s_cmp_ge_u32 s22, s19
	ds_load_b128 v[13:16], v13
	s_waitcnt vmcnt(0) lgkmcnt(0)
	v_mul_f64 v[17:18], v[15:16], v[11:12]
	v_mul_f64 v[11:12], v[13:14], v[11:12]
	s_delay_alu instid0(VALU_DEP_2) | instskip(NEXT) | instid1(VALU_DEP_2)
	v_fma_f64 v[13:14], v[13:14], v[9:10], -v[17:18]
	v_fma_f64 v[9:10], v[15:16], v[9:10], v[11:12]
	s_delay_alu instid0(VALU_DEP_2) | instskip(NEXT) | instid1(VALU_DEP_2)
	v_add_f64 v[1:2], v[1:2], -v[13:14]
	v_add_f64 v[3:4], v[3:4], -v[9:10]
	scratch_store_b128 v8, v[1:4], off
	s_cbranch_scc0 .LBB204_62
; %bb.63:                               ;   in Loop: Header=BB204_60 Depth=3
	s_branch .LBB204_59
.LBB204_64:                             ;   in Loop: Header=BB204_60 Depth=3
                                        ; implicit-def: $vgpr1_vgpr2
                                        ; implicit-def: $sgpr21
	s_cbranch_execz .LBB204_59
; %bb.65:                               ;   in Loop: Header=BB204_60 Depth=3
	scratch_load_b128 v[1:4], off, off
	s_mov_b32 s21, s6
	s_branch .LBB204_59
.LBB204_66:
	s_waitcnt vmcnt(0) lgkmcnt(0)
	s_waitcnt_vscnt null, 0x0
	; wave barrier
	s_waitcnt lgkmcnt(0)
	s_waitcnt_vscnt null, 0x0
	buffer_gl0_inv
	s_and_saveexec_b32 s0, s9
	s_cbranch_execz .LBB204_75
; %bb.67:
	v_lshlrev_b32_e32 v2, 4, v0
	v_mad_i64_i32 v[7:8], null, s2, v0, 0
	s_cmp_eq_u32 s18, 1
	ds_load_2addr_b64 v[3:6], v2 offset0:128 offset1:129
	v_lshlrev_b64 v[0:1], 4, v[7:8]
	s_delay_alu instid0(VALU_DEP_1) | instskip(NEXT) | instid1(VALU_DEP_2)
	v_add_co_u32 v0, vcc_lo, s3, v0
	v_add_co_ci_u32_e32 v1, vcc_lo, s8, v1, vcc_lo
	s_waitcnt lgkmcnt(0)
	global_store_b128 v[0:1], v[3:6], off
	s_cbranch_scc1 .LBB204_75
; %bb.68:
	v_or_b32_e32 v2, 0x400, v2
	s_cmp_eq_u32 s18, 2
	ds_load_2addr_b64 v[3:6], v2 offset0:16 offset1:17
	s_waitcnt lgkmcnt(0)
	global_store_b128 v[0:1], v[3:6], off offset:16
	s_cbranch_scc1 .LBB204_75
; %bb.69:
	ds_load_2addr_b64 v[3:6], v2 offset0:32 offset1:33
	s_cmp_eq_u32 s18, 3
	s_waitcnt lgkmcnt(0)
	global_store_b128 v[0:1], v[3:6], off offset:32
	s_cbranch_scc1 .LBB204_75
; %bb.70:
	ds_load_2addr_b64 v[3:6], v2 offset0:48 offset1:49
	s_cmp_eq_u32 s18, 4
	;; [unrolled: 6-line block ×5, first 2 shown]
	s_waitcnt lgkmcnt(0)
	global_store_b128 v[0:1], v[3:6], off offset:96
	s_cbranch_scc1 .LBB204_75
; %bb.74:
	ds_load_2addr_b64 v[2:5], v2 offset0:112 offset1:113
	s_waitcnt lgkmcnt(0)
	global_store_b128 v[0:1], v[2:5], off offset:112
.LBB204_75:
	s_nop 0
	s_sendmsg sendmsg(MSG_DEALLOC_VGPRS)
	s_endpgm
	.section	.rodata,"a",@progbits
	.p2align	6, 0x0
	.amdhsa_kernel _ZL38rocblas_trsm_small_left_device_sharedBILi8ELi8ELb0E19rocblas_complex_numIdES1_PKPKS1_PKPS1_Ev13rocblas_fill_18rocblas_operation_17rocblas_diagonal_iiT3_T4_lilT5_lili
		.amdhsa_group_segment_fixed_size 2048
		.amdhsa_private_segment_fixed_size 144
		.amdhsa_kernarg_size 368
		.amdhsa_user_sgpr_count 14
		.amdhsa_user_sgpr_dispatch_ptr 0
		.amdhsa_user_sgpr_queue_ptr 0
		.amdhsa_user_sgpr_kernarg_segment_ptr 1
		.amdhsa_user_sgpr_dispatch_id 0
		.amdhsa_user_sgpr_private_segment_size 0
		.amdhsa_wavefront_size32 1
		.amdhsa_uses_dynamic_stack 0
		.amdhsa_enable_private_segment 1
		.amdhsa_system_sgpr_workgroup_id_x 1
		.amdhsa_system_sgpr_workgroup_id_y 0
		.amdhsa_system_sgpr_workgroup_id_z 1
		.amdhsa_system_sgpr_workgroup_info 0
		.amdhsa_system_vgpr_workitem_id 0
		.amdhsa_next_free_vgpr 24
		.amdhsa_next_free_sgpr 32
		.amdhsa_reserve_vcc 1
		.amdhsa_float_round_mode_32 0
		.amdhsa_float_round_mode_16_64 0
		.amdhsa_float_denorm_mode_32 3
		.amdhsa_float_denorm_mode_16_64 3
		.amdhsa_dx10_clamp 1
		.amdhsa_ieee_mode 1
		.amdhsa_fp16_overflow 0
		.amdhsa_workgroup_processor_mode 1
		.amdhsa_memory_ordered 1
		.amdhsa_forward_progress 0
		.amdhsa_shared_vgpr_count 0
		.amdhsa_exception_fp_ieee_invalid_op 0
		.amdhsa_exception_fp_denorm_src 0
		.amdhsa_exception_fp_ieee_div_zero 0
		.amdhsa_exception_fp_ieee_overflow 0
		.amdhsa_exception_fp_ieee_underflow 0
		.amdhsa_exception_fp_ieee_inexact 0
		.amdhsa_exception_int_div_zero 0
	.end_amdhsa_kernel
	.section	.text._ZL38rocblas_trsm_small_left_device_sharedBILi8ELi8ELb0E19rocblas_complex_numIdES1_PKPKS1_PKPS1_Ev13rocblas_fill_18rocblas_operation_17rocblas_diagonal_iiT3_T4_lilT5_lili,"axG",@progbits,_ZL38rocblas_trsm_small_left_device_sharedBILi8ELi8ELb0E19rocblas_complex_numIdES1_PKPKS1_PKPS1_Ev13rocblas_fill_18rocblas_operation_17rocblas_diagonal_iiT3_T4_lilT5_lili,comdat
.Lfunc_end204:
	.size	_ZL38rocblas_trsm_small_left_device_sharedBILi8ELi8ELb0E19rocblas_complex_numIdES1_PKPKS1_PKPS1_Ev13rocblas_fill_18rocblas_operation_17rocblas_diagonal_iiT3_T4_lilT5_lili, .Lfunc_end204-_ZL38rocblas_trsm_small_left_device_sharedBILi8ELi8ELb0E19rocblas_complex_numIdES1_PKPKS1_PKPS1_Ev13rocblas_fill_18rocblas_operation_17rocblas_diagonal_iiT3_T4_lilT5_lili
                                        ; -- End function
	.section	.AMDGPU.csdata,"",@progbits
; Kernel info:
; codeLenInByte = 3828
; NumSgprs: 34
; NumVgprs: 24
; ScratchSize: 144
; MemoryBound: 0
; FloatMode: 240
; IeeeMode: 1
; LDSByteSize: 2048 bytes/workgroup (compile time only)
; SGPRBlocks: 4
; VGPRBlocks: 2
; NumSGPRsForWavesPerEU: 34
; NumVGPRsForWavesPerEU: 24
; Occupancy: 16
; WaveLimiterHint : 1
; COMPUTE_PGM_RSRC2:SCRATCH_EN: 1
; COMPUTE_PGM_RSRC2:USER_SGPR: 14
; COMPUTE_PGM_RSRC2:TRAP_HANDLER: 0
; COMPUTE_PGM_RSRC2:TGID_X_EN: 1
; COMPUTE_PGM_RSRC2:TGID_Y_EN: 0
; COMPUTE_PGM_RSRC2:TGID_Z_EN: 1
; COMPUTE_PGM_RSRC2:TIDIG_COMP_CNT: 0
	.section	.text._ZL30rocblas_trsm_small_left_deviceILi8ELi8ELb0E19rocblas_complex_numIdES1_PKPKS1_PKPS1_Ev13rocblas_fill_18rocblas_operation_17rocblas_diagonal_iiT3_T4_lilT5_lili,"axG",@progbits,_ZL30rocblas_trsm_small_left_deviceILi8ELi8ELb0E19rocblas_complex_numIdES1_PKPKS1_PKPS1_Ev13rocblas_fill_18rocblas_operation_17rocblas_diagonal_iiT3_T4_lilT5_lili,comdat
	.globl	_ZL30rocblas_trsm_small_left_deviceILi8ELi8ELb0E19rocblas_complex_numIdES1_PKPKS1_PKPS1_Ev13rocblas_fill_18rocblas_operation_17rocblas_diagonal_iiT3_T4_lilT5_lili ; -- Begin function _ZL30rocblas_trsm_small_left_deviceILi8ELi8ELb0E19rocblas_complex_numIdES1_PKPKS1_PKPS1_Ev13rocblas_fill_18rocblas_operation_17rocblas_diagonal_iiT3_T4_lilT5_lili
	.p2align	8
	.type	_ZL30rocblas_trsm_small_left_deviceILi8ELi8ELb0E19rocblas_complex_numIdES1_PKPKS1_PKPS1_Ev13rocblas_fill_18rocblas_operation_17rocblas_diagonal_iiT3_T4_lilT5_lili,@function
_ZL30rocblas_trsm_small_left_deviceILi8ELi8ELb0E19rocblas_complex_numIdES1_PKPKS1_PKPS1_Ev13rocblas_fill_18rocblas_operation_17rocblas_diagonal_iiT3_T4_lilT5_lili: ; @_ZL30rocblas_trsm_small_left_deviceILi8ELi8ELb0E19rocblas_complex_numIdES1_PKPKS1_PKPS1_Ev13rocblas_fill_18rocblas_operation_17rocblas_diagonal_iiT3_T4_lilT5_lili
; %bb.0:
	s_clause 0x1
	s_load_b128 s[4:7], s[2:3], 0x48
	s_load_b128 s[8:11], s[2:3], 0x4
	s_mov_b32 s24, s15
	s_mov_b32 s25, 0
	s_load_b32 s15, s[2:3], 0x70
	s_lshl_b64 s[28:29], s[24:25], 3
	v_and_b32_e32 v9, 0x3ff, v0
	s_waitcnt lgkmcnt(0)
	s_add_u32 s4, s4, s28
	s_addc_u32 s5, s5, s29
	s_load_b256 s[16:23], s[2:3], 0x18
	s_load_b64 s[12:13], s[4:5], 0x0
	s_min_i32 s33, s10, 8
	s_mov_b32 s5, exec_lo
	s_add_i32 s24, s33, -1
	v_cmpx_gt_i32_e64 s33, v9
	s_cbranch_execz .LBB205_15
; %bb.1:
	s_load_b32 s26, s[2:3], 0x38
	v_lshlrev_b32_e32 v3, 4, v9
	s_waitcnt lgkmcnt(0)
	s_ashr_i32 s27, s26, 31
	s_cmpk_eq_i32 s8, 0x71
	s_cselect_b32 vcc_lo, -1, 0
	s_add_u32 s20, s20, s28
	s_addc_u32 s21, s21, s29
	s_cmp_lt_u32 s24, 3
	s_load_b64 s[20:21], s[20:21], 0x0
	s_cbranch_scc1 .LBB205_4
; %bb.2:
	v_dual_mov_b32 v4, v3 :: v_dual_lshlrev_b32 v1, 4, v9
	s_lshl_b64 s[28:29], s[22:23], 4
	s_and_b32 s25, s33, -4
	s_waitcnt lgkmcnt(0)
	s_add_u32 s4, s20, s28
	s_addc_u32 s10, s21, s29
	v_add_co_u32 v1, s4, s4, v1
	s_delay_alu instid0(VALU_DEP_1) | instskip(SKIP_1) | instid1(VALU_DEP_2)
	v_add_co_ci_u32_e64 v2, null, s10, 0, s4
	s_lshl_b64 s[28:29], s[26:27], 6
	v_add_co_u32 v1, s4, v1, 8
	s_delay_alu instid0(VALU_DEP_1)
	v_add_co_ci_u32_e64 v2, s4, 0, v2, s4
	s_lshl_b64 s[30:31], s[26:27], 4
	s_mov_b32 s10, 0
.LBB205_3:                              ; =>This Inner Loop Header: Depth=1
	s_delay_alu instid0(VALU_DEP_2) | instskip(NEXT) | instid1(VALU_DEP_1)
	v_add_co_u32 v10, s4, v1, s30
	v_add_co_ci_u32_e64 v11, s4, s31, v2, s4
	s_add_i32 s10, s10, 4
	s_delay_alu instid0(VALU_DEP_2) | instskip(NEXT) | instid1(VALU_DEP_1)
	v_add_co_u32 v14, s4, v10, s30
	v_add_co_ci_u32_e64 v15, s4, s31, v11, s4
	s_cmp_eq_u32 s25, s10
	s_delay_alu instid0(VALU_DEP_2) | instskip(NEXT) | instid1(VALU_DEP_1)
	v_add_co_u32 v18, s4, v14, s30
	v_add_co_ci_u32_e64 v19, s4, s31, v15, s4
	s_clause 0x3
	global_load_b128 v[5:8], v[1:2], off offset:-8
	global_load_b128 v[10:13], v[10:11], off offset:-8
	;; [unrolled: 1-line block ×4, first 2 shown]
	v_add_co_u32 v1, s4, v1, s28
	s_delay_alu instid0(VALU_DEP_1)
	v_add_co_ci_u32_e64 v2, s4, s29, v2, s4
	s_waitcnt vmcnt(3)
	v_xor_b32_e32 v22, 0x80000000, v8
	s_waitcnt vmcnt(2)
	v_xor_b32_e32 v23, 0x80000000, v13
	s_waitcnt vmcnt(1)
	v_xor_b32_e32 v24, 0x80000000, v17
	s_waitcnt vmcnt(0)
	v_xor_b32_e32 v25, 0x80000000, v21
	v_dual_cndmask_b32 v8, v8, v22 :: v_dual_cndmask_b32 v13, v13, v23
	s_delay_alu instid0(VALU_DEP_3) | instskip(NEXT) | instid1(VALU_DEP_3)
	v_cndmask_b32_e32 v17, v17, v24, vcc_lo
	v_cndmask_b32_e32 v21, v21, v25, vcc_lo
	ds_store_b128 v4, v[5:8]
	ds_store_b128 v4, v[10:13] offset:128
	ds_store_b128 v4, v[14:17] offset:256
	;; [unrolled: 1-line block ×3, first 2 shown]
	v_add_nc_u32_e32 v4, 0x200, v4
	s_cbranch_scc0 .LBB205_3
.LBB205_4:
	s_and_b32 s10, s33, 3
	s_delay_alu instid0(SALU_CYCLE_1)
	s_cmp_eq_u32 s10, 0
	s_cbranch_scc1 .LBB205_7
; %bb.5:
	s_mul_i32 s4, s27, s25
	s_mul_hi_u32 s28, s26, s25
	s_lshl_b64 s[22:23], s[22:23], 4
	s_add_i32 s29, s28, s4
	s_mul_i32 s28, s26, s25
	s_delay_alu instid0(SALU_CYCLE_1) | instskip(NEXT) | instid1(SALU_CYCLE_1)
	s_lshl_b64 s[28:29], s[28:29], 4
	s_add_u32 s4, s28, s22
	s_addc_u32 s22, s29, s23
	s_waitcnt lgkmcnt(0)
	s_add_u32 s4, s20, s4
	s_addc_u32 s20, s21, s22
	v_add_co_u32 v1, s4, s4, v3
	s_delay_alu instid0(VALU_DEP_1) | instskip(SKIP_1) | instid1(VALU_DEP_3)
	v_add_co_ci_u32_e64 v2, null, s20, 0, s4
	v_lshl_or_b32 v3, s25, 7, v3
	v_add_co_u32 v1, s4, v1, 8
	s_delay_alu instid0(VALU_DEP_1)
	v_add_co_ci_u32_e64 v2, s4, 0, v2, s4
	s_lshl_b64 s[20:21], s[26:27], 4
.LBB205_6:                              ; =>This Inner Loop Header: Depth=1
	global_load_b128 v[4:7], v[1:2], off offset:-8
	v_add_co_u32 v1, s4, v1, s20
	s_delay_alu instid0(VALU_DEP_1) | instskip(SKIP_1) | instid1(SALU_CYCLE_1)
	v_add_co_ci_u32_e64 v2, s4, s21, v2, s4
	s_add_i32 s10, s10, -1
	s_cmp_lg_u32 s10, 0
	s_waitcnt vmcnt(0)
	v_xor_b32_e32 v8, 0x80000000, v7
	s_delay_alu instid0(VALU_DEP_1)
	v_cndmask_b32_e32 v7, v7, v8, vcc_lo
	ds_store_b128 v3, v[4:7]
	v_add_nc_u32_e32 v3, 0x80, v3
	s_cbranch_scc1 .LBB205_6
.LBB205_7:
	v_mul_u32_u24_e32 v1, 9, v9
	s_cmpk_lg_i32 s9, 0x84
	s_delay_alu instid0(VALU_DEP_1)
	v_lshlrev_b32_e32 v10, 4, v1
	s_cbranch_scc0 .LBB205_13
; %bb.8:
	ds_load_b128 v[1:4], v10
	s_waitcnt lgkmcnt(0)
	v_cmp_gt_f64_e32 vcc_lo, 0, v[1:2]
	v_xor_b32_e32 v6, 0x80000000, v2
	v_mov_b32_e32 v5, v1
	v_xor_b32_e32 v7, 0x80000000, v4
	s_delay_alu instid0(VALU_DEP_3) | instskip(SKIP_1) | instid1(VALU_DEP_3)
	v_cndmask_b32_e32 v6, v2, v6, vcc_lo
	v_cmp_gt_f64_e32 vcc_lo, 0, v[3:4]
	v_dual_cndmask_b32 v8, v4, v7 :: v_dual_mov_b32 v7, v3
	s_delay_alu instid0(VALU_DEP_1) | instskip(SKIP_1) | instid1(SALU_CYCLE_1)
	v_cmp_ngt_f64_e32 vcc_lo, v[5:6], v[7:8]
                                        ; implicit-def: $vgpr7_vgpr8
	s_and_saveexec_b32 s4, vcc_lo
	s_xor_b32 s4, exec_lo, s4
	s_cbranch_execz .LBB205_10
; %bb.9:
	v_div_scale_f64 v[5:6], null, v[3:4], v[3:4], v[1:2]
	v_div_scale_f64 v[13:14], vcc_lo, v[1:2], v[3:4], v[1:2]
	s_delay_alu instid0(VALU_DEP_2) | instskip(SKIP_2) | instid1(VALU_DEP_1)
	v_rcp_f64_e32 v[7:8], v[5:6]
	s_waitcnt_depctr 0xfff
	v_fma_f64 v[11:12], -v[5:6], v[7:8], 1.0
	v_fma_f64 v[7:8], v[7:8], v[11:12], v[7:8]
	s_delay_alu instid0(VALU_DEP_1) | instskip(NEXT) | instid1(VALU_DEP_1)
	v_fma_f64 v[11:12], -v[5:6], v[7:8], 1.0
	v_fma_f64 v[7:8], v[7:8], v[11:12], v[7:8]
	s_delay_alu instid0(VALU_DEP_1) | instskip(NEXT) | instid1(VALU_DEP_1)
	v_mul_f64 v[11:12], v[13:14], v[7:8]
	v_fma_f64 v[5:6], -v[5:6], v[11:12], v[13:14]
	s_delay_alu instid0(VALU_DEP_1) | instskip(NEXT) | instid1(VALU_DEP_1)
	v_div_fmas_f64 v[5:6], v[5:6], v[7:8], v[11:12]
	v_div_fixup_f64 v[5:6], v[5:6], v[3:4], v[1:2]
	s_delay_alu instid0(VALU_DEP_1) | instskip(NEXT) | instid1(VALU_DEP_1)
	v_fma_f64 v[1:2], v[1:2], v[5:6], v[3:4]
	v_div_scale_f64 v[3:4], null, v[1:2], v[1:2], 1.0
	v_div_scale_f64 v[13:14], vcc_lo, 1.0, v[1:2], 1.0
	s_delay_alu instid0(VALU_DEP_2) | instskip(SKIP_2) | instid1(VALU_DEP_1)
	v_rcp_f64_e32 v[7:8], v[3:4]
	s_waitcnt_depctr 0xfff
	v_fma_f64 v[11:12], -v[3:4], v[7:8], 1.0
	v_fma_f64 v[7:8], v[7:8], v[11:12], v[7:8]
	s_delay_alu instid0(VALU_DEP_1) | instskip(NEXT) | instid1(VALU_DEP_1)
	v_fma_f64 v[11:12], -v[3:4], v[7:8], 1.0
	v_fma_f64 v[7:8], v[7:8], v[11:12], v[7:8]
	s_delay_alu instid0(VALU_DEP_1) | instskip(NEXT) | instid1(VALU_DEP_1)
	v_mul_f64 v[11:12], v[13:14], v[7:8]
	v_fma_f64 v[3:4], -v[3:4], v[11:12], v[13:14]
	s_delay_alu instid0(VALU_DEP_1) | instskip(SKIP_1) | instid1(VALU_DEP_2)
	v_div_fmas_f64 v[3:4], v[3:4], v[7:8], v[11:12]
	v_add_f64 v[7:8], v[5:6], 0
	v_div_fixup_f64 v[1:2], v[3:4], v[1:2], 1.0
	v_fma_f64 v[3:4], v[5:6], 0, -1.0
	s_delay_alu instid0(VALU_DEP_2) | instskip(NEXT) | instid1(VALU_DEP_2)
	v_mul_f64 v[5:6], v[7:8], v[1:2]
	v_mul_f64 v[7:8], v[3:4], v[1:2]
                                        ; implicit-def: $vgpr1_vgpr2
.LBB205_10:
	s_and_not1_saveexec_b32 s4, s4
	s_cbranch_execz .LBB205_12
; %bb.11:
	v_div_scale_f64 v[5:6], null, v[1:2], v[1:2], v[3:4]
	v_div_scale_f64 v[13:14], vcc_lo, v[3:4], v[1:2], v[3:4]
	s_delay_alu instid0(VALU_DEP_2) | instskip(SKIP_2) | instid1(VALU_DEP_1)
	v_rcp_f64_e32 v[7:8], v[5:6]
	s_waitcnt_depctr 0xfff
	v_fma_f64 v[11:12], -v[5:6], v[7:8], 1.0
	v_fma_f64 v[7:8], v[7:8], v[11:12], v[7:8]
	s_delay_alu instid0(VALU_DEP_1) | instskip(NEXT) | instid1(VALU_DEP_1)
	v_fma_f64 v[11:12], -v[5:6], v[7:8], 1.0
	v_fma_f64 v[7:8], v[7:8], v[11:12], v[7:8]
	s_delay_alu instid0(VALU_DEP_1) | instskip(NEXT) | instid1(VALU_DEP_1)
	v_mul_f64 v[11:12], v[13:14], v[7:8]
	v_fma_f64 v[5:6], -v[5:6], v[11:12], v[13:14]
	s_delay_alu instid0(VALU_DEP_1) | instskip(NEXT) | instid1(VALU_DEP_1)
	v_div_fmas_f64 v[5:6], v[5:6], v[7:8], v[11:12]
	v_div_fixup_f64 v[5:6], v[5:6], v[1:2], v[3:4]
	s_delay_alu instid0(VALU_DEP_1) | instskip(NEXT) | instid1(VALU_DEP_1)
	v_fma_f64 v[1:2], v[3:4], v[5:6], v[1:2]
	v_div_scale_f64 v[3:4], null, v[1:2], v[1:2], 1.0
	v_div_scale_f64 v[13:14], vcc_lo, 1.0, v[1:2], 1.0
	s_delay_alu instid0(VALU_DEP_2) | instskip(SKIP_2) | instid1(VALU_DEP_1)
	v_rcp_f64_e32 v[7:8], v[3:4]
	s_waitcnt_depctr 0xfff
	v_fma_f64 v[11:12], -v[3:4], v[7:8], 1.0
	v_fma_f64 v[7:8], v[7:8], v[11:12], v[7:8]
	s_delay_alu instid0(VALU_DEP_1) | instskip(NEXT) | instid1(VALU_DEP_1)
	v_fma_f64 v[11:12], -v[3:4], v[7:8], 1.0
	v_fma_f64 v[7:8], v[7:8], v[11:12], v[7:8]
	s_delay_alu instid0(VALU_DEP_1) | instskip(NEXT) | instid1(VALU_DEP_1)
	v_mul_f64 v[11:12], v[13:14], v[7:8]
	v_fma_f64 v[3:4], -v[3:4], v[11:12], v[13:14]
	s_delay_alu instid0(VALU_DEP_1) | instskip(SKIP_1) | instid1(VALU_DEP_2)
	v_div_fmas_f64 v[3:4], v[3:4], v[7:8], v[11:12]
	v_fma_f64 v[7:8], v[5:6], 0, 1.0
	v_div_fixup_f64 v[1:2], v[3:4], v[1:2], 1.0
	v_add_f64 v[3:4], -v[5:6], 0
	s_delay_alu instid0(VALU_DEP_2) | instskip(NEXT) | instid1(VALU_DEP_2)
	v_mul_f64 v[5:6], v[7:8], v[1:2]
	v_mul_f64 v[7:8], v[3:4], v[1:2]
.LBB205_12:
	s_or_b32 exec_lo, exec_lo, s4
	s_branch .LBB205_14
.LBB205_13:
	v_mov_b32_e32 v5, 0
	v_dual_mov_b32 v6, 0x3ff00000 :: v_dual_mov_b32 v7, 0
	v_mov_b32_e32 v8, 0
.LBB205_14:
	ds_store_b128 v10, v[5:8]
.LBB205_15:
	s_or_b32 exec_lo, exec_lo, s5
	s_lshl_b32 s5, s14, 3
	s_add_i32 s15, s15, -1
	s_sub_i32 s4, s11, s5
	s_cmp_ge_u32 s14, s15
	s_waitcnt lgkmcnt(0)
	s_cselect_b32 s4, s4, 8
	; wave barrier
	buffer_gl0_inv
	v_cmp_gt_i32_e32 vcc_lo, s4, v9
	s_mov_b32 s4, -1
	s_and_saveexec_b32 s9, vcc_lo
	s_cbranch_execz .LBB205_58
; %bb.16:
	s_load_b64 s[0:1], s[0:1], 0x4
	s_load_b32 s2, s[2:3], 0x58
	v_add_nc_u32_e32 v2, s5, v9
	v_bfe_u32 v3, v0, 10, 10
	v_bfe_u32 v4, v0, 20, 10
	s_waitcnt lgkmcnt(0)
	s_lshr_b32 s0, s0, 16
	v_mad_i64_i32 v[0:1], null, s2, v2, 0
	s_mul_i32 s0, s0, s1
	v_mul_u32_u24_e32 v2, s1, v3
	v_mul_u32_u24_e32 v3, s0, v9
	s_lshl_b64 s[0:1], s[6:7], 4
	s_delay_alu instid0(SALU_CYCLE_1) | instskip(SKIP_1) | instid1(VALU_DEP_1)
	s_add_u32 s2, s12, s0
	s_addc_u32 s3, s13, s1
	v_add3_u32 v2, v3, v2, v4
	v_lshlrev_b64 v[4:5], 4, v[0:1]
	s_cmpk_eq_i32 s8, 0x6f
	s_delay_alu instid0(VALU_DEP_2) | instskip(NEXT) | instid1(VALU_DEP_2)
	v_lshl_add_u32 v8, v2, 7, 0x400
	v_add_co_u32 v9, vcc_lo, s2, v4
	s_delay_alu instid0(VALU_DEP_3)
	v_add_co_ci_u32_e32 v10, vcc_lo, s3, v5, vcc_lo
	s_cbranch_scc1 .LBB205_38
; %bb.17:
	s_add_u32 s2, s12, s0
	s_addc_u32 s3, s13, s1
	v_add_co_u32 v0, vcc_lo, s2, v4
	v_add_co_ci_u32_e32 v1, vcc_lo, s3, v5, vcc_lo
	s_mov_b32 s3, 0
	s_delay_alu instid0(VALU_DEP_2) | instskip(NEXT) | instid1(VALU_DEP_2)
	v_add_co_u32 v11, vcc_lo, v0, 8
	v_add_co_ci_u32_e32 v12, vcc_lo, 0, v1, vcc_lo
	s_mov_b32 s4, s3
	s_mov_b32 s6, s3
	s_branch .LBB205_19
.LBB205_18:                             ;   in Loop: Header=BB205_19 Depth=1
	s_cmp_ge_i32 s6, s33
	s_cselect_b32 s2, -1, 0
	s_add_i32 s4, s4, 1
	s_delay_alu instid0(SALU_CYCLE_1) | instskip(SKIP_1) | instid1(SALU_CYCLE_1)
	s_cmp_eq_u32 s4, 3
	s_cselect_b32 s5, -1, 0
	s_or_b32 s2, s2, s5
	s_delay_alu instid0(SALU_CYCLE_1)
	s_and_not1_b32 vcc_lo, exec_lo, s2
	s_cbranch_vccz .LBB205_37
.LBB205_19:                             ; =>This Loop Header: Depth=1
                                        ;     Child Loop BB205_22 Depth 2
                                        ;       Child Loop BB205_23 Depth 3
                                        ;       Child Loop BB205_26 Depth 3
                                        ;         Child Loop BB205_27 Depth 4
                                        ;       Child Loop BB205_31 Depth 3
                                        ;         Child Loop BB205_33 Depth 4
	s_mov_b32 s5, s3
	s_getpc_b64 s[8:9]
	s_add_u32 s8, s8, __const._ZL30rocblas_trsm_small_left_deviceILi8ELi8ELb0E19rocblas_complex_numIdES1_PKPKS1_PKPS1_Ev13rocblas_fill_18rocblas_operation_17rocblas_diagonal_iiT3_T4_lilT5_lili.step_sizes@rel32@lo+4
	s_addc_u32 s9, s9, __const._ZL30rocblas_trsm_small_left_deviceILi8ELi8ELb0E19rocblas_complex_numIdES1_PKPKS1_PKPS1_Ev13rocblas_fill_18rocblas_operation_17rocblas_diagonal_iiT3_T4_lilT5_lili.step_sizes@rel32@hi+12
	s_lshl_b64 s[10:11], s[4:5], 2
	s_delay_alu instid0(SALU_CYCLE_1) | instskip(SKIP_4) | instid1(SALU_CYCLE_1)
	s_add_u32 s8, s10, s8
	s_addc_u32 s9, s11, s9
	s_load_b32 s8, s[8:9], 0x0
	s_waitcnt lgkmcnt(0)
	s_add_i32 s5, s8, -1
	s_add_i32 s2, s5, s6
	s_delay_alu instid0(SALU_CYCLE_1)
	s_cmp_ge_i32 s2, s33
	s_cbranch_scc1 .LBB205_18
; %bb.20:                               ;   in Loop: Header=BB205_19 Depth=1
	s_ashr_i32 s7, s6, 31
	s_ashr_i32 s9, s8, 31
	s_lshl_b64 s[10:11], s[6:7], 4
	s_max_i32 s20, s8, 1
	v_add_co_u32 v6, vcc_lo, v11, s10
	v_add_co_ci_u32_e32 v7, vcc_lo, s11, v12, vcc_lo
	s_lshl_b64 s[10:11], s[8:9], 4
	s_lshl_b32 s7, s6, 7
	s_lshl_b32 s9, s8, 7
	s_mul_i32 s21, s6, 0x90
	s_mul_i32 s22, s8, 0x90
	s_branch .LBB205_22
.LBB205_21:                             ;   in Loop: Header=BB205_22 Depth=2
	v_add_co_u32 v6, vcc_lo, v6, s10
	s_add_i32 s6, s6, s8
	v_add_co_ci_u32_e32 v7, vcc_lo, s11, v7, vcc_lo
	s_add_i32 s2, s5, s6
	s_add_i32 s7, s7, s9
	;; [unrolled: 1-line block ×3, first 2 shown]
	s_cmp_ge_i32 s2, s33
	s_cbranch_scc1 .LBB205_18
.LBB205_22:                             ;   Parent Loop BB205_19 Depth=1
                                        ; =>  This Loop Header: Depth=2
                                        ;       Child Loop BB205_23 Depth 3
                                        ;       Child Loop BB205_26 Depth 3
                                        ;         Child Loop BB205_27 Depth 4
                                        ;       Child Loop BB205_31 Depth 3
                                        ;         Child Loop BB205_33 Depth 4
	v_mov_b32_e32 v0, v6
	v_dual_mov_b32 v2, v8 :: v_dual_mov_b32 v1, v7
	s_mov_b32 s2, s20
	.p2align	6
.LBB205_23:                             ;   Parent Loop BB205_19 Depth=1
                                        ;     Parent Loop BB205_22 Depth=2
                                        ; =>    This Inner Loop Header: Depth=3
	global_load_b128 v[13:16], v[0:1], off offset:-8
	v_add_co_u32 v0, vcc_lo, v0, 16
	v_add_co_ci_u32_e32 v1, vcc_lo, 0, v1, vcc_lo
	s_add_i32 s2, s2, -1
	s_delay_alu instid0(SALU_CYCLE_1) | instskip(SKIP_3) | instid1(VALU_DEP_2)
	s_cmp_eq_u32 s2, 0
	s_waitcnt vmcnt(0)
	v_mul_f64 v[17:18], s[18:19], v[15:16]
	v_mul_f64 v[19:20], s[16:17], v[15:16]
	v_fma_f64 v[15:16], s[16:17], v[13:14], -v[17:18]
	s_delay_alu instid0(VALU_DEP_2)
	v_fma_f64 v[17:18], s[18:19], v[13:14], v[19:20]
	ds_store_b128 v2, v[15:18]
	v_add_nc_u32_e32 v2, 16, v2
	s_cbranch_scc0 .LBB205_23
; %bb.24:                               ;   in Loop: Header=BB205_22 Depth=2
	s_cmp_lt_i32 s6, 1
	s_cbranch_scc1 .LBB205_29
; %bb.25:                               ;   in Loop: Header=BB205_22 Depth=2
	s_mov_b32 s2, 0
	s_mov_b32 s14, s7
	s_set_inst_prefetch_distance 0x1
	.p2align	6
.LBB205_26:                             ;   Parent Loop BB205_19 Depth=1
                                        ;     Parent Loop BB205_22 Depth=2
                                        ; =>    This Loop Header: Depth=3
                                        ;         Child Loop BB205_27 Depth 4
	s_lshl_b64 s[26:27], s[2:3], 4
	v_mov_b32_e32 v13, v8
	v_add_co_u32 v0, vcc_lo, v9, s26
	v_add_co_ci_u32_e32 v1, vcc_lo, s27, v10, vcc_lo
	s_mov_b32 s15, s14
	s_mov_b32 s23, s20
	global_load_b128 v[0:3], v[0:1], off
	.p2align	6
.LBB205_27:                             ;   Parent Loop BB205_19 Depth=1
                                        ;     Parent Loop BB205_22 Depth=2
                                        ;       Parent Loop BB205_26 Depth=3
                                        ; =>      This Inner Loop Header: Depth=4
	v_mov_b32_e32 v14, s15
	s_add_i32 s23, s23, -1
	s_addk_i32 s15, 0x80
	s_cmp_eq_u32 s23, 0
	ds_load_b128 v[14:17], v14
	s_waitcnt vmcnt(0) lgkmcnt(0)
	v_mul_f64 v[18:19], v[2:3], v[16:17]
	v_mul_f64 v[16:17], v[0:1], v[16:17]
	s_delay_alu instid0(VALU_DEP_2) | instskip(NEXT) | instid1(VALU_DEP_2)
	v_fma_f64 v[18:19], v[0:1], v[14:15], -v[18:19]
	v_fma_f64 v[20:21], v[2:3], v[14:15], v[16:17]
	ds_load_b128 v[14:17], v13
	s_waitcnt lgkmcnt(0)
	v_add_f64 v[14:15], v[14:15], -v[18:19]
	v_add_f64 v[16:17], v[16:17], -v[20:21]
	ds_store_b128 v13, v[14:17]
	v_add_nc_u32_e32 v13, 16, v13
	s_cbranch_scc0 .LBB205_27
; %bb.28:                               ;   in Loop: Header=BB205_26 Depth=3
	s_add_i32 s2, s2, 1
	s_add_i32 s14, s14, 16
	s_cmp_ge_i32 s2, s6
	s_cbranch_scc0 .LBB205_26
.LBB205_29:                             ;   in Loop: Header=BB205_22 Depth=2
	s_set_inst_prefetch_distance 0x2
	s_mov_b32 s2, 0
	s_mov_b32 s23, s21
	s_branch .LBB205_31
.LBB205_30:                             ;   in Loop: Header=BB205_31 Depth=3
	s_mul_i32 s15, s14, 0x90
	s_add_i32 s2, s2, 1
	v_mov_b32_e32 v14, s15
	s_ashr_i32 s15, s14, 31
	s_addk_i32 s23, 0x80
	s_lshl_b64 s[14:15], s[14:15], 4
	s_cmp_eq_u32 s2, s20
	ds_load_b128 v[14:17], v14
	s_waitcnt lgkmcnt(0)
	v_mul_f64 v[18:19], v[16:17], v[2:3]
	v_mul_f64 v[2:3], v[14:15], v[2:3]
	s_delay_alu instid0(VALU_DEP_2) | instskip(NEXT) | instid1(VALU_DEP_2)
	v_fma_f64 v[14:15], v[14:15], v[0:1], -v[18:19]
	v_fma_f64 v[16:17], v[16:17], v[0:1], v[2:3]
	v_add_co_u32 v0, vcc_lo, v9, s14
	v_add_co_ci_u32_e32 v1, vcc_lo, s15, v10, vcc_lo
	ds_store_b128 v13, v[14:17]
	global_store_b128 v[0:1], v[14:17], off
	s_cbranch_scc1 .LBB205_21
.LBB205_31:                             ;   Parent Loop BB205_19 Depth=1
                                        ;     Parent Loop BB205_22 Depth=2
                                        ; =>    This Loop Header: Depth=3
                                        ;         Child Loop BB205_33 Depth 4
	v_lshl_add_u32 v13, s2, 4, v8
	s_cmp_lg_u32 s2, 0
	s_cbranch_scc0 .LBB205_35
; %bb.32:                               ;   in Loop: Header=BB205_31 Depth=3
	ds_load_b128 v[0:3], v13
	v_mov_b32_e32 v14, v8
	s_add_i32 s14, s2, s6
	s_mov_b32 s15, 0
	s_mov_b32 s25, s23
	.p2align	6
.LBB205_33:                             ;   Parent Loop BB205_19 Depth=1
                                        ;     Parent Loop BB205_22 Depth=2
                                        ;       Parent Loop BB205_31 Depth=3
                                        ; =>      This Inner Loop Header: Depth=4
	s_delay_alu instid0(SALU_CYCLE_1)
	v_mov_b32_e32 v19, s25
	s_add_i32 s15, s15, 1
	s_add_i32 s25, s25, 16
	s_cmp_ge_u32 s15, s2
	ds_load_b128 v[15:18], v14
	ds_load_b128 v[19:22], v19
	v_add_nc_u32_e32 v14, 16, v14
	s_waitcnt lgkmcnt(0)
	v_mul_f64 v[23:24], v[21:22], v[17:18]
	v_mul_f64 v[17:18], v[19:20], v[17:18]
	s_delay_alu instid0(VALU_DEP_2) | instskip(NEXT) | instid1(VALU_DEP_2)
	v_fma_f64 v[19:20], v[19:20], v[15:16], -v[23:24]
	v_fma_f64 v[15:16], v[21:22], v[15:16], v[17:18]
	s_delay_alu instid0(VALU_DEP_2) | instskip(NEXT) | instid1(VALU_DEP_2)
	v_add_f64 v[0:1], v[0:1], -v[19:20]
	v_add_f64 v[2:3], v[2:3], -v[15:16]
	ds_store_b128 v13, v[0:3]
	s_cbranch_scc0 .LBB205_33
; %bb.34:                               ;   in Loop: Header=BB205_31 Depth=3
	s_branch .LBB205_30
.LBB205_35:                             ;   in Loop: Header=BB205_31 Depth=3
                                        ; implicit-def: $vgpr0_vgpr1
                                        ; implicit-def: $sgpr14
	s_cbranch_execz .LBB205_30
; %bb.36:                               ;   in Loop: Header=BB205_31 Depth=3
	ds_load_b128 v[0:3], v8
	s_mov_b32 s14, s6
	s_branch .LBB205_30
.LBB205_37:
	s_mov_b32 s4, 0
.LBB205_38:
	s_delay_alu instid0(SALU_CYCLE_1)
	s_and_b32 vcc_lo, exec_lo, s4
	s_cbranch_vccz .LBB205_58
; %bb.39:
	s_add_u32 s0, s12, s0
	s_addc_u32 s1, s13, s1
	v_add_co_u32 v0, vcc_lo, s0, v4
	v_add_co_ci_u32_e32 v1, vcc_lo, s1, v5, vcc_lo
	s_lshl_b32 s8, s33, 7
	s_delay_alu instid0(VALU_DEP_2) | instskip(NEXT) | instid1(VALU_DEP_2)
	v_add_co_u32 v4, vcc_lo, v0, 8
	v_add_co_ci_u32_e32 v5, vcc_lo, 0, v1, vcc_lo
	s_mov_b32 s1, 0
	s_addk_i32 s8, 0xff80
	s_mov_b32 s2, s24
	s_mov_b32 s0, s1
	s_branch .LBB205_41
.LBB205_40:                             ;   in Loop: Header=BB205_41 Depth=1
	s_cmp_lt_i32 s2, 0
	s_cselect_b32 s3, -1, 0
	s_add_i32 s0, s0, 1
	s_delay_alu instid0(SALU_CYCLE_1) | instskip(SKIP_1) | instid1(SALU_CYCLE_1)
	s_cmp_eq_u32 s0, 3
	s_cselect_b32 s4, -1, 0
	s_or_b32 s3, s3, s4
	s_delay_alu instid0(SALU_CYCLE_1)
	s_and_b32 vcc_lo, exec_lo, s3
	s_cbranch_vccnz .LBB205_58
.LBB205_41:                             ; =>This Loop Header: Depth=1
                                        ;     Child Loop BB205_44 Depth 2
                                        ;       Child Loop BB205_45 Depth 3
                                        ;       Child Loop BB205_47 Depth 3
                                        ;         Child Loop BB205_48 Depth 4
                                        ;       Child Loop BB205_52 Depth 3
                                        ;         Child Loop BB205_54 Depth 4
	s_getpc_b64 s[4:5]
	s_add_u32 s4, s4, __const._ZL30rocblas_trsm_small_left_deviceILi8ELi8ELb0E19rocblas_complex_numIdES1_PKPKS1_PKPS1_Ev13rocblas_fill_18rocblas_operation_17rocblas_diagonal_iiT3_T4_lilT5_lili.step_sizes@rel32@lo+4
	s_addc_u32 s5, s5, __const._ZL30rocblas_trsm_small_left_deviceILi8ELi8ELb0E19rocblas_complex_numIdES1_PKPKS1_PKPS1_Ev13rocblas_fill_18rocblas_operation_17rocblas_diagonal_iiT3_T4_lilT5_lili.step_sizes@rel32@hi+12
	s_lshl_b64 s[6:7], s[0:1], 2
	s_delay_alu instid0(SALU_CYCLE_1) | instskip(SKIP_4) | instid1(SALU_CYCLE_1)
	s_add_u32 s4, s6, s4
	s_addc_u32 s5, s7, s5
	s_load_b32 s9, s[4:5], 0x0
	s_waitcnt lgkmcnt(0)
	s_add_i32 s10, s9, -1
	s_cmp_lt_i32 s2, s10
	s_cbranch_scc1 .LBB205_40
; %bb.42:                               ;   in Loop: Header=BB205_41 Depth=1
	s_lshl_b32 s3, s2, 4
	s_lshl_b32 s4, s9, 4
	s_max_i32 s11, s9, 1
	s_add_i32 s12, s8, s3
	s_sub_i32 s13, 0, s4
	s_mul_i32 s14, s2, 0x90
	s_mul_i32 s15, s9, 0xffffff70
	s_branch .LBB205_44
.LBB205_43:                             ;   in Loop: Header=BB205_44 Depth=2
	s_sub_i32 s2, s2, s9
	s_add_i32 s12, s12, s13
	s_add_i32 s14, s14, s15
	s_cmp_lt_i32 s2, s10
	s_cbranch_scc1 .LBB205_40
.LBB205_44:                             ;   Parent Loop BB205_41 Depth=1
                                        ; =>  This Loop Header: Depth=2
                                        ;       Child Loop BB205_45 Depth 3
                                        ;       Child Loop BB205_47 Depth 3
                                        ;         Child Loop BB205_48 Depth 4
                                        ;       Child Loop BB205_52 Depth 3
                                        ;         Child Loop BB205_54 Depth 4
	s_ashr_i32 s3, s2, 31
	v_mov_b32_e32 v2, v8
	s_lshl_b64 s[4:5], s[2:3], 4
	s_delay_alu instid0(SALU_CYCLE_1)
	v_add_co_u32 v0, vcc_lo, v4, s4
	v_add_co_ci_u32_e32 v1, vcc_lo, s5, v5, vcc_lo
	s_mov_b32 s4, s11
	.p2align	6
.LBB205_45:                             ;   Parent Loop BB205_41 Depth=1
                                        ;     Parent Loop BB205_44 Depth=2
                                        ; =>    This Inner Loop Header: Depth=3
	global_load_b128 v[11:14], v[0:1], off offset:-8
	v_add_co_u32 v0, vcc_lo, v0, -16
	v_add_co_ci_u32_e32 v1, vcc_lo, -1, v1, vcc_lo
	s_add_i32 s4, s4, -1
	s_delay_alu instid0(SALU_CYCLE_1) | instskip(SKIP_3) | instid1(VALU_DEP_2)
	s_cmp_eq_u32 s4, 0
	s_waitcnt vmcnt(0)
	v_mul_f64 v[6:7], s[18:19], v[13:14]
	v_mul_f64 v[15:16], s[16:17], v[13:14]
	v_fma_f64 v[13:14], s[16:17], v[11:12], -v[6:7]
	s_delay_alu instid0(VALU_DEP_2)
	v_fma_f64 v[15:16], s[18:19], v[11:12], v[15:16]
	ds_store_b128 v2, v[13:16]
	v_add_nc_u32_e32 v2, 16, v2
	s_cbranch_scc0 .LBB205_45
; %bb.46:                               ;   in Loop: Header=BB205_44 Depth=2
	s_cmp_le_i32 s24, s2
	s_mov_b32 s6, s12
	s_mov_b32 s4, s24
	s_cbranch_scc1 .LBB205_50
	.p2align	6
.LBB205_47:                             ;   Parent Loop BB205_41 Depth=1
                                        ;     Parent Loop BB205_44 Depth=2
                                        ; =>    This Loop Header: Depth=3
                                        ;         Child Loop BB205_48 Depth 4
	s_ashr_i32 s5, s4, 31
	v_mov_b32_e32 v6, v8
	s_lshl_b64 s[20:21], s[4:5], 4
	s_mov_b32 s5, s11
	v_add_co_u32 v0, vcc_lo, v9, s20
	v_add_co_ci_u32_e32 v1, vcc_lo, s21, v10, vcc_lo
	s_mov_b32 s7, s6
	global_load_b128 v[0:3], v[0:1], off
	.p2align	6
.LBB205_48:                             ;   Parent Loop BB205_41 Depth=1
                                        ;     Parent Loop BB205_44 Depth=2
                                        ;       Parent Loop BB205_47 Depth=3
                                        ; =>      This Inner Loop Header: Depth=4
	v_mov_b32_e32 v7, s7
	s_add_i32 s5, s5, -1
	s_add_i32 s7, s7, -16
	s_cmp_eq_u32 s5, 0
	ds_load_b128 v[11:14], v7
	s_waitcnt vmcnt(0) lgkmcnt(0)
	v_mul_f64 v[15:16], v[2:3], v[13:14]
	v_mul_f64 v[13:14], v[0:1], v[13:14]
	s_delay_alu instid0(VALU_DEP_2) | instskip(NEXT) | instid1(VALU_DEP_2)
	v_fma_f64 v[15:16], v[0:1], v[11:12], -v[15:16]
	v_fma_f64 v[17:18], v[2:3], v[11:12], v[13:14]
	ds_load_b128 v[11:14], v6
	s_waitcnt lgkmcnt(0)
	v_add_f64 v[11:12], v[11:12], -v[15:16]
	v_add_f64 v[13:14], v[13:14], -v[17:18]
	ds_store_b128 v6, v[11:14]
	v_add_nc_u32_e32 v6, 16, v6
	s_cbranch_scc0 .LBB205_48
; %bb.49:                               ;   in Loop: Header=BB205_47 Depth=3
	s_add_i32 s4, s4, -1
	s_addk_i32 s6, 0xff80
	s_cmp_le_i32 s4, s2
	s_cbranch_scc0 .LBB205_47
.LBB205_50:                             ;   in Loop: Header=BB205_44 Depth=2
	s_mov_b32 s20, 0
	s_mov_b32 s21, s14
	s_branch .LBB205_52
.LBB205_51:                             ;   in Loop: Header=BB205_52 Depth=3
	s_mulk_i32 s6, 0x90
	s_lshl_b64 s[4:5], s[4:5], 4
	v_mov_b32_e32 v7, s6
	s_add_i32 s20, s20, 1
	s_add_i32 s21, s21, -16
	s_cmp_eq_u32 s20, s11
	ds_load_b128 v[11:14], v7
	s_waitcnt lgkmcnt(0)
	v_mul_f64 v[15:16], v[13:14], v[2:3]
	v_mul_f64 v[2:3], v[11:12], v[2:3]
	s_delay_alu instid0(VALU_DEP_2) | instskip(NEXT) | instid1(VALU_DEP_2)
	v_fma_f64 v[11:12], v[11:12], v[0:1], -v[15:16]
	v_fma_f64 v[13:14], v[13:14], v[0:1], v[2:3]
	v_add_co_u32 v0, vcc_lo, v9, s4
	v_add_co_ci_u32_e32 v1, vcc_lo, s5, v10, vcc_lo
	ds_store_b128 v6, v[11:14]
	global_store_b128 v[0:1], v[11:14], off
	s_cbranch_scc1 .LBB205_43
.LBB205_52:                             ;   Parent Loop BB205_41 Depth=1
                                        ;     Parent Loop BB205_44 Depth=2
                                        ; =>    This Loop Header: Depth=3
                                        ;         Child Loop BB205_54 Depth 4
	v_lshl_add_u32 v6, s20, 4, v8
	s_cmp_lg_u32 s20, 0
	s_cbranch_scc0 .LBB205_56
; %bb.53:                               ;   in Loop: Header=BB205_52 Depth=3
	ds_load_b128 v[0:3], v6
	v_mov_b32_e32 v7, v8
	s_mov_b32 s4, 0
	s_mov_b32 s5, s21
	.p2align	6
.LBB205_54:                             ;   Parent Loop BB205_41 Depth=1
                                        ;     Parent Loop BB205_44 Depth=2
                                        ;       Parent Loop BB205_52 Depth=3
                                        ; =>      This Inner Loop Header: Depth=4
	s_delay_alu instid0(SALU_CYCLE_1)
	v_mov_b32_e32 v15, s5
	s_add_i32 s4, s4, 1
	s_addk_i32 s5, 0xff80
	s_cmp_ge_u32 s4, s20
	ds_load_b128 v[11:14], v7
	ds_load_b128 v[15:18], v15
	v_add_nc_u32_e32 v7, 16, v7
	s_waitcnt lgkmcnt(0)
	v_mul_f64 v[19:20], v[17:18], v[13:14]
	v_mul_f64 v[13:14], v[15:16], v[13:14]
	s_delay_alu instid0(VALU_DEP_2) | instskip(NEXT) | instid1(VALU_DEP_2)
	v_fma_f64 v[15:16], v[15:16], v[11:12], -v[19:20]
	v_fma_f64 v[11:12], v[17:18], v[11:12], v[13:14]
	s_delay_alu instid0(VALU_DEP_2) | instskip(NEXT) | instid1(VALU_DEP_2)
	v_add_f64 v[0:1], v[0:1], -v[15:16]
	v_add_f64 v[2:3], v[2:3], -v[11:12]
	ds_store_b128 v6, v[0:3]
	s_cbranch_scc0 .LBB205_54
; %bb.55:                               ;   in Loop: Header=BB205_52 Depth=3
	s_sub_i32 s6, s2, s20
	s_delay_alu instid0(SALU_CYCLE_1) | instskip(NEXT) | instid1(SALU_CYCLE_1)
	s_ashr_i32 s7, s6, 31
	s_mov_b64 s[4:5], s[6:7]
	s_branch .LBB205_51
.LBB205_56:                             ;   in Loop: Header=BB205_52 Depth=3
                                        ; implicit-def: $vgpr0_vgpr1
                                        ; implicit-def: $sgpr6
                                        ; implicit-def: $sgpr4_sgpr5
	s_cbranch_execz .LBB205_51
; %bb.57:                               ;   in Loop: Header=BB205_52 Depth=3
	ds_load_b128 v[0:3], v8
	s_mov_b64 s[4:5], s[2:3]
	s_mov_b32 s6, s2
	s_branch .LBB205_51
.LBB205_58:
	s_nop 0
	s_sendmsg sendmsg(MSG_DEALLOC_VGPRS)
	s_endpgm
	.section	.rodata,"a",@progbits
	.p2align	6, 0x0
	.amdhsa_kernel _ZL30rocblas_trsm_small_left_deviceILi8ELi8ELb0E19rocblas_complex_numIdES1_PKPKS1_PKPS1_Ev13rocblas_fill_18rocblas_operation_17rocblas_diagonal_iiT3_T4_lilT5_lili
		.amdhsa_group_segment_fixed_size 2048
		.amdhsa_private_segment_fixed_size 0
		.amdhsa_kernarg_size 368
		.amdhsa_user_sgpr_count 14
		.amdhsa_user_sgpr_dispatch_ptr 1
		.amdhsa_user_sgpr_queue_ptr 0
		.amdhsa_user_sgpr_kernarg_segment_ptr 1
		.amdhsa_user_sgpr_dispatch_id 0
		.amdhsa_user_sgpr_private_segment_size 0
		.amdhsa_wavefront_size32 1
		.amdhsa_uses_dynamic_stack 0
		.amdhsa_enable_private_segment 0
		.amdhsa_system_sgpr_workgroup_id_x 1
		.amdhsa_system_sgpr_workgroup_id_y 0
		.amdhsa_system_sgpr_workgroup_id_z 1
		.amdhsa_system_sgpr_workgroup_info 0
		.amdhsa_system_vgpr_workitem_id 2
		.amdhsa_next_free_vgpr 26
		.amdhsa_next_free_sgpr 34
		.amdhsa_reserve_vcc 1
		.amdhsa_float_round_mode_32 0
		.amdhsa_float_round_mode_16_64 0
		.amdhsa_float_denorm_mode_32 3
		.amdhsa_float_denorm_mode_16_64 3
		.amdhsa_dx10_clamp 1
		.amdhsa_ieee_mode 1
		.amdhsa_fp16_overflow 0
		.amdhsa_workgroup_processor_mode 1
		.amdhsa_memory_ordered 1
		.amdhsa_forward_progress 0
		.amdhsa_shared_vgpr_count 0
		.amdhsa_exception_fp_ieee_invalid_op 0
		.amdhsa_exception_fp_denorm_src 0
		.amdhsa_exception_fp_ieee_div_zero 0
		.amdhsa_exception_fp_ieee_overflow 0
		.amdhsa_exception_fp_ieee_underflow 0
		.amdhsa_exception_fp_ieee_inexact 0
		.amdhsa_exception_int_div_zero 0
	.end_amdhsa_kernel
	.section	.text._ZL30rocblas_trsm_small_left_deviceILi8ELi8ELb0E19rocblas_complex_numIdES1_PKPKS1_PKPS1_Ev13rocblas_fill_18rocblas_operation_17rocblas_diagonal_iiT3_T4_lilT5_lili,"axG",@progbits,_ZL30rocblas_trsm_small_left_deviceILi8ELi8ELb0E19rocblas_complex_numIdES1_PKPKS1_PKPS1_Ev13rocblas_fill_18rocblas_operation_17rocblas_diagonal_iiT3_T4_lilT5_lili,comdat
.Lfunc_end205:
	.size	_ZL30rocblas_trsm_small_left_deviceILi8ELi8ELb0E19rocblas_complex_numIdES1_PKPKS1_PKPS1_Ev13rocblas_fill_18rocblas_operation_17rocblas_diagonal_iiT3_T4_lilT5_lili, .Lfunc_end205-_ZL30rocblas_trsm_small_left_deviceILi8ELi8ELb0E19rocblas_complex_numIdES1_PKPKS1_PKPS1_Ev13rocblas_fill_18rocblas_operation_17rocblas_diagonal_iiT3_T4_lilT5_lili
                                        ; -- End function
	.section	.AMDGPU.csdata,"",@progbits
; Kernel info:
; codeLenInByte = 3204
; NumSgprs: 36
; NumVgprs: 26
; ScratchSize: 0
; MemoryBound: 0
; FloatMode: 240
; IeeeMode: 1
; LDSByteSize: 2048 bytes/workgroup (compile time only)
; SGPRBlocks: 4
; VGPRBlocks: 3
; NumSGPRsForWavesPerEU: 36
; NumVGPRsForWavesPerEU: 26
; Occupancy: 16
; WaveLimiterHint : 1
; COMPUTE_PGM_RSRC2:SCRATCH_EN: 0
; COMPUTE_PGM_RSRC2:USER_SGPR: 14
; COMPUTE_PGM_RSRC2:TRAP_HANDLER: 0
; COMPUTE_PGM_RSRC2:TGID_X_EN: 1
; COMPUTE_PGM_RSRC2:TGID_Y_EN: 0
; COMPUTE_PGM_RSRC2:TGID_Z_EN: 1
; COMPUTE_PGM_RSRC2:TIDIG_COMP_CNT: 2
	.section	.text._ZL38rocblas_trsm_small_left_device_sharedBILi8ELi8ELb1E19rocblas_complex_numIdES1_PKPKS1_PKPS1_Ev13rocblas_fill_18rocblas_operation_17rocblas_diagonal_iiT3_T4_lilT5_lili,"axG",@progbits,_ZL38rocblas_trsm_small_left_device_sharedBILi8ELi8ELb1E19rocblas_complex_numIdES1_PKPKS1_PKPS1_Ev13rocblas_fill_18rocblas_operation_17rocblas_diagonal_iiT3_T4_lilT5_lili,comdat
	.globl	_ZL38rocblas_trsm_small_left_device_sharedBILi8ELi8ELb1E19rocblas_complex_numIdES1_PKPKS1_PKPS1_Ev13rocblas_fill_18rocblas_operation_17rocblas_diagonal_iiT3_T4_lilT5_lili ; -- Begin function _ZL38rocblas_trsm_small_left_device_sharedBILi8ELi8ELb1E19rocblas_complex_numIdES1_PKPKS1_PKPS1_Ev13rocblas_fill_18rocblas_operation_17rocblas_diagonal_iiT3_T4_lilT5_lili
	.p2align	8
	.type	_ZL38rocblas_trsm_small_left_device_sharedBILi8ELi8ELb1E19rocblas_complex_numIdES1_PKPKS1_PKPS1_Ev13rocblas_fill_18rocblas_operation_17rocblas_diagonal_iiT3_T4_lilT5_lili,@function
_ZL38rocblas_trsm_small_left_device_sharedBILi8ELi8ELb1E19rocblas_complex_numIdES1_PKPKS1_PKPS1_Ev13rocblas_fill_18rocblas_operation_17rocblas_diagonal_iiT3_T4_lilT5_lili: ; @_ZL38rocblas_trsm_small_left_device_sharedBILi8ELi8ELb1E19rocblas_complex_numIdES1_PKPKS1_PKPS1_Ev13rocblas_fill_18rocblas_operation_17rocblas_diagonal_iiT3_T4_lilT5_lili
; %bb.0:
	s_clause 0x1
	s_load_b128 s[20:23], s[0:1], 0x48
	s_load_b128 s[16:19], s[0:1], 0x4
	s_mov_b32 s2, s15
	s_mov_b32 s3, 0
	s_load_b32 s29, s[0:1], 0x70
	s_lshl_b64 s[24:25], s[2:3], 3
	s_mov_b32 s30, exec_lo
	s_waitcnt lgkmcnt(0)
	s_add_u32 s12, s20, s24
	s_addc_u32 s13, s21, s25
	s_load_b256 s[4:11], s[0:1], 0x18
	s_load_b64 s[12:13], s[12:13], 0x0
	s_min_i32 s15, s18, 8
	s_delay_alu instid0(SALU_CYCLE_1)
	s_add_i32 s28, s15, -1
	v_cmpx_gt_i32_e64 s15, v0
	s_cbranch_execz .LBB206_15
; %bb.1:
	s_load_b32 s20, s[0:1], 0x38
	s_waitcnt lgkmcnt(0)
	s_ashr_i32 s21, s20, 31
	s_cmpk_eq_i32 s16, 0x71
	s_cselect_b32 vcc_lo, -1, 0
	s_add_u32 s8, s8, s24
	s_addc_u32 s9, s9, s25
	s_cmp_lt_u32 s28, 3
	s_load_b64 s[8:9], s[8:9], 0x0
	s_cbranch_scc1 .LBB206_4
; %bb.2:
	v_lshlrev_b32_e32 v1, 4, v0
	s_lshl_b64 s[24:25], s[10:11], 4
	s_and_b32 s3, s15, -4
	s_waitcnt lgkmcnt(0)
	s_add_u32 s2, s8, s24
	s_addc_u32 s24, s9, s25
	v_add_co_u32 v1, s2, s2, v1
	s_delay_alu instid0(VALU_DEP_1) | instskip(SKIP_1) | instid1(VALU_DEP_3)
	v_add_co_ci_u32_e64 v2, null, s24, 0, s2
	v_lshlrev_b32_e32 v3, 4, v0
	v_add_co_u32 v1, s2, v1, 8
	s_delay_alu instid0(VALU_DEP_1)
	v_add_co_ci_u32_e64 v2, s2, 0, v2, s2
	s_lshl_b64 s[24:25], s[20:21], 6
	s_lshl_b64 s[26:27], s[20:21], 4
	s_mov_b32 s31, 0
.LBB206_3:                              ; =>This Inner Loop Header: Depth=1
	v_add_co_u32 v8, s2, v1, s26
	s_delay_alu instid0(VALU_DEP_1) | instskip(SKIP_1) | instid1(VALU_DEP_2)
	v_add_co_ci_u32_e64 v9, s2, s27, v2, s2
	s_add_i32 s31, s31, 4
	v_add_co_u32 v12, s2, v8, s26
	s_delay_alu instid0(VALU_DEP_1) | instskip(SKIP_1) | instid1(VALU_DEP_2)
	v_add_co_ci_u32_e64 v13, s2, s27, v9, s2
	s_cmp_eq_u32 s3, s31
	v_add_co_u32 v16, s2, v12, s26
	s_delay_alu instid0(VALU_DEP_1)
	v_add_co_ci_u32_e64 v17, s2, s27, v13, s2
	s_clause 0x3
	global_load_b128 v[4:7], v[1:2], off offset:-8
	global_load_b128 v[8:11], v[8:9], off offset:-8
	;; [unrolled: 1-line block ×4, first 2 shown]
	v_add_co_u32 v1, s2, v1, s24
	s_delay_alu instid0(VALU_DEP_1)
	v_add_co_ci_u32_e64 v2, s2, s25, v2, s2
	s_waitcnt vmcnt(3)
	v_xor_b32_e32 v20, 0x80000000, v7
	s_waitcnt vmcnt(2)
	v_xor_b32_e32 v21, 0x80000000, v11
	;; [unrolled: 2-line block ×4, first 2 shown]
	v_cndmask_b32_e32 v7, v7, v20, vcc_lo
	v_cndmask_b32_e32 v11, v11, v21, vcc_lo
	;; [unrolled: 1-line block ×3, first 2 shown]
	s_delay_alu instid0(VALU_DEP_4)
	v_cndmask_b32_e32 v19, v19, v23, vcc_lo
	ds_store_b128 v3, v[4:7]
	ds_store_b128 v3, v[8:11] offset:128
	ds_store_b128 v3, v[12:15] offset:256
	;; [unrolled: 1-line block ×3, first 2 shown]
	v_add_nc_u32_e32 v3, 0x200, v3
	s_cbranch_scc0 .LBB206_3
.LBB206_4:
	s_and_b32 s24, s15, 3
	s_delay_alu instid0(SALU_CYCLE_1)
	s_cmp_eq_u32 s24, 0
	s_cbranch_scc1 .LBB206_7
; %bb.5:
	s_mul_i32 s2, s21, s3
	s_mul_hi_u32 s25, s20, s3
	s_mul_i32 s26, s20, s3
	s_add_i32 s27, s25, s2
	s_lshl_b64 s[10:11], s[10:11], 4
	s_lshl_b64 s[26:27], s[26:27], 4
	v_lshlrev_b32_e32 v1, 4, v0
	s_add_u32 s2, s26, s10
	s_addc_u32 s10, s27, s11
	s_waitcnt lgkmcnt(0)
	s_add_u32 s2, s8, s2
	s_addc_u32 s8, s9, s10
	v_add_co_u32 v2, s2, s2, v1
	s_delay_alu instid0(VALU_DEP_1) | instskip(SKIP_1) | instid1(VALU_DEP_3)
	v_add_co_ci_u32_e64 v4, null, s8, 0, s2
	v_lshl_or_b32 v3, s3, 7, v1
	v_add_co_u32 v1, s2, v2, 8
	s_delay_alu instid0(VALU_DEP_1)
	v_add_co_ci_u32_e64 v2, s2, 0, v4, s2
	s_lshl_b64 s[8:9], s[20:21], 4
.LBB206_6:                              ; =>This Inner Loop Header: Depth=1
	global_load_b128 v[4:7], v[1:2], off offset:-8
	v_add_co_u32 v1, s2, v1, s8
	s_delay_alu instid0(VALU_DEP_1) | instskip(SKIP_1) | instid1(SALU_CYCLE_1)
	v_add_co_ci_u32_e64 v2, s2, s9, v2, s2
	s_add_i32 s24, s24, -1
	s_cmp_lg_u32 s24, 0
	s_waitcnt vmcnt(0)
	v_xor_b32_e32 v8, 0x80000000, v7
	s_delay_alu instid0(VALU_DEP_1)
	v_cndmask_b32_e32 v7, v7, v8, vcc_lo
	ds_store_b128 v3, v[4:7]
	v_add_nc_u32_e32 v3, 0x80, v3
	s_cbranch_scc1 .LBB206_6
.LBB206_7:
	v_mul_u32_u24_e32 v1, 9, v0
	s_cmpk_lg_i32 s17, 0x84
	s_delay_alu instid0(VALU_DEP_1)
	v_lshlrev_b32_e32 v9, 4, v1
	s_cbranch_scc0 .LBB206_13
; %bb.8:
	ds_load_b128 v[1:4], v9
	s_waitcnt lgkmcnt(0)
	v_cmp_gt_f64_e32 vcc_lo, 0, v[1:2]
	v_xor_b32_e32 v6, 0x80000000, v2
	v_mov_b32_e32 v5, v1
	v_xor_b32_e32 v7, 0x80000000, v4
	s_delay_alu instid0(VALU_DEP_3) | instskip(SKIP_1) | instid1(VALU_DEP_3)
	v_cndmask_b32_e32 v6, v2, v6, vcc_lo
	v_cmp_gt_f64_e32 vcc_lo, 0, v[3:4]
	v_dual_cndmask_b32 v8, v4, v7 :: v_dual_mov_b32 v7, v3
	s_delay_alu instid0(VALU_DEP_1) | instskip(SKIP_1) | instid1(SALU_CYCLE_1)
	v_cmp_ngt_f64_e32 vcc_lo, v[5:6], v[7:8]
                                        ; implicit-def: $vgpr7_vgpr8
	s_and_saveexec_b32 s2, vcc_lo
	s_xor_b32 s2, exec_lo, s2
	s_cbranch_execz .LBB206_10
; %bb.9:
	v_div_scale_f64 v[5:6], null, v[3:4], v[3:4], v[1:2]
	v_div_scale_f64 v[12:13], vcc_lo, v[1:2], v[3:4], v[1:2]
	s_delay_alu instid0(VALU_DEP_2) | instskip(SKIP_2) | instid1(VALU_DEP_1)
	v_rcp_f64_e32 v[7:8], v[5:6]
	s_waitcnt_depctr 0xfff
	v_fma_f64 v[10:11], -v[5:6], v[7:8], 1.0
	v_fma_f64 v[7:8], v[7:8], v[10:11], v[7:8]
	s_delay_alu instid0(VALU_DEP_1) | instskip(NEXT) | instid1(VALU_DEP_1)
	v_fma_f64 v[10:11], -v[5:6], v[7:8], 1.0
	v_fma_f64 v[7:8], v[7:8], v[10:11], v[7:8]
	s_delay_alu instid0(VALU_DEP_1) | instskip(NEXT) | instid1(VALU_DEP_1)
	v_mul_f64 v[10:11], v[12:13], v[7:8]
	v_fma_f64 v[5:6], -v[5:6], v[10:11], v[12:13]
	s_delay_alu instid0(VALU_DEP_1) | instskip(NEXT) | instid1(VALU_DEP_1)
	v_div_fmas_f64 v[5:6], v[5:6], v[7:8], v[10:11]
	v_div_fixup_f64 v[5:6], v[5:6], v[3:4], v[1:2]
	s_delay_alu instid0(VALU_DEP_1) | instskip(NEXT) | instid1(VALU_DEP_1)
	v_fma_f64 v[1:2], v[1:2], v[5:6], v[3:4]
	v_div_scale_f64 v[3:4], null, v[1:2], v[1:2], 1.0
	v_div_scale_f64 v[12:13], vcc_lo, 1.0, v[1:2], 1.0
	s_delay_alu instid0(VALU_DEP_2) | instskip(SKIP_2) | instid1(VALU_DEP_1)
	v_rcp_f64_e32 v[7:8], v[3:4]
	s_waitcnt_depctr 0xfff
	v_fma_f64 v[10:11], -v[3:4], v[7:8], 1.0
	v_fma_f64 v[7:8], v[7:8], v[10:11], v[7:8]
	s_delay_alu instid0(VALU_DEP_1) | instskip(NEXT) | instid1(VALU_DEP_1)
	v_fma_f64 v[10:11], -v[3:4], v[7:8], 1.0
	v_fma_f64 v[7:8], v[7:8], v[10:11], v[7:8]
	s_delay_alu instid0(VALU_DEP_1) | instskip(NEXT) | instid1(VALU_DEP_1)
	v_mul_f64 v[10:11], v[12:13], v[7:8]
	v_fma_f64 v[3:4], -v[3:4], v[10:11], v[12:13]
	s_delay_alu instid0(VALU_DEP_1) | instskip(SKIP_1) | instid1(VALU_DEP_2)
	v_div_fmas_f64 v[3:4], v[3:4], v[7:8], v[10:11]
	v_add_f64 v[7:8], v[5:6], 0
	v_div_fixup_f64 v[1:2], v[3:4], v[1:2], 1.0
	v_fma_f64 v[3:4], v[5:6], 0, -1.0
	s_delay_alu instid0(VALU_DEP_2) | instskip(NEXT) | instid1(VALU_DEP_2)
	v_mul_f64 v[5:6], v[7:8], v[1:2]
	v_mul_f64 v[7:8], v[3:4], v[1:2]
                                        ; implicit-def: $vgpr1_vgpr2
.LBB206_10:
	s_and_not1_saveexec_b32 s2, s2
	s_cbranch_execz .LBB206_12
; %bb.11:
	v_div_scale_f64 v[5:6], null, v[1:2], v[1:2], v[3:4]
	v_div_scale_f64 v[12:13], vcc_lo, v[3:4], v[1:2], v[3:4]
	s_delay_alu instid0(VALU_DEP_2) | instskip(SKIP_2) | instid1(VALU_DEP_1)
	v_rcp_f64_e32 v[7:8], v[5:6]
	s_waitcnt_depctr 0xfff
	v_fma_f64 v[10:11], -v[5:6], v[7:8], 1.0
	v_fma_f64 v[7:8], v[7:8], v[10:11], v[7:8]
	s_delay_alu instid0(VALU_DEP_1) | instskip(NEXT) | instid1(VALU_DEP_1)
	v_fma_f64 v[10:11], -v[5:6], v[7:8], 1.0
	v_fma_f64 v[7:8], v[7:8], v[10:11], v[7:8]
	s_delay_alu instid0(VALU_DEP_1) | instskip(NEXT) | instid1(VALU_DEP_1)
	v_mul_f64 v[10:11], v[12:13], v[7:8]
	v_fma_f64 v[5:6], -v[5:6], v[10:11], v[12:13]
	s_delay_alu instid0(VALU_DEP_1) | instskip(NEXT) | instid1(VALU_DEP_1)
	v_div_fmas_f64 v[5:6], v[5:6], v[7:8], v[10:11]
	v_div_fixup_f64 v[5:6], v[5:6], v[1:2], v[3:4]
	s_delay_alu instid0(VALU_DEP_1) | instskip(NEXT) | instid1(VALU_DEP_1)
	v_fma_f64 v[1:2], v[3:4], v[5:6], v[1:2]
	v_div_scale_f64 v[3:4], null, v[1:2], v[1:2], 1.0
	v_div_scale_f64 v[12:13], vcc_lo, 1.0, v[1:2], 1.0
	s_delay_alu instid0(VALU_DEP_2) | instskip(SKIP_2) | instid1(VALU_DEP_1)
	v_rcp_f64_e32 v[7:8], v[3:4]
	s_waitcnt_depctr 0xfff
	v_fma_f64 v[10:11], -v[3:4], v[7:8], 1.0
	v_fma_f64 v[7:8], v[7:8], v[10:11], v[7:8]
	s_delay_alu instid0(VALU_DEP_1) | instskip(NEXT) | instid1(VALU_DEP_1)
	v_fma_f64 v[10:11], -v[3:4], v[7:8], 1.0
	v_fma_f64 v[7:8], v[7:8], v[10:11], v[7:8]
	s_delay_alu instid0(VALU_DEP_1) | instskip(NEXT) | instid1(VALU_DEP_1)
	v_mul_f64 v[10:11], v[12:13], v[7:8]
	v_fma_f64 v[3:4], -v[3:4], v[10:11], v[12:13]
	s_delay_alu instid0(VALU_DEP_1) | instskip(SKIP_1) | instid1(VALU_DEP_2)
	v_div_fmas_f64 v[3:4], v[3:4], v[7:8], v[10:11]
	v_fma_f64 v[7:8], v[5:6], 0, 1.0
	v_div_fixup_f64 v[1:2], v[3:4], v[1:2], 1.0
	v_add_f64 v[3:4], -v[5:6], 0
	s_delay_alu instid0(VALU_DEP_2) | instskip(NEXT) | instid1(VALU_DEP_2)
	v_mul_f64 v[5:6], v[7:8], v[1:2]
	v_mul_f64 v[7:8], v[3:4], v[1:2]
.LBB206_12:
	s_or_b32 exec_lo, exec_lo, s2
	s_branch .LBB206_14
.LBB206_13:
	v_mov_b32_e32 v5, 0
	v_dual_mov_b32 v6, 0x3ff00000 :: v_dual_mov_b32 v7, 0
	v_mov_b32_e32 v8, 0
.LBB206_14:
	ds_store_b128 v9, v[5:8]
.LBB206_15:
	s_or_b32 exec_lo, exec_lo, s30
	s_load_b32 s2, s[0:1], 0x58
	s_lshl_b64 s[0:1], s[22:23], 4
	s_waitcnt lgkmcnt(0)
	s_add_u32 s3, s12, s0
	s_addc_u32 s8, s13, s1
	s_lshl_b32 s0, s14, 3
	s_add_i32 s29, s29, -1
	s_sub_i32 s9, s19, s0
	s_cmp_ge_u32 s14, s29
	s_cselect_b32 s9, s9, 8
	s_delay_alu instid0(SALU_CYCLE_1) | instskip(SKIP_2) | instid1(SALU_CYCLE_1)
	v_cmp_gt_i32_e32 vcc_lo, s9, v0
	s_mul_hi_i32 s1, s2, s0
	s_mul_i32 s0, s2, s0
	s_lshl_b64 s[0:1], s[0:1], 4
	s_delay_alu instid0(SALU_CYCLE_1) | instskip(SKIP_4) | instid1(SALU_CYCLE_1)
	s_add_u32 s3, s3, s0
	s_addc_u32 s8, s8, s1
	s_cmp_gt_i32 s18, 0
	s_mov_b32 s0, -1
	s_cselect_b32 s1, -1, 0
	s_and_b32 s9, vcc_lo, s1
	s_delay_alu instid0(SALU_CYCLE_1)
	s_and_saveexec_b32 s1, s9
	s_cbranch_execz .LBB206_24
; %bb.16:
	v_mad_i64_i32 v[1:2], null, s2, v0, 0
	s_cmp_eq_u32 s18, 1
	s_delay_alu instid0(VALU_DEP_1) | instskip(NEXT) | instid1(VALU_DEP_1)
	v_lshlrev_b64 v[1:2], 4, v[1:2]
	v_add_co_u32 v1, vcc_lo, s3, v1
	s_delay_alu instid0(VALU_DEP_2) | instskip(SKIP_4) | instid1(VALU_DEP_2)
	v_add_co_ci_u32_e32 v2, vcc_lo, s8, v2, vcc_lo
	global_load_b128 v[3:6], v[1:2], off
	s_waitcnt vmcnt(0)
	v_mul_f64 v[7:8], s[6:7], v[5:6]
	v_mul_f64 v[9:10], s[4:5], v[5:6]
	v_fma_f64 v[5:6], s[4:5], v[3:4], -v[7:8]
	s_delay_alu instid0(VALU_DEP_2)
	v_fma_f64 v[7:8], s[6:7], v[3:4], v[9:10]
	v_lshlrev_b32_e32 v3, 4, v0
	ds_store_b128 v3, v[5:8] offset:1024
	s_cbranch_scc1 .LBB206_24
; %bb.17:
	global_load_b128 v[4:7], v[1:2], off offset:16
	v_or_b32_e32 v3, 0x400, v3
	s_cmp_eq_u32 s18, 2
	s_waitcnt vmcnt(0)
	v_mul_f64 v[8:9], s[6:7], v[6:7]
	v_mul_f64 v[10:11], s[4:5], v[6:7]
	s_delay_alu instid0(VALU_DEP_2) | instskip(NEXT) | instid1(VALU_DEP_2)
	v_fma_f64 v[6:7], s[4:5], v[4:5], -v[8:9]
	v_fma_f64 v[8:9], s[6:7], v[4:5], v[10:11]
	ds_store_b128 v3, v[6:9] offset:128
	s_cbranch_scc1 .LBB206_24
; %bb.18:
	global_load_b128 v[4:7], v[1:2], off offset:32
	s_cmp_eq_u32 s18, 3
	s_waitcnt vmcnt(0)
	v_mul_f64 v[8:9], s[6:7], v[6:7]
	v_mul_f64 v[10:11], s[4:5], v[6:7]
	s_delay_alu instid0(VALU_DEP_2) | instskip(NEXT) | instid1(VALU_DEP_2)
	v_fma_f64 v[6:7], s[4:5], v[4:5], -v[8:9]
	v_fma_f64 v[8:9], s[6:7], v[4:5], v[10:11]
	ds_store_b128 v3, v[6:9] offset:256
	s_cbranch_scc1 .LBB206_24
; %bb.19:
	global_load_b128 v[4:7], v[1:2], off offset:48
	;; [unrolled: 11-line block ×6, first 2 shown]
	s_waitcnt vmcnt(0)
	v_mul_f64 v[1:2], s[6:7], v[6:7]
	v_mul_f64 v[8:9], s[4:5], v[6:7]
	s_delay_alu instid0(VALU_DEP_2) | instskip(NEXT) | instid1(VALU_DEP_2)
	v_fma_f64 v[6:7], s[4:5], v[4:5], -v[1:2]
	v_fma_f64 v[8:9], s[6:7], v[4:5], v[8:9]
	ds_store_b128 v3, v[6:9] offset:896
.LBB206_24:
	s_or_b32 exec_lo, exec_lo, s1
	s_or_b32 s4, 0, 8
	s_cmpk_eq_i32 s16, 0x6f
	s_waitcnt vmcnt(0) lgkmcnt(0)
	s_waitcnt_vscnt null, 0x0
	; wave barrier
	s_waitcnt lgkmcnt(0)
	buffer_gl0_inv
	s_cbranch_scc1 .LBB206_45
; %bb.25:
	v_lshl_or_b32 v5, v0, 4, 0x400
	v_lshlrev_b32_e32 v6, 4, v0
	s_lshl_b32 s5, s15, 4
	s_mov_b32 s1, 0
	s_add_i32 s5, s5, -16
	s_mov_b32 s0, s1
	s_mov_b32 s6, s28
	s_branch .LBB206_27
.LBB206_26:                             ;   in Loop: Header=BB206_27 Depth=1
	s_cmp_lt_i32 s6, 0
	s_cselect_b32 s7, -1, 0
	s_add_i32 s0, s0, 1
	s_delay_alu instid0(SALU_CYCLE_1) | instskip(SKIP_1) | instid1(SALU_CYCLE_1)
	s_cmp_eq_u32 s0, 3
	s_cselect_b32 s10, -1, 0
	s_or_b32 s7, s7, s10
	s_delay_alu instid0(SALU_CYCLE_1)
	s_and_not1_b32 vcc_lo, exec_lo, s7
	s_cbranch_vccz .LBB206_44
.LBB206_27:                             ; =>This Loop Header: Depth=1
                                        ;     Child Loop BB206_30 Depth 2
                                        ;       Child Loop BB206_31 Depth 3
                                        ;       Child Loop BB206_33 Depth 3
                                        ;         Child Loop BB206_34 Depth 4
                                        ;       Child Loop BB206_38 Depth 3
                                        ;         Child Loop BB206_40 Depth 4
	s_getpc_b64 s[10:11]
	s_add_u32 s10, s10, __const._ZL38rocblas_trsm_small_left_device_sharedBILi8ELi8ELb1E19rocblas_complex_numIdES1_PKPKS1_PKPS1_Ev13rocblas_fill_18rocblas_operation_17rocblas_diagonal_iiT3_T4_lilT5_lili.step_sizes@rel32@lo+4
	s_addc_u32 s11, s11, __const._ZL38rocblas_trsm_small_left_device_sharedBILi8ELi8ELb1E19rocblas_complex_numIdES1_PKPKS1_PKPS1_Ev13rocblas_fill_18rocblas_operation_17rocblas_diagonal_iiT3_T4_lilT5_lili.step_sizes@rel32@hi+12
	s_lshl_b64 s[12:13], s[0:1], 2
	s_delay_alu instid0(SALU_CYCLE_1) | instskip(SKIP_4) | instid1(SALU_CYCLE_1)
	s_add_u32 s10, s12, s10
	s_addc_u32 s11, s13, s11
	s_load_b32 s7, s[10:11], 0x0
	s_waitcnt lgkmcnt(0)
	s_add_i32 s10, s7, -1
	s_cmp_lt_i32 s6, s10
	s_cbranch_scc1 .LBB206_26
; %bb.28:                               ;   in Loop: Header=BB206_27 Depth=1
	s_lshl_b32 s13, s6, 7
	s_lshl_b32 s12, s7, 7
	v_add_nc_u32_e32 v7, s13, v5
	s_max_i32 s11, s7, 1
	s_sub_i32 s12, 0, s12
	s_add_i32 s13, s5, s13
	s_mul_i32 s14, s6, 0x90
	s_mul_i32 s16, s7, 0xffffff70
	s_branch .LBB206_30
.LBB206_29:                             ;   in Loop: Header=BB206_30 Depth=2
	v_add_nc_u32_e32 v7, s12, v7
	s_sub_i32 s6, s6, s7
	s_add_i32 s13, s13, s12
	s_add_i32 s14, s14, s16
	s_cmp_lt_i32 s6, s10
	s_cbranch_scc1 .LBB206_26
.LBB206_30:                             ;   Parent Loop BB206_27 Depth=1
                                        ; =>  This Loop Header: Depth=2
                                        ;       Child Loop BB206_31 Depth 3
                                        ;       Child Loop BB206_33 Depth 3
                                        ;         Child Loop BB206_34 Depth 4
                                        ;       Child Loop BB206_38 Depth 3
                                        ;         Child Loop BB206_40 Depth 4
	v_dual_mov_b32 v1, 0 :: v_dual_mov_b32 v2, v7
	s_mov_b32 s17, s11
.LBB206_31:                             ;   Parent Loop BB206_27 Depth=1
                                        ;     Parent Loop BB206_30 Depth=2
                                        ; =>    This Inner Loop Header: Depth=3
	ds_load_b128 v[8:11], v2
	v_add_nc_u32_e32 v2, 0xffffff80, v2
	s_add_i32 s17, s17, -1
	s_delay_alu instid0(SALU_CYCLE_1)
	s_cmp_eq_u32 s17, 0
	s_waitcnt lgkmcnt(0)
	scratch_store_b128 v1, v[8:11], off
	v_add_nc_u32_e32 v1, 16, v1
	s_cbranch_scc0 .LBB206_31
; %bb.32:                               ;   in Loop: Header=BB206_30 Depth=2
	s_cmp_le_i32 s28, s6
	s_mov_b32 s17, s13
	s_mov_b32 s19, s28
	s_cbranch_scc1 .LBB206_36
	.p2align	6
.LBB206_33:                             ;   Parent Loop BB206_27 Depth=1
                                        ;     Parent Loop BB206_30 Depth=2
                                        ; =>    This Loop Header: Depth=3
                                        ;         Child Loop BB206_34 Depth 4
	v_lshl_or_b32 v1, s19, 7, v6
	s_mov_b32 s20, s4
	s_mov_b32 s21, s17
	;; [unrolled: 1-line block ×3, first 2 shown]
	ds_load_b128 v[1:4], v1 offset:1024
	.p2align	6
.LBB206_34:                             ;   Parent Loop BB206_27 Depth=1
                                        ;     Parent Loop BB206_30 Depth=2
                                        ;       Parent Loop BB206_33 Depth=3
                                        ; =>      This Inner Loop Header: Depth=4
	scratch_load_b128 v[8:11], off, s20 offset:-8
	v_mov_b32_e32 v12, s21
	s_add_i32 s22, s22, -1
	s_addk_i32 s21, 0xff80
	ds_load_b128 v[12:15], v12
	s_waitcnt lgkmcnt(0)
	v_mul_f64 v[16:17], v[3:4], v[14:15]
	v_mul_f64 v[14:15], v[1:2], v[14:15]
	s_delay_alu instid0(VALU_DEP_2) | instskip(NEXT) | instid1(VALU_DEP_2)
	v_fma_f64 v[16:17], v[1:2], v[12:13], -v[16:17]
	v_fma_f64 v[12:13], v[3:4], v[12:13], v[14:15]
	s_waitcnt vmcnt(0)
	s_delay_alu instid0(VALU_DEP_2) | instskip(NEXT) | instid1(VALU_DEP_2)
	v_add_f64 v[8:9], v[8:9], -v[16:17]
	v_add_f64 v[10:11], v[10:11], -v[12:13]
	scratch_store_b128 off, v[8:11], s20 offset:-8
	s_add_i32 s20, s20, 16
	s_cmp_eq_u32 s22, 0
	s_cbranch_scc0 .LBB206_34
; %bb.35:                               ;   in Loop: Header=BB206_33 Depth=3
	s_add_i32 s19, s19, -1
	s_add_i32 s17, s17, -16
	s_cmp_le_i32 s19, s6
	s_cbranch_scc0 .LBB206_33
.LBB206_36:                             ;   in Loop: Header=BB206_30 Depth=2
	s_lshl_b32 s17, s6, 3
	s_mov_b32 s19, 0
	s_mov_b32 s20, s14
	s_branch .LBB206_38
.LBB206_37:                             ;   in Loop: Header=BB206_38 Depth=3
	s_mulk_i32 s22, 0x90
	s_addk_i32 s20, 0xff80
	v_mov_b32_e32 v8, s22
	s_lshl_b32 s22, s19, 4
	s_add_i32 s19, s19, 1
	ds_load_b128 v[8:11], v8
	s_waitcnt vmcnt(0) lgkmcnt(0)
	v_mul_f64 v[12:13], v[10:11], v[3:4]
	v_mul_f64 v[3:4], v[8:9], v[3:4]
	s_delay_alu instid0(VALU_DEP_2) | instskip(NEXT) | instid1(VALU_DEP_2)
	v_fma_f64 v[8:9], v[8:9], v[1:2], -v[12:13]
	v_fma_f64 v[10:11], v[10:11], v[1:2], v[3:4]
	v_add_lshl_u32 v1, s21, v0, 4
	s_add_i32 s21, s22, 0
	s_cmp_eq_u32 s19, s11
	scratch_store_b128 off, v[8:11], s21
	ds_store_b128 v1, v[8:11] offset:1024
	s_cbranch_scc1 .LBB206_29
.LBB206_38:                             ;   Parent Loop BB206_27 Depth=1
                                        ;     Parent Loop BB206_30 Depth=2
                                        ; =>    This Loop Header: Depth=3
                                        ;         Child Loop BB206_40 Depth 4
	s_cmp_lg_u32 s19, 0
	s_cbranch_scc0 .LBB206_42
; %bb.39:                               ;   in Loop: Header=BB206_38 Depth=3
	s_lshl_b32 s23, s19, 4
	s_sub_i32 s22, s6, s19
	s_add_i32 s21, s23, 0
	v_add_nc_u32_e64 v8, s23, 0
	scratch_load_b128 v[1:4], off, s21
	s_lshl_b32 s21, s22, 3
	s_mov_b32 s23, 0
	s_mov_b32 s24, s4
	;; [unrolled: 1-line block ×3, first 2 shown]
	.p2align	6
.LBB206_40:                             ;   Parent Loop BB206_27 Depth=1
                                        ;     Parent Loop BB206_30 Depth=2
                                        ;       Parent Loop BB206_38 Depth=3
                                        ; =>      This Inner Loop Header: Depth=4
	scratch_load_b128 v[9:12], off, s24 offset:-8
	v_mov_b32_e32 v13, s25
	s_add_i32 s23, s23, 1
	s_add_i32 s25, s25, -16
	s_add_i32 s24, s24, 16
	s_cmp_ge_u32 s23, s19
	ds_load_b128 v[13:16], v13
	s_waitcnt vmcnt(0) lgkmcnt(0)
	v_mul_f64 v[17:18], v[15:16], v[11:12]
	v_mul_f64 v[11:12], v[13:14], v[11:12]
	s_delay_alu instid0(VALU_DEP_2) | instskip(NEXT) | instid1(VALU_DEP_2)
	v_fma_f64 v[13:14], v[13:14], v[9:10], -v[17:18]
	v_fma_f64 v[9:10], v[15:16], v[9:10], v[11:12]
	s_delay_alu instid0(VALU_DEP_2) | instskip(NEXT) | instid1(VALU_DEP_2)
	v_add_f64 v[1:2], v[1:2], -v[13:14]
	v_add_f64 v[3:4], v[3:4], -v[9:10]
	scratch_store_b128 v8, v[1:4], off
	s_cbranch_scc0 .LBB206_40
; %bb.41:                               ;   in Loop: Header=BB206_38 Depth=3
	s_branch .LBB206_37
.LBB206_42:                             ;   in Loop: Header=BB206_38 Depth=3
                                        ; implicit-def: $vgpr1_vgpr2
                                        ; implicit-def: $sgpr22
                                        ; implicit-def: $sgpr21
	s_cbranch_execz .LBB206_37
; %bb.43:                               ;   in Loop: Header=BB206_38 Depth=3
	scratch_load_b128 v[1:4], off, off
	s_mov_b32 s21, s17
	s_mov_b32 s22, s6
	s_branch .LBB206_37
.LBB206_44:
	s_mov_b32 s0, 0
.LBB206_45:
	s_delay_alu instid0(SALU_CYCLE_1)
	s_and_b32 vcc_lo, exec_lo, s0
	s_cbranch_vccz .LBB206_66
; %bb.46:
	v_lshl_or_b32 v5, v0, 4, 0x400
	v_lshlrev_b32_e32 v6, 4, v0
	s_mov_b32 s1, 0
	s_delay_alu instid0(SALU_CYCLE_1)
	s_mov_b32 s0, s1
	s_mov_b32 s5, s1
	s_branch .LBB206_48
.LBB206_47:                             ;   in Loop: Header=BB206_48 Depth=1
	s_cmp_ge_i32 s5, s15
	s_cselect_b32 s6, -1, 0
	s_add_i32 s0, s0, 1
	s_delay_alu instid0(SALU_CYCLE_1) | instskip(SKIP_1) | instid1(SALU_CYCLE_1)
	s_cmp_eq_u32 s0, 3
	s_cselect_b32 s7, -1, 0
	s_or_b32 s6, s6, s7
	s_delay_alu instid0(SALU_CYCLE_1)
	s_and_b32 vcc_lo, exec_lo, s6
	s_cbranch_vccnz .LBB206_66
.LBB206_48:                             ; =>This Loop Header: Depth=1
                                        ;     Child Loop BB206_51 Depth 2
                                        ;       Child Loop BB206_52 Depth 3
                                        ;       Child Loop BB206_55 Depth 3
                                        ;         Child Loop BB206_56 Depth 4
                                        ;       Child Loop BB206_60 Depth 3
                                        ;         Child Loop BB206_62 Depth 4
	s_getpc_b64 s[6:7]
	s_add_u32 s6, s6, __const._ZL38rocblas_trsm_small_left_device_sharedBILi8ELi8ELb1E19rocblas_complex_numIdES1_PKPKS1_PKPS1_Ev13rocblas_fill_18rocblas_operation_17rocblas_diagonal_iiT3_T4_lilT5_lili.step_sizes@rel32@lo+4
	s_addc_u32 s7, s7, __const._ZL38rocblas_trsm_small_left_device_sharedBILi8ELi8ELb1E19rocblas_complex_numIdES1_PKPKS1_PKPS1_Ev13rocblas_fill_18rocblas_operation_17rocblas_diagonal_iiT3_T4_lilT5_lili.step_sizes@rel32@hi+12
	s_lshl_b64 s[10:11], s[0:1], 2
	s_delay_alu instid0(SALU_CYCLE_1) | instskip(SKIP_4) | instid1(SALU_CYCLE_1)
	s_add_u32 s6, s10, s6
	s_addc_u32 s7, s11, s7
	s_load_b32 s6, s[6:7], 0x0
	s_waitcnt lgkmcnt(0)
	s_add_i32 s7, s6, -1
	s_add_i32 s10, s7, s5
	s_delay_alu instid0(SALU_CYCLE_1)
	s_cmp_ge_i32 s10, s15
	s_cbranch_scc1 .LBB206_47
; %bb.49:                               ;   in Loop: Header=BB206_48 Depth=1
	v_lshl_add_u32 v7, s5, 7, v5
	s_max_i32 s10, s6, 1
	s_lshl_b32 s11, s6, 7
	s_lshl_b32 s12, s5, 4
	;; [unrolled: 1-line block ×3, first 2 shown]
	s_mul_i32 s14, s5, 0x90
	s_mul_i32 s16, s6, 0x90
	s_branch .LBB206_51
.LBB206_50:                             ;   in Loop: Header=BB206_51 Depth=2
	s_add_i32 s5, s5, s6
	v_add_nc_u32_e32 v7, s11, v7
	s_add_i32 s17, s7, s5
	s_add_i32 s12, s12, s13
	;; [unrolled: 1-line block ×3, first 2 shown]
	s_cmp_ge_i32 s17, s15
	s_cbranch_scc1 .LBB206_47
.LBB206_51:                             ;   Parent Loop BB206_48 Depth=1
                                        ; =>  This Loop Header: Depth=2
                                        ;       Child Loop BB206_52 Depth 3
                                        ;       Child Loop BB206_55 Depth 3
                                        ;         Child Loop BB206_56 Depth 4
                                        ;       Child Loop BB206_60 Depth 3
                                        ;         Child Loop BB206_62 Depth 4
	v_dual_mov_b32 v1, 0 :: v_dual_mov_b32 v2, v7
	s_mov_b32 s17, s10
.LBB206_52:                             ;   Parent Loop BB206_48 Depth=1
                                        ;     Parent Loop BB206_51 Depth=2
                                        ; =>    This Inner Loop Header: Depth=3
	ds_load_b128 v[8:11], v2
	v_add_nc_u32_e32 v2, 0x80, v2
	s_add_i32 s17, s17, -1
	s_delay_alu instid0(SALU_CYCLE_1)
	s_cmp_eq_u32 s17, 0
	s_waitcnt lgkmcnt(0)
	scratch_store_b128 v1, v[8:11], off
	v_add_nc_u32_e32 v1, 16, v1
	s_cbranch_scc0 .LBB206_52
; %bb.53:                               ;   in Loop: Header=BB206_51 Depth=2
	s_cmp_lt_i32 s5, 1
	s_cbranch_scc1 .LBB206_58
; %bb.54:                               ;   in Loop: Header=BB206_51 Depth=2
	s_mov_b32 s17, 0
	s_mov_b32 s19, s12
	s_set_inst_prefetch_distance 0x1
	.p2align	6
.LBB206_55:                             ;   Parent Loop BB206_48 Depth=1
                                        ;     Parent Loop BB206_51 Depth=2
                                        ; =>    This Loop Header: Depth=3
                                        ;         Child Loop BB206_56 Depth 4
	v_lshl_or_b32 v1, s17, 7, v6
	s_mov_b32 s20, s4
	s_mov_b32 s21, s19
	;; [unrolled: 1-line block ×3, first 2 shown]
	ds_load_b128 v[1:4], v1 offset:1024
	.p2align	6
.LBB206_56:                             ;   Parent Loop BB206_48 Depth=1
                                        ;     Parent Loop BB206_51 Depth=2
                                        ;       Parent Loop BB206_55 Depth=3
                                        ; =>      This Inner Loop Header: Depth=4
	scratch_load_b128 v[8:11], off, s20 offset:-8
	v_mov_b32_e32 v12, s21
	s_add_i32 s22, s22, -1
	s_add_i32 s21, s21, 16
	ds_load_b128 v[12:15], v12
	s_waitcnt lgkmcnt(0)
	v_mul_f64 v[16:17], v[3:4], v[14:15]
	v_mul_f64 v[14:15], v[1:2], v[14:15]
	s_delay_alu instid0(VALU_DEP_2) | instskip(NEXT) | instid1(VALU_DEP_2)
	v_fma_f64 v[16:17], v[1:2], v[12:13], -v[16:17]
	v_fma_f64 v[12:13], v[3:4], v[12:13], v[14:15]
	s_waitcnt vmcnt(0)
	s_delay_alu instid0(VALU_DEP_2) | instskip(NEXT) | instid1(VALU_DEP_2)
	v_add_f64 v[8:9], v[8:9], -v[16:17]
	v_add_f64 v[10:11], v[10:11], -v[12:13]
	scratch_store_b128 off, v[8:11], s20 offset:-8
	s_add_i32 s20, s20, 16
	s_cmp_eq_u32 s22, 0
	s_cbranch_scc0 .LBB206_56
; %bb.57:                               ;   in Loop: Header=BB206_55 Depth=3
	s_add_i32 s17, s17, 1
	s_addk_i32 s19, 0x80
	s_cmp_ge_i32 s17, s5
	s_cbranch_scc0 .LBB206_55
.LBB206_58:                             ;   in Loop: Header=BB206_51 Depth=2
	s_set_inst_prefetch_distance 0x2
	s_mov_b32 s17, 0
	s_mov_b32 s19, s14
	s_branch .LBB206_60
.LBB206_59:                             ;   in Loop: Header=BB206_60 Depth=3
	s_mul_i32 s21, s20, 0x90
	s_add_i32 s19, s19, 16
	v_mov_b32_e32 v8, s21
	s_lshl_b32 s21, s17, 4
	s_add_i32 s17, s17, 1
	ds_load_b128 v[8:11], v8
	s_waitcnt vmcnt(0) lgkmcnt(0)
	v_mul_f64 v[12:13], v[10:11], v[3:4]
	v_mul_f64 v[3:4], v[8:9], v[3:4]
	s_delay_alu instid0(VALU_DEP_2) | instskip(NEXT) | instid1(VALU_DEP_2)
	v_fma_f64 v[8:9], v[8:9], v[1:2], -v[12:13]
	v_fma_f64 v[10:11], v[10:11], v[1:2], v[3:4]
	v_lshl_or_b32 v1, s20, 7, v6
	s_add_i32 s20, s21, 0
	s_cmp_eq_u32 s17, s10
	scratch_store_b128 off, v[8:11], s20
	ds_store_b128 v1, v[8:11] offset:1024
	s_cbranch_scc1 .LBB206_50
.LBB206_60:                             ;   Parent Loop BB206_48 Depth=1
                                        ;     Parent Loop BB206_51 Depth=2
                                        ; =>    This Loop Header: Depth=3
                                        ;         Child Loop BB206_62 Depth 4
	s_cmp_lg_u32 s17, 0
	s_cbranch_scc0 .LBB206_64
; %bb.61:                               ;   in Loop: Header=BB206_60 Depth=3
	s_lshl_b32 s21, s17, 4
	s_mov_b32 s22, s4
	s_add_i32 s20, s21, 0
	v_add_nc_u32_e64 v8, s21, 0
	scratch_load_b128 v[1:4], off, s20
	s_add_i32 s20, s17, s5
	s_mov_b32 s21, 0
	s_mov_b32 s23, s19
	.p2align	6
.LBB206_62:                             ;   Parent Loop BB206_48 Depth=1
                                        ;     Parent Loop BB206_51 Depth=2
                                        ;       Parent Loop BB206_60 Depth=3
                                        ; =>      This Inner Loop Header: Depth=4
	scratch_load_b128 v[9:12], off, s22 offset:-8
	v_mov_b32_e32 v13, s23
	s_add_i32 s21, s21, 1
	s_addk_i32 s23, 0x80
	s_add_i32 s22, s22, 16
	s_cmp_ge_u32 s21, s17
	ds_load_b128 v[13:16], v13
	s_waitcnt vmcnt(0) lgkmcnt(0)
	v_mul_f64 v[17:18], v[15:16], v[11:12]
	v_mul_f64 v[11:12], v[13:14], v[11:12]
	s_delay_alu instid0(VALU_DEP_2) | instskip(NEXT) | instid1(VALU_DEP_2)
	v_fma_f64 v[13:14], v[13:14], v[9:10], -v[17:18]
	v_fma_f64 v[9:10], v[15:16], v[9:10], v[11:12]
	s_delay_alu instid0(VALU_DEP_2) | instskip(NEXT) | instid1(VALU_DEP_2)
	v_add_f64 v[1:2], v[1:2], -v[13:14]
	v_add_f64 v[3:4], v[3:4], -v[9:10]
	scratch_store_b128 v8, v[1:4], off
	s_cbranch_scc0 .LBB206_62
; %bb.63:                               ;   in Loop: Header=BB206_60 Depth=3
	s_branch .LBB206_59
.LBB206_64:                             ;   in Loop: Header=BB206_60 Depth=3
                                        ; implicit-def: $vgpr1_vgpr2
                                        ; implicit-def: $sgpr20
	s_cbranch_execz .LBB206_59
; %bb.65:                               ;   in Loop: Header=BB206_60 Depth=3
	scratch_load_b128 v[1:4], off, off
	s_mov_b32 s20, s5
	s_branch .LBB206_59
.LBB206_66:
	s_waitcnt vmcnt(0) lgkmcnt(0)
	s_waitcnt_vscnt null, 0x0
	; wave barrier
	s_waitcnt lgkmcnt(0)
	s_waitcnt_vscnt null, 0x0
	buffer_gl0_inv
	s_and_saveexec_b32 s0, s9
	s_cbranch_execz .LBB206_75
; %bb.67:
	v_lshlrev_b32_e32 v2, 4, v0
	v_mad_i64_i32 v[7:8], null, s2, v0, 0
	s_cmp_eq_u32 s18, 1
	ds_load_2addr_b64 v[3:6], v2 offset0:128 offset1:129
	v_lshlrev_b64 v[0:1], 4, v[7:8]
	s_delay_alu instid0(VALU_DEP_1) | instskip(NEXT) | instid1(VALU_DEP_2)
	v_add_co_u32 v0, vcc_lo, s3, v0
	v_add_co_ci_u32_e32 v1, vcc_lo, s8, v1, vcc_lo
	s_waitcnt lgkmcnt(0)
	global_store_b128 v[0:1], v[3:6], off
	s_cbranch_scc1 .LBB206_75
; %bb.68:
	v_or_b32_e32 v2, 0x400, v2
	s_cmp_eq_u32 s18, 2
	ds_load_2addr_b64 v[3:6], v2 offset0:16 offset1:17
	s_waitcnt lgkmcnt(0)
	global_store_b128 v[0:1], v[3:6], off offset:16
	s_cbranch_scc1 .LBB206_75
; %bb.69:
	ds_load_2addr_b64 v[3:6], v2 offset0:32 offset1:33
	s_cmp_eq_u32 s18, 3
	s_waitcnt lgkmcnt(0)
	global_store_b128 v[0:1], v[3:6], off offset:32
	s_cbranch_scc1 .LBB206_75
; %bb.70:
	ds_load_2addr_b64 v[3:6], v2 offset0:48 offset1:49
	s_cmp_eq_u32 s18, 4
	;; [unrolled: 6-line block ×5, first 2 shown]
	s_waitcnt lgkmcnt(0)
	global_store_b128 v[0:1], v[3:6], off offset:96
	s_cbranch_scc1 .LBB206_75
; %bb.74:
	ds_load_2addr_b64 v[2:5], v2 offset0:112 offset1:113
	s_waitcnt lgkmcnt(0)
	global_store_b128 v[0:1], v[2:5], off offset:112
.LBB206_75:
	s_nop 0
	s_sendmsg sendmsg(MSG_DEALLOC_VGPRS)
	s_endpgm
	.section	.rodata,"a",@progbits
	.p2align	6, 0x0
	.amdhsa_kernel _ZL38rocblas_trsm_small_left_device_sharedBILi8ELi8ELb1E19rocblas_complex_numIdES1_PKPKS1_PKPS1_Ev13rocblas_fill_18rocblas_operation_17rocblas_diagonal_iiT3_T4_lilT5_lili
		.amdhsa_group_segment_fixed_size 2048
		.amdhsa_private_segment_fixed_size 144
		.amdhsa_kernarg_size 368
		.amdhsa_user_sgpr_count 14
		.amdhsa_user_sgpr_dispatch_ptr 0
		.amdhsa_user_sgpr_queue_ptr 0
		.amdhsa_user_sgpr_kernarg_segment_ptr 1
		.amdhsa_user_sgpr_dispatch_id 0
		.amdhsa_user_sgpr_private_segment_size 0
		.amdhsa_wavefront_size32 1
		.amdhsa_uses_dynamic_stack 0
		.amdhsa_enable_private_segment 1
		.amdhsa_system_sgpr_workgroup_id_x 1
		.amdhsa_system_sgpr_workgroup_id_y 0
		.amdhsa_system_sgpr_workgroup_id_z 1
		.amdhsa_system_sgpr_workgroup_info 0
		.amdhsa_system_vgpr_workitem_id 0
		.amdhsa_next_free_vgpr 24
		.amdhsa_next_free_sgpr 32
		.amdhsa_reserve_vcc 1
		.amdhsa_float_round_mode_32 0
		.amdhsa_float_round_mode_16_64 0
		.amdhsa_float_denorm_mode_32 3
		.amdhsa_float_denorm_mode_16_64 3
		.amdhsa_dx10_clamp 1
		.amdhsa_ieee_mode 1
		.amdhsa_fp16_overflow 0
		.amdhsa_workgroup_processor_mode 1
		.amdhsa_memory_ordered 1
		.amdhsa_forward_progress 0
		.amdhsa_shared_vgpr_count 0
		.amdhsa_exception_fp_ieee_invalid_op 0
		.amdhsa_exception_fp_denorm_src 0
		.amdhsa_exception_fp_ieee_div_zero 0
		.amdhsa_exception_fp_ieee_overflow 0
		.amdhsa_exception_fp_ieee_underflow 0
		.amdhsa_exception_fp_ieee_inexact 0
		.amdhsa_exception_int_div_zero 0
	.end_amdhsa_kernel
	.section	.text._ZL38rocblas_trsm_small_left_device_sharedBILi8ELi8ELb1E19rocblas_complex_numIdES1_PKPKS1_PKPS1_Ev13rocblas_fill_18rocblas_operation_17rocblas_diagonal_iiT3_T4_lilT5_lili,"axG",@progbits,_ZL38rocblas_trsm_small_left_device_sharedBILi8ELi8ELb1E19rocblas_complex_numIdES1_PKPKS1_PKPS1_Ev13rocblas_fill_18rocblas_operation_17rocblas_diagonal_iiT3_T4_lilT5_lili,comdat
.Lfunc_end206:
	.size	_ZL38rocblas_trsm_small_left_device_sharedBILi8ELi8ELb1E19rocblas_complex_numIdES1_PKPKS1_PKPS1_Ev13rocblas_fill_18rocblas_operation_17rocblas_diagonal_iiT3_T4_lilT5_lili, .Lfunc_end206-_ZL38rocblas_trsm_small_left_device_sharedBILi8ELi8ELb1E19rocblas_complex_numIdES1_PKPKS1_PKPS1_Ev13rocblas_fill_18rocblas_operation_17rocblas_diagonal_iiT3_T4_lilT5_lili
                                        ; -- End function
	.section	.AMDGPU.csdata,"",@progbits
; Kernel info:
; codeLenInByte = 3824
; NumSgprs: 34
; NumVgprs: 24
; ScratchSize: 144
; MemoryBound: 0
; FloatMode: 240
; IeeeMode: 1
; LDSByteSize: 2048 bytes/workgroup (compile time only)
; SGPRBlocks: 4
; VGPRBlocks: 2
; NumSGPRsForWavesPerEU: 34
; NumVGPRsForWavesPerEU: 24
; Occupancy: 16
; WaveLimiterHint : 1
; COMPUTE_PGM_RSRC2:SCRATCH_EN: 1
; COMPUTE_PGM_RSRC2:USER_SGPR: 14
; COMPUTE_PGM_RSRC2:TRAP_HANDLER: 0
; COMPUTE_PGM_RSRC2:TGID_X_EN: 1
; COMPUTE_PGM_RSRC2:TGID_Y_EN: 0
; COMPUTE_PGM_RSRC2:TGID_Z_EN: 1
; COMPUTE_PGM_RSRC2:TIDIG_COMP_CNT: 0
	.section	.text._ZL30rocblas_trsm_small_left_deviceILi8ELi8ELb1E19rocblas_complex_numIdES1_PKPKS1_PKPS1_Ev13rocblas_fill_18rocblas_operation_17rocblas_diagonal_iiT3_T4_lilT5_lili,"axG",@progbits,_ZL30rocblas_trsm_small_left_deviceILi8ELi8ELb1E19rocblas_complex_numIdES1_PKPKS1_PKPS1_Ev13rocblas_fill_18rocblas_operation_17rocblas_diagonal_iiT3_T4_lilT5_lili,comdat
	.globl	_ZL30rocblas_trsm_small_left_deviceILi8ELi8ELb1E19rocblas_complex_numIdES1_PKPKS1_PKPS1_Ev13rocblas_fill_18rocblas_operation_17rocblas_diagonal_iiT3_T4_lilT5_lili ; -- Begin function _ZL30rocblas_trsm_small_left_deviceILi8ELi8ELb1E19rocblas_complex_numIdES1_PKPKS1_PKPS1_Ev13rocblas_fill_18rocblas_operation_17rocblas_diagonal_iiT3_T4_lilT5_lili
	.p2align	8
	.type	_ZL30rocblas_trsm_small_left_deviceILi8ELi8ELb1E19rocblas_complex_numIdES1_PKPKS1_PKPS1_Ev13rocblas_fill_18rocblas_operation_17rocblas_diagonal_iiT3_T4_lilT5_lili,@function
_ZL30rocblas_trsm_small_left_deviceILi8ELi8ELb1E19rocblas_complex_numIdES1_PKPKS1_PKPS1_Ev13rocblas_fill_18rocblas_operation_17rocblas_diagonal_iiT3_T4_lilT5_lili: ; @_ZL30rocblas_trsm_small_left_deviceILi8ELi8ELb1E19rocblas_complex_numIdES1_PKPKS1_PKPS1_Ev13rocblas_fill_18rocblas_operation_17rocblas_diagonal_iiT3_T4_lilT5_lili
; %bb.0:
	s_clause 0x1
	s_load_b128 s[4:7], s[2:3], 0x48
	s_load_b128 s[8:11], s[2:3], 0x4
	s_mov_b32 s24, s15
	s_mov_b32 s25, 0
	v_and_b32_e32 v9, 0x3ff, v0
	s_lshl_b64 s[28:29], s[24:25], 3
	s_load_b32 s24, s[2:3], 0x70
	s_waitcnt lgkmcnt(0)
	s_add_u32 s4, s4, s28
	s_addc_u32 s5, s5, s29
	s_load_b256 s[16:23], s[2:3], 0x18
	s_load_b64 s[12:13], s[4:5], 0x0
	s_min_i32 s15, s10, 8
	s_mov_b32 s5, exec_lo
	s_add_i32 s10, s15, -1
	v_cmpx_gt_i32_e64 s15, v9
	s_cbranch_execz .LBB207_15
; %bb.1:
	s_load_b32 s26, s[2:3], 0x38
	v_lshlrev_b32_e32 v3, 4, v9
	s_waitcnt lgkmcnt(0)
	s_ashr_i32 s27, s26, 31
	s_cmpk_eq_i32 s8, 0x71
	s_cselect_b32 vcc_lo, -1, 0
	s_add_u32 s20, s20, s28
	s_addc_u32 s21, s21, s29
	s_cmp_lt_u32 s10, 3
	s_load_b64 s[20:21], s[20:21], 0x0
	s_cbranch_scc1 .LBB207_4
; %bb.2:
	v_dual_mov_b32 v4, v3 :: v_dual_lshlrev_b32 v1, 4, v9
	s_lshl_b64 s[28:29], s[22:23], 4
	s_and_b32 s25, s15, -4
	s_waitcnt lgkmcnt(0)
	s_add_u32 s4, s20, s28
	s_addc_u32 s28, s21, s29
	v_add_co_u32 v1, s4, s4, v1
	s_delay_alu instid0(VALU_DEP_1) | instskip(SKIP_1) | instid1(VALU_DEP_2)
	v_add_co_ci_u32_e64 v2, null, s28, 0, s4
	s_lshl_b64 s[28:29], s[26:27], 6
	v_add_co_u32 v1, s4, v1, 8
	s_delay_alu instid0(VALU_DEP_1)
	v_add_co_ci_u32_e64 v2, s4, 0, v2, s4
	s_lshl_b64 s[30:31], s[26:27], 4
	s_mov_b32 s33, 0
.LBB207_3:                              ; =>This Inner Loop Header: Depth=1
	s_delay_alu instid0(VALU_DEP_2) | instskip(NEXT) | instid1(VALU_DEP_1)
	v_add_co_u32 v10, s4, v1, s30
	v_add_co_ci_u32_e64 v11, s4, s31, v2, s4
	s_add_i32 s33, s33, 4
	s_delay_alu instid0(VALU_DEP_2) | instskip(NEXT) | instid1(VALU_DEP_1)
	v_add_co_u32 v14, s4, v10, s30
	v_add_co_ci_u32_e64 v15, s4, s31, v11, s4
	s_cmp_eq_u32 s25, s33
	s_delay_alu instid0(VALU_DEP_2) | instskip(NEXT) | instid1(VALU_DEP_1)
	v_add_co_u32 v18, s4, v14, s30
	v_add_co_ci_u32_e64 v19, s4, s31, v15, s4
	s_clause 0x3
	global_load_b128 v[5:8], v[1:2], off offset:-8
	global_load_b128 v[10:13], v[10:11], off offset:-8
	;; [unrolled: 1-line block ×4, first 2 shown]
	v_add_co_u32 v1, s4, v1, s28
	s_delay_alu instid0(VALU_DEP_1)
	v_add_co_ci_u32_e64 v2, s4, s29, v2, s4
	s_waitcnt vmcnt(3)
	v_xor_b32_e32 v22, 0x80000000, v8
	s_waitcnt vmcnt(2)
	v_xor_b32_e32 v23, 0x80000000, v13
	;; [unrolled: 2-line block ×4, first 2 shown]
	v_dual_cndmask_b32 v8, v8, v22 :: v_dual_cndmask_b32 v13, v13, v23
	s_delay_alu instid0(VALU_DEP_3) | instskip(NEXT) | instid1(VALU_DEP_3)
	v_cndmask_b32_e32 v17, v17, v24, vcc_lo
	v_cndmask_b32_e32 v21, v21, v25, vcc_lo
	ds_store_b128 v4, v[5:8]
	ds_store_b128 v4, v[10:13] offset:128
	ds_store_b128 v4, v[14:17] offset:256
	;; [unrolled: 1-line block ×3, first 2 shown]
	v_add_nc_u32_e32 v4, 0x200, v4
	s_cbranch_scc0 .LBB207_3
.LBB207_4:
	s_and_b32 s28, s15, 3
	s_delay_alu instid0(SALU_CYCLE_1)
	s_cmp_eq_u32 s28, 0
	s_cbranch_scc1 .LBB207_7
; %bb.5:
	s_mul_i32 s4, s27, s25
	s_mul_hi_u32 s29, s26, s25
	s_mul_i32 s30, s26, s25
	s_add_i32 s31, s29, s4
	s_lshl_b64 s[22:23], s[22:23], 4
	s_lshl_b64 s[30:31], s[30:31], 4
	s_delay_alu instid0(SALU_CYCLE_1)
	s_add_u32 s4, s30, s22
	s_addc_u32 s22, s31, s23
	s_waitcnt lgkmcnt(0)
	s_add_u32 s4, s20, s4
	s_addc_u32 s20, s21, s22
	v_add_co_u32 v1, s4, s4, v3
	s_delay_alu instid0(VALU_DEP_1) | instskip(SKIP_1) | instid1(VALU_DEP_3)
	v_add_co_ci_u32_e64 v2, null, s20, 0, s4
	v_lshl_or_b32 v3, s25, 7, v3
	v_add_co_u32 v1, s4, v1, 8
	s_delay_alu instid0(VALU_DEP_1)
	v_add_co_ci_u32_e64 v2, s4, 0, v2, s4
	s_lshl_b64 s[20:21], s[26:27], 4
.LBB207_6:                              ; =>This Inner Loop Header: Depth=1
	global_load_b128 v[4:7], v[1:2], off offset:-8
	v_add_co_u32 v1, s4, v1, s20
	s_delay_alu instid0(VALU_DEP_1) | instskip(SKIP_1) | instid1(SALU_CYCLE_1)
	v_add_co_ci_u32_e64 v2, s4, s21, v2, s4
	s_add_i32 s28, s28, -1
	s_cmp_lg_u32 s28, 0
	s_waitcnt vmcnt(0)
	v_xor_b32_e32 v8, 0x80000000, v7
	s_delay_alu instid0(VALU_DEP_1)
	v_cndmask_b32_e32 v7, v7, v8, vcc_lo
	ds_store_b128 v3, v[4:7]
	v_add_nc_u32_e32 v3, 0x80, v3
	s_cbranch_scc1 .LBB207_6
.LBB207_7:
	v_mul_u32_u24_e32 v1, 9, v9
	s_cmpk_lg_i32 s9, 0x84
	s_delay_alu instid0(VALU_DEP_1)
	v_lshlrev_b32_e32 v10, 4, v1
	s_cbranch_scc0 .LBB207_13
; %bb.8:
	ds_load_b128 v[1:4], v10
	s_waitcnt lgkmcnt(0)
	v_cmp_gt_f64_e32 vcc_lo, 0, v[1:2]
	v_xor_b32_e32 v6, 0x80000000, v2
	v_mov_b32_e32 v5, v1
	v_xor_b32_e32 v7, 0x80000000, v4
	s_delay_alu instid0(VALU_DEP_3) | instskip(SKIP_1) | instid1(VALU_DEP_3)
	v_cndmask_b32_e32 v6, v2, v6, vcc_lo
	v_cmp_gt_f64_e32 vcc_lo, 0, v[3:4]
	v_dual_cndmask_b32 v8, v4, v7 :: v_dual_mov_b32 v7, v3
	s_delay_alu instid0(VALU_DEP_1) | instskip(SKIP_1) | instid1(SALU_CYCLE_1)
	v_cmp_ngt_f64_e32 vcc_lo, v[5:6], v[7:8]
                                        ; implicit-def: $vgpr7_vgpr8
	s_and_saveexec_b32 s4, vcc_lo
	s_xor_b32 s4, exec_lo, s4
	s_cbranch_execz .LBB207_10
; %bb.9:
	v_div_scale_f64 v[5:6], null, v[3:4], v[3:4], v[1:2]
	v_div_scale_f64 v[13:14], vcc_lo, v[1:2], v[3:4], v[1:2]
	s_delay_alu instid0(VALU_DEP_2) | instskip(SKIP_2) | instid1(VALU_DEP_1)
	v_rcp_f64_e32 v[7:8], v[5:6]
	s_waitcnt_depctr 0xfff
	v_fma_f64 v[11:12], -v[5:6], v[7:8], 1.0
	v_fma_f64 v[7:8], v[7:8], v[11:12], v[7:8]
	s_delay_alu instid0(VALU_DEP_1) | instskip(NEXT) | instid1(VALU_DEP_1)
	v_fma_f64 v[11:12], -v[5:6], v[7:8], 1.0
	v_fma_f64 v[7:8], v[7:8], v[11:12], v[7:8]
	s_delay_alu instid0(VALU_DEP_1) | instskip(NEXT) | instid1(VALU_DEP_1)
	v_mul_f64 v[11:12], v[13:14], v[7:8]
	v_fma_f64 v[5:6], -v[5:6], v[11:12], v[13:14]
	s_delay_alu instid0(VALU_DEP_1) | instskip(NEXT) | instid1(VALU_DEP_1)
	v_div_fmas_f64 v[5:6], v[5:6], v[7:8], v[11:12]
	v_div_fixup_f64 v[5:6], v[5:6], v[3:4], v[1:2]
	s_delay_alu instid0(VALU_DEP_1) | instskip(NEXT) | instid1(VALU_DEP_1)
	v_fma_f64 v[1:2], v[1:2], v[5:6], v[3:4]
	v_div_scale_f64 v[3:4], null, v[1:2], v[1:2], 1.0
	v_div_scale_f64 v[13:14], vcc_lo, 1.0, v[1:2], 1.0
	s_delay_alu instid0(VALU_DEP_2) | instskip(SKIP_2) | instid1(VALU_DEP_1)
	v_rcp_f64_e32 v[7:8], v[3:4]
	s_waitcnt_depctr 0xfff
	v_fma_f64 v[11:12], -v[3:4], v[7:8], 1.0
	v_fma_f64 v[7:8], v[7:8], v[11:12], v[7:8]
	s_delay_alu instid0(VALU_DEP_1) | instskip(NEXT) | instid1(VALU_DEP_1)
	v_fma_f64 v[11:12], -v[3:4], v[7:8], 1.0
	v_fma_f64 v[7:8], v[7:8], v[11:12], v[7:8]
	s_delay_alu instid0(VALU_DEP_1) | instskip(NEXT) | instid1(VALU_DEP_1)
	v_mul_f64 v[11:12], v[13:14], v[7:8]
	v_fma_f64 v[3:4], -v[3:4], v[11:12], v[13:14]
	s_delay_alu instid0(VALU_DEP_1) | instskip(SKIP_1) | instid1(VALU_DEP_2)
	v_div_fmas_f64 v[3:4], v[3:4], v[7:8], v[11:12]
	v_add_f64 v[7:8], v[5:6], 0
	v_div_fixup_f64 v[1:2], v[3:4], v[1:2], 1.0
	v_fma_f64 v[3:4], v[5:6], 0, -1.0
	s_delay_alu instid0(VALU_DEP_2) | instskip(NEXT) | instid1(VALU_DEP_2)
	v_mul_f64 v[5:6], v[7:8], v[1:2]
	v_mul_f64 v[7:8], v[3:4], v[1:2]
                                        ; implicit-def: $vgpr1_vgpr2
.LBB207_10:
	s_and_not1_saveexec_b32 s4, s4
	s_cbranch_execz .LBB207_12
; %bb.11:
	v_div_scale_f64 v[5:6], null, v[1:2], v[1:2], v[3:4]
	v_div_scale_f64 v[13:14], vcc_lo, v[3:4], v[1:2], v[3:4]
	s_delay_alu instid0(VALU_DEP_2) | instskip(SKIP_2) | instid1(VALU_DEP_1)
	v_rcp_f64_e32 v[7:8], v[5:6]
	s_waitcnt_depctr 0xfff
	v_fma_f64 v[11:12], -v[5:6], v[7:8], 1.0
	v_fma_f64 v[7:8], v[7:8], v[11:12], v[7:8]
	s_delay_alu instid0(VALU_DEP_1) | instskip(NEXT) | instid1(VALU_DEP_1)
	v_fma_f64 v[11:12], -v[5:6], v[7:8], 1.0
	v_fma_f64 v[7:8], v[7:8], v[11:12], v[7:8]
	s_delay_alu instid0(VALU_DEP_1) | instskip(NEXT) | instid1(VALU_DEP_1)
	v_mul_f64 v[11:12], v[13:14], v[7:8]
	v_fma_f64 v[5:6], -v[5:6], v[11:12], v[13:14]
	s_delay_alu instid0(VALU_DEP_1) | instskip(NEXT) | instid1(VALU_DEP_1)
	v_div_fmas_f64 v[5:6], v[5:6], v[7:8], v[11:12]
	v_div_fixup_f64 v[5:6], v[5:6], v[1:2], v[3:4]
	s_delay_alu instid0(VALU_DEP_1) | instskip(NEXT) | instid1(VALU_DEP_1)
	v_fma_f64 v[1:2], v[3:4], v[5:6], v[1:2]
	v_div_scale_f64 v[3:4], null, v[1:2], v[1:2], 1.0
	v_div_scale_f64 v[13:14], vcc_lo, 1.0, v[1:2], 1.0
	s_delay_alu instid0(VALU_DEP_2) | instskip(SKIP_2) | instid1(VALU_DEP_1)
	v_rcp_f64_e32 v[7:8], v[3:4]
	s_waitcnt_depctr 0xfff
	v_fma_f64 v[11:12], -v[3:4], v[7:8], 1.0
	v_fma_f64 v[7:8], v[7:8], v[11:12], v[7:8]
	s_delay_alu instid0(VALU_DEP_1) | instskip(NEXT) | instid1(VALU_DEP_1)
	v_fma_f64 v[11:12], -v[3:4], v[7:8], 1.0
	v_fma_f64 v[7:8], v[7:8], v[11:12], v[7:8]
	s_delay_alu instid0(VALU_DEP_1) | instskip(NEXT) | instid1(VALU_DEP_1)
	v_mul_f64 v[11:12], v[13:14], v[7:8]
	v_fma_f64 v[3:4], -v[3:4], v[11:12], v[13:14]
	s_delay_alu instid0(VALU_DEP_1) | instskip(SKIP_1) | instid1(VALU_DEP_2)
	v_div_fmas_f64 v[3:4], v[3:4], v[7:8], v[11:12]
	v_fma_f64 v[7:8], v[5:6], 0, 1.0
	v_div_fixup_f64 v[1:2], v[3:4], v[1:2], 1.0
	v_add_f64 v[3:4], -v[5:6], 0
	s_delay_alu instid0(VALU_DEP_2) | instskip(NEXT) | instid1(VALU_DEP_2)
	v_mul_f64 v[5:6], v[7:8], v[1:2]
	v_mul_f64 v[7:8], v[3:4], v[1:2]
.LBB207_12:
	s_or_b32 exec_lo, exec_lo, s4
	s_branch .LBB207_14
.LBB207_13:
	v_mov_b32_e32 v5, 0
	v_dual_mov_b32 v6, 0x3ff00000 :: v_dual_mov_b32 v7, 0
	v_mov_b32_e32 v8, 0
.LBB207_14:
	ds_store_b128 v10, v[5:8]
.LBB207_15:
	s_or_b32 exec_lo, exec_lo, s5
	s_lshl_b32 s5, s14, 3
	s_add_i32 s24, s24, -1
	s_sub_i32 s4, s11, s5
	s_cmp_ge_u32 s14, s24
	s_waitcnt lgkmcnt(0)
	s_cselect_b32 s4, s4, 8
	; wave barrier
	buffer_gl0_inv
	v_cmp_gt_i32_e32 vcc_lo, s4, v9
	s_mov_b32 s4, -1
	s_and_saveexec_b32 s9, vcc_lo
	s_cbranch_execz .LBB207_58
; %bb.16:
	s_load_b64 s[0:1], s[0:1], 0x4
	s_load_b32 s2, s[2:3], 0x58
	v_add_nc_u32_e32 v2, s5, v9
	v_bfe_u32 v3, v0, 10, 10
	v_bfe_u32 v4, v0, 20, 10
	s_waitcnt lgkmcnt(0)
	s_lshr_b32 s0, s0, 16
	v_mad_i64_i32 v[0:1], null, s2, v2, 0
	s_mul_i32 s0, s0, s1
	v_mul_u32_u24_e32 v2, s1, v3
	v_mul_u32_u24_e32 v3, s0, v9
	s_lshl_b64 s[0:1], s[6:7], 4
	s_delay_alu instid0(SALU_CYCLE_1) | instskip(SKIP_1) | instid1(VALU_DEP_1)
	s_add_u32 s2, s12, s0
	s_addc_u32 s3, s13, s1
	v_add3_u32 v2, v3, v2, v4
	v_lshlrev_b64 v[4:5], 4, v[0:1]
	s_cmpk_eq_i32 s8, 0x6f
	s_delay_alu instid0(VALU_DEP_2) | instskip(NEXT) | instid1(VALU_DEP_2)
	v_lshl_add_u32 v6, v2, 7, 0x400
	v_add_co_u32 v7, vcc_lo, s2, v4
	s_delay_alu instid0(VALU_DEP_3)
	v_add_co_ci_u32_e32 v8, vcc_lo, s3, v5, vcc_lo
	s_cbranch_scc1 .LBB207_37
; %bb.17:
	s_add_u32 s2, s12, s0
	s_addc_u32 s3, s13, s1
	v_add_co_u32 v0, vcc_lo, s2, v4
	v_add_co_ci_u32_e32 v1, vcc_lo, s3, v5, vcc_lo
	s_lshl_b32 s11, s15, 4
	s_delay_alu instid0(VALU_DEP_2) | instskip(NEXT) | instid1(VALU_DEP_2)
	v_add_co_u32 v9, vcc_lo, v0, 8
	v_add_co_ci_u32_e32 v10, vcc_lo, 0, v1, vcc_lo
	s_mov_b32 s3, 0
	s_add_i32 s11, s11, -16
	s_mov_b32 s2, s3
	s_mov_b32 s4, s10
	s_branch .LBB207_19
.LBB207_18:                             ;   in Loop: Header=BB207_19 Depth=1
	s_cmp_lt_i32 s4, 0
	s_cselect_b32 s5, -1, 0
	s_add_i32 s2, s2, 1
	s_delay_alu instid0(SALU_CYCLE_1) | instskip(SKIP_1) | instid1(SALU_CYCLE_1)
	s_cmp_eq_u32 s2, 3
	s_cselect_b32 s6, -1, 0
	s_or_b32 s5, s5, s6
	s_delay_alu instid0(SALU_CYCLE_1)
	s_and_not1_b32 vcc_lo, exec_lo, s5
	s_cbranch_vccz .LBB207_36
.LBB207_19:                             ; =>This Loop Header: Depth=1
                                        ;     Child Loop BB207_22 Depth 2
                                        ;       Child Loop BB207_23 Depth 3
                                        ;       Child Loop BB207_25 Depth 3
                                        ;         Child Loop BB207_26 Depth 4
                                        ;       Child Loop BB207_30 Depth 3
                                        ;         Child Loop BB207_32 Depth 4
	s_getpc_b64 s[6:7]
	s_add_u32 s6, s6, __const._ZL30rocblas_trsm_small_left_deviceILi8ELi8ELb1E19rocblas_complex_numIdES1_PKPKS1_PKPS1_Ev13rocblas_fill_18rocblas_operation_17rocblas_diagonal_iiT3_T4_lilT5_lili.step_sizes@rel32@lo+4
	s_addc_u32 s7, s7, __const._ZL30rocblas_trsm_small_left_deviceILi8ELi8ELb1E19rocblas_complex_numIdES1_PKPKS1_PKPS1_Ev13rocblas_fill_18rocblas_operation_17rocblas_diagonal_iiT3_T4_lilT5_lili.step_sizes@rel32@hi+12
	s_lshl_b64 s[8:9], s[2:3], 2
	s_delay_alu instid0(SALU_CYCLE_1) | instskip(SKIP_4) | instid1(SALU_CYCLE_1)
	s_add_u32 s6, s8, s6
	s_addc_u32 s7, s9, s7
	s_load_b32 s14, s[6:7], 0x0
	s_waitcnt lgkmcnt(0)
	s_add_i32 s20, s14, -1
	s_cmp_lt_i32 s4, s20
	s_cbranch_scc1 .LBB207_18
; %bb.20:                               ;   in Loop: Header=BB207_19 Depth=1
	s_lshl_b32 s5, s4, 7
	s_lshl_b32 s6, s14, 7
	s_max_i32 s21, s14, 1
	s_add_i32 s22, s11, s5
	s_sub_i32 s23, 0, s6
	s_mul_i32 s24, s4, 0x90
	s_mul_i32 s25, s14, 0xffffff70
	s_branch .LBB207_22
.LBB207_21:                             ;   in Loop: Header=BB207_22 Depth=2
	s_sub_i32 s4, s4, s14
	s_add_i32 s22, s22, s23
	s_add_i32 s24, s24, s25
	s_cmp_lt_i32 s4, s20
	s_cbranch_scc1 .LBB207_18
.LBB207_22:                             ;   Parent Loop BB207_19 Depth=1
                                        ; =>  This Loop Header: Depth=2
                                        ;       Child Loop BB207_23 Depth 3
                                        ;       Child Loop BB207_25 Depth 3
                                        ;         Child Loop BB207_26 Depth 4
                                        ;       Child Loop BB207_30 Depth 3
                                        ;         Child Loop BB207_32 Depth 4
	s_ashr_i32 s5, s4, 31
	v_mov_b32_e32 v2, v6
	s_lshl_b64 s[6:7], s[4:5], 4
	s_delay_alu instid0(SALU_CYCLE_1)
	v_add_co_u32 v0, vcc_lo, v9, s6
	v_add_co_ci_u32_e32 v1, vcc_lo, s7, v10, vcc_lo
	s_mov_b32 s6, s21
	.p2align	6
.LBB207_23:                             ;   Parent Loop BB207_19 Depth=1
                                        ;     Parent Loop BB207_22 Depth=2
                                        ; =>    This Inner Loop Header: Depth=3
	global_load_b128 v[11:14], v[0:1], off offset:-8
	v_add_co_u32 v0, vcc_lo, v0, -16
	v_add_co_ci_u32_e32 v1, vcc_lo, -1, v1, vcc_lo
	s_add_i32 s6, s6, -1
	s_delay_alu instid0(SALU_CYCLE_1) | instskip(SKIP_3) | instid1(VALU_DEP_2)
	s_cmp_eq_u32 s6, 0
	s_waitcnt vmcnt(0)
	v_mul_f64 v[15:16], s[18:19], v[13:14]
	v_mul_f64 v[17:18], s[16:17], v[13:14]
	v_fma_f64 v[13:14], s[16:17], v[11:12], -v[15:16]
	s_delay_alu instid0(VALU_DEP_2)
	v_fma_f64 v[15:16], s[18:19], v[11:12], v[17:18]
	ds_store_b128 v2, v[13:16]
	v_add_nc_u32_e32 v2, 16, v2
	s_cbranch_scc0 .LBB207_23
; %bb.24:                               ;   in Loop: Header=BB207_22 Depth=2
	s_cmp_le_i32 s10, s4
	s_mov_b32 s8, s22
	s_mov_b32 s6, s10
	s_cbranch_scc1 .LBB207_28
	.p2align	6
.LBB207_25:                             ;   Parent Loop BB207_19 Depth=1
                                        ;     Parent Loop BB207_22 Depth=2
                                        ; =>    This Loop Header: Depth=3
                                        ;         Child Loop BB207_26 Depth 4
	s_ashr_i32 s7, s6, 31
	v_mov_b32_e32 v11, v6
	s_lshl_b64 s[26:27], s[6:7], 4
	s_mov_b32 s7, s8
	v_add_co_u32 v0, vcc_lo, v7, s26
	v_add_co_ci_u32_e32 v1, vcc_lo, s27, v8, vcc_lo
	s_mov_b32 s9, s21
	global_load_b128 v[0:3], v[0:1], off
	.p2align	6
.LBB207_26:                             ;   Parent Loop BB207_19 Depth=1
                                        ;     Parent Loop BB207_22 Depth=2
                                        ;       Parent Loop BB207_25 Depth=3
                                        ; =>      This Inner Loop Header: Depth=4
	v_mov_b32_e32 v12, s7
	s_add_i32 s9, s9, -1
	s_addk_i32 s7, 0xff80
	s_cmp_eq_u32 s9, 0
	ds_load_b128 v[12:15], v12
	s_waitcnt vmcnt(0) lgkmcnt(0)
	v_mul_f64 v[16:17], v[2:3], v[14:15]
	v_mul_f64 v[14:15], v[0:1], v[14:15]
	s_delay_alu instid0(VALU_DEP_2) | instskip(NEXT) | instid1(VALU_DEP_2)
	v_fma_f64 v[16:17], v[0:1], v[12:13], -v[16:17]
	v_fma_f64 v[18:19], v[2:3], v[12:13], v[14:15]
	ds_load_b128 v[12:15], v11
	s_waitcnt lgkmcnt(0)
	v_add_f64 v[12:13], v[12:13], -v[16:17]
	v_add_f64 v[14:15], v[14:15], -v[18:19]
	ds_store_b128 v11, v[12:15]
	v_add_nc_u32_e32 v11, 16, v11
	s_cbranch_scc0 .LBB207_26
; %bb.27:                               ;   in Loop: Header=BB207_25 Depth=3
	s_add_i32 s6, s6, -1
	s_add_i32 s8, s8, -16
	s_cmp_le_i32 s6, s4
	s_cbranch_scc0 .LBB207_25
.LBB207_28:                             ;   in Loop: Header=BB207_22 Depth=2
	s_mov_b32 s26, 0
	s_mov_b32 s27, s24
	s_branch .LBB207_30
.LBB207_29:                             ;   in Loop: Header=BB207_30 Depth=3
	s_mulk_i32 s8, 0x90
	s_lshl_b64 s[6:7], s[6:7], 4
	v_mov_b32_e32 v12, s8
	s_add_i32 s26, s26, 1
	s_addk_i32 s27, 0xff80
	s_cmp_eq_u32 s26, s21
	ds_load_b128 v[12:15], v12
	s_waitcnt lgkmcnt(0)
	v_mul_f64 v[16:17], v[14:15], v[2:3]
	v_mul_f64 v[2:3], v[12:13], v[2:3]
	s_delay_alu instid0(VALU_DEP_2) | instskip(NEXT) | instid1(VALU_DEP_2)
	v_fma_f64 v[12:13], v[12:13], v[0:1], -v[16:17]
	v_fma_f64 v[14:15], v[14:15], v[0:1], v[2:3]
	v_add_co_u32 v0, vcc_lo, v7, s6
	v_add_co_ci_u32_e32 v1, vcc_lo, s7, v8, vcc_lo
	ds_store_b128 v11, v[12:15]
	global_store_b128 v[0:1], v[12:15], off
	s_cbranch_scc1 .LBB207_21
.LBB207_30:                             ;   Parent Loop BB207_19 Depth=1
                                        ;     Parent Loop BB207_22 Depth=2
                                        ; =>    This Loop Header: Depth=3
                                        ;         Child Loop BB207_32 Depth 4
	v_lshl_add_u32 v11, s26, 4, v6
	s_cmp_lg_u32 s26, 0
	s_cbranch_scc0 .LBB207_34
; %bb.31:                               ;   in Loop: Header=BB207_30 Depth=3
	ds_load_b128 v[0:3], v11
	v_mov_b32_e32 v12, v6
	s_mov_b32 s6, 0
	s_mov_b32 s7, s27
	.p2align	6
.LBB207_32:                             ;   Parent Loop BB207_19 Depth=1
                                        ;     Parent Loop BB207_22 Depth=2
                                        ;       Parent Loop BB207_30 Depth=3
                                        ; =>      This Inner Loop Header: Depth=4
	s_delay_alu instid0(SALU_CYCLE_1)
	v_mov_b32_e32 v17, s7
	s_add_i32 s6, s6, 1
	s_add_i32 s7, s7, -16
	s_cmp_ge_u32 s6, s26
	ds_load_b128 v[13:16], v12
	ds_load_b128 v[17:20], v17
	v_add_nc_u32_e32 v12, 16, v12
	s_waitcnt lgkmcnt(0)
	v_mul_f64 v[21:22], v[19:20], v[15:16]
	v_mul_f64 v[15:16], v[17:18], v[15:16]
	s_delay_alu instid0(VALU_DEP_2) | instskip(NEXT) | instid1(VALU_DEP_2)
	v_fma_f64 v[17:18], v[17:18], v[13:14], -v[21:22]
	v_fma_f64 v[13:14], v[19:20], v[13:14], v[15:16]
	s_delay_alu instid0(VALU_DEP_2) | instskip(NEXT) | instid1(VALU_DEP_2)
	v_add_f64 v[0:1], v[0:1], -v[17:18]
	v_add_f64 v[2:3], v[2:3], -v[13:14]
	ds_store_b128 v11, v[0:3]
	s_cbranch_scc0 .LBB207_32
; %bb.33:                               ;   in Loop: Header=BB207_30 Depth=3
	s_sub_i32 s8, s4, s26
	s_delay_alu instid0(SALU_CYCLE_1) | instskip(NEXT) | instid1(SALU_CYCLE_1)
	s_ashr_i32 s9, s8, 31
	s_mov_b64 s[6:7], s[8:9]
	s_branch .LBB207_29
.LBB207_34:                             ;   in Loop: Header=BB207_30 Depth=3
                                        ; implicit-def: $vgpr0_vgpr1
                                        ; implicit-def: $sgpr8
                                        ; implicit-def: $sgpr6_sgpr7
	s_cbranch_execz .LBB207_29
; %bb.35:                               ;   in Loop: Header=BB207_30 Depth=3
	ds_load_b128 v[0:3], v6
	s_mov_b64 s[6:7], s[4:5]
	s_mov_b32 s8, s4
	s_branch .LBB207_29
.LBB207_36:
	s_mov_b32 s4, 0
.LBB207_37:
	s_delay_alu instid0(SALU_CYCLE_1)
	s_and_b32 vcc_lo, exec_lo, s4
	s_cbranch_vccz .LBB207_58
; %bb.38:
	s_add_u32 s0, s12, s0
	s_addc_u32 s1, s13, s1
	v_add_co_u32 v0, vcc_lo, s0, v4
	v_add_co_ci_u32_e32 v1, vcc_lo, s1, v5, vcc_lo
	s_mov_b32 s1, 0
	s_delay_alu instid0(VALU_DEP_2) | instskip(NEXT) | instid1(VALU_DEP_2)
	v_add_co_u32 v9, vcc_lo, v0, 8
	v_add_co_ci_u32_e32 v10, vcc_lo, 0, v1, vcc_lo
	s_mov_b32 s2, s1
	s_mov_b32 s4, s1
	s_branch .LBB207_40
.LBB207_39:                             ;   in Loop: Header=BB207_40 Depth=1
	s_cmp_ge_i32 s2, s15
	s_cselect_b32 s0, -1, 0
	s_add_i32 s4, s4, 1
	s_delay_alu instid0(SALU_CYCLE_1) | instskip(SKIP_1) | instid1(SALU_CYCLE_1)
	s_cmp_eq_u32 s4, 3
	s_cselect_b32 s3, -1, 0
	s_or_b32 s0, s0, s3
	s_delay_alu instid0(SALU_CYCLE_1)
	s_and_b32 vcc_lo, exec_lo, s0
	s_cbranch_vccnz .LBB207_58
.LBB207_40:                             ; =>This Loop Header: Depth=1
                                        ;     Child Loop BB207_43 Depth 2
                                        ;       Child Loop BB207_44 Depth 3
                                        ;       Child Loop BB207_47 Depth 3
                                        ;         Child Loop BB207_48 Depth 4
                                        ;       Child Loop BB207_52 Depth 3
                                        ;         Child Loop BB207_54 Depth 4
	s_mov_b32 s5, s1
	s_getpc_b64 s[6:7]
	s_add_u32 s6, s6, __const._ZL30rocblas_trsm_small_left_deviceILi8ELi8ELb1E19rocblas_complex_numIdES1_PKPKS1_PKPS1_Ev13rocblas_fill_18rocblas_operation_17rocblas_diagonal_iiT3_T4_lilT5_lili.step_sizes@rel32@lo+4
	s_addc_u32 s7, s7, __const._ZL30rocblas_trsm_small_left_deviceILi8ELi8ELb1E19rocblas_complex_numIdES1_PKPKS1_PKPS1_Ev13rocblas_fill_18rocblas_operation_17rocblas_diagonal_iiT3_T4_lilT5_lili.step_sizes@rel32@hi+12
	s_lshl_b64 s[8:9], s[4:5], 2
	s_delay_alu instid0(SALU_CYCLE_1) | instskip(SKIP_4) | instid1(SALU_CYCLE_1)
	s_add_u32 s6, s8, s6
	s_addc_u32 s7, s9, s7
	s_load_b32 s6, s[6:7], 0x0
	s_waitcnt lgkmcnt(0)
	s_add_i32 s5, s6, -1
	s_add_i32 s0, s5, s2
	s_delay_alu instid0(SALU_CYCLE_1)
	s_cmp_ge_i32 s0, s15
	s_cbranch_scc1 .LBB207_39
; %bb.41:                               ;   in Loop: Header=BB207_40 Depth=1
	s_ashr_i32 s3, s2, 31
	s_ashr_i32 s7, s6, 31
	s_lshl_b64 s[8:9], s[2:3], 4
	s_max_i32 s12, s6, 1
	v_add_co_u32 v4, vcc_lo, v9, s8
	v_add_co_ci_u32_e32 v5, vcc_lo, s9, v10, vcc_lo
	s_lshl_b64 s[8:9], s[6:7], 4
	s_lshl_b32 s3, s2, 4
	s_lshl_b32 s7, s6, 4
	s_mul_i32 s13, s2, 0x90
	s_mul_i32 s14, s6, 0x90
	s_branch .LBB207_43
.LBB207_42:                             ;   in Loop: Header=BB207_43 Depth=2
	v_add_co_u32 v4, vcc_lo, v4, s8
	s_add_i32 s2, s2, s6
	v_add_co_ci_u32_e32 v5, vcc_lo, s9, v5, vcc_lo
	s_add_i32 s0, s5, s2
	s_add_i32 s3, s3, s7
	;; [unrolled: 1-line block ×3, first 2 shown]
	s_cmp_ge_i32 s0, s15
	s_cbranch_scc1 .LBB207_39
.LBB207_43:                             ;   Parent Loop BB207_40 Depth=1
                                        ; =>  This Loop Header: Depth=2
                                        ;       Child Loop BB207_44 Depth 3
                                        ;       Child Loop BB207_47 Depth 3
                                        ;         Child Loop BB207_48 Depth 4
                                        ;       Child Loop BB207_52 Depth 3
                                        ;         Child Loop BB207_54 Depth 4
	v_mov_b32_e32 v0, v4
	v_dual_mov_b32 v2, v6 :: v_dual_mov_b32 v1, v5
	s_mov_b32 s0, s12
	.p2align	6
.LBB207_44:                             ;   Parent Loop BB207_40 Depth=1
                                        ;     Parent Loop BB207_43 Depth=2
                                        ; =>    This Inner Loop Header: Depth=3
	global_load_b128 v[11:14], v[0:1], off offset:-8
	v_add_co_u32 v0, vcc_lo, v0, 16
	v_add_co_ci_u32_e32 v1, vcc_lo, 0, v1, vcc_lo
	s_add_i32 s0, s0, -1
	s_delay_alu instid0(SALU_CYCLE_1) | instskip(SKIP_3) | instid1(VALU_DEP_2)
	s_cmp_eq_u32 s0, 0
	s_waitcnt vmcnt(0)
	v_mul_f64 v[15:16], s[18:19], v[13:14]
	v_mul_f64 v[17:18], s[16:17], v[13:14]
	v_fma_f64 v[13:14], s[16:17], v[11:12], -v[15:16]
	s_delay_alu instid0(VALU_DEP_2)
	v_fma_f64 v[15:16], s[18:19], v[11:12], v[17:18]
	ds_store_b128 v2, v[13:16]
	v_add_nc_u32_e32 v2, 16, v2
	s_cbranch_scc0 .LBB207_44
; %bb.45:                               ;   in Loop: Header=BB207_43 Depth=2
	s_cmp_lt_i32 s2, 1
	s_cbranch_scc1 .LBB207_50
; %bb.46:                               ;   in Loop: Header=BB207_43 Depth=2
	s_mov_b32 s0, 0
	s_mov_b32 s10, s3
	s_set_inst_prefetch_distance 0x1
	.p2align	6
.LBB207_47:                             ;   Parent Loop BB207_40 Depth=1
                                        ;     Parent Loop BB207_43 Depth=2
                                        ; =>    This Loop Header: Depth=3
                                        ;         Child Loop BB207_48 Depth 4
	s_lshl_b64 s[20:21], s[0:1], 4
	v_mov_b32_e32 v11, v6
	v_add_co_u32 v0, vcc_lo, v7, s20
	v_add_co_ci_u32_e32 v1, vcc_lo, s21, v8, vcc_lo
	s_mov_b32 s11, s10
	s_mov_b32 s20, s12
	global_load_b128 v[0:3], v[0:1], off
	.p2align	6
.LBB207_48:                             ;   Parent Loop BB207_40 Depth=1
                                        ;     Parent Loop BB207_43 Depth=2
                                        ;       Parent Loop BB207_47 Depth=3
                                        ; =>      This Inner Loop Header: Depth=4
	v_mov_b32_e32 v12, s11
	s_add_i32 s20, s20, -1
	s_add_i32 s11, s11, 16
	s_cmp_eq_u32 s20, 0
	ds_load_b128 v[12:15], v12
	s_waitcnt vmcnt(0) lgkmcnt(0)
	v_mul_f64 v[16:17], v[2:3], v[14:15]
	v_mul_f64 v[14:15], v[0:1], v[14:15]
	s_delay_alu instid0(VALU_DEP_2) | instskip(NEXT) | instid1(VALU_DEP_2)
	v_fma_f64 v[16:17], v[0:1], v[12:13], -v[16:17]
	v_fma_f64 v[18:19], v[2:3], v[12:13], v[14:15]
	ds_load_b128 v[12:15], v11
	s_waitcnt lgkmcnt(0)
	v_add_f64 v[12:13], v[12:13], -v[16:17]
	v_add_f64 v[14:15], v[14:15], -v[18:19]
	ds_store_b128 v11, v[12:15]
	v_add_nc_u32_e32 v11, 16, v11
	s_cbranch_scc0 .LBB207_48
; %bb.49:                               ;   in Loop: Header=BB207_47 Depth=3
	s_add_i32 s0, s0, 1
	s_addk_i32 s10, 0x80
	s_cmp_ge_i32 s0, s2
	s_cbranch_scc0 .LBB207_47
.LBB207_50:                             ;   in Loop: Header=BB207_43 Depth=2
	s_set_inst_prefetch_distance 0x2
	s_mov_b32 s0, 0
	s_mov_b32 s20, s13
	s_branch .LBB207_52
.LBB207_51:                             ;   in Loop: Header=BB207_52 Depth=3
	s_mul_i32 s11, s10, 0x90
	s_add_i32 s0, s0, 1
	v_mov_b32_e32 v12, s11
	s_ashr_i32 s11, s10, 31
	s_add_i32 s20, s20, 16
	s_lshl_b64 s[10:11], s[10:11], 4
	s_cmp_eq_u32 s0, s12
	ds_load_b128 v[12:15], v12
	s_waitcnt lgkmcnt(0)
	v_mul_f64 v[16:17], v[14:15], v[2:3]
	v_mul_f64 v[2:3], v[12:13], v[2:3]
	s_delay_alu instid0(VALU_DEP_2) | instskip(NEXT) | instid1(VALU_DEP_2)
	v_fma_f64 v[12:13], v[12:13], v[0:1], -v[16:17]
	v_fma_f64 v[14:15], v[14:15], v[0:1], v[2:3]
	v_add_co_u32 v0, vcc_lo, v7, s10
	v_add_co_ci_u32_e32 v1, vcc_lo, s11, v8, vcc_lo
	ds_store_b128 v11, v[12:15]
	global_store_b128 v[0:1], v[12:15], off
	s_cbranch_scc1 .LBB207_42
.LBB207_52:                             ;   Parent Loop BB207_40 Depth=1
                                        ;     Parent Loop BB207_43 Depth=2
                                        ; =>    This Loop Header: Depth=3
                                        ;         Child Loop BB207_54 Depth 4
	v_lshl_add_u32 v11, s0, 4, v6
	s_cmp_lg_u32 s0, 0
	s_cbranch_scc0 .LBB207_56
; %bb.53:                               ;   in Loop: Header=BB207_52 Depth=3
	ds_load_b128 v[0:3], v11
	v_mov_b32_e32 v12, v6
	s_add_i32 s10, s0, s2
	s_mov_b32 s11, 0
	s_mov_b32 s21, s20
	.p2align	6
.LBB207_54:                             ;   Parent Loop BB207_40 Depth=1
                                        ;     Parent Loop BB207_43 Depth=2
                                        ;       Parent Loop BB207_52 Depth=3
                                        ; =>      This Inner Loop Header: Depth=4
	s_delay_alu instid0(SALU_CYCLE_1)
	v_mov_b32_e32 v17, s21
	s_add_i32 s11, s11, 1
	s_addk_i32 s21, 0x80
	s_cmp_ge_u32 s11, s0
	ds_load_b128 v[13:16], v12
	ds_load_b128 v[17:20], v17
	v_add_nc_u32_e32 v12, 16, v12
	s_waitcnt lgkmcnt(0)
	v_mul_f64 v[21:22], v[19:20], v[15:16]
	v_mul_f64 v[15:16], v[17:18], v[15:16]
	s_delay_alu instid0(VALU_DEP_2) | instskip(NEXT) | instid1(VALU_DEP_2)
	v_fma_f64 v[17:18], v[17:18], v[13:14], -v[21:22]
	v_fma_f64 v[13:14], v[19:20], v[13:14], v[15:16]
	s_delay_alu instid0(VALU_DEP_2) | instskip(NEXT) | instid1(VALU_DEP_2)
	v_add_f64 v[0:1], v[0:1], -v[17:18]
	v_add_f64 v[2:3], v[2:3], -v[13:14]
	ds_store_b128 v11, v[0:3]
	s_cbranch_scc0 .LBB207_54
; %bb.55:                               ;   in Loop: Header=BB207_52 Depth=3
	s_branch .LBB207_51
.LBB207_56:                             ;   in Loop: Header=BB207_52 Depth=3
                                        ; implicit-def: $vgpr0_vgpr1
                                        ; implicit-def: $sgpr10
	s_cbranch_execz .LBB207_51
; %bb.57:                               ;   in Loop: Header=BB207_52 Depth=3
	ds_load_b128 v[0:3], v6
	s_mov_b32 s10, s2
	s_branch .LBB207_51
.LBB207_58:
	s_nop 0
	s_sendmsg sendmsg(MSG_DEALLOC_VGPRS)
	s_endpgm
	.section	.rodata,"a",@progbits
	.p2align	6, 0x0
	.amdhsa_kernel _ZL30rocblas_trsm_small_left_deviceILi8ELi8ELb1E19rocblas_complex_numIdES1_PKPKS1_PKPS1_Ev13rocblas_fill_18rocblas_operation_17rocblas_diagonal_iiT3_T4_lilT5_lili
		.amdhsa_group_segment_fixed_size 2048
		.amdhsa_private_segment_fixed_size 0
		.amdhsa_kernarg_size 368
		.amdhsa_user_sgpr_count 14
		.amdhsa_user_sgpr_dispatch_ptr 1
		.amdhsa_user_sgpr_queue_ptr 0
		.amdhsa_user_sgpr_kernarg_segment_ptr 1
		.amdhsa_user_sgpr_dispatch_id 0
		.amdhsa_user_sgpr_private_segment_size 0
		.amdhsa_wavefront_size32 1
		.amdhsa_uses_dynamic_stack 0
		.amdhsa_enable_private_segment 0
		.amdhsa_system_sgpr_workgroup_id_x 1
		.amdhsa_system_sgpr_workgroup_id_y 0
		.amdhsa_system_sgpr_workgroup_id_z 1
		.amdhsa_system_sgpr_workgroup_info 0
		.amdhsa_system_vgpr_workitem_id 2
		.amdhsa_next_free_vgpr 26
		.amdhsa_next_free_sgpr 34
		.amdhsa_reserve_vcc 1
		.amdhsa_float_round_mode_32 0
		.amdhsa_float_round_mode_16_64 0
		.amdhsa_float_denorm_mode_32 3
		.amdhsa_float_denorm_mode_16_64 3
		.amdhsa_dx10_clamp 1
		.amdhsa_ieee_mode 1
		.amdhsa_fp16_overflow 0
		.amdhsa_workgroup_processor_mode 1
		.amdhsa_memory_ordered 1
		.amdhsa_forward_progress 0
		.amdhsa_shared_vgpr_count 0
		.amdhsa_exception_fp_ieee_invalid_op 0
		.amdhsa_exception_fp_denorm_src 0
		.amdhsa_exception_fp_ieee_div_zero 0
		.amdhsa_exception_fp_ieee_overflow 0
		.amdhsa_exception_fp_ieee_underflow 0
		.amdhsa_exception_fp_ieee_inexact 0
		.amdhsa_exception_int_div_zero 0
	.end_amdhsa_kernel
	.section	.text._ZL30rocblas_trsm_small_left_deviceILi8ELi8ELb1E19rocblas_complex_numIdES1_PKPKS1_PKPS1_Ev13rocblas_fill_18rocblas_operation_17rocblas_diagonal_iiT3_T4_lilT5_lili,"axG",@progbits,_ZL30rocblas_trsm_small_left_deviceILi8ELi8ELb1E19rocblas_complex_numIdES1_PKPKS1_PKPS1_Ev13rocblas_fill_18rocblas_operation_17rocblas_diagonal_iiT3_T4_lilT5_lili,comdat
.Lfunc_end207:
	.size	_ZL30rocblas_trsm_small_left_deviceILi8ELi8ELb1E19rocblas_complex_numIdES1_PKPKS1_PKPS1_Ev13rocblas_fill_18rocblas_operation_17rocblas_diagonal_iiT3_T4_lilT5_lili, .Lfunc_end207-_ZL30rocblas_trsm_small_left_deviceILi8ELi8ELb1E19rocblas_complex_numIdES1_PKPKS1_PKPS1_Ev13rocblas_fill_18rocblas_operation_17rocblas_diagonal_iiT3_T4_lilT5_lili
                                        ; -- End function
	.section	.AMDGPU.csdata,"",@progbits
; Kernel info:
; codeLenInByte = 3204
; NumSgprs: 36
; NumVgprs: 26
; ScratchSize: 0
; MemoryBound: 0
; FloatMode: 240
; IeeeMode: 1
; LDSByteSize: 2048 bytes/workgroup (compile time only)
; SGPRBlocks: 4
; VGPRBlocks: 3
; NumSGPRsForWavesPerEU: 36
; NumVGPRsForWavesPerEU: 26
; Occupancy: 16
; WaveLimiterHint : 1
; COMPUTE_PGM_RSRC2:SCRATCH_EN: 0
; COMPUTE_PGM_RSRC2:USER_SGPR: 14
; COMPUTE_PGM_RSRC2:TRAP_HANDLER: 0
; COMPUTE_PGM_RSRC2:TGID_X_EN: 1
; COMPUTE_PGM_RSRC2:TGID_Y_EN: 0
; COMPUTE_PGM_RSRC2:TGID_Z_EN: 1
; COMPUTE_PGM_RSRC2:TIDIG_COMP_CNT: 2
	.section	.text._ZL31rocblas_trsm_small_right_deviceI19rocblas_complex_numIdES1_PKPKS1_PKPS1_Li8EEv13rocblas_fill_18rocblas_operation_17rocblas_diagonal_iiT0_T1_lilT2_lili,"axG",@progbits,_ZL31rocblas_trsm_small_right_deviceI19rocblas_complex_numIdES1_PKPKS1_PKPS1_Li8EEv13rocblas_fill_18rocblas_operation_17rocblas_diagonal_iiT0_T1_lilT2_lili,comdat
	.globl	_ZL31rocblas_trsm_small_right_deviceI19rocblas_complex_numIdES1_PKPKS1_PKPS1_Li8EEv13rocblas_fill_18rocblas_operation_17rocblas_diagonal_iiT0_T1_lilT2_lili ; -- Begin function _ZL31rocblas_trsm_small_right_deviceI19rocblas_complex_numIdES1_PKPKS1_PKPS1_Li8EEv13rocblas_fill_18rocblas_operation_17rocblas_diagonal_iiT0_T1_lilT2_lili
	.p2align	8
	.type	_ZL31rocblas_trsm_small_right_deviceI19rocblas_complex_numIdES1_PKPKS1_PKPS1_Li8EEv13rocblas_fill_18rocblas_operation_17rocblas_diagonal_iiT0_T1_lilT2_lili,@function
_ZL31rocblas_trsm_small_right_deviceI19rocblas_complex_numIdES1_PKPKS1_PKPS1_Li8EEv13rocblas_fill_18rocblas_operation_17rocblas_diagonal_iiT0_T1_lilT2_lili: ; @_ZL31rocblas_trsm_small_right_deviceI19rocblas_complex_numIdES1_PKPKS1_PKPS1_Li8EEv13rocblas_fill_18rocblas_operation_17rocblas_diagonal_iiT0_T1_lilT2_lili
; %bb.0:
	s_clause 0x1
	s_load_b128 s[20:23], s[0:1], 0x48
	s_load_b32 s28, s[0:1], 0x10
	s_mov_b32 s2, s15
	s_mov_b32 s3, 0
	s_load_b128 s[16:19], s[0:1], 0x0
	s_lshl_b64 s[24:25], s[2:3], 3
	s_mov_b32 s15, exec_lo
	s_waitcnt lgkmcnt(0)
	s_add_u32 s12, s20, s24
	s_addc_u32 s13, s21, s25
	s_load_b256 s[4:11], s[0:1], 0x18
	s_load_b64 s[12:13], s[12:13], 0x0
	s_min_i32 s29, s28, 8
	s_delay_alu instid0(SALU_CYCLE_1)
	s_add_i32 s30, s29, -1
	v_cmpx_gt_i32_e64 s29, v0
	s_cbranch_execz .LBB208_9
; %bb.1:
	s_load_b32 s20, s[0:1], 0x38
	s_waitcnt lgkmcnt(0)
	s_ashr_i32 s21, s20, 31
	s_cmpk_eq_i32 s17, 0x71
	s_cselect_b32 vcc_lo, -1, 0
	s_add_u32 s8, s8, s24
	s_addc_u32 s9, s9, s25
	s_cmp_lt_u32 s30, 3
	s_load_b64 s[8:9], s[8:9], 0x0
	s_cbranch_scc1 .LBB208_4
; %bb.2:
	v_lshlrev_b32_e32 v1, 4, v0
	s_lshl_b64 s[24:25], s[10:11], 4
	s_and_b32 s3, s29, -4
	s_waitcnt lgkmcnt(0)
	s_add_u32 s2, s8, s24
	s_addc_u32 s24, s9, s25
	v_add_co_u32 v1, s2, s2, v1
	s_delay_alu instid0(VALU_DEP_1) | instskip(SKIP_1) | instid1(VALU_DEP_3)
	v_add_co_ci_u32_e64 v2, null, s24, 0, s2
	v_lshlrev_b32_e32 v3, 4, v0
	v_add_co_u32 v1, s2, v1, 8
	s_delay_alu instid0(VALU_DEP_1)
	v_add_co_ci_u32_e64 v2, s2, 0, v2, s2
	s_lshl_b64 s[24:25], s[20:21], 6
	s_lshl_b64 s[26:27], s[20:21], 4
	s_mov_b32 s31, 0
.LBB208_3:                              ; =>This Inner Loop Header: Depth=1
	v_add_co_u32 v8, s2, v1, s26
	s_delay_alu instid0(VALU_DEP_1) | instskip(SKIP_1) | instid1(VALU_DEP_2)
	v_add_co_ci_u32_e64 v9, s2, s27, v2, s2
	s_add_i32 s31, s31, 4
	v_add_co_u32 v12, s2, v8, s26
	s_delay_alu instid0(VALU_DEP_1) | instskip(SKIP_1) | instid1(VALU_DEP_2)
	v_add_co_ci_u32_e64 v13, s2, s27, v9, s2
	s_cmp_eq_u32 s3, s31
	v_add_co_u32 v16, s2, v12, s26
	s_delay_alu instid0(VALU_DEP_1)
	v_add_co_ci_u32_e64 v17, s2, s27, v13, s2
	s_clause 0x3
	global_load_b128 v[4:7], v[1:2], off offset:-8
	global_load_b128 v[8:11], v[8:9], off offset:-8
	;; [unrolled: 1-line block ×4, first 2 shown]
	v_add_co_u32 v1, s2, v1, s24
	s_delay_alu instid0(VALU_DEP_1)
	v_add_co_ci_u32_e64 v2, s2, s25, v2, s2
	s_waitcnt vmcnt(3)
	v_xor_b32_e32 v20, 0x80000000, v7
	s_waitcnt vmcnt(2)
	v_xor_b32_e32 v21, 0x80000000, v11
	;; [unrolled: 2-line block ×4, first 2 shown]
	v_cndmask_b32_e32 v7, v7, v20, vcc_lo
	v_cndmask_b32_e32 v11, v11, v21, vcc_lo
	v_cndmask_b32_e32 v15, v15, v22, vcc_lo
	s_delay_alu instid0(VALU_DEP_4)
	v_cndmask_b32_e32 v19, v19, v23, vcc_lo
	ds_store_b128 v3, v[4:7]
	ds_store_b128 v3, v[8:11] offset:128
	ds_store_b128 v3, v[12:15] offset:256
	;; [unrolled: 1-line block ×3, first 2 shown]
	v_add_nc_u32_e32 v3, 0x200, v3
	s_cbranch_scc0 .LBB208_3
.LBB208_4:
	s_and_b32 s24, s29, 3
	s_delay_alu instid0(SALU_CYCLE_1)
	s_cmp_eq_u32 s24, 0
	s_cbranch_scc1 .LBB208_7
; %bb.5:
	s_mul_i32 s2, s21, s3
	s_mul_hi_u32 s25, s20, s3
	s_mul_i32 s26, s20, s3
	s_add_i32 s27, s25, s2
	s_lshl_b64 s[10:11], s[10:11], 4
	s_lshl_b64 s[26:27], s[26:27], 4
	v_lshlrev_b32_e32 v1, 4, v0
	s_add_u32 s2, s26, s10
	s_addc_u32 s10, s27, s11
	s_waitcnt lgkmcnt(0)
	s_add_u32 s2, s8, s2
	s_addc_u32 s8, s9, s10
	v_add_co_u32 v2, s2, s2, v1
	s_delay_alu instid0(VALU_DEP_1) | instskip(SKIP_1) | instid1(VALU_DEP_3)
	v_add_co_ci_u32_e64 v4, null, s8, 0, s2
	v_lshl_or_b32 v3, s3, 7, v1
	v_add_co_u32 v1, s2, v2, 8
	s_delay_alu instid0(VALU_DEP_1)
	v_add_co_ci_u32_e64 v2, s2, 0, v4, s2
	s_lshl_b64 s[8:9], s[20:21], 4
.LBB208_6:                              ; =>This Inner Loop Header: Depth=1
	global_load_b128 v[4:7], v[1:2], off offset:-8
	v_add_co_u32 v1, s2, v1, s8
	s_delay_alu instid0(VALU_DEP_1) | instskip(SKIP_1) | instid1(SALU_CYCLE_1)
	v_add_co_ci_u32_e64 v2, s2, s9, v2, s2
	s_add_i32 s24, s24, -1
	s_cmp_lg_u32 s24, 0
	s_waitcnt vmcnt(0)
	v_xor_b32_e32 v8, 0x80000000, v7
	s_delay_alu instid0(VALU_DEP_1)
	v_cndmask_b32_e32 v7, v7, v8, vcc_lo
	ds_store_b128 v3, v[4:7]
	v_add_nc_u32_e32 v3, 0x80, v3
	s_cbranch_scc1 .LBB208_6
.LBB208_7:
	s_cmpk_eq_i32 s18, 0x84
	s_cbranch_scc0 .LBB208_9
; %bb.8:
	v_mul_u32_u24_e32 v3, 9, v0
	v_dual_mov_b32 v1, 0 :: v_dual_mov_b32 v2, 0x3ff00000
	s_delay_alu instid0(VALU_DEP_1)
	v_dual_mov_b32 v4, v1 :: v_dual_lshlrev_b32 v5, 4, v3
	v_mov_b32_e32 v3, v1
	ds_store_b128 v5, v[1:4]
.LBB208_9:
	s_or_b32 exec_lo, exec_lo, s15
	s_waitcnt lgkmcnt(0)
	s_load_b32 s8, s[0:1], 0x70
	s_lshl_b64 s[2:3], s[22:23], 4
	s_load_b32 s0, s[0:1], 0x58
	s_add_u32 s1, s12, s2
	s_addc_u32 s10, s13, s3
	s_lshl_b32 s9, s14, 3
	s_mov_b32 s22, 0
	s_sub_i32 s9, s19, s9
	s_waitcnt lgkmcnt(0)
	s_add_i32 s8, s8, -1
	s_delay_alu instid0(SALU_CYCLE_1) | instskip(SKIP_4) | instid1(SALU_CYCLE_1)
	s_cmp_ge_u32 s14, s8
	s_cselect_b32 s11, s9, 8
	s_ashr_i32 s15, s14, 31
	v_cmp_gt_i32_e32 vcc_lo, s11, v0
	s_lshl_b64 s[8:9], s[14:15], 7
	s_add_u32 s18, s1, s8
	s_addc_u32 s19, s10, s9
	s_cmp_gt_i32 s28, 0
	s_cselect_b32 s1, -1, 0
	s_delay_alu instid0(SALU_CYCLE_1) | instskip(NEXT) | instid1(SALU_CYCLE_1)
	s_and_b32 s20, vcc_lo, s1
	s_and_saveexec_b32 s21, s20
	s_cbranch_execz .LBB208_16
; %bb.10:
	s_ashr_i32 s1, s0, 31
	s_cmp_lt_u32 s28, 4
	s_cbranch_scc1 .LBB208_13
; %bb.11:
	v_lshlrev_b32_e32 v1, 4, v0
	v_lshl_or_b32 v3, v0, 4, 0x400
	s_and_b32 s22, s28, 0x7ffffffc
	s_lshl_b64 s[14:15], s[0:1], 4
	s_mov_b32 s23, 0
	v_add_co_u32 v1, s10, s18, v1
	s_delay_alu instid0(VALU_DEP_1)
	v_add_co_ci_u32_e64 v2, null, s19, 0, s10
	s_lshl_b64 s[10:11], s[0:1], 6
.LBB208_12:                             ; =>This Inner Loop Header: Depth=1
	s_delay_alu instid0(VALU_DEP_2) | instskip(NEXT) | instid1(VALU_DEP_2)
	v_add_co_u32 v8, vcc_lo, v1, s14
	v_add_co_ci_u32_e32 v9, vcc_lo, s15, v2, vcc_lo
	global_load_b128 v[4:7], v[1:2], off
	v_add_co_u32 v12, vcc_lo, v8, s14
	v_add_co_ci_u32_e32 v13, vcc_lo, s15, v9, vcc_lo
	global_load_b128 v[8:11], v[8:9], off
	v_add_co_u32 v16, vcc_lo, v12, s14
	v_add_co_ci_u32_e32 v17, vcc_lo, s15, v13, vcc_lo
	v_add_co_u32 v1, vcc_lo, v1, s10
	s_clause 0x1
	global_load_b128 v[12:15], v[12:13], off
	global_load_b128 v[16:19], v[16:17], off
	v_add_co_ci_u32_e32 v2, vcc_lo, s11, v2, vcc_lo
	s_add_i32 s23, s23, 4
	s_delay_alu instid0(SALU_CYCLE_1)
	s_cmp_lg_u32 s22, s23
	s_waitcnt vmcnt(3)
	v_mul_f64 v[20:21], s[6:7], v[6:7]
	v_mul_f64 v[6:7], s[4:5], v[6:7]
	s_waitcnt vmcnt(2)
	v_mul_f64 v[22:23], s[6:7], v[10:11]
	v_mul_f64 v[10:11], s[4:5], v[10:11]
	;; [unrolled: 3-line block ×4, first 2 shown]
	v_fma_f64 v[18:19], s[4:5], v[4:5], -v[20:21]
	v_fma_f64 v[20:21], s[6:7], v[4:5], v[6:7]
	v_fma_f64 v[4:5], s[4:5], v[8:9], -v[22:23]
	v_fma_f64 v[6:7], s[6:7], v[8:9], v[10:11]
	;; [unrolled: 2-line block ×4, first 2 shown]
	ds_store_b128 v3, v[18:21]
	ds_store_b128 v3, v[4:7] offset:128
	ds_store_b128 v3, v[8:11] offset:256
	;; [unrolled: 1-line block ×3, first 2 shown]
	v_add_nc_u32_e32 v3, 0x200, v3
	s_cbranch_scc1 .LBB208_12
.LBB208_13:
	s_and_b32 s14, s28, 3
	s_delay_alu instid0(SALU_CYCLE_1)
	s_cmp_eq_u32 s14, 0
	s_cbranch_scc1 .LBB208_16
; %bb.14:
	s_mul_hi_i32 s11, s0, s22
	s_mul_i32 s10, s0, s22
	v_lshlrev_b32_e32 v1, 4, v0
	s_lshl_b64 s[10:11], s[10:11], 4
	s_delay_alu instid0(SALU_CYCLE_1)
	s_add_u32 s10, s10, s8
	s_addc_u32 s11, s11, s9
	s_add_u32 s10, s10, s2
	s_addc_u32 s11, s11, s3
	s_add_u32 s10, s12, s10
	v_lshl_or_b32 v2, s22, 7, v1
	s_addc_u32 s11, s13, s11
	v_add_co_u32 v1, s10, s10, v1
	s_delay_alu instid0(VALU_DEP_1) | instskip(NEXT) | instid1(VALU_DEP_3)
	v_add_co_ci_u32_e64 v4, null, s11, 0, s10
	v_add_nc_u32_e32 v3, 0x400, v2
	s_delay_alu instid0(VALU_DEP_3) | instskip(NEXT) | instid1(VALU_DEP_3)
	v_add_co_u32 v1, vcc_lo, v1, 8
	v_add_co_ci_u32_e32 v2, vcc_lo, 0, v4, vcc_lo
	s_lshl_b64 s[10:11], s[0:1], 4
	.p2align	6
.LBB208_15:                             ; =>This Inner Loop Header: Depth=1
	global_load_b128 v[4:7], v[1:2], off offset:-8
	v_add_co_u32 v1, vcc_lo, v1, s10
	v_add_co_ci_u32_e32 v2, vcc_lo, s11, v2, vcc_lo
	s_add_i32 s14, s14, -1
	s_delay_alu instid0(SALU_CYCLE_1) | instskip(SKIP_3) | instid1(VALU_DEP_2)
	s_cmp_lg_u32 s14, 0
	s_waitcnt vmcnt(0)
	v_mul_f64 v[8:9], s[6:7], v[6:7]
	v_mul_f64 v[10:11], s[4:5], v[6:7]
	v_fma_f64 v[6:7], s[4:5], v[4:5], -v[8:9]
	s_delay_alu instid0(VALU_DEP_2)
	v_fma_f64 v[8:9], s[6:7], v[4:5], v[10:11]
	ds_store_b128 v3, v[6:9]
	v_add_nc_u32_e32 v3, 0x80, v3
	s_cbranch_scc1 .LBB208_15
.LBB208_16:
	s_or_b32 exec_lo, exec_lo, s21
	s_cmpk_eq_i32 s17, 0x6f
	s_waitcnt lgkmcnt(0)
	s_cselect_b32 s1, -1, 0
	s_cmpk_eq_i32 s16, 0x79
	; wave barrier
	buffer_gl0_inv
	s_cselect_b32 s5, -1, 0
	s_cmpk_lg_i32 s16, 0x79
	s_cselect_b32 s4, -1, 0
	s_and_b32 s5, s5, s1
	s_delay_alu instid0(SALU_CYCLE_1)
	s_and_not1_b32 vcc_lo, exec_lo, s5
	s_mov_b32 s5, -1
	s_cbranch_vccz .LBB208_124
; %bb.17:
	s_cmpk_lg_i32 s16, 0x7a
	s_cselect_b32 s5, -1, 0
	s_xor_b32 s1, s1, -1
	s_delay_alu instid0(SALU_CYCLE_1)
	s_or_b32 s5, s5, s1
	s_cmp_gt_i32 s28, 3
	s_cselect_b32 s1, -1, 0
	s_and_b32 vcc_lo, exec_lo, s5
	s_mov_b32 s5, -1
	s_cbranch_vccz .LBB208_91
; %bb.18:
	s_and_not1_b32 vcc_lo, exec_lo, s4
	s_mov_b32 s4, -1
	s_cbranch_vccnz .LBB208_58
; %bb.19:
	s_and_not1_b32 vcc_lo, exec_lo, s1
	s_mov_b32 s6, 0
	s_cbranch_vccnz .LBB208_42
; %bb.20:
	v_lshl_or_b32 v25, v0, 4, 0x400
	s_mov_b32 s4, 0
	s_mov_b32 s5, 0
.LBB208_21:                             ; =>This Loop Header: Depth=1
                                        ;     Child Loop BB208_23 Depth 2
	s_delay_alu instid0(SALU_CYCLE_1)
	s_lshl_b32 s6, s5, 3
	s_lshl_b32 s10, s5, 7
	s_or_b32 s7, s6, 8
	v_or_b32_e32 v1, s6, v0
	s_or_b32 s6, s6, 16
	v_or_b32_e32 v2, s7, v0
	v_or_b32_e32 v3, s6, v0
	v_lshl_or_b32 v12, v0, 4, s10
	v_lshlrev_b32_e32 v9, 4, v1
	s_cmp_eq_u32 s5, 0
	v_lshlrev_b32_e32 v10, 4, v2
	v_lshlrev_b32_e32 v11, 4, v3
	ds_load_b128 v[17:20], v9 offset:1024
	ds_load_b128 v[13:16], v10 offset:1024
	;; [unrolled: 1-line block ×4, first 2 shown]
	s_cbranch_scc1 .LBB208_24
; %bb.22:                               ;   in Loop: Header=BB208_21 Depth=1
	v_mov_b32_e32 v21, v25
	s_mov_b32 s10, 0
	s_mov_b32 s11, s4
.LBB208_23:                             ;   Parent Loop BB208_21 Depth=1
                                        ; =>  This Inner Loop Header: Depth=2
	s_delay_alu instid0(SALU_CYCLE_1)
	v_mov_b32_e32 v22, s11
	s_add_i32 s10, s10, 1
	s_addk_i32 s11, 0x80
	s_cmp_ge_u32 s10, s5
	ds_load_b128 v[26:29], v21
	ds_load_b128 v[30:33], v22
	ds_load_b128 v[34:37], v22 offset:16
	ds_load_b128 v[38:41], v22 offset:32
	;; [unrolled: 1-line block ×3, first 2 shown]
	v_add_nc_u32_e32 v21, 0x80, v21
	s_waitcnt lgkmcnt(3)
	v_mul_f64 v[22:23], v[28:29], v[32:33]
	v_mul_f64 v[32:33], v[26:27], v[32:33]
	s_waitcnt lgkmcnt(2)
	v_mul_f64 v[46:47], v[28:29], v[36:37]
	v_mul_f64 v[36:37], v[26:27], v[36:37]
	;; [unrolled: 3-line block ×4, first 2 shown]
	v_fma_f64 v[22:23], v[26:27], v[30:31], -v[22:23]
	v_fma_f64 v[30:31], v[28:29], v[30:31], v[32:33]
	v_fma_f64 v[32:33], v[26:27], v[34:35], -v[46:47]
	v_fma_f64 v[34:35], v[28:29], v[34:35], v[36:37]
	;; [unrolled: 2-line block ×4, first 2 shown]
	v_add_f64 v[17:18], v[17:18], -v[22:23]
	v_add_f64 v[19:20], v[19:20], -v[30:31]
	;; [unrolled: 1-line block ×8, first 2 shown]
	s_cbranch_scc0 .LBB208_23
.LBB208_24:                             ;   in Loop: Header=BB208_21 Depth=1
	s_mul_i32 s10, s5, 0x90
	v_add_nc_u32_e32 v29, 0x400, v9
	v_dual_mov_b32 v9, s10 :: v_dual_add_nc_u32 v28, 0x400, v10
	v_add_nc_u32_e32 v27, 0x400, v11
	ds_load_b128 v[21:24], v9
	s_waitcnt lgkmcnt(0)
	v_dual_mov_b32 v9, v21 :: v_dual_add_nc_u32 v26, 0x580, v12
	v_cmp_gt_f64_e32 vcc_lo, 0, v[21:22]
	v_xor_b32_e32 v10, 0x80000000, v22
	v_xor_b32_e32 v11, 0x80000000, v24
	s_delay_alu instid0(VALU_DEP_2) | instskip(SKIP_1) | instid1(VALU_DEP_3)
	v_cndmask_b32_e32 v10, v22, v10, vcc_lo
	v_cmp_gt_f64_e32 vcc_lo, 0, v[23:24]
	v_dual_cndmask_b32 v12, v24, v11 :: v_dual_mov_b32 v11, v23
	s_delay_alu instid0(VALU_DEP_1)
	v_cmp_ngt_f64_e32 vcc_lo, v[9:10], v[11:12]
	s_cbranch_vccz .LBB208_26
; %bb.25:                               ;   in Loop: Header=BB208_21 Depth=1
	v_div_scale_f64 v[9:10], null, v[23:24], v[23:24], v[21:22]
	v_div_scale_f64 v[32:33], vcc_lo, v[21:22], v[23:24], v[21:22]
	s_delay_alu instid0(VALU_DEP_2) | instskip(SKIP_2) | instid1(VALU_DEP_1)
	v_rcp_f64_e32 v[11:12], v[9:10]
	s_waitcnt_depctr 0xfff
	v_fma_f64 v[30:31], -v[9:10], v[11:12], 1.0
	v_fma_f64 v[11:12], v[11:12], v[30:31], v[11:12]
	s_delay_alu instid0(VALU_DEP_1) | instskip(NEXT) | instid1(VALU_DEP_1)
	v_fma_f64 v[30:31], -v[9:10], v[11:12], 1.0
	v_fma_f64 v[11:12], v[11:12], v[30:31], v[11:12]
	s_delay_alu instid0(VALU_DEP_1) | instskip(NEXT) | instid1(VALU_DEP_1)
	v_mul_f64 v[30:31], v[32:33], v[11:12]
	v_fma_f64 v[9:10], -v[9:10], v[30:31], v[32:33]
	s_delay_alu instid0(VALU_DEP_1) | instskip(NEXT) | instid1(VALU_DEP_1)
	v_div_fmas_f64 v[9:10], v[9:10], v[11:12], v[30:31]
	v_div_fixup_f64 v[9:10], v[9:10], v[23:24], v[21:22]
	s_delay_alu instid0(VALU_DEP_1) | instskip(NEXT) | instid1(VALU_DEP_1)
	v_fma_f64 v[11:12], v[21:22], v[9:10], v[23:24]
	v_div_scale_f64 v[30:31], null, v[11:12], v[11:12], 1.0
	v_div_scale_f64 v[36:37], vcc_lo, 1.0, v[11:12], 1.0
	s_delay_alu instid0(VALU_DEP_2) | instskip(SKIP_2) | instid1(VALU_DEP_1)
	v_rcp_f64_e32 v[32:33], v[30:31]
	s_waitcnt_depctr 0xfff
	v_fma_f64 v[34:35], -v[30:31], v[32:33], 1.0
	v_fma_f64 v[32:33], v[32:33], v[34:35], v[32:33]
	s_delay_alu instid0(VALU_DEP_1) | instskip(NEXT) | instid1(VALU_DEP_1)
	v_fma_f64 v[34:35], -v[30:31], v[32:33], 1.0
	v_fma_f64 v[32:33], v[32:33], v[34:35], v[32:33]
	s_delay_alu instid0(VALU_DEP_1) | instskip(NEXT) | instid1(VALU_DEP_1)
	v_mul_f64 v[34:35], v[36:37], v[32:33]
	v_fma_f64 v[30:31], -v[30:31], v[34:35], v[36:37]
	s_delay_alu instid0(VALU_DEP_1) | instskip(SKIP_1) | instid1(VALU_DEP_2)
	v_div_fmas_f64 v[30:31], v[30:31], v[32:33], v[34:35]
	v_fma_f64 v[32:33], v[17:18], v[9:10], v[19:20]
	v_div_fixup_f64 v[11:12], v[30:31], v[11:12], 1.0
	v_fma_f64 v[30:31], v[19:20], v[9:10], -v[17:18]
	s_delay_alu instid0(VALU_DEP_2) | instskip(NEXT) | instid1(VALU_DEP_2)
	v_mul_f64 v[9:10], v[32:33], v[11:12]
	v_mul_f64 v[11:12], v[30:31], v[11:12]
	s_cbranch_execz .LBB208_27
	s_branch .LBB208_28
.LBB208_26:                             ;   in Loop: Header=BB208_21 Depth=1
                                        ; implicit-def: $vgpr11_vgpr12
.LBB208_27:                             ;   in Loop: Header=BB208_21 Depth=1
	v_div_scale_f64 v[9:10], null, v[21:22], v[21:22], v[23:24]
	v_div_scale_f64 v[32:33], vcc_lo, v[23:24], v[21:22], v[23:24]
	s_delay_alu instid0(VALU_DEP_2) | instskip(SKIP_2) | instid1(VALU_DEP_1)
	v_rcp_f64_e32 v[11:12], v[9:10]
	s_waitcnt_depctr 0xfff
	v_fma_f64 v[30:31], -v[9:10], v[11:12], 1.0
	v_fma_f64 v[11:12], v[11:12], v[30:31], v[11:12]
	s_delay_alu instid0(VALU_DEP_1) | instskip(NEXT) | instid1(VALU_DEP_1)
	v_fma_f64 v[30:31], -v[9:10], v[11:12], 1.0
	v_fma_f64 v[11:12], v[11:12], v[30:31], v[11:12]
	s_delay_alu instid0(VALU_DEP_1) | instskip(NEXT) | instid1(VALU_DEP_1)
	v_mul_f64 v[30:31], v[32:33], v[11:12]
	v_fma_f64 v[9:10], -v[9:10], v[30:31], v[32:33]
	s_delay_alu instid0(VALU_DEP_1) | instskip(NEXT) | instid1(VALU_DEP_1)
	v_div_fmas_f64 v[9:10], v[9:10], v[11:12], v[30:31]
	v_div_fixup_f64 v[9:10], v[9:10], v[21:22], v[23:24]
	s_delay_alu instid0(VALU_DEP_1) | instskip(NEXT) | instid1(VALU_DEP_1)
	v_fma_f64 v[11:12], v[23:24], v[9:10], v[21:22]
	v_div_scale_f64 v[21:22], null, v[11:12], v[11:12], 1.0
	v_div_scale_f64 v[32:33], vcc_lo, 1.0, v[11:12], 1.0
	s_delay_alu instid0(VALU_DEP_2) | instskip(SKIP_2) | instid1(VALU_DEP_1)
	v_rcp_f64_e32 v[23:24], v[21:22]
	s_waitcnt_depctr 0xfff
	v_fma_f64 v[30:31], -v[21:22], v[23:24], 1.0
	v_fma_f64 v[23:24], v[23:24], v[30:31], v[23:24]
	s_delay_alu instid0(VALU_DEP_1) | instskip(NEXT) | instid1(VALU_DEP_1)
	v_fma_f64 v[30:31], -v[21:22], v[23:24], 1.0
	v_fma_f64 v[23:24], v[23:24], v[30:31], v[23:24]
	s_delay_alu instid0(VALU_DEP_1) | instskip(NEXT) | instid1(VALU_DEP_1)
	v_mul_f64 v[30:31], v[32:33], v[23:24]
	v_fma_f64 v[21:22], -v[21:22], v[30:31], v[32:33]
	s_delay_alu instid0(VALU_DEP_1) | instskip(SKIP_2) | instid1(VALU_DEP_3)
	v_div_fmas_f64 v[21:22], v[21:22], v[23:24], v[30:31]
	v_fma_f64 v[23:24], v[19:20], v[9:10], v[17:18]
	v_fma_f64 v[17:18], -v[17:18], v[9:10], v[19:20]
	v_div_fixup_f64 v[11:12], v[21:22], v[11:12], 1.0
	s_delay_alu instid0(VALU_DEP_1) | instskip(NEXT) | instid1(VALU_DEP_3)
	v_mul_f64 v[9:10], v[23:24], v[11:12]
	v_mul_f64 v[11:12], v[17:18], v[11:12]
.LBB208_28:                             ;   in Loop: Header=BB208_21 Depth=1
	v_mov_b32_e32 v17, s10
	ds_load_b128 v[21:24], v17 offset:16
	ds_load_b128 v[17:20], v17 offset:144
	ds_store_b128 v29, v[9:12]
	s_waitcnt lgkmcnt(2)
	v_mul_f64 v[30:31], v[11:12], v[23:24]
	s_waitcnt lgkmcnt(1)
	v_mov_b32_e32 v32, v19
	v_mul_f64 v[23:24], v[9:10], v[23:24]
	v_cmp_gt_f64_e32 vcc_lo, 0, v[17:18]
	v_xor_b32_e32 v33, 0x80000000, v20
	v_fma_f64 v[30:31], v[9:10], v[21:22], -v[30:31]
	s_delay_alu instid0(VALU_DEP_4) | instskip(SKIP_1) | instid1(VALU_DEP_1)
	v_fma_f64 v[23:24], v[11:12], v[21:22], v[23:24]
	v_xor_b32_e32 v22, 0x80000000, v18
	v_dual_mov_b32 v21, v17 :: v_dual_cndmask_b32 v22, v18, v22
	v_cmp_gt_f64_e32 vcc_lo, 0, v[19:20]
	s_delay_alu instid0(VALU_DEP_4) | instskip(SKIP_1) | instid1(VALU_DEP_1)
	v_add_f64 v[23:24], v[15:16], -v[23:24]
	v_cndmask_b32_e32 v33, v20, v33, vcc_lo
	v_cmp_ngt_f64_e32 vcc_lo, v[21:22], v[32:33]
	v_add_f64 v[21:22], v[13:14], -v[30:31]
	s_cbranch_vccz .LBB208_30
; %bb.29:                               ;   in Loop: Header=BB208_21 Depth=1
	v_div_scale_f64 v[13:14], null, v[19:20], v[19:20], v[17:18]
	v_div_scale_f64 v[31:32], vcc_lo, v[17:18], v[19:20], v[17:18]
	s_delay_alu instid0(VALU_DEP_2) | instskip(SKIP_2) | instid1(VALU_DEP_1)
	v_rcp_f64_e32 v[15:16], v[13:14]
	s_waitcnt_depctr 0xfff
	v_fma_f64 v[29:30], -v[13:14], v[15:16], 1.0
	v_fma_f64 v[15:16], v[15:16], v[29:30], v[15:16]
	s_delay_alu instid0(VALU_DEP_1) | instskip(NEXT) | instid1(VALU_DEP_1)
	v_fma_f64 v[29:30], -v[13:14], v[15:16], 1.0
	v_fma_f64 v[15:16], v[15:16], v[29:30], v[15:16]
	s_delay_alu instid0(VALU_DEP_1) | instskip(NEXT) | instid1(VALU_DEP_1)
	v_mul_f64 v[29:30], v[31:32], v[15:16]
	v_fma_f64 v[13:14], -v[13:14], v[29:30], v[31:32]
	s_delay_alu instid0(VALU_DEP_1) | instskip(NEXT) | instid1(VALU_DEP_1)
	v_div_fmas_f64 v[13:14], v[13:14], v[15:16], v[29:30]
	v_div_fixup_f64 v[13:14], v[13:14], v[19:20], v[17:18]
	s_delay_alu instid0(VALU_DEP_1) | instskip(NEXT) | instid1(VALU_DEP_1)
	v_fma_f64 v[15:16], v[17:18], v[13:14], v[19:20]
	v_div_scale_f64 v[29:30], null, v[15:16], v[15:16], 1.0
	v_div_scale_f64 v[35:36], vcc_lo, 1.0, v[15:16], 1.0
	s_delay_alu instid0(VALU_DEP_2) | instskip(SKIP_2) | instid1(VALU_DEP_1)
	v_rcp_f64_e32 v[31:32], v[29:30]
	s_waitcnt_depctr 0xfff
	v_fma_f64 v[33:34], -v[29:30], v[31:32], 1.0
	v_fma_f64 v[31:32], v[31:32], v[33:34], v[31:32]
	s_delay_alu instid0(VALU_DEP_1) | instskip(NEXT) | instid1(VALU_DEP_1)
	v_fma_f64 v[33:34], -v[29:30], v[31:32], 1.0
	v_fma_f64 v[31:32], v[31:32], v[33:34], v[31:32]
	s_delay_alu instid0(VALU_DEP_1) | instskip(NEXT) | instid1(VALU_DEP_1)
	v_mul_f64 v[33:34], v[35:36], v[31:32]
	v_fma_f64 v[29:30], -v[29:30], v[33:34], v[35:36]
	s_delay_alu instid0(VALU_DEP_1) | instskip(SKIP_1) | instid1(VALU_DEP_2)
	v_div_fmas_f64 v[29:30], v[29:30], v[31:32], v[33:34]
	v_fma_f64 v[31:32], v[13:14], v[21:22], v[23:24]
	v_div_fixup_f64 v[15:16], v[29:30], v[15:16], 1.0
	v_fma_f64 v[29:30], v[13:14], v[23:24], -v[21:22]
	s_delay_alu instid0(VALU_DEP_2) | instskip(NEXT) | instid1(VALU_DEP_2)
	v_mul_f64 v[13:14], v[31:32], v[15:16]
	v_mul_f64 v[15:16], v[29:30], v[15:16]
	s_cbranch_execz .LBB208_31
	s_branch .LBB208_32
.LBB208_30:                             ;   in Loop: Header=BB208_21 Depth=1
                                        ; implicit-def: $vgpr15_vgpr16
.LBB208_31:                             ;   in Loop: Header=BB208_21 Depth=1
	v_div_scale_f64 v[13:14], null, v[17:18], v[17:18], v[19:20]
	v_div_scale_f64 v[31:32], vcc_lo, v[19:20], v[17:18], v[19:20]
	s_delay_alu instid0(VALU_DEP_2) | instskip(SKIP_2) | instid1(VALU_DEP_1)
	v_rcp_f64_e32 v[15:16], v[13:14]
	s_waitcnt_depctr 0xfff
	v_fma_f64 v[29:30], -v[13:14], v[15:16], 1.0
	v_fma_f64 v[15:16], v[15:16], v[29:30], v[15:16]
	s_delay_alu instid0(VALU_DEP_1) | instskip(NEXT) | instid1(VALU_DEP_1)
	v_fma_f64 v[29:30], -v[13:14], v[15:16], 1.0
	v_fma_f64 v[15:16], v[15:16], v[29:30], v[15:16]
	s_delay_alu instid0(VALU_DEP_1) | instskip(NEXT) | instid1(VALU_DEP_1)
	v_mul_f64 v[29:30], v[31:32], v[15:16]
	v_fma_f64 v[13:14], -v[13:14], v[29:30], v[31:32]
	s_delay_alu instid0(VALU_DEP_1) | instskip(NEXT) | instid1(VALU_DEP_1)
	v_div_fmas_f64 v[13:14], v[13:14], v[15:16], v[29:30]
	v_div_fixup_f64 v[13:14], v[13:14], v[17:18], v[19:20]
	s_delay_alu instid0(VALU_DEP_1) | instskip(NEXT) | instid1(VALU_DEP_1)
	v_fma_f64 v[15:16], v[19:20], v[13:14], v[17:18]
	v_div_scale_f64 v[17:18], null, v[15:16], v[15:16], 1.0
	v_div_scale_f64 v[31:32], vcc_lo, 1.0, v[15:16], 1.0
	s_delay_alu instid0(VALU_DEP_2) | instskip(SKIP_2) | instid1(VALU_DEP_1)
	v_rcp_f64_e32 v[19:20], v[17:18]
	s_waitcnt_depctr 0xfff
	v_fma_f64 v[29:30], -v[17:18], v[19:20], 1.0
	v_fma_f64 v[19:20], v[19:20], v[29:30], v[19:20]
	s_delay_alu instid0(VALU_DEP_1) | instskip(NEXT) | instid1(VALU_DEP_1)
	v_fma_f64 v[29:30], -v[17:18], v[19:20], 1.0
	v_fma_f64 v[19:20], v[19:20], v[29:30], v[19:20]
	s_delay_alu instid0(VALU_DEP_1) | instskip(NEXT) | instid1(VALU_DEP_1)
	v_mul_f64 v[29:30], v[31:32], v[19:20]
	v_fma_f64 v[17:18], -v[17:18], v[29:30], v[31:32]
	s_delay_alu instid0(VALU_DEP_1) | instskip(SKIP_1) | instid1(VALU_DEP_2)
	v_div_fmas_f64 v[17:18], v[17:18], v[19:20], v[29:30]
	v_fma_f64 v[19:20], v[13:14], v[23:24], v[21:22]
	v_div_fixup_f64 v[15:16], v[17:18], v[15:16], 1.0
	v_fma_f64 v[17:18], -v[13:14], v[21:22], v[23:24]
	s_delay_alu instid0(VALU_DEP_2) | instskip(NEXT) | instid1(VALU_DEP_2)
	v_mul_f64 v[13:14], v[19:20], v[15:16]
	v_mul_f64 v[15:16], v[17:18], v[15:16]
.LBB208_32:                             ;   in Loop: Header=BB208_21 Depth=1
	v_mov_b32_e32 v17, s10
	s_add_i32 s7, s7, s5
	ds_load_b128 v[21:24], v17 offset:32
	ds_load_b128 v[17:20], v17 offset:288
	s_lshl_b32 s7, s7, 4
	ds_store_b128 v28, v[13:16]
	s_waitcnt lgkmcnt(2)
	v_mul_f64 v[33:34], v[11:12], v[23:24]
	v_mul_f64 v[23:24], v[9:10], v[23:24]
	s_waitcnt lgkmcnt(1)
	v_cmp_gt_f64_e32 vcc_lo, 0, v[17:18]
	s_delay_alu instid0(VALU_DEP_3) | instskip(NEXT) | instid1(VALU_DEP_3)
	v_fma_f64 v[33:34], v[9:10], v[21:22], -v[33:34]
	v_fma_f64 v[21:22], v[11:12], v[21:22], v[23:24]
	s_delay_alu instid0(VALU_DEP_2) | instskip(NEXT) | instid1(VALU_DEP_2)
	v_add_f64 v[5:6], v[5:6], -v[33:34]
	v_add_f64 v[7:8], v[7:8], -v[21:22]
	v_xor_b32_e32 v22, 0x80000000, v18
	s_delay_alu instid0(VALU_DEP_1)
	v_dual_mov_b32 v21, v17 :: v_dual_cndmask_b32 v22, v18, v22
	v_cmp_gt_f64_e32 vcc_lo, 0, v[19:20]
	v_mov_b32_e32 v29, s7
	ds_load_b128 v[29:32], v29 offset:32
	s_waitcnt lgkmcnt(0)
	v_mul_f64 v[35:36], v[15:16], v[31:32]
	v_mul_f64 v[31:32], v[13:14], v[31:32]
	s_delay_alu instid0(VALU_DEP_2) | instskip(NEXT) | instid1(VALU_DEP_2)
	v_fma_f64 v[23:24], v[13:14], v[29:30], -v[35:36]
	v_fma_f64 v[29:30], v[15:16], v[29:30], v[31:32]
	v_xor_b32_e32 v32, 0x80000000, v20
	s_delay_alu instid0(VALU_DEP_1) | instskip(NEXT) | instid1(VALU_DEP_1)
	v_dual_mov_b32 v31, v19 :: v_dual_cndmask_b32 v32, v20, v32
	v_cmp_ngt_f64_e32 vcc_lo, v[21:22], v[31:32]
	v_add_f64 v[21:22], v[5:6], -v[23:24]
	v_add_f64 v[23:24], v[7:8], -v[29:30]
	s_cbranch_vccz .LBB208_34
; %bb.33:                               ;   in Loop: Header=BB208_21 Depth=1
	v_div_scale_f64 v[5:6], null, v[19:20], v[19:20], v[17:18]
	v_div_scale_f64 v[30:31], vcc_lo, v[17:18], v[19:20], v[17:18]
	s_delay_alu instid0(VALU_DEP_2) | instskip(SKIP_2) | instid1(VALU_DEP_1)
	v_rcp_f64_e32 v[7:8], v[5:6]
	s_waitcnt_depctr 0xfff
	v_fma_f64 v[28:29], -v[5:6], v[7:8], 1.0
	v_fma_f64 v[7:8], v[7:8], v[28:29], v[7:8]
	s_delay_alu instid0(VALU_DEP_1) | instskip(NEXT) | instid1(VALU_DEP_1)
	v_fma_f64 v[28:29], -v[5:6], v[7:8], 1.0
	v_fma_f64 v[7:8], v[7:8], v[28:29], v[7:8]
	s_delay_alu instid0(VALU_DEP_1) | instskip(NEXT) | instid1(VALU_DEP_1)
	v_mul_f64 v[28:29], v[30:31], v[7:8]
	v_fma_f64 v[5:6], -v[5:6], v[28:29], v[30:31]
	s_delay_alu instid0(VALU_DEP_1) | instskip(NEXT) | instid1(VALU_DEP_1)
	v_div_fmas_f64 v[5:6], v[5:6], v[7:8], v[28:29]
	v_div_fixup_f64 v[5:6], v[5:6], v[19:20], v[17:18]
	s_delay_alu instid0(VALU_DEP_1) | instskip(NEXT) | instid1(VALU_DEP_1)
	v_fma_f64 v[7:8], v[17:18], v[5:6], v[19:20]
	v_div_scale_f64 v[28:29], null, v[7:8], v[7:8], 1.0
	v_div_scale_f64 v[34:35], vcc_lo, 1.0, v[7:8], 1.0
	s_delay_alu instid0(VALU_DEP_2) | instskip(SKIP_2) | instid1(VALU_DEP_1)
	v_rcp_f64_e32 v[30:31], v[28:29]
	s_waitcnt_depctr 0xfff
	v_fma_f64 v[32:33], -v[28:29], v[30:31], 1.0
	v_fma_f64 v[30:31], v[30:31], v[32:33], v[30:31]
	s_delay_alu instid0(VALU_DEP_1) | instskip(NEXT) | instid1(VALU_DEP_1)
	v_fma_f64 v[32:33], -v[28:29], v[30:31], 1.0
	v_fma_f64 v[30:31], v[30:31], v[32:33], v[30:31]
	s_delay_alu instid0(VALU_DEP_1) | instskip(NEXT) | instid1(VALU_DEP_1)
	v_mul_f64 v[32:33], v[34:35], v[30:31]
	v_fma_f64 v[28:29], -v[28:29], v[32:33], v[34:35]
	s_delay_alu instid0(VALU_DEP_1) | instskip(SKIP_1) | instid1(VALU_DEP_2)
	v_div_fmas_f64 v[28:29], v[28:29], v[30:31], v[32:33]
	v_fma_f64 v[30:31], v[5:6], v[21:22], v[23:24]
	v_div_fixup_f64 v[7:8], v[28:29], v[7:8], 1.0
	v_fma_f64 v[28:29], v[5:6], v[23:24], -v[21:22]
	s_delay_alu instid0(VALU_DEP_2) | instskip(NEXT) | instid1(VALU_DEP_2)
	v_mul_f64 v[5:6], v[30:31], v[7:8]
	v_mul_f64 v[7:8], v[28:29], v[7:8]
	s_cbranch_execz .LBB208_35
	s_branch .LBB208_36
.LBB208_34:                             ;   in Loop: Header=BB208_21 Depth=1
                                        ; implicit-def: $vgpr7_vgpr8
.LBB208_35:                             ;   in Loop: Header=BB208_21 Depth=1
	v_div_scale_f64 v[5:6], null, v[17:18], v[17:18], v[19:20]
	v_div_scale_f64 v[30:31], vcc_lo, v[19:20], v[17:18], v[19:20]
	s_delay_alu instid0(VALU_DEP_2) | instskip(SKIP_2) | instid1(VALU_DEP_1)
	v_rcp_f64_e32 v[7:8], v[5:6]
	s_waitcnt_depctr 0xfff
	v_fma_f64 v[28:29], -v[5:6], v[7:8], 1.0
	v_fma_f64 v[7:8], v[7:8], v[28:29], v[7:8]
	s_delay_alu instid0(VALU_DEP_1) | instskip(NEXT) | instid1(VALU_DEP_1)
	v_fma_f64 v[28:29], -v[5:6], v[7:8], 1.0
	v_fma_f64 v[7:8], v[7:8], v[28:29], v[7:8]
	s_delay_alu instid0(VALU_DEP_1) | instskip(NEXT) | instid1(VALU_DEP_1)
	v_mul_f64 v[28:29], v[30:31], v[7:8]
	v_fma_f64 v[5:6], -v[5:6], v[28:29], v[30:31]
	s_delay_alu instid0(VALU_DEP_1) | instskip(NEXT) | instid1(VALU_DEP_1)
	v_div_fmas_f64 v[5:6], v[5:6], v[7:8], v[28:29]
	v_div_fixup_f64 v[5:6], v[5:6], v[17:18], v[19:20]
	s_delay_alu instid0(VALU_DEP_1) | instskip(NEXT) | instid1(VALU_DEP_1)
	v_fma_f64 v[7:8], v[19:20], v[5:6], v[17:18]
	v_div_scale_f64 v[17:18], null, v[7:8], v[7:8], 1.0
	v_div_scale_f64 v[30:31], vcc_lo, 1.0, v[7:8], 1.0
	s_delay_alu instid0(VALU_DEP_2) | instskip(SKIP_2) | instid1(VALU_DEP_1)
	v_rcp_f64_e32 v[19:20], v[17:18]
	s_waitcnt_depctr 0xfff
	v_fma_f64 v[28:29], -v[17:18], v[19:20], 1.0
	v_fma_f64 v[19:20], v[19:20], v[28:29], v[19:20]
	s_delay_alu instid0(VALU_DEP_1) | instskip(NEXT) | instid1(VALU_DEP_1)
	v_fma_f64 v[28:29], -v[17:18], v[19:20], 1.0
	v_fma_f64 v[19:20], v[19:20], v[28:29], v[19:20]
	s_delay_alu instid0(VALU_DEP_1) | instskip(NEXT) | instid1(VALU_DEP_1)
	v_mul_f64 v[28:29], v[30:31], v[19:20]
	v_fma_f64 v[17:18], -v[17:18], v[28:29], v[30:31]
	s_delay_alu instid0(VALU_DEP_1) | instskip(SKIP_1) | instid1(VALU_DEP_2)
	v_div_fmas_f64 v[17:18], v[17:18], v[19:20], v[28:29]
	v_fma_f64 v[19:20], v[5:6], v[23:24], v[21:22]
	v_div_fixup_f64 v[7:8], v[17:18], v[7:8], 1.0
	v_fma_f64 v[17:18], -v[5:6], v[21:22], v[23:24]
	s_delay_alu instid0(VALU_DEP_2) | instskip(NEXT) | instid1(VALU_DEP_2)
	v_mul_f64 v[5:6], v[19:20], v[7:8]
	v_mul_f64 v[7:8], v[17:18], v[7:8]
.LBB208_36:                             ;   in Loop: Header=BB208_21 Depth=1
	v_dual_mov_b32 v17, s10 :: v_dual_mov_b32 v28, s7
	s_add_i32 s6, s6, s5
	ds_load_b128 v[21:24], v17 offset:48
	ds_load_b128 v[17:20], v17 offset:432
	;; [unrolled: 1-line block ×3, first 2 shown]
	s_lshl_b32 s6, s6, 4
	ds_store_b128 v27, v[5:8]
	v_mov_b32_e32 v32, s6
	ds_load_b128 v[32:35], v32 offset:48
	s_waitcnt lgkmcnt(4)
	v_mul_f64 v[36:37], v[11:12], v[23:24]
	v_mul_f64 v[23:24], v[9:10], v[23:24]
	s_waitcnt lgkmcnt(2)
	v_mul_f64 v[38:39], v[15:16], v[30:31]
	v_mul_f64 v[30:31], v[13:14], v[30:31]
	v_cmp_gt_f64_e32 vcc_lo, 0, v[17:18]
	v_fma_f64 v[9:10], v[9:10], v[21:22], -v[36:37]
	v_fma_f64 v[11:12], v[11:12], v[21:22], v[23:24]
	v_fma_f64 v[13:14], v[13:14], v[28:29], -v[38:39]
	v_fma_f64 v[15:16], v[15:16], v[28:29], v[30:31]
	s_waitcnt lgkmcnt(0)
	v_mul_f64 v[21:22], v[7:8], v[34:35]
	v_mul_f64 v[23:24], v[5:6], v[34:35]
	v_add_f64 v[1:2], v[1:2], -v[9:10]
	v_add_f64 v[3:4], v[3:4], -v[11:12]
	s_delay_alu instid0(VALU_DEP_4) | instskip(NEXT) | instid1(VALU_DEP_4)
	v_fma_f64 v[9:10], v[5:6], v[32:33], -v[21:22]
	v_fma_f64 v[11:12], v[7:8], v[32:33], v[23:24]
	s_delay_alu instid0(VALU_DEP_4)
	v_add_f64 v[1:2], v[1:2], -v[13:14]
	v_mov_b32_e32 v13, v17
	v_xor_b32_e32 v14, 0x80000000, v18
	v_add_f64 v[3:4], v[3:4], -v[15:16]
	v_mov_b32_e32 v15, v19
	v_xor_b32_e32 v16, 0x80000000, v20
	s_delay_alu instid0(VALU_DEP_4) | instskip(SKIP_4) | instid1(VALU_DEP_1)
	v_cndmask_b32_e32 v14, v18, v14, vcc_lo
	v_cmp_gt_f64_e32 vcc_lo, 0, v[19:20]
	v_add_f64 v[9:10], v[1:2], -v[9:10]
	v_add_f64 v[11:12], v[3:4], -v[11:12]
	v_cndmask_b32_e32 v16, v20, v16, vcc_lo
	v_cmp_ngt_f64_e32 vcc_lo, v[13:14], v[15:16]
	s_cbranch_vccz .LBB208_38
; %bb.37:                               ;   in Loop: Header=BB208_21 Depth=1
	v_div_scale_f64 v[1:2], null, v[19:20], v[19:20], v[17:18]
	v_div_scale_f64 v[7:8], vcc_lo, v[17:18], v[19:20], v[17:18]
	s_delay_alu instid0(VALU_DEP_2) | instskip(SKIP_2) | instid1(VALU_DEP_1)
	v_rcp_f64_e32 v[3:4], v[1:2]
	s_waitcnt_depctr 0xfff
	v_fma_f64 v[5:6], -v[1:2], v[3:4], 1.0
	v_fma_f64 v[3:4], v[3:4], v[5:6], v[3:4]
	s_delay_alu instid0(VALU_DEP_1) | instskip(NEXT) | instid1(VALU_DEP_1)
	v_fma_f64 v[5:6], -v[1:2], v[3:4], 1.0
	v_fma_f64 v[3:4], v[3:4], v[5:6], v[3:4]
	s_delay_alu instid0(VALU_DEP_1) | instskip(NEXT) | instid1(VALU_DEP_1)
	v_mul_f64 v[5:6], v[7:8], v[3:4]
	v_fma_f64 v[1:2], -v[1:2], v[5:6], v[7:8]
	s_delay_alu instid0(VALU_DEP_1) | instskip(NEXT) | instid1(VALU_DEP_1)
	v_div_fmas_f64 v[1:2], v[1:2], v[3:4], v[5:6]
	v_div_fixup_f64 v[1:2], v[1:2], v[19:20], v[17:18]
	s_delay_alu instid0(VALU_DEP_1) | instskip(NEXT) | instid1(VALU_DEP_1)
	v_fma_f64 v[3:4], v[17:18], v[1:2], v[19:20]
	v_div_scale_f64 v[5:6], null, v[3:4], v[3:4], 1.0
	v_div_scale_f64 v[15:16], vcc_lo, 1.0, v[3:4], 1.0
	s_delay_alu instid0(VALU_DEP_2) | instskip(SKIP_2) | instid1(VALU_DEP_1)
	v_rcp_f64_e32 v[7:8], v[5:6]
	s_waitcnt_depctr 0xfff
	v_fma_f64 v[13:14], -v[5:6], v[7:8], 1.0
	v_fma_f64 v[7:8], v[7:8], v[13:14], v[7:8]
	s_delay_alu instid0(VALU_DEP_1) | instskip(NEXT) | instid1(VALU_DEP_1)
	v_fma_f64 v[13:14], -v[5:6], v[7:8], 1.0
	v_fma_f64 v[7:8], v[7:8], v[13:14], v[7:8]
	s_delay_alu instid0(VALU_DEP_1) | instskip(NEXT) | instid1(VALU_DEP_1)
	v_mul_f64 v[13:14], v[15:16], v[7:8]
	v_fma_f64 v[5:6], -v[5:6], v[13:14], v[15:16]
	s_delay_alu instid0(VALU_DEP_1) | instskip(SKIP_1) | instid1(VALU_DEP_2)
	v_div_fmas_f64 v[5:6], v[5:6], v[7:8], v[13:14]
	v_fma_f64 v[7:8], v[1:2], v[9:10], v[11:12]
	v_div_fixup_f64 v[3:4], v[5:6], v[3:4], 1.0
	v_fma_f64 v[5:6], v[1:2], v[11:12], -v[9:10]
	s_delay_alu instid0(VALU_DEP_2) | instskip(NEXT) | instid1(VALU_DEP_2)
	v_mul_f64 v[1:2], v[7:8], v[3:4]
	v_mul_f64 v[3:4], v[5:6], v[3:4]
	s_cbranch_execz .LBB208_39
	s_branch .LBB208_40
.LBB208_38:                             ;   in Loop: Header=BB208_21 Depth=1
                                        ; implicit-def: $vgpr3_vgpr4
.LBB208_39:                             ;   in Loop: Header=BB208_21 Depth=1
	v_div_scale_f64 v[1:2], null, v[17:18], v[17:18], v[19:20]
	v_div_scale_f64 v[7:8], vcc_lo, v[19:20], v[17:18], v[19:20]
	s_delay_alu instid0(VALU_DEP_2) | instskip(SKIP_2) | instid1(VALU_DEP_1)
	v_rcp_f64_e32 v[3:4], v[1:2]
	s_waitcnt_depctr 0xfff
	v_fma_f64 v[5:6], -v[1:2], v[3:4], 1.0
	v_fma_f64 v[3:4], v[3:4], v[5:6], v[3:4]
	s_delay_alu instid0(VALU_DEP_1) | instskip(NEXT) | instid1(VALU_DEP_1)
	v_fma_f64 v[5:6], -v[1:2], v[3:4], 1.0
	v_fma_f64 v[3:4], v[3:4], v[5:6], v[3:4]
	s_delay_alu instid0(VALU_DEP_1) | instskip(NEXT) | instid1(VALU_DEP_1)
	v_mul_f64 v[5:6], v[7:8], v[3:4]
	v_fma_f64 v[1:2], -v[1:2], v[5:6], v[7:8]
	s_delay_alu instid0(VALU_DEP_1) | instskip(NEXT) | instid1(VALU_DEP_1)
	v_div_fmas_f64 v[1:2], v[1:2], v[3:4], v[5:6]
	v_div_fixup_f64 v[1:2], v[1:2], v[17:18], v[19:20]
	s_delay_alu instid0(VALU_DEP_1) | instskip(NEXT) | instid1(VALU_DEP_1)
	v_fma_f64 v[3:4], v[19:20], v[1:2], v[17:18]
	v_div_scale_f64 v[5:6], null, v[3:4], v[3:4], 1.0
	v_div_scale_f64 v[15:16], vcc_lo, 1.0, v[3:4], 1.0
	s_delay_alu instid0(VALU_DEP_2) | instskip(SKIP_2) | instid1(VALU_DEP_1)
	v_rcp_f64_e32 v[7:8], v[5:6]
	s_waitcnt_depctr 0xfff
	v_fma_f64 v[13:14], -v[5:6], v[7:8], 1.0
	v_fma_f64 v[7:8], v[7:8], v[13:14], v[7:8]
	s_delay_alu instid0(VALU_DEP_1) | instskip(NEXT) | instid1(VALU_DEP_1)
	v_fma_f64 v[13:14], -v[5:6], v[7:8], 1.0
	v_fma_f64 v[7:8], v[7:8], v[13:14], v[7:8]
	s_delay_alu instid0(VALU_DEP_1) | instskip(NEXT) | instid1(VALU_DEP_1)
	v_mul_f64 v[13:14], v[15:16], v[7:8]
	v_fma_f64 v[5:6], -v[5:6], v[13:14], v[15:16]
	s_delay_alu instid0(VALU_DEP_1) | instskip(SKIP_1) | instid1(VALU_DEP_2)
	v_div_fmas_f64 v[5:6], v[5:6], v[7:8], v[13:14]
	v_fma_f64 v[7:8], v[1:2], v[11:12], v[9:10]
	v_div_fixup_f64 v[3:4], v[5:6], v[3:4], 1.0
	v_fma_f64 v[5:6], -v[1:2], v[9:10], v[11:12]
	s_delay_alu instid0(VALU_DEP_2) | instskip(NEXT) | instid1(VALU_DEP_2)
	v_mul_f64 v[1:2], v[7:8], v[3:4]
	v_mul_f64 v[3:4], v[5:6], v[3:4]
.LBB208_40:                             ;   in Loop: Header=BB208_21 Depth=1
	s_add_i32 s6, s5, 4
	s_add_i32 s5, s5, 7
	;; [unrolled: 1-line block ×3, first 2 shown]
	s_cmp_ge_i32 s5, s29
	ds_store_b128 v26, v[1:4]
	s_cbranch_scc1 .LBB208_42
; %bb.41:                               ;   in Loop: Header=BB208_21 Depth=1
	s_mov_b32 s5, s6
	s_branch .LBB208_21
.LBB208_42:
	s_cmp_ge_i32 s6, s29
	s_cbranch_scc1 .LBB208_57
; %bb.43:
	v_lshl_or_b32 v13, v0, 4, 0x400
	v_lshlrev_b32_e32 v14, 4, v0
	s_add_i32 s4, s6, -1
	s_lshl_b32 s5, s6, 4
	s_mov_b32 s7, 0
	s_mov_b32 s10, s6
	s_branch .LBB208_45
.LBB208_44:                             ;   in Loop: Header=BB208_45 Depth=1
	v_add_nc_u16 v1, s10, 1
	s_add_i32 s6, s6, 1
	s_add_i32 s7, s7, 1
	;; [unrolled: 1-line block ×3, first 2 shown]
	s_cmp_ge_i32 s6, s29
	v_readfirstlane_b32 s10, v1
	ds_store_b128 v15, v[9:12]
	s_cbranch_scc1 .LBB208_57
.LBB208_45:                             ; =>This Loop Header: Depth=1
                                        ;     Child Loop BB208_48 Depth 2
                                        ;     Child Loop BB208_52 Depth 2
	v_lshl_or_b32 v5, s6, 7, v14
	s_cmp_eq_u32 s6, 0
	ds_load_b128 v[1:4], v5 offset:1024
	s_cbranch_scc1 .LBB208_53
; %bb.46:                               ;   in Loop: Header=BB208_45 Depth=1
	s_add_i32 s11, s4, s7
	s_delay_alu instid0(SALU_CYCLE_1)
	s_cmp_lt_u32 s11, 3
	s_cbranch_scc1 .LBB208_50
; %bb.47:                               ;   in Loop: Header=BB208_45 Depth=1
	v_mov_b32_e32 v6, v13
	s_and_b32 s11, s6, -4
	s_mov_b32 s14, 0
	s_mov_b32 s15, s5
.LBB208_48:                             ;   Parent Loop BB208_45 Depth=1
                                        ; =>  This Inner Loop Header: Depth=2
	s_delay_alu instid0(SALU_CYCLE_1)
	v_mov_b32_e32 v31, s15
	s_add_i32 s14, s14, 4
	s_addk_i32 s15, 0x200
	s_cmp_eq_u32 s11, s14
	ds_load_b128 v[7:10], v6
	ds_load_b128 v[15:18], v31
	ds_load_b128 v[19:22], v6 offset:128
	ds_load_b128 v[23:26], v31 offset:128
	s_waitcnt lgkmcnt(2)
	v_mul_f64 v[11:12], v[17:18], v[9:10]
	v_mul_f64 v[9:10], v[15:16], v[9:10]
	s_waitcnt lgkmcnt(0)
	v_mul_f64 v[35:36], v[25:26], v[21:22]
	v_mul_f64 v[21:22], v[23:24], v[21:22]
	s_delay_alu instid0(VALU_DEP_4) | instskip(NEXT) | instid1(VALU_DEP_4)
	v_fma_f64 v[11:12], v[15:16], v[7:8], -v[11:12]
	v_fma_f64 v[37:38], v[17:18], v[7:8], v[9:10]
	ds_load_b128 v[7:10], v6 offset:256
	ds_load_b128 v[15:18], v31 offset:256
	;; [unrolled: 1-line block ×4, first 2 shown]
	v_add_nc_u32_e32 v6, 0x200, v6
	v_fma_f64 v[23:24], v[23:24], v[19:20], -v[35:36]
	v_fma_f64 v[19:20], v[25:26], v[19:20], v[21:22]
	s_waitcnt lgkmcnt(2)
	v_mul_f64 v[39:40], v[17:18], v[9:10]
	v_mul_f64 v[9:10], v[15:16], v[9:10]
	s_waitcnt lgkmcnt(0)
	v_mul_f64 v[21:22], v[31:32], v[29:30]
	v_add_f64 v[1:2], v[1:2], -v[11:12]
	v_add_f64 v[3:4], v[3:4], -v[37:38]
	v_mul_f64 v[11:12], v[33:34], v[29:30]
	v_fma_f64 v[15:16], v[15:16], v[7:8], -v[39:40]
	v_fma_f64 v[7:8], v[17:18], v[7:8], v[9:10]
	v_add_f64 v[1:2], v[1:2], -v[23:24]
	v_add_f64 v[3:4], v[3:4], -v[19:20]
	v_fma_f64 v[9:10], v[31:32], v[27:28], -v[11:12]
	v_fma_f64 v[11:12], v[33:34], v[27:28], v[21:22]
	s_delay_alu instid0(VALU_DEP_4) | instskip(NEXT) | instid1(VALU_DEP_4)
	v_add_f64 v[1:2], v[1:2], -v[15:16]
	v_add_f64 v[3:4], v[3:4], -v[7:8]
	s_delay_alu instid0(VALU_DEP_2) | instskip(NEXT) | instid1(VALU_DEP_2)
	v_add_f64 v[1:2], v[1:2], -v[9:10]
	v_add_f64 v[3:4], v[3:4], -v[11:12]
	s_cbranch_scc0 .LBB208_48
; %bb.49:                               ;   in Loop: Header=BB208_45 Depth=1
	s_and_b32 s14, s6, 3
	s_delay_alu instid0(SALU_CYCLE_1)
	s_cmp_eq_u32 s14, 0
	s_cbranch_scc0 .LBB208_51
	s_branch .LBB208_53
.LBB208_50:                             ;   in Loop: Header=BB208_45 Depth=1
	s_mov_b32 s11, 0
	s_and_b32 s14, s6, 3
	s_delay_alu instid0(SALU_CYCLE_1)
	s_cmp_eq_u32 s14, 0
	s_cbranch_scc1 .LBB208_53
.LBB208_51:                             ;   in Loop: Header=BB208_45 Depth=1
	s_and_b32 s14, s10, 3
	s_lshl_b32 s11, s11, 7
	.p2align	6
.LBB208_52:                             ;   Parent Loop BB208_45 Depth=1
                                        ; =>  This Inner Loop Header: Depth=2
	s_delay_alu instid0(SALU_CYCLE_1)
	s_add_i32 s15, s5, s11
	v_add_nc_u32_e32 v6, s11, v13
	v_mov_b32_e32 v10, s15
	s_add_i32 s14, s14, -1
	s_addk_i32 s11, 0x80
	s_cmp_lg_u32 s14, 0
	ds_load_b128 v[6:9], v6
	ds_load_b128 v[15:18], v10
	s_waitcnt lgkmcnt(0)
	v_mul_f64 v[10:11], v[17:18], v[8:9]
	v_mul_f64 v[8:9], v[15:16], v[8:9]
	s_delay_alu instid0(VALU_DEP_2) | instskip(NEXT) | instid1(VALU_DEP_2)
	v_fma_f64 v[10:11], v[15:16], v[6:7], -v[10:11]
	v_fma_f64 v[6:7], v[17:18], v[6:7], v[8:9]
	s_delay_alu instid0(VALU_DEP_2) | instskip(NEXT) | instid1(VALU_DEP_2)
	v_add_f64 v[1:2], v[1:2], -v[10:11]
	v_add_f64 v[3:4], v[3:4], -v[6:7]
	s_cbranch_scc1 .LBB208_52
.LBB208_53:                             ;   in Loop: Header=BB208_45 Depth=1
	s_mul_i32 s11, s6, 0x90
	v_add_nc_u32_e32 v15, 0x400, v5
	v_mov_b32_e32 v5, s11
	ds_load_b128 v[5:8], v5
	s_waitcnt lgkmcnt(0)
	v_cmp_gt_f64_e32 vcc_lo, 0, v[5:6]
	v_xor_b32_e32 v10, 0x80000000, v6
	v_xor_b32_e32 v11, 0x80000000, v8
	s_delay_alu instid0(VALU_DEP_2) | instskip(SKIP_1) | instid1(VALU_DEP_3)
	v_dual_mov_b32 v9, v5 :: v_dual_cndmask_b32 v10, v6, v10
	v_cmp_gt_f64_e32 vcc_lo, 0, v[7:8]
	v_dual_cndmask_b32 v12, v8, v11 :: v_dual_mov_b32 v11, v7
	s_delay_alu instid0(VALU_DEP_1)
	v_cmp_ngt_f64_e32 vcc_lo, v[9:10], v[11:12]
	s_cbranch_vccz .LBB208_55
; %bb.54:                               ;   in Loop: Header=BB208_45 Depth=1
	v_div_scale_f64 v[9:10], null, v[7:8], v[7:8], v[5:6]
	v_div_scale_f64 v[18:19], vcc_lo, v[5:6], v[7:8], v[5:6]
	s_delay_alu instid0(VALU_DEP_2) | instskip(SKIP_2) | instid1(VALU_DEP_1)
	v_rcp_f64_e32 v[11:12], v[9:10]
	s_waitcnt_depctr 0xfff
	v_fma_f64 v[16:17], -v[9:10], v[11:12], 1.0
	v_fma_f64 v[11:12], v[11:12], v[16:17], v[11:12]
	s_delay_alu instid0(VALU_DEP_1) | instskip(NEXT) | instid1(VALU_DEP_1)
	v_fma_f64 v[16:17], -v[9:10], v[11:12], 1.0
	v_fma_f64 v[11:12], v[11:12], v[16:17], v[11:12]
	s_delay_alu instid0(VALU_DEP_1) | instskip(NEXT) | instid1(VALU_DEP_1)
	v_mul_f64 v[16:17], v[18:19], v[11:12]
	v_fma_f64 v[9:10], -v[9:10], v[16:17], v[18:19]
	s_delay_alu instid0(VALU_DEP_1) | instskip(NEXT) | instid1(VALU_DEP_1)
	v_div_fmas_f64 v[9:10], v[9:10], v[11:12], v[16:17]
	v_div_fixup_f64 v[9:10], v[9:10], v[7:8], v[5:6]
	s_delay_alu instid0(VALU_DEP_1) | instskip(NEXT) | instid1(VALU_DEP_1)
	v_fma_f64 v[11:12], v[5:6], v[9:10], v[7:8]
	v_div_scale_f64 v[16:17], null, v[11:12], v[11:12], 1.0
	v_div_scale_f64 v[22:23], vcc_lo, 1.0, v[11:12], 1.0
	s_delay_alu instid0(VALU_DEP_2) | instskip(SKIP_2) | instid1(VALU_DEP_1)
	v_rcp_f64_e32 v[18:19], v[16:17]
	s_waitcnt_depctr 0xfff
	v_fma_f64 v[20:21], -v[16:17], v[18:19], 1.0
	v_fma_f64 v[18:19], v[18:19], v[20:21], v[18:19]
	s_delay_alu instid0(VALU_DEP_1) | instskip(NEXT) | instid1(VALU_DEP_1)
	v_fma_f64 v[20:21], -v[16:17], v[18:19], 1.0
	v_fma_f64 v[18:19], v[18:19], v[20:21], v[18:19]
	s_delay_alu instid0(VALU_DEP_1) | instskip(NEXT) | instid1(VALU_DEP_1)
	v_mul_f64 v[20:21], v[22:23], v[18:19]
	v_fma_f64 v[16:17], -v[16:17], v[20:21], v[22:23]
	s_delay_alu instid0(VALU_DEP_1) | instskip(SKIP_1) | instid1(VALU_DEP_2)
	v_div_fmas_f64 v[16:17], v[16:17], v[18:19], v[20:21]
	v_fma_f64 v[18:19], v[1:2], v[9:10], v[3:4]
	v_div_fixup_f64 v[11:12], v[16:17], v[11:12], 1.0
	v_fma_f64 v[16:17], v[3:4], v[9:10], -v[1:2]
	s_delay_alu instid0(VALU_DEP_2) | instskip(NEXT) | instid1(VALU_DEP_2)
	v_mul_f64 v[9:10], v[18:19], v[11:12]
	v_mul_f64 v[11:12], v[16:17], v[11:12]
	s_cbranch_execnz .LBB208_44
	s_branch .LBB208_56
.LBB208_55:                             ;   in Loop: Header=BB208_45 Depth=1
                                        ; implicit-def: $vgpr9_vgpr10
.LBB208_56:                             ;   in Loop: Header=BB208_45 Depth=1
	v_div_scale_f64 v[9:10], null, v[5:6], v[5:6], v[7:8]
	v_div_scale_f64 v[18:19], vcc_lo, v[7:8], v[5:6], v[7:8]
	s_delay_alu instid0(VALU_DEP_2) | instskip(SKIP_2) | instid1(VALU_DEP_1)
	v_rcp_f64_e32 v[11:12], v[9:10]
	s_waitcnt_depctr 0xfff
	v_fma_f64 v[16:17], -v[9:10], v[11:12], 1.0
	v_fma_f64 v[11:12], v[11:12], v[16:17], v[11:12]
	s_delay_alu instid0(VALU_DEP_1) | instskip(NEXT) | instid1(VALU_DEP_1)
	v_fma_f64 v[16:17], -v[9:10], v[11:12], 1.0
	v_fma_f64 v[11:12], v[11:12], v[16:17], v[11:12]
	s_delay_alu instid0(VALU_DEP_1) | instskip(NEXT) | instid1(VALU_DEP_1)
	v_mul_f64 v[16:17], v[18:19], v[11:12]
	v_fma_f64 v[9:10], -v[9:10], v[16:17], v[18:19]
	s_delay_alu instid0(VALU_DEP_1) | instskip(NEXT) | instid1(VALU_DEP_1)
	v_div_fmas_f64 v[9:10], v[9:10], v[11:12], v[16:17]
	v_div_fixup_f64 v[9:10], v[9:10], v[5:6], v[7:8]
	s_delay_alu instid0(VALU_DEP_1) | instskip(NEXT) | instid1(VALU_DEP_1)
	v_fma_f64 v[5:6], v[7:8], v[9:10], v[5:6]
	v_div_scale_f64 v[7:8], null, v[5:6], v[5:6], 1.0
	v_div_scale_f64 v[18:19], vcc_lo, 1.0, v[5:6], 1.0
	s_delay_alu instid0(VALU_DEP_2) | instskip(SKIP_2) | instid1(VALU_DEP_1)
	v_rcp_f64_e32 v[11:12], v[7:8]
	s_waitcnt_depctr 0xfff
	v_fma_f64 v[16:17], -v[7:8], v[11:12], 1.0
	v_fma_f64 v[11:12], v[11:12], v[16:17], v[11:12]
	s_delay_alu instid0(VALU_DEP_1) | instskip(NEXT) | instid1(VALU_DEP_1)
	v_fma_f64 v[16:17], -v[7:8], v[11:12], 1.0
	v_fma_f64 v[11:12], v[11:12], v[16:17], v[11:12]
	s_delay_alu instid0(VALU_DEP_1) | instskip(NEXT) | instid1(VALU_DEP_1)
	v_mul_f64 v[16:17], v[18:19], v[11:12]
	v_fma_f64 v[7:8], -v[7:8], v[16:17], v[18:19]
	s_delay_alu instid0(VALU_DEP_1) | instskip(SKIP_2) | instid1(VALU_DEP_3)
	v_div_fmas_f64 v[7:8], v[7:8], v[11:12], v[16:17]
	v_fma_f64 v[11:12], v[3:4], v[9:10], v[1:2]
	v_fma_f64 v[1:2], -v[1:2], v[9:10], v[3:4]
	v_div_fixup_f64 v[5:6], v[7:8], v[5:6], 1.0
	s_delay_alu instid0(VALU_DEP_1) | instskip(NEXT) | instid1(VALU_DEP_3)
	v_mul_f64 v[9:10], v[11:12], v[5:6]
	v_mul_f64 v[11:12], v[1:2], v[5:6]
	s_branch .LBB208_44
.LBB208_57:
	s_mov_b32 s4, 0
.LBB208_58:
	s_delay_alu instid0(SALU_CYCLE_1)
	s_and_b32 vcc_lo, exec_lo, s4
	s_cbranch_vccz .LBB208_90
; %bb.59:
	s_and_not1_b32 vcc_lo, exec_lo, s1
	s_mov_b32 s6, s30
	s_cbranch_vccnz .LBB208_81
; %bb.60:
	v_lshlrev_b32_e32 v25, 4, v0
	s_mul_i32 s4, s29, 0x90
	s_mov_b32 s5, s30
	s_addk_i32 s4, 0xfec0
	s_delay_alu instid0(VALU_DEP_1) | instskip(NEXT) | instid1(VALU_DEP_1)
	v_lshl_or_b32 v1, s29, 7, v25
	v_add_nc_u32_e32 v26, 0x300, v1
.LBB208_61:                             ; =>This Loop Header: Depth=1
                                        ;     Child Loop BB208_62 Depth 2
	s_add_i32 s15, s5, -1
	s_lshl_b32 s10, s5, 3
	s_add_i32 s14, s5, -2
	s_lshl_b32 s7, s15, 3
	v_or_b32_e32 v1, s10, v0
	s_lshl_b32 s6, s14, 3
	v_or_b32_e32 v2, s7, v0
	v_or_b32_e32 v3, s6, v0
	s_add_i32 s11, s5, -3
	v_lshlrev_b32_e32 v13, 4, v1
	v_lshl_or_b32 v16, s11, 7, v25
	v_dual_mov_b32 v21, v26 :: v_dual_lshlrev_b32 v14, 4, v2
	v_lshlrev_b32_e32 v15, 4, v3
	ds_load_b128 v[17:20], v13 offset:1024
	ds_load_b128 v[9:12], v14 offset:1024
	;; [unrolled: 1-line block ×4, first 2 shown]
	s_cmp_le_i32 s30, s5
	s_mov_b32 s16, s4
	s_mov_b32 s17, s30
	s_cbranch_scc1 .LBB208_63
.LBB208_62:                             ;   Parent Loop BB208_61 Depth=1
                                        ; =>  This Inner Loop Header: Depth=2
	v_mov_b32_e32 v24, s16
	s_add_i32 s17, s17, -2
	s_addk_i32 s16, 0xff00
	s_cmp_le_i32 s17, s5
	ds_load_b128 v[27:30], v21 offset:128
	ds_load_b128 v[31:34], v24 offset:176
	;; [unrolled: 1-line block ×5, first 2 shown]
	ds_load_b128 v[47:50], v21
	v_add_nc_u32_e32 v21, 0xffffff00, v21
	ds_load_b128 v[51:54], v24 offset:48
	ds_load_b128 v[55:58], v24 offset:32
	;; [unrolled: 1-line block ×3, first 2 shown]
	ds_load_b128 v[63:66], v24
	s_waitcnt lgkmcnt(8)
	v_mul_f64 v[22:23], v[29:30], v[33:34]
	v_mul_f64 v[33:34], v[27:28], v[33:34]
	s_waitcnt lgkmcnt(7)
	v_mul_f64 v[67:68], v[29:30], v[37:38]
	v_mul_f64 v[37:38], v[27:28], v[37:38]
	;; [unrolled: 3-line block ×8, first 2 shown]
	v_fma_f64 v[22:23], v[27:28], v[31:32], -v[22:23]
	v_fma_f64 v[31:32], v[29:30], v[31:32], v[33:34]
	v_fma_f64 v[33:34], v[27:28], v[35:36], -v[67:68]
	v_fma_f64 v[35:36], v[29:30], v[35:36], v[37:38]
	;; [unrolled: 2-line block ×8, first 2 shown]
	v_add_f64 v[17:18], v[17:18], -v[22:23]
	v_add_f64 v[19:20], v[19:20], -v[31:32]
	;; [unrolled: 1-line block ×16, first 2 shown]
	s_cbranch_scc0 .LBB208_62
.LBB208_63:                             ;   in Loop: Header=BB208_61 Depth=1
	s_mul_i32 s16, s5, 0x90
	s_delay_alu instid0(SALU_CYCLE_1)
	v_dual_mov_b32 v13, s16 :: v_dual_add_nc_u32 v30, 0x400, v13
	ds_load_b128 v[21:24], v13
	s_waitcnt lgkmcnt(0)
	v_dual_mov_b32 v13, v21 :: v_dual_add_nc_u32 v28, 0x400, v15
	v_cmp_gt_f64_e32 vcc_lo, 0, v[21:22]
	v_xor_b32_e32 v15, 0x80000000, v24
	v_add_nc_u32_e32 v29, 0x400, v14
	v_xor_b32_e32 v14, 0x80000000, v22
	s_delay_alu instid0(VALU_DEP_1) | instskip(SKIP_2) | instid1(VALU_DEP_1)
	v_dual_cndmask_b32 v14, v22, v14 :: v_dual_add_nc_u32 v27, 0x400, v16
	v_cmp_gt_f64_e32 vcc_lo, 0, v[23:24]
	v_dual_cndmask_b32 v16, v24, v15 :: v_dual_mov_b32 v15, v23
	v_cmp_ngt_f64_e32 vcc_lo, v[13:14], v[15:16]
	s_cbranch_vccz .LBB208_65
; %bb.64:                               ;   in Loop: Header=BB208_61 Depth=1
	v_div_scale_f64 v[13:14], null, v[23:24], v[23:24], v[21:22]
	v_div_scale_f64 v[33:34], vcc_lo, v[21:22], v[23:24], v[21:22]
	s_delay_alu instid0(VALU_DEP_2) | instskip(SKIP_2) | instid1(VALU_DEP_1)
	v_rcp_f64_e32 v[15:16], v[13:14]
	s_waitcnt_depctr 0xfff
	v_fma_f64 v[31:32], -v[13:14], v[15:16], 1.0
	v_fma_f64 v[15:16], v[15:16], v[31:32], v[15:16]
	s_delay_alu instid0(VALU_DEP_1) | instskip(NEXT) | instid1(VALU_DEP_1)
	v_fma_f64 v[31:32], -v[13:14], v[15:16], 1.0
	v_fma_f64 v[15:16], v[15:16], v[31:32], v[15:16]
	s_delay_alu instid0(VALU_DEP_1) | instskip(NEXT) | instid1(VALU_DEP_1)
	v_mul_f64 v[31:32], v[33:34], v[15:16]
	v_fma_f64 v[13:14], -v[13:14], v[31:32], v[33:34]
	s_delay_alu instid0(VALU_DEP_1) | instskip(NEXT) | instid1(VALU_DEP_1)
	v_div_fmas_f64 v[13:14], v[13:14], v[15:16], v[31:32]
	v_div_fixup_f64 v[13:14], v[13:14], v[23:24], v[21:22]
	s_delay_alu instid0(VALU_DEP_1) | instskip(NEXT) | instid1(VALU_DEP_1)
	v_fma_f64 v[15:16], v[21:22], v[13:14], v[23:24]
	v_div_scale_f64 v[31:32], null, v[15:16], v[15:16], 1.0
	v_div_scale_f64 v[37:38], vcc_lo, 1.0, v[15:16], 1.0
	s_delay_alu instid0(VALU_DEP_2) | instskip(SKIP_2) | instid1(VALU_DEP_1)
	v_rcp_f64_e32 v[33:34], v[31:32]
	s_waitcnt_depctr 0xfff
	v_fma_f64 v[35:36], -v[31:32], v[33:34], 1.0
	v_fma_f64 v[33:34], v[33:34], v[35:36], v[33:34]
	s_delay_alu instid0(VALU_DEP_1) | instskip(NEXT) | instid1(VALU_DEP_1)
	v_fma_f64 v[35:36], -v[31:32], v[33:34], 1.0
	v_fma_f64 v[33:34], v[33:34], v[35:36], v[33:34]
	s_delay_alu instid0(VALU_DEP_1) | instskip(NEXT) | instid1(VALU_DEP_1)
	v_mul_f64 v[35:36], v[37:38], v[33:34]
	v_fma_f64 v[31:32], -v[31:32], v[35:36], v[37:38]
	s_delay_alu instid0(VALU_DEP_1) | instskip(SKIP_1) | instid1(VALU_DEP_2)
	v_div_fmas_f64 v[31:32], v[31:32], v[33:34], v[35:36]
	v_fma_f64 v[33:34], v[17:18], v[13:14], v[19:20]
	v_div_fixup_f64 v[15:16], v[31:32], v[15:16], 1.0
	v_fma_f64 v[31:32], v[19:20], v[13:14], -v[17:18]
	s_delay_alu instid0(VALU_DEP_2) | instskip(NEXT) | instid1(VALU_DEP_2)
	v_mul_f64 v[13:14], v[33:34], v[15:16]
	v_mul_f64 v[15:16], v[31:32], v[15:16]
	s_cbranch_execz .LBB208_66
	s_branch .LBB208_67
.LBB208_65:                             ;   in Loop: Header=BB208_61 Depth=1
                                        ; implicit-def: $vgpr15_vgpr16
.LBB208_66:                             ;   in Loop: Header=BB208_61 Depth=1
	v_div_scale_f64 v[13:14], null, v[21:22], v[21:22], v[23:24]
	v_div_scale_f64 v[33:34], vcc_lo, v[23:24], v[21:22], v[23:24]
	s_delay_alu instid0(VALU_DEP_2) | instskip(SKIP_2) | instid1(VALU_DEP_1)
	v_rcp_f64_e32 v[15:16], v[13:14]
	s_waitcnt_depctr 0xfff
	v_fma_f64 v[31:32], -v[13:14], v[15:16], 1.0
	v_fma_f64 v[15:16], v[15:16], v[31:32], v[15:16]
	s_delay_alu instid0(VALU_DEP_1) | instskip(NEXT) | instid1(VALU_DEP_1)
	v_fma_f64 v[31:32], -v[13:14], v[15:16], 1.0
	v_fma_f64 v[15:16], v[15:16], v[31:32], v[15:16]
	s_delay_alu instid0(VALU_DEP_1) | instskip(NEXT) | instid1(VALU_DEP_1)
	v_mul_f64 v[31:32], v[33:34], v[15:16]
	v_fma_f64 v[13:14], -v[13:14], v[31:32], v[33:34]
	s_delay_alu instid0(VALU_DEP_1) | instskip(NEXT) | instid1(VALU_DEP_1)
	v_div_fmas_f64 v[13:14], v[13:14], v[15:16], v[31:32]
	v_div_fixup_f64 v[13:14], v[13:14], v[21:22], v[23:24]
	s_delay_alu instid0(VALU_DEP_1) | instskip(NEXT) | instid1(VALU_DEP_1)
	v_fma_f64 v[15:16], v[23:24], v[13:14], v[21:22]
	v_div_scale_f64 v[21:22], null, v[15:16], v[15:16], 1.0
	v_div_scale_f64 v[33:34], vcc_lo, 1.0, v[15:16], 1.0
	s_delay_alu instid0(VALU_DEP_2) | instskip(SKIP_2) | instid1(VALU_DEP_1)
	v_rcp_f64_e32 v[23:24], v[21:22]
	s_waitcnt_depctr 0xfff
	v_fma_f64 v[31:32], -v[21:22], v[23:24], 1.0
	v_fma_f64 v[23:24], v[23:24], v[31:32], v[23:24]
	s_delay_alu instid0(VALU_DEP_1) | instskip(NEXT) | instid1(VALU_DEP_1)
	v_fma_f64 v[31:32], -v[21:22], v[23:24], 1.0
	v_fma_f64 v[23:24], v[23:24], v[31:32], v[23:24]
	s_delay_alu instid0(VALU_DEP_1) | instskip(NEXT) | instid1(VALU_DEP_1)
	v_mul_f64 v[31:32], v[33:34], v[23:24]
	v_fma_f64 v[21:22], -v[21:22], v[31:32], v[33:34]
	s_delay_alu instid0(VALU_DEP_1) | instskip(SKIP_2) | instid1(VALU_DEP_3)
	v_div_fmas_f64 v[21:22], v[21:22], v[23:24], v[31:32]
	v_fma_f64 v[23:24], v[19:20], v[13:14], v[17:18]
	v_fma_f64 v[17:18], -v[17:18], v[13:14], v[19:20]
	v_div_fixup_f64 v[15:16], v[21:22], v[15:16], 1.0
	s_delay_alu instid0(VALU_DEP_1) | instskip(NEXT) | instid1(VALU_DEP_3)
	v_mul_f64 v[13:14], v[23:24], v[15:16]
	v_mul_f64 v[15:16], v[17:18], v[15:16]
.LBB208_67:                             ;   in Loop: Header=BB208_61 Depth=1
	s_add_i32 s15, s10, s15
	ds_store_b128 v30, v[13:16]
	s_lshl_b32 s15, s15, 4
	s_delay_alu instid0(SALU_CYCLE_1)
	v_mov_b32_e32 v17, s15
	s_add_i32 s15, s16, 0xffffff70
	ds_load_b128 v[21:24], v17
	v_mov_b32_e32 v17, s15
	ds_load_b128 v[17:20], v17
	s_waitcnt lgkmcnt(1)
	v_mul_f64 v[31:32], v[15:16], v[23:24]
	v_mul_f64 v[23:24], v[13:14], v[23:24]
	s_waitcnt lgkmcnt(0)
	v_cmp_gt_f64_e32 vcc_lo, 0, v[17:18]
	v_xor_b32_e32 v34, 0x80000000, v20
	v_mov_b32_e32 v33, v19
	v_fma_f64 v[31:32], v[13:14], v[21:22], -v[31:32]
	v_fma_f64 v[23:24], v[15:16], v[21:22], v[23:24]
	v_xor_b32_e32 v22, 0x80000000, v18
	s_delay_alu instid0(VALU_DEP_1) | instskip(SKIP_1) | instid1(VALU_DEP_4)
	v_dual_mov_b32 v21, v17 :: v_dual_cndmask_b32 v22, v18, v22
	v_cmp_gt_f64_e32 vcc_lo, 0, v[19:20]
	v_add_f64 v[23:24], v[11:12], -v[23:24]
	v_cndmask_b32_e32 v34, v20, v34, vcc_lo
	s_delay_alu instid0(VALU_DEP_1)
	v_cmp_ngt_f64_e32 vcc_lo, v[21:22], v[33:34]
	v_add_f64 v[21:22], v[9:10], -v[31:32]
	s_cbranch_vccz .LBB208_69
; %bb.68:                               ;   in Loop: Header=BB208_61 Depth=1
	v_div_scale_f64 v[9:10], null, v[19:20], v[19:20], v[17:18]
	v_div_scale_f64 v[32:33], vcc_lo, v[17:18], v[19:20], v[17:18]
	s_delay_alu instid0(VALU_DEP_2) | instskip(SKIP_2) | instid1(VALU_DEP_1)
	v_rcp_f64_e32 v[11:12], v[9:10]
	s_waitcnt_depctr 0xfff
	v_fma_f64 v[30:31], -v[9:10], v[11:12], 1.0
	v_fma_f64 v[11:12], v[11:12], v[30:31], v[11:12]
	s_delay_alu instid0(VALU_DEP_1) | instskip(NEXT) | instid1(VALU_DEP_1)
	v_fma_f64 v[30:31], -v[9:10], v[11:12], 1.0
	v_fma_f64 v[11:12], v[11:12], v[30:31], v[11:12]
	s_delay_alu instid0(VALU_DEP_1) | instskip(NEXT) | instid1(VALU_DEP_1)
	v_mul_f64 v[30:31], v[32:33], v[11:12]
	v_fma_f64 v[9:10], -v[9:10], v[30:31], v[32:33]
	s_delay_alu instid0(VALU_DEP_1) | instskip(NEXT) | instid1(VALU_DEP_1)
	v_div_fmas_f64 v[9:10], v[9:10], v[11:12], v[30:31]
	v_div_fixup_f64 v[9:10], v[9:10], v[19:20], v[17:18]
	s_delay_alu instid0(VALU_DEP_1) | instskip(NEXT) | instid1(VALU_DEP_1)
	v_fma_f64 v[11:12], v[17:18], v[9:10], v[19:20]
	v_div_scale_f64 v[30:31], null, v[11:12], v[11:12], 1.0
	v_div_scale_f64 v[36:37], vcc_lo, 1.0, v[11:12], 1.0
	s_delay_alu instid0(VALU_DEP_2) | instskip(SKIP_2) | instid1(VALU_DEP_1)
	v_rcp_f64_e32 v[32:33], v[30:31]
	s_waitcnt_depctr 0xfff
	v_fma_f64 v[34:35], -v[30:31], v[32:33], 1.0
	v_fma_f64 v[32:33], v[32:33], v[34:35], v[32:33]
	s_delay_alu instid0(VALU_DEP_1) | instskip(NEXT) | instid1(VALU_DEP_1)
	v_fma_f64 v[34:35], -v[30:31], v[32:33], 1.0
	v_fma_f64 v[32:33], v[32:33], v[34:35], v[32:33]
	s_delay_alu instid0(VALU_DEP_1) | instskip(NEXT) | instid1(VALU_DEP_1)
	v_mul_f64 v[34:35], v[36:37], v[32:33]
	v_fma_f64 v[30:31], -v[30:31], v[34:35], v[36:37]
	s_delay_alu instid0(VALU_DEP_1) | instskip(SKIP_1) | instid1(VALU_DEP_2)
	v_div_fmas_f64 v[30:31], v[30:31], v[32:33], v[34:35]
	v_fma_f64 v[32:33], v[9:10], v[21:22], v[23:24]
	v_div_fixup_f64 v[11:12], v[30:31], v[11:12], 1.0
	v_fma_f64 v[30:31], v[9:10], v[23:24], -v[21:22]
	s_delay_alu instid0(VALU_DEP_2) | instskip(NEXT) | instid1(VALU_DEP_2)
	v_mul_f64 v[9:10], v[32:33], v[11:12]
	v_mul_f64 v[11:12], v[30:31], v[11:12]
	s_cbranch_execz .LBB208_70
	s_branch .LBB208_71
.LBB208_69:                             ;   in Loop: Header=BB208_61 Depth=1
                                        ; implicit-def: $vgpr11_vgpr12
.LBB208_70:                             ;   in Loop: Header=BB208_61 Depth=1
	v_div_scale_f64 v[9:10], null, v[17:18], v[17:18], v[19:20]
	v_div_scale_f64 v[32:33], vcc_lo, v[19:20], v[17:18], v[19:20]
	s_delay_alu instid0(VALU_DEP_2) | instskip(SKIP_2) | instid1(VALU_DEP_1)
	v_rcp_f64_e32 v[11:12], v[9:10]
	s_waitcnt_depctr 0xfff
	v_fma_f64 v[30:31], -v[9:10], v[11:12], 1.0
	v_fma_f64 v[11:12], v[11:12], v[30:31], v[11:12]
	s_delay_alu instid0(VALU_DEP_1) | instskip(NEXT) | instid1(VALU_DEP_1)
	v_fma_f64 v[30:31], -v[9:10], v[11:12], 1.0
	v_fma_f64 v[11:12], v[11:12], v[30:31], v[11:12]
	s_delay_alu instid0(VALU_DEP_1) | instskip(NEXT) | instid1(VALU_DEP_1)
	v_mul_f64 v[30:31], v[32:33], v[11:12]
	v_fma_f64 v[9:10], -v[9:10], v[30:31], v[32:33]
	s_delay_alu instid0(VALU_DEP_1) | instskip(NEXT) | instid1(VALU_DEP_1)
	v_div_fmas_f64 v[9:10], v[9:10], v[11:12], v[30:31]
	v_div_fixup_f64 v[9:10], v[9:10], v[17:18], v[19:20]
	s_delay_alu instid0(VALU_DEP_1) | instskip(NEXT) | instid1(VALU_DEP_1)
	v_fma_f64 v[11:12], v[19:20], v[9:10], v[17:18]
	v_div_scale_f64 v[17:18], null, v[11:12], v[11:12], 1.0
	v_div_scale_f64 v[32:33], vcc_lo, 1.0, v[11:12], 1.0
	s_delay_alu instid0(VALU_DEP_2) | instskip(SKIP_2) | instid1(VALU_DEP_1)
	v_rcp_f64_e32 v[19:20], v[17:18]
	s_waitcnt_depctr 0xfff
	v_fma_f64 v[30:31], -v[17:18], v[19:20], 1.0
	v_fma_f64 v[19:20], v[19:20], v[30:31], v[19:20]
	s_delay_alu instid0(VALU_DEP_1) | instskip(NEXT) | instid1(VALU_DEP_1)
	v_fma_f64 v[30:31], -v[17:18], v[19:20], 1.0
	v_fma_f64 v[19:20], v[19:20], v[30:31], v[19:20]
	s_delay_alu instid0(VALU_DEP_1) | instskip(NEXT) | instid1(VALU_DEP_1)
	v_mul_f64 v[30:31], v[32:33], v[19:20]
	v_fma_f64 v[17:18], -v[17:18], v[30:31], v[32:33]
	s_delay_alu instid0(VALU_DEP_1) | instskip(SKIP_1) | instid1(VALU_DEP_2)
	v_div_fmas_f64 v[17:18], v[17:18], v[19:20], v[30:31]
	v_fma_f64 v[19:20], v[9:10], v[23:24], v[21:22]
	v_div_fixup_f64 v[11:12], v[17:18], v[11:12], 1.0
	v_fma_f64 v[17:18], -v[9:10], v[21:22], v[23:24]
	s_delay_alu instid0(VALU_DEP_2) | instskip(NEXT) | instid1(VALU_DEP_2)
	v_mul_f64 v[9:10], v[19:20], v[11:12]
	v_mul_f64 v[11:12], v[17:18], v[11:12]
.LBB208_71:                             ;   in Loop: Header=BB208_61 Depth=1
	s_add_i32 s16, s10, s14
	s_add_i32 s14, s7, s14
	s_lshl_b32 s16, s16, 4
	s_lshl_b32 s14, s14, 4
	v_mov_b32_e32 v17, s16
	v_mov_b32_e32 v21, s14
	s_add_i32 s14, s15, 0xffffff70
	ds_store_b128 v29, v[9:12]
	ds_load_b128 v[17:20], v17
	ds_load_b128 v[21:24], v21
	s_waitcnt lgkmcnt(1)
	v_mul_f64 v[30:31], v[15:16], v[19:20]
	v_mul_f64 v[19:20], v[13:14], v[19:20]
	s_waitcnt lgkmcnt(0)
	v_mul_f64 v[32:33], v[11:12], v[23:24]
	v_mul_f64 v[23:24], v[9:10], v[23:24]
	s_delay_alu instid0(VALU_DEP_4) | instskip(NEXT) | instid1(VALU_DEP_4)
	v_fma_f64 v[30:31], v[13:14], v[17:18], -v[30:31]
	v_fma_f64 v[17:18], v[15:16], v[17:18], v[19:20]
	v_mov_b32_e32 v19, s14
	v_fma_f64 v[32:33], v[9:10], v[21:22], -v[32:33]
	v_fma_f64 v[23:24], v[11:12], v[21:22], v[23:24]
	v_add_f64 v[5:6], v[5:6], -v[30:31]
	v_add_f64 v[7:8], v[7:8], -v[17:18]
	ds_load_b128 v[17:20], v19
	s_waitcnt lgkmcnt(0)
	v_cmp_gt_f64_e32 vcc_lo, 0, v[17:18]
	v_xor_b32_e32 v22, 0x80000000, v18
	v_xor_b32_e32 v31, 0x80000000, v20
	v_dual_mov_b32 v21, v17 :: v_dual_mov_b32 v30, v19
	v_add_f64 v[23:24], v[7:8], -v[23:24]
	s_delay_alu instid0(VALU_DEP_4) | instskip(SKIP_2) | instid1(VALU_DEP_1)
	v_cndmask_b32_e32 v22, v18, v22, vcc_lo
	v_cmp_gt_f64_e32 vcc_lo, 0, v[19:20]
	v_cndmask_b32_e32 v31, v20, v31, vcc_lo
	v_cmp_ngt_f64_e32 vcc_lo, v[21:22], v[30:31]
	v_add_f64 v[21:22], v[5:6], -v[32:33]
	s_cbranch_vccz .LBB208_73
; %bb.72:                               ;   in Loop: Header=BB208_61 Depth=1
	v_div_scale_f64 v[5:6], null, v[19:20], v[19:20], v[17:18]
	v_div_scale_f64 v[31:32], vcc_lo, v[17:18], v[19:20], v[17:18]
	s_delay_alu instid0(VALU_DEP_2) | instskip(SKIP_2) | instid1(VALU_DEP_1)
	v_rcp_f64_e32 v[7:8], v[5:6]
	s_waitcnt_depctr 0xfff
	v_fma_f64 v[29:30], -v[5:6], v[7:8], 1.0
	v_fma_f64 v[7:8], v[7:8], v[29:30], v[7:8]
	s_delay_alu instid0(VALU_DEP_1) | instskip(NEXT) | instid1(VALU_DEP_1)
	v_fma_f64 v[29:30], -v[5:6], v[7:8], 1.0
	v_fma_f64 v[7:8], v[7:8], v[29:30], v[7:8]
	s_delay_alu instid0(VALU_DEP_1) | instskip(NEXT) | instid1(VALU_DEP_1)
	v_mul_f64 v[29:30], v[31:32], v[7:8]
	v_fma_f64 v[5:6], -v[5:6], v[29:30], v[31:32]
	s_delay_alu instid0(VALU_DEP_1) | instskip(NEXT) | instid1(VALU_DEP_1)
	v_div_fmas_f64 v[5:6], v[5:6], v[7:8], v[29:30]
	v_div_fixup_f64 v[5:6], v[5:6], v[19:20], v[17:18]
	s_delay_alu instid0(VALU_DEP_1) | instskip(NEXT) | instid1(VALU_DEP_1)
	v_fma_f64 v[7:8], v[17:18], v[5:6], v[19:20]
	v_div_scale_f64 v[29:30], null, v[7:8], v[7:8], 1.0
	v_div_scale_f64 v[35:36], vcc_lo, 1.0, v[7:8], 1.0
	s_delay_alu instid0(VALU_DEP_2) | instskip(SKIP_2) | instid1(VALU_DEP_1)
	v_rcp_f64_e32 v[31:32], v[29:30]
	s_waitcnt_depctr 0xfff
	v_fma_f64 v[33:34], -v[29:30], v[31:32], 1.0
	v_fma_f64 v[31:32], v[31:32], v[33:34], v[31:32]
	s_delay_alu instid0(VALU_DEP_1) | instskip(NEXT) | instid1(VALU_DEP_1)
	v_fma_f64 v[33:34], -v[29:30], v[31:32], 1.0
	v_fma_f64 v[31:32], v[31:32], v[33:34], v[31:32]
	s_delay_alu instid0(VALU_DEP_1) | instskip(NEXT) | instid1(VALU_DEP_1)
	v_mul_f64 v[33:34], v[35:36], v[31:32]
	v_fma_f64 v[29:30], -v[29:30], v[33:34], v[35:36]
	s_delay_alu instid0(VALU_DEP_1) | instskip(SKIP_1) | instid1(VALU_DEP_2)
	v_div_fmas_f64 v[29:30], v[29:30], v[31:32], v[33:34]
	v_fma_f64 v[31:32], v[5:6], v[21:22], v[23:24]
	v_div_fixup_f64 v[7:8], v[29:30], v[7:8], 1.0
	v_fma_f64 v[29:30], v[5:6], v[23:24], -v[21:22]
	s_delay_alu instid0(VALU_DEP_2) | instskip(NEXT) | instid1(VALU_DEP_2)
	v_mul_f64 v[5:6], v[31:32], v[7:8]
	v_mul_f64 v[7:8], v[29:30], v[7:8]
	s_cbranch_execz .LBB208_74
	s_branch .LBB208_75
.LBB208_73:                             ;   in Loop: Header=BB208_61 Depth=1
                                        ; implicit-def: $vgpr7_vgpr8
.LBB208_74:                             ;   in Loop: Header=BB208_61 Depth=1
	v_div_scale_f64 v[5:6], null, v[17:18], v[17:18], v[19:20]
	v_div_scale_f64 v[31:32], vcc_lo, v[19:20], v[17:18], v[19:20]
	s_delay_alu instid0(VALU_DEP_2) | instskip(SKIP_2) | instid1(VALU_DEP_1)
	v_rcp_f64_e32 v[7:8], v[5:6]
	s_waitcnt_depctr 0xfff
	v_fma_f64 v[29:30], -v[5:6], v[7:8], 1.0
	v_fma_f64 v[7:8], v[7:8], v[29:30], v[7:8]
	s_delay_alu instid0(VALU_DEP_1) | instskip(NEXT) | instid1(VALU_DEP_1)
	v_fma_f64 v[29:30], -v[5:6], v[7:8], 1.0
	v_fma_f64 v[7:8], v[7:8], v[29:30], v[7:8]
	s_delay_alu instid0(VALU_DEP_1) | instskip(NEXT) | instid1(VALU_DEP_1)
	v_mul_f64 v[29:30], v[31:32], v[7:8]
	v_fma_f64 v[5:6], -v[5:6], v[29:30], v[31:32]
	s_delay_alu instid0(VALU_DEP_1) | instskip(NEXT) | instid1(VALU_DEP_1)
	v_div_fmas_f64 v[5:6], v[5:6], v[7:8], v[29:30]
	v_div_fixup_f64 v[5:6], v[5:6], v[17:18], v[19:20]
	s_delay_alu instid0(VALU_DEP_1) | instskip(NEXT) | instid1(VALU_DEP_1)
	v_fma_f64 v[7:8], v[19:20], v[5:6], v[17:18]
	v_div_scale_f64 v[17:18], null, v[7:8], v[7:8], 1.0
	v_div_scale_f64 v[31:32], vcc_lo, 1.0, v[7:8], 1.0
	s_delay_alu instid0(VALU_DEP_2) | instskip(SKIP_2) | instid1(VALU_DEP_1)
	v_rcp_f64_e32 v[19:20], v[17:18]
	s_waitcnt_depctr 0xfff
	v_fma_f64 v[29:30], -v[17:18], v[19:20], 1.0
	v_fma_f64 v[19:20], v[19:20], v[29:30], v[19:20]
	s_delay_alu instid0(VALU_DEP_1) | instskip(NEXT) | instid1(VALU_DEP_1)
	v_fma_f64 v[29:30], -v[17:18], v[19:20], 1.0
	v_fma_f64 v[19:20], v[19:20], v[29:30], v[19:20]
	s_delay_alu instid0(VALU_DEP_1) | instskip(NEXT) | instid1(VALU_DEP_1)
	v_mul_f64 v[29:30], v[31:32], v[19:20]
	v_fma_f64 v[17:18], -v[17:18], v[29:30], v[31:32]
	s_delay_alu instid0(VALU_DEP_1) | instskip(SKIP_1) | instid1(VALU_DEP_2)
	v_div_fmas_f64 v[17:18], v[17:18], v[19:20], v[29:30]
	v_fma_f64 v[19:20], v[5:6], v[23:24], v[21:22]
	v_div_fixup_f64 v[7:8], v[17:18], v[7:8], 1.0
	v_fma_f64 v[17:18], -v[5:6], v[21:22], v[23:24]
	s_delay_alu instid0(VALU_DEP_2) | instskip(NEXT) | instid1(VALU_DEP_2)
	v_mul_f64 v[5:6], v[19:20], v[7:8]
	v_mul_f64 v[7:8], v[17:18], v[7:8]
.LBB208_75:                             ;   in Loop: Header=BB208_61 Depth=1
	s_add_i32 s10, s10, s11
	s_add_i32 s7, s7, s11
	s_lshl_b32 s10, s10, 4
	s_lshl_b32 s7, s7, 4
	v_mov_b32_e32 v17, s10
	v_mov_b32_e32 v21, s7
	s_add_i32 s6, s6, s11
	ds_store_b128 v28, v[5:8]
	s_lshl_b32 s6, s6, 4
	ds_load_b128 v[17:20], v17
	ds_load_b128 v[21:24], v21
	s_waitcnt lgkmcnt(1)
	v_mul_f64 v[29:30], v[15:16], v[19:20]
	v_mul_f64 v[19:20], v[13:14], v[19:20]
	s_delay_alu instid0(VALU_DEP_2) | instskip(SKIP_1) | instid1(VALU_DEP_3)
	v_fma_f64 v[29:30], v[13:14], v[17:18], -v[29:30]
	v_mov_b32_e32 v13, s6
	v_fma_f64 v[33:34], v[15:16], v[17:18], v[19:20]
	s_add_i32 s6, s14, 0xffffff70
	ds_load_b128 v[17:20], v13
	s_waitcnt lgkmcnt(1)
	v_mul_f64 v[31:32], v[11:12], v[23:24]
	v_mul_f64 v[23:24], v[9:10], v[23:24]
	v_mov_b32_e32 v13, s6
	ds_load_b128 v[13:16], v13
	s_waitcnt lgkmcnt(1)
	v_mul_f64 v[35:36], v[7:8], v[19:20]
	v_mul_f64 v[19:20], v[5:6], v[19:20]
	s_waitcnt lgkmcnt(0)
	v_cmp_gt_f64_e32 vcc_lo, 0, v[13:14]
	v_add_f64 v[1:2], v[1:2], -v[29:30]
	v_add_f64 v[3:4], v[3:4], -v[33:34]
	v_fma_f64 v[9:10], v[9:10], v[21:22], -v[31:32]
	v_fma_f64 v[11:12], v[11:12], v[21:22], v[23:24]
	v_fma_f64 v[21:22], v[5:6], v[17:18], -v[35:36]
	v_fma_f64 v[17:18], v[7:8], v[17:18], v[19:20]
	s_delay_alu instid0(VALU_DEP_4) | instskip(SKIP_4) | instid1(VALU_DEP_4)
	v_add_f64 v[1:2], v[1:2], -v[9:10]
	v_xor_b32_e32 v10, 0x80000000, v14
	v_add_f64 v[3:4], v[3:4], -v[11:12]
	v_xor_b32_e32 v12, 0x80000000, v16
	v_mov_b32_e32 v9, v13
	v_dual_mov_b32 v11, v15 :: v_dual_cndmask_b32 v10, v14, v10
	v_cmp_gt_f64_e32 vcc_lo, 0, v[15:16]
	s_delay_alu instid0(VALU_DEP_4) | instskip(NEXT) | instid1(VALU_DEP_1)
	v_cndmask_b32_e32 v12, v16, v12, vcc_lo
	v_cmp_ngt_f64_e32 vcc_lo, v[9:10], v[11:12]
	v_add_f64 v[9:10], v[1:2], -v[21:22]
	v_add_f64 v[11:12], v[3:4], -v[17:18]
	s_cbranch_vccz .LBB208_77
; %bb.76:                               ;   in Loop: Header=BB208_61 Depth=1
	v_div_scale_f64 v[1:2], null, v[15:16], v[15:16], v[13:14]
	v_div_scale_f64 v[7:8], vcc_lo, v[13:14], v[15:16], v[13:14]
	s_delay_alu instid0(VALU_DEP_2) | instskip(SKIP_2) | instid1(VALU_DEP_1)
	v_rcp_f64_e32 v[3:4], v[1:2]
	s_waitcnt_depctr 0xfff
	v_fma_f64 v[5:6], -v[1:2], v[3:4], 1.0
	v_fma_f64 v[3:4], v[3:4], v[5:6], v[3:4]
	s_delay_alu instid0(VALU_DEP_1) | instskip(NEXT) | instid1(VALU_DEP_1)
	v_fma_f64 v[5:6], -v[1:2], v[3:4], 1.0
	v_fma_f64 v[3:4], v[3:4], v[5:6], v[3:4]
	s_delay_alu instid0(VALU_DEP_1) | instskip(NEXT) | instid1(VALU_DEP_1)
	v_mul_f64 v[5:6], v[7:8], v[3:4]
	v_fma_f64 v[1:2], -v[1:2], v[5:6], v[7:8]
	s_delay_alu instid0(VALU_DEP_1) | instskip(NEXT) | instid1(VALU_DEP_1)
	v_div_fmas_f64 v[1:2], v[1:2], v[3:4], v[5:6]
	v_div_fixup_f64 v[1:2], v[1:2], v[15:16], v[13:14]
	s_delay_alu instid0(VALU_DEP_1) | instskip(NEXT) | instid1(VALU_DEP_1)
	v_fma_f64 v[3:4], v[13:14], v[1:2], v[15:16]
	v_div_scale_f64 v[5:6], null, v[3:4], v[3:4], 1.0
	v_div_scale_f64 v[19:20], vcc_lo, 1.0, v[3:4], 1.0
	s_delay_alu instid0(VALU_DEP_2) | instskip(SKIP_2) | instid1(VALU_DEP_1)
	v_rcp_f64_e32 v[7:8], v[5:6]
	s_waitcnt_depctr 0xfff
	v_fma_f64 v[17:18], -v[5:6], v[7:8], 1.0
	v_fma_f64 v[7:8], v[7:8], v[17:18], v[7:8]
	s_delay_alu instid0(VALU_DEP_1) | instskip(NEXT) | instid1(VALU_DEP_1)
	v_fma_f64 v[17:18], -v[5:6], v[7:8], 1.0
	v_fma_f64 v[7:8], v[7:8], v[17:18], v[7:8]
	s_delay_alu instid0(VALU_DEP_1) | instskip(NEXT) | instid1(VALU_DEP_1)
	v_mul_f64 v[17:18], v[19:20], v[7:8]
	v_fma_f64 v[5:6], -v[5:6], v[17:18], v[19:20]
	s_delay_alu instid0(VALU_DEP_1) | instskip(SKIP_1) | instid1(VALU_DEP_2)
	v_div_fmas_f64 v[5:6], v[5:6], v[7:8], v[17:18]
	v_fma_f64 v[7:8], v[1:2], v[9:10], v[11:12]
	v_div_fixup_f64 v[3:4], v[5:6], v[3:4], 1.0
	v_fma_f64 v[5:6], v[1:2], v[11:12], -v[9:10]
	s_delay_alu instid0(VALU_DEP_2) | instskip(NEXT) | instid1(VALU_DEP_2)
	v_mul_f64 v[1:2], v[7:8], v[3:4]
	v_mul_f64 v[3:4], v[5:6], v[3:4]
	s_cbranch_execz .LBB208_78
	s_branch .LBB208_79
.LBB208_77:                             ;   in Loop: Header=BB208_61 Depth=1
                                        ; implicit-def: $vgpr3_vgpr4
.LBB208_78:                             ;   in Loop: Header=BB208_61 Depth=1
	v_div_scale_f64 v[1:2], null, v[13:14], v[13:14], v[15:16]
	v_div_scale_f64 v[7:8], vcc_lo, v[15:16], v[13:14], v[15:16]
	s_delay_alu instid0(VALU_DEP_2) | instskip(SKIP_2) | instid1(VALU_DEP_1)
	v_rcp_f64_e32 v[3:4], v[1:2]
	s_waitcnt_depctr 0xfff
	v_fma_f64 v[5:6], -v[1:2], v[3:4], 1.0
	v_fma_f64 v[3:4], v[3:4], v[5:6], v[3:4]
	s_delay_alu instid0(VALU_DEP_1) | instskip(NEXT) | instid1(VALU_DEP_1)
	v_fma_f64 v[5:6], -v[1:2], v[3:4], 1.0
	v_fma_f64 v[3:4], v[3:4], v[5:6], v[3:4]
	s_delay_alu instid0(VALU_DEP_1) | instskip(NEXT) | instid1(VALU_DEP_1)
	v_mul_f64 v[5:6], v[7:8], v[3:4]
	v_fma_f64 v[1:2], -v[1:2], v[5:6], v[7:8]
	s_delay_alu instid0(VALU_DEP_1) | instskip(NEXT) | instid1(VALU_DEP_1)
	v_div_fmas_f64 v[1:2], v[1:2], v[3:4], v[5:6]
	v_div_fixup_f64 v[1:2], v[1:2], v[13:14], v[15:16]
	s_delay_alu instid0(VALU_DEP_1) | instskip(NEXT) | instid1(VALU_DEP_1)
	v_fma_f64 v[3:4], v[15:16], v[1:2], v[13:14]
	v_div_scale_f64 v[5:6], null, v[3:4], v[3:4], 1.0
	v_div_scale_f64 v[15:16], vcc_lo, 1.0, v[3:4], 1.0
	s_delay_alu instid0(VALU_DEP_2) | instskip(SKIP_2) | instid1(VALU_DEP_1)
	v_rcp_f64_e32 v[7:8], v[5:6]
	s_waitcnt_depctr 0xfff
	v_fma_f64 v[13:14], -v[5:6], v[7:8], 1.0
	v_fma_f64 v[7:8], v[7:8], v[13:14], v[7:8]
	s_delay_alu instid0(VALU_DEP_1) | instskip(NEXT) | instid1(VALU_DEP_1)
	v_fma_f64 v[13:14], -v[5:6], v[7:8], 1.0
	v_fma_f64 v[7:8], v[7:8], v[13:14], v[7:8]
	s_delay_alu instid0(VALU_DEP_1) | instskip(NEXT) | instid1(VALU_DEP_1)
	v_mul_f64 v[13:14], v[15:16], v[7:8]
	v_fma_f64 v[5:6], -v[5:6], v[13:14], v[15:16]
	s_delay_alu instid0(VALU_DEP_1) | instskip(SKIP_1) | instid1(VALU_DEP_2)
	v_div_fmas_f64 v[5:6], v[5:6], v[7:8], v[13:14]
	v_fma_f64 v[7:8], v[1:2], v[11:12], v[9:10]
	v_div_fixup_f64 v[3:4], v[5:6], v[3:4], 1.0
	v_fma_f64 v[5:6], -v[1:2], v[9:10], v[11:12]
	s_delay_alu instid0(VALU_DEP_2) | instskip(NEXT) | instid1(VALU_DEP_2)
	v_mul_f64 v[1:2], v[7:8], v[3:4]
	v_mul_f64 v[3:4], v[5:6], v[3:4]
.LBB208_79:                             ;   in Loop: Header=BB208_61 Depth=1
	s_add_i32 s6, s5, -4
	s_sub_i32 s4, s4, 64
	s_cmp_lt_i32 s5, 7
	ds_store_b128 v27, v[1:4]
	s_cbranch_scc1 .LBB208_81
; %bb.80:                               ;   in Loop: Header=BB208_61 Depth=1
	s_mov_b32 s5, s6
	s_branch .LBB208_61
.LBB208_81:
	s_cmp_lt_i32 s6, 0
	s_cbranch_scc1 .LBB208_90
; %bb.82:
	s_lshl_b32 s4, s29, 7
	s_lshl_b32 s5, s6, 4
	v_lshl_or_b32 v1, v0, 4, s4
	v_lshlrev_b32_e32 v14, 4, v0
	s_add_i32 s4, s4, s5
	s_delay_alu instid0(SALU_CYCLE_1) | instskip(NEXT) | instid1(VALU_DEP_2)
	s_addk_i32 s4, 0xff80
	v_add_nc_u32_e32 v13, 0x380, v1
	s_branch .LBB208_84
.LBB208_83:                             ;   in Loop: Header=BB208_84 Depth=1
	s_add_i32 s5, s6, -1
	s_add_i32 s4, s4, -16
	s_cmp_lt_i32 s6, 1
	s_mov_b32 s6, s5
	ds_store_b128 v15, v[9:12]
	s_cbranch_scc1 .LBB208_90
.LBB208_84:                             ; =>This Loop Header: Depth=1
                                        ;     Child Loop BB208_85 Depth 2
	v_lshl_or_b32 v5, s6, 7, v14
	s_delay_alu instid0(VALU_DEP_2)
	v_mov_b32_e32 v6, v13
	s_cmp_le_i32 s30, s6
	s_mov_b32 s5, s4
	s_mov_b32 s7, s30
	ds_load_b128 v[1:4], v5 offset:1024
	s_cbranch_scc1 .LBB208_86
	.p2align	6
.LBB208_85:                             ;   Parent Loop BB208_84 Depth=1
                                        ; =>  This Inner Loop Header: Depth=2
	v_mov_b32_e32 v11, s5
	s_add_i32 s7, s7, -1
	s_addk_i32 s5, 0xff80
	s_cmp_le_i32 s7, s6
	ds_load_b128 v[7:10], v6
	ds_load_b128 v[15:18], v11
	v_add_nc_u32_e32 v6, 0xffffff80, v6
	s_waitcnt lgkmcnt(0)
	v_mul_f64 v[11:12], v[17:18], v[9:10]
	v_mul_f64 v[9:10], v[15:16], v[9:10]
	s_delay_alu instid0(VALU_DEP_2) | instskip(NEXT) | instid1(VALU_DEP_2)
	v_fma_f64 v[11:12], v[15:16], v[7:8], -v[11:12]
	v_fma_f64 v[7:8], v[17:18], v[7:8], v[9:10]
	s_delay_alu instid0(VALU_DEP_2) | instskip(NEXT) | instid1(VALU_DEP_2)
	v_add_f64 v[1:2], v[1:2], -v[11:12]
	v_add_f64 v[3:4], v[3:4], -v[7:8]
	s_cbranch_scc0 .LBB208_85
.LBB208_86:                             ;   in Loop: Header=BB208_84 Depth=1
	s_mul_i32 s5, s6, 0x90
	v_add_nc_u32_e32 v15, 0x400, v5
	v_mov_b32_e32 v5, s5
	ds_load_b128 v[5:8], v5
	s_waitcnt lgkmcnt(0)
	v_cmp_gt_f64_e32 vcc_lo, 0, v[5:6]
	v_xor_b32_e32 v10, 0x80000000, v6
	v_xor_b32_e32 v11, 0x80000000, v8
	s_delay_alu instid0(VALU_DEP_2) | instskip(SKIP_1) | instid1(VALU_DEP_3)
	v_dual_mov_b32 v9, v5 :: v_dual_cndmask_b32 v10, v6, v10
	v_cmp_gt_f64_e32 vcc_lo, 0, v[7:8]
	v_dual_cndmask_b32 v12, v8, v11 :: v_dual_mov_b32 v11, v7
	s_delay_alu instid0(VALU_DEP_1)
	v_cmp_ngt_f64_e32 vcc_lo, v[9:10], v[11:12]
	s_cbranch_vccz .LBB208_88
; %bb.87:                               ;   in Loop: Header=BB208_84 Depth=1
	v_div_scale_f64 v[9:10], null, v[7:8], v[7:8], v[5:6]
	v_div_scale_f64 v[18:19], vcc_lo, v[5:6], v[7:8], v[5:6]
	s_delay_alu instid0(VALU_DEP_2) | instskip(SKIP_2) | instid1(VALU_DEP_1)
	v_rcp_f64_e32 v[11:12], v[9:10]
	s_waitcnt_depctr 0xfff
	v_fma_f64 v[16:17], -v[9:10], v[11:12], 1.0
	v_fma_f64 v[11:12], v[11:12], v[16:17], v[11:12]
	s_delay_alu instid0(VALU_DEP_1) | instskip(NEXT) | instid1(VALU_DEP_1)
	v_fma_f64 v[16:17], -v[9:10], v[11:12], 1.0
	v_fma_f64 v[11:12], v[11:12], v[16:17], v[11:12]
	s_delay_alu instid0(VALU_DEP_1) | instskip(NEXT) | instid1(VALU_DEP_1)
	v_mul_f64 v[16:17], v[18:19], v[11:12]
	v_fma_f64 v[9:10], -v[9:10], v[16:17], v[18:19]
	s_delay_alu instid0(VALU_DEP_1) | instskip(NEXT) | instid1(VALU_DEP_1)
	v_div_fmas_f64 v[9:10], v[9:10], v[11:12], v[16:17]
	v_div_fixup_f64 v[9:10], v[9:10], v[7:8], v[5:6]
	s_delay_alu instid0(VALU_DEP_1) | instskip(NEXT) | instid1(VALU_DEP_1)
	v_fma_f64 v[11:12], v[5:6], v[9:10], v[7:8]
	v_div_scale_f64 v[16:17], null, v[11:12], v[11:12], 1.0
	v_div_scale_f64 v[22:23], vcc_lo, 1.0, v[11:12], 1.0
	s_delay_alu instid0(VALU_DEP_2) | instskip(SKIP_2) | instid1(VALU_DEP_1)
	v_rcp_f64_e32 v[18:19], v[16:17]
	s_waitcnt_depctr 0xfff
	v_fma_f64 v[20:21], -v[16:17], v[18:19], 1.0
	v_fma_f64 v[18:19], v[18:19], v[20:21], v[18:19]
	s_delay_alu instid0(VALU_DEP_1) | instskip(NEXT) | instid1(VALU_DEP_1)
	v_fma_f64 v[20:21], -v[16:17], v[18:19], 1.0
	v_fma_f64 v[18:19], v[18:19], v[20:21], v[18:19]
	s_delay_alu instid0(VALU_DEP_1) | instskip(NEXT) | instid1(VALU_DEP_1)
	v_mul_f64 v[20:21], v[22:23], v[18:19]
	v_fma_f64 v[16:17], -v[16:17], v[20:21], v[22:23]
	s_delay_alu instid0(VALU_DEP_1) | instskip(SKIP_1) | instid1(VALU_DEP_2)
	v_div_fmas_f64 v[16:17], v[16:17], v[18:19], v[20:21]
	v_fma_f64 v[18:19], v[1:2], v[9:10], v[3:4]
	v_div_fixup_f64 v[11:12], v[16:17], v[11:12], 1.0
	v_fma_f64 v[16:17], v[3:4], v[9:10], -v[1:2]
	s_delay_alu instid0(VALU_DEP_2) | instskip(NEXT) | instid1(VALU_DEP_2)
	v_mul_f64 v[9:10], v[18:19], v[11:12]
	v_mul_f64 v[11:12], v[16:17], v[11:12]
	s_cbranch_execnz .LBB208_83
	s_branch .LBB208_89
.LBB208_88:                             ;   in Loop: Header=BB208_84 Depth=1
                                        ; implicit-def: $vgpr9_vgpr10
.LBB208_89:                             ;   in Loop: Header=BB208_84 Depth=1
	v_div_scale_f64 v[9:10], null, v[5:6], v[5:6], v[7:8]
	v_div_scale_f64 v[18:19], vcc_lo, v[7:8], v[5:6], v[7:8]
	s_delay_alu instid0(VALU_DEP_2) | instskip(SKIP_2) | instid1(VALU_DEP_1)
	v_rcp_f64_e32 v[11:12], v[9:10]
	s_waitcnt_depctr 0xfff
	v_fma_f64 v[16:17], -v[9:10], v[11:12], 1.0
	v_fma_f64 v[11:12], v[11:12], v[16:17], v[11:12]
	s_delay_alu instid0(VALU_DEP_1) | instskip(NEXT) | instid1(VALU_DEP_1)
	v_fma_f64 v[16:17], -v[9:10], v[11:12], 1.0
	v_fma_f64 v[11:12], v[11:12], v[16:17], v[11:12]
	s_delay_alu instid0(VALU_DEP_1) | instskip(NEXT) | instid1(VALU_DEP_1)
	v_mul_f64 v[16:17], v[18:19], v[11:12]
	v_fma_f64 v[9:10], -v[9:10], v[16:17], v[18:19]
	s_delay_alu instid0(VALU_DEP_1) | instskip(NEXT) | instid1(VALU_DEP_1)
	v_div_fmas_f64 v[9:10], v[9:10], v[11:12], v[16:17]
	v_div_fixup_f64 v[9:10], v[9:10], v[5:6], v[7:8]
	s_delay_alu instid0(VALU_DEP_1) | instskip(NEXT) | instid1(VALU_DEP_1)
	v_fma_f64 v[5:6], v[7:8], v[9:10], v[5:6]
	v_div_scale_f64 v[7:8], null, v[5:6], v[5:6], 1.0
	v_div_scale_f64 v[18:19], vcc_lo, 1.0, v[5:6], 1.0
	s_delay_alu instid0(VALU_DEP_2) | instskip(SKIP_2) | instid1(VALU_DEP_1)
	v_rcp_f64_e32 v[11:12], v[7:8]
	s_waitcnt_depctr 0xfff
	v_fma_f64 v[16:17], -v[7:8], v[11:12], 1.0
	v_fma_f64 v[11:12], v[11:12], v[16:17], v[11:12]
	s_delay_alu instid0(VALU_DEP_1) | instskip(NEXT) | instid1(VALU_DEP_1)
	v_fma_f64 v[16:17], -v[7:8], v[11:12], 1.0
	v_fma_f64 v[11:12], v[11:12], v[16:17], v[11:12]
	s_delay_alu instid0(VALU_DEP_1) | instskip(NEXT) | instid1(VALU_DEP_1)
	v_mul_f64 v[16:17], v[18:19], v[11:12]
	v_fma_f64 v[7:8], -v[7:8], v[16:17], v[18:19]
	s_delay_alu instid0(VALU_DEP_1) | instskip(SKIP_2) | instid1(VALU_DEP_3)
	v_div_fmas_f64 v[7:8], v[7:8], v[11:12], v[16:17]
	v_fma_f64 v[11:12], v[3:4], v[9:10], v[1:2]
	v_fma_f64 v[1:2], -v[1:2], v[9:10], v[3:4]
	v_div_fixup_f64 v[5:6], v[7:8], v[5:6], 1.0
	s_delay_alu instid0(VALU_DEP_1) | instskip(NEXT) | instid1(VALU_DEP_3)
	v_mul_f64 v[9:10], v[11:12], v[5:6]
	v_mul_f64 v[11:12], v[1:2], v[5:6]
	s_branch .LBB208_83
.LBB208_90:
	s_mov_b32 s5, 0
.LBB208_91:
	s_delay_alu instid0(SALU_CYCLE_1)
	s_and_not1_b32 vcc_lo, exec_lo, s5
	s_cbranch_vccnz .LBB208_123
; %bb.92:
	s_and_not1_b32 vcc_lo, exec_lo, s1
	s_mov_b32 s5, s30
	s_cbranch_vccnz .LBB208_114
; %bb.93:
	v_lshlrev_b32_e32 v1, 4, v0
	s_mul_i32 s1, s29, 0x90
	s_mov_b32 s4, s30
	s_addk_i32 s1, 0xfde0
	s_delay_alu instid0(VALU_DEP_1) | instskip(NEXT) | instid1(VALU_DEP_1)
	v_lshl_or_b32 v1, s29, 7, v1
	v_add_nc_u32_e32 v25, 0x300, v1
.LBB208_94:                             ; =>This Loop Header: Depth=1
                                        ;     Child Loop BB208_95 Depth 2
	s_add_i32 s6, s4, -1
	s_lshl_b32 s7, s4, 3
	s_add_i32 s5, s4, -2
	s_lshl_b32 s11, s6, 3
	v_or_b32_e32 v1, s7, v0
	s_lshl_b32 s10, s5, 3
	v_or_b32_e32 v2, s11, v0
	s_sub_i32 s7, s7, 24
	v_or_b32_e32 v3, s10, v0
	v_or_b32_e32 v4, s7, v0
	v_lshlrev_b32_e32 v13, 4, v1
	v_dual_mov_b32 v21, v25 :: v_dual_lshlrev_b32 v14, 4, v2
	s_delay_alu instid0(VALU_DEP_4) | instskip(NEXT) | instid1(VALU_DEP_4)
	v_lshlrev_b32_e32 v15, 4, v3
	v_lshlrev_b32_e32 v16, 4, v4
	ds_load_b128 v[17:20], v13 offset:1024
	ds_load_b128 v[9:12], v14 offset:1024
	;; [unrolled: 1-line block ×4, first 2 shown]
	s_cmp_le_i32 s30, s4
	s_mov_b32 s14, s1
	s_mov_b32 s15, s30
	s_cbranch_scc1 .LBB208_96
.LBB208_95:                             ;   Parent Loop BB208_94 Depth=1
                                        ; =>  This Inner Loop Header: Depth=2
	v_mov_b32_e32 v22, s14
	s_add_i32 s15, s15, -2
	s_sub_i32 s14, s14, 32
	s_cmp_le_i32 s15, s4
	ds_load_b128 v[26:29], v21 offset:128
	ds_load_b128 v[30:33], v22 offset:400
	;; [unrolled: 1-line block ×5, first 2 shown]
	ds_load_b128 v[46:49], v22
	ds_load_b128 v[50:53], v21
	ds_load_b128 v[54:57], v22 offset:384
	ds_load_b128 v[58:61], v22 offset:256
	;; [unrolled: 1-line block ×3, first 2 shown]
	v_add_nc_u32_e32 v21, 0xffffff00, v21
	s_waitcnt lgkmcnt(8)
	v_mul_f64 v[22:23], v[28:29], v[32:33]
	v_mul_f64 v[32:33], v[26:27], v[32:33]
	s_waitcnt lgkmcnt(7)
	v_mul_f64 v[66:67], v[28:29], v[36:37]
	v_mul_f64 v[36:37], v[26:27], v[36:37]
	;; [unrolled: 3-line block ×7, first 2 shown]
	v_mul_f64 v[78:79], v[52:53], v[48:49]
	v_mul_f64 v[48:49], v[50:51], v[48:49]
	v_fma_f64 v[22:23], v[26:27], v[30:31], -v[22:23]
	v_fma_f64 v[30:31], v[28:29], v[30:31], v[32:33]
	v_fma_f64 v[32:33], v[26:27], v[34:35], -v[66:67]
	v_fma_f64 v[34:35], v[28:29], v[34:35], v[36:37]
	;; [unrolled: 2-line block ×8, first 2 shown]
	v_add_f64 v[17:18], v[17:18], -v[22:23]
	v_add_f64 v[19:20], v[19:20], -v[30:31]
	;; [unrolled: 1-line block ×16, first 2 shown]
	s_cbranch_scc0 .LBB208_95
.LBB208_96:                             ;   in Loop: Header=BB208_94 Depth=1
	s_mul_i32 s14, s4, 0x90
	v_add_nc_u32_e32 v29, 0x400, v13
	v_dual_mov_b32 v13, s14 :: v_dual_add_nc_u32 v28, 0x400, v14
	v_add_nc_u32_e32 v27, 0x400, v15
	ds_load_b128 v[21:24], v13
	s_waitcnt lgkmcnt(0)
	v_dual_mov_b32 v13, v21 :: v_dual_add_nc_u32 v26, 0x400, v16
	v_cmp_gt_f64_e32 vcc_lo, 0, v[21:22]
	v_xor_b32_e32 v14, 0x80000000, v22
	v_xor_b32_e32 v15, 0x80000000, v24
	s_delay_alu instid0(VALU_DEP_2) | instskip(SKIP_1) | instid1(VALU_DEP_3)
	v_cndmask_b32_e32 v14, v22, v14, vcc_lo
	v_cmp_gt_f64_e32 vcc_lo, 0, v[23:24]
	v_dual_cndmask_b32 v16, v24, v15 :: v_dual_mov_b32 v15, v23
	s_delay_alu instid0(VALU_DEP_1)
	v_cmp_ngt_f64_e32 vcc_lo, v[13:14], v[15:16]
	s_cbranch_vccz .LBB208_98
; %bb.97:                               ;   in Loop: Header=BB208_94 Depth=1
	v_div_scale_f64 v[13:14], null, v[23:24], v[23:24], v[21:22]
	v_div_scale_f64 v[32:33], vcc_lo, v[21:22], v[23:24], v[21:22]
	s_delay_alu instid0(VALU_DEP_2) | instskip(SKIP_2) | instid1(VALU_DEP_1)
	v_rcp_f64_e32 v[15:16], v[13:14]
	s_waitcnt_depctr 0xfff
	v_fma_f64 v[30:31], -v[13:14], v[15:16], 1.0
	v_fma_f64 v[15:16], v[15:16], v[30:31], v[15:16]
	s_delay_alu instid0(VALU_DEP_1) | instskip(NEXT) | instid1(VALU_DEP_1)
	v_fma_f64 v[30:31], -v[13:14], v[15:16], 1.0
	v_fma_f64 v[15:16], v[15:16], v[30:31], v[15:16]
	s_delay_alu instid0(VALU_DEP_1) | instskip(NEXT) | instid1(VALU_DEP_1)
	v_mul_f64 v[30:31], v[32:33], v[15:16]
	v_fma_f64 v[13:14], -v[13:14], v[30:31], v[32:33]
	s_delay_alu instid0(VALU_DEP_1) | instskip(NEXT) | instid1(VALU_DEP_1)
	v_div_fmas_f64 v[13:14], v[13:14], v[15:16], v[30:31]
	v_div_fixup_f64 v[13:14], v[13:14], v[23:24], v[21:22]
	s_delay_alu instid0(VALU_DEP_1) | instskip(NEXT) | instid1(VALU_DEP_1)
	v_fma_f64 v[15:16], v[21:22], v[13:14], v[23:24]
	v_div_scale_f64 v[30:31], null, v[15:16], v[15:16], 1.0
	v_div_scale_f64 v[36:37], vcc_lo, 1.0, v[15:16], 1.0
	s_delay_alu instid0(VALU_DEP_2) | instskip(SKIP_2) | instid1(VALU_DEP_1)
	v_rcp_f64_e32 v[32:33], v[30:31]
	s_waitcnt_depctr 0xfff
	v_fma_f64 v[34:35], -v[30:31], v[32:33], 1.0
	v_fma_f64 v[32:33], v[32:33], v[34:35], v[32:33]
	s_delay_alu instid0(VALU_DEP_1) | instskip(NEXT) | instid1(VALU_DEP_1)
	v_fma_f64 v[34:35], -v[30:31], v[32:33], 1.0
	v_fma_f64 v[32:33], v[32:33], v[34:35], v[32:33]
	s_delay_alu instid0(VALU_DEP_1) | instskip(NEXT) | instid1(VALU_DEP_1)
	v_mul_f64 v[34:35], v[36:37], v[32:33]
	v_fma_f64 v[30:31], -v[30:31], v[34:35], v[36:37]
	s_delay_alu instid0(VALU_DEP_1) | instskip(SKIP_1) | instid1(VALU_DEP_2)
	v_div_fmas_f64 v[30:31], v[30:31], v[32:33], v[34:35]
	v_fma_f64 v[32:33], v[17:18], v[13:14], v[19:20]
	v_div_fixup_f64 v[15:16], v[30:31], v[15:16], 1.0
	v_fma_f64 v[30:31], v[19:20], v[13:14], -v[17:18]
	s_delay_alu instid0(VALU_DEP_2) | instskip(NEXT) | instid1(VALU_DEP_2)
	v_mul_f64 v[13:14], v[32:33], v[15:16]
	v_mul_f64 v[15:16], v[30:31], v[15:16]
	s_cbranch_execz .LBB208_99
	s_branch .LBB208_100
.LBB208_98:                             ;   in Loop: Header=BB208_94 Depth=1
                                        ; implicit-def: $vgpr15_vgpr16
.LBB208_99:                             ;   in Loop: Header=BB208_94 Depth=1
	v_div_scale_f64 v[13:14], null, v[21:22], v[21:22], v[23:24]
	v_div_scale_f64 v[32:33], vcc_lo, v[23:24], v[21:22], v[23:24]
	s_delay_alu instid0(VALU_DEP_2) | instskip(SKIP_2) | instid1(VALU_DEP_1)
	v_rcp_f64_e32 v[15:16], v[13:14]
	s_waitcnt_depctr 0xfff
	v_fma_f64 v[30:31], -v[13:14], v[15:16], 1.0
	v_fma_f64 v[15:16], v[15:16], v[30:31], v[15:16]
	s_delay_alu instid0(VALU_DEP_1) | instskip(NEXT) | instid1(VALU_DEP_1)
	v_fma_f64 v[30:31], -v[13:14], v[15:16], 1.0
	v_fma_f64 v[15:16], v[15:16], v[30:31], v[15:16]
	s_delay_alu instid0(VALU_DEP_1) | instskip(NEXT) | instid1(VALU_DEP_1)
	v_mul_f64 v[30:31], v[32:33], v[15:16]
	v_fma_f64 v[13:14], -v[13:14], v[30:31], v[32:33]
	s_delay_alu instid0(VALU_DEP_1) | instskip(NEXT) | instid1(VALU_DEP_1)
	v_div_fmas_f64 v[13:14], v[13:14], v[15:16], v[30:31]
	v_div_fixup_f64 v[13:14], v[13:14], v[21:22], v[23:24]
	s_delay_alu instid0(VALU_DEP_1) | instskip(NEXT) | instid1(VALU_DEP_1)
	v_fma_f64 v[15:16], v[23:24], v[13:14], v[21:22]
	v_div_scale_f64 v[21:22], null, v[15:16], v[15:16], 1.0
	v_div_scale_f64 v[32:33], vcc_lo, 1.0, v[15:16], 1.0
	s_delay_alu instid0(VALU_DEP_2) | instskip(SKIP_2) | instid1(VALU_DEP_1)
	v_rcp_f64_e32 v[23:24], v[21:22]
	s_waitcnt_depctr 0xfff
	v_fma_f64 v[30:31], -v[21:22], v[23:24], 1.0
	v_fma_f64 v[23:24], v[23:24], v[30:31], v[23:24]
	s_delay_alu instid0(VALU_DEP_1) | instskip(NEXT) | instid1(VALU_DEP_1)
	v_fma_f64 v[30:31], -v[21:22], v[23:24], 1.0
	v_fma_f64 v[23:24], v[23:24], v[30:31], v[23:24]
	s_delay_alu instid0(VALU_DEP_1) | instskip(NEXT) | instid1(VALU_DEP_1)
	v_mul_f64 v[30:31], v[32:33], v[23:24]
	v_fma_f64 v[21:22], -v[21:22], v[30:31], v[32:33]
	s_delay_alu instid0(VALU_DEP_1) | instskip(SKIP_2) | instid1(VALU_DEP_3)
	v_div_fmas_f64 v[21:22], v[21:22], v[23:24], v[30:31]
	v_fma_f64 v[23:24], v[19:20], v[13:14], v[17:18]
	v_fma_f64 v[17:18], -v[17:18], v[13:14], v[19:20]
	v_div_fixup_f64 v[15:16], v[21:22], v[15:16], 1.0
	s_delay_alu instid0(VALU_DEP_1) | instskip(NEXT) | instid1(VALU_DEP_3)
	v_mul_f64 v[13:14], v[23:24], v[15:16]
	v_mul_f64 v[15:16], v[17:18], v[15:16]
.LBB208_100:                            ;   in Loop: Header=BB208_94 Depth=1
	s_add_i32 s11, s11, s4
	ds_store_b128 v29, v[13:16]
	s_lshl_b32 s11, s11, 4
	s_delay_alu instid0(SALU_CYCLE_1)
	v_mov_b32_e32 v17, s11
	s_add_i32 s11, s14, 0xffffff70
	ds_load_b128 v[21:24], v17
	v_mov_b32_e32 v17, s11
	ds_load_b128 v[17:20], v17
	s_waitcnt lgkmcnt(1)
	v_mul_f64 v[30:31], v[15:16], v[23:24]
	v_mul_f64 v[23:24], v[13:14], v[23:24]
	s_waitcnt lgkmcnt(0)
	v_cmp_gt_f64_e32 vcc_lo, 0, v[17:18]
	v_xor_b32_e32 v33, 0x80000000, v20
	v_mov_b32_e32 v32, v19
	v_fma_f64 v[30:31], v[13:14], v[21:22], -v[30:31]
	v_fma_f64 v[23:24], v[15:16], v[21:22], v[23:24]
	v_xor_b32_e32 v22, 0x80000000, v18
	s_delay_alu instid0(VALU_DEP_1) | instskip(SKIP_1) | instid1(VALU_DEP_4)
	v_dual_mov_b32 v21, v17 :: v_dual_cndmask_b32 v22, v18, v22
	v_cmp_gt_f64_e32 vcc_lo, 0, v[19:20]
	v_add_f64 v[23:24], v[11:12], -v[23:24]
	v_cndmask_b32_e32 v33, v20, v33, vcc_lo
	s_delay_alu instid0(VALU_DEP_1)
	v_cmp_ngt_f64_e32 vcc_lo, v[21:22], v[32:33]
	v_add_f64 v[21:22], v[9:10], -v[30:31]
	s_cbranch_vccz .LBB208_102
; %bb.101:                              ;   in Loop: Header=BB208_94 Depth=1
	v_div_scale_f64 v[9:10], null, v[19:20], v[19:20], v[17:18]
	v_div_scale_f64 v[31:32], vcc_lo, v[17:18], v[19:20], v[17:18]
	s_delay_alu instid0(VALU_DEP_2) | instskip(SKIP_2) | instid1(VALU_DEP_1)
	v_rcp_f64_e32 v[11:12], v[9:10]
	s_waitcnt_depctr 0xfff
	v_fma_f64 v[29:30], -v[9:10], v[11:12], 1.0
	v_fma_f64 v[11:12], v[11:12], v[29:30], v[11:12]
	s_delay_alu instid0(VALU_DEP_1) | instskip(NEXT) | instid1(VALU_DEP_1)
	v_fma_f64 v[29:30], -v[9:10], v[11:12], 1.0
	v_fma_f64 v[11:12], v[11:12], v[29:30], v[11:12]
	s_delay_alu instid0(VALU_DEP_1) | instskip(NEXT) | instid1(VALU_DEP_1)
	v_mul_f64 v[29:30], v[31:32], v[11:12]
	v_fma_f64 v[9:10], -v[9:10], v[29:30], v[31:32]
	s_delay_alu instid0(VALU_DEP_1) | instskip(NEXT) | instid1(VALU_DEP_1)
	v_div_fmas_f64 v[9:10], v[9:10], v[11:12], v[29:30]
	v_div_fixup_f64 v[9:10], v[9:10], v[19:20], v[17:18]
	s_delay_alu instid0(VALU_DEP_1) | instskip(NEXT) | instid1(VALU_DEP_1)
	v_fma_f64 v[11:12], v[17:18], v[9:10], v[19:20]
	v_div_scale_f64 v[29:30], null, v[11:12], v[11:12], 1.0
	v_div_scale_f64 v[35:36], vcc_lo, 1.0, v[11:12], 1.0
	s_delay_alu instid0(VALU_DEP_2) | instskip(SKIP_2) | instid1(VALU_DEP_1)
	v_rcp_f64_e32 v[31:32], v[29:30]
	s_waitcnt_depctr 0xfff
	v_fma_f64 v[33:34], -v[29:30], v[31:32], 1.0
	v_fma_f64 v[31:32], v[31:32], v[33:34], v[31:32]
	s_delay_alu instid0(VALU_DEP_1) | instskip(NEXT) | instid1(VALU_DEP_1)
	v_fma_f64 v[33:34], -v[29:30], v[31:32], 1.0
	v_fma_f64 v[31:32], v[31:32], v[33:34], v[31:32]
	s_delay_alu instid0(VALU_DEP_1) | instskip(NEXT) | instid1(VALU_DEP_1)
	v_mul_f64 v[33:34], v[35:36], v[31:32]
	v_fma_f64 v[29:30], -v[29:30], v[33:34], v[35:36]
	s_delay_alu instid0(VALU_DEP_1) | instskip(SKIP_1) | instid1(VALU_DEP_2)
	v_div_fmas_f64 v[29:30], v[29:30], v[31:32], v[33:34]
	v_fma_f64 v[31:32], v[9:10], v[21:22], v[23:24]
	v_div_fixup_f64 v[11:12], v[29:30], v[11:12], 1.0
	v_fma_f64 v[29:30], v[9:10], v[23:24], -v[21:22]
	s_delay_alu instid0(VALU_DEP_2) | instskip(NEXT) | instid1(VALU_DEP_2)
	v_mul_f64 v[9:10], v[31:32], v[11:12]
	v_mul_f64 v[11:12], v[29:30], v[11:12]
	s_cbranch_execz .LBB208_103
	s_branch .LBB208_104
.LBB208_102:                            ;   in Loop: Header=BB208_94 Depth=1
                                        ; implicit-def: $vgpr11_vgpr12
.LBB208_103:                            ;   in Loop: Header=BB208_94 Depth=1
	v_div_scale_f64 v[9:10], null, v[17:18], v[17:18], v[19:20]
	v_div_scale_f64 v[31:32], vcc_lo, v[19:20], v[17:18], v[19:20]
	s_delay_alu instid0(VALU_DEP_2) | instskip(SKIP_2) | instid1(VALU_DEP_1)
	v_rcp_f64_e32 v[11:12], v[9:10]
	s_waitcnt_depctr 0xfff
	v_fma_f64 v[29:30], -v[9:10], v[11:12], 1.0
	v_fma_f64 v[11:12], v[11:12], v[29:30], v[11:12]
	s_delay_alu instid0(VALU_DEP_1) | instskip(NEXT) | instid1(VALU_DEP_1)
	v_fma_f64 v[29:30], -v[9:10], v[11:12], 1.0
	v_fma_f64 v[11:12], v[11:12], v[29:30], v[11:12]
	s_delay_alu instid0(VALU_DEP_1) | instskip(NEXT) | instid1(VALU_DEP_1)
	v_mul_f64 v[29:30], v[31:32], v[11:12]
	v_fma_f64 v[9:10], -v[9:10], v[29:30], v[31:32]
	s_delay_alu instid0(VALU_DEP_1) | instskip(NEXT) | instid1(VALU_DEP_1)
	v_div_fmas_f64 v[9:10], v[9:10], v[11:12], v[29:30]
	v_div_fixup_f64 v[9:10], v[9:10], v[17:18], v[19:20]
	s_delay_alu instid0(VALU_DEP_1) | instskip(NEXT) | instid1(VALU_DEP_1)
	v_fma_f64 v[11:12], v[19:20], v[9:10], v[17:18]
	v_div_scale_f64 v[17:18], null, v[11:12], v[11:12], 1.0
	v_div_scale_f64 v[31:32], vcc_lo, 1.0, v[11:12], 1.0
	s_delay_alu instid0(VALU_DEP_2) | instskip(SKIP_2) | instid1(VALU_DEP_1)
	v_rcp_f64_e32 v[19:20], v[17:18]
	s_waitcnt_depctr 0xfff
	v_fma_f64 v[29:30], -v[17:18], v[19:20], 1.0
	v_fma_f64 v[19:20], v[19:20], v[29:30], v[19:20]
	s_delay_alu instid0(VALU_DEP_1) | instskip(NEXT) | instid1(VALU_DEP_1)
	v_fma_f64 v[29:30], -v[17:18], v[19:20], 1.0
	v_fma_f64 v[19:20], v[19:20], v[29:30], v[19:20]
	s_delay_alu instid0(VALU_DEP_1) | instskip(NEXT) | instid1(VALU_DEP_1)
	v_mul_f64 v[29:30], v[31:32], v[19:20]
	v_fma_f64 v[17:18], -v[17:18], v[29:30], v[31:32]
	s_delay_alu instid0(VALU_DEP_1) | instskip(SKIP_1) | instid1(VALU_DEP_2)
	v_div_fmas_f64 v[17:18], v[17:18], v[19:20], v[29:30]
	v_fma_f64 v[19:20], v[9:10], v[23:24], v[21:22]
	v_div_fixup_f64 v[11:12], v[17:18], v[11:12], 1.0
	v_fma_f64 v[17:18], -v[9:10], v[21:22], v[23:24]
	s_delay_alu instid0(VALU_DEP_2) | instskip(NEXT) | instid1(VALU_DEP_2)
	v_mul_f64 v[9:10], v[19:20], v[11:12]
	v_mul_f64 v[11:12], v[17:18], v[11:12]
.LBB208_104:                            ;   in Loop: Header=BB208_94 Depth=1
	s_add_i32 s14, s10, s4
	s_add_i32 s10, s10, s6
	s_lshl_b32 s14, s14, 4
	s_lshl_b32 s10, s10, 4
	v_mov_b32_e32 v17, s14
	v_mov_b32_e32 v21, s10
	s_add_i32 s10, s11, 0xffffff70
	ds_store_b128 v28, v[9:12]
	ds_load_b128 v[17:20], v17
	ds_load_b128 v[21:24], v21
	s_waitcnt lgkmcnt(1)
	v_mul_f64 v[29:30], v[15:16], v[19:20]
	v_mul_f64 v[19:20], v[13:14], v[19:20]
	s_waitcnt lgkmcnt(0)
	v_mul_f64 v[31:32], v[11:12], v[23:24]
	v_mul_f64 v[23:24], v[9:10], v[23:24]
	s_delay_alu instid0(VALU_DEP_4) | instskip(NEXT) | instid1(VALU_DEP_4)
	v_fma_f64 v[29:30], v[13:14], v[17:18], -v[29:30]
	v_fma_f64 v[17:18], v[15:16], v[17:18], v[19:20]
	v_mov_b32_e32 v19, s10
	v_fma_f64 v[31:32], v[9:10], v[21:22], -v[31:32]
	v_fma_f64 v[23:24], v[11:12], v[21:22], v[23:24]
	v_add_f64 v[5:6], v[5:6], -v[29:30]
	v_add_f64 v[7:8], v[7:8], -v[17:18]
	ds_load_b128 v[17:20], v19
	s_waitcnt lgkmcnt(0)
	v_cmp_gt_f64_e32 vcc_lo, 0, v[17:18]
	v_xor_b32_e32 v22, 0x80000000, v18
	v_xor_b32_e32 v30, 0x80000000, v20
	v_mov_b32_e32 v21, v17
	v_mov_b32_e32 v29, v19
	v_add_f64 v[23:24], v[7:8], -v[23:24]
	v_cndmask_b32_e32 v22, v18, v22, vcc_lo
	v_cmp_gt_f64_e32 vcc_lo, 0, v[19:20]
	v_cndmask_b32_e32 v30, v20, v30, vcc_lo
	s_delay_alu instid0(VALU_DEP_1)
	v_cmp_ngt_f64_e32 vcc_lo, v[21:22], v[29:30]
	v_add_f64 v[21:22], v[5:6], -v[31:32]
	s_cbranch_vccz .LBB208_106
; %bb.105:                              ;   in Loop: Header=BB208_94 Depth=1
	v_div_scale_f64 v[5:6], null, v[19:20], v[19:20], v[17:18]
	v_div_scale_f64 v[30:31], vcc_lo, v[17:18], v[19:20], v[17:18]
	s_delay_alu instid0(VALU_DEP_2) | instskip(SKIP_2) | instid1(VALU_DEP_1)
	v_rcp_f64_e32 v[7:8], v[5:6]
	s_waitcnt_depctr 0xfff
	v_fma_f64 v[28:29], -v[5:6], v[7:8], 1.0
	v_fma_f64 v[7:8], v[7:8], v[28:29], v[7:8]
	s_delay_alu instid0(VALU_DEP_1) | instskip(NEXT) | instid1(VALU_DEP_1)
	v_fma_f64 v[28:29], -v[5:6], v[7:8], 1.0
	v_fma_f64 v[7:8], v[7:8], v[28:29], v[7:8]
	s_delay_alu instid0(VALU_DEP_1) | instskip(NEXT) | instid1(VALU_DEP_1)
	v_mul_f64 v[28:29], v[30:31], v[7:8]
	v_fma_f64 v[5:6], -v[5:6], v[28:29], v[30:31]
	s_delay_alu instid0(VALU_DEP_1) | instskip(NEXT) | instid1(VALU_DEP_1)
	v_div_fmas_f64 v[5:6], v[5:6], v[7:8], v[28:29]
	v_div_fixup_f64 v[5:6], v[5:6], v[19:20], v[17:18]
	s_delay_alu instid0(VALU_DEP_1) | instskip(NEXT) | instid1(VALU_DEP_1)
	v_fma_f64 v[7:8], v[17:18], v[5:6], v[19:20]
	v_div_scale_f64 v[28:29], null, v[7:8], v[7:8], 1.0
	v_div_scale_f64 v[34:35], vcc_lo, 1.0, v[7:8], 1.0
	s_delay_alu instid0(VALU_DEP_2) | instskip(SKIP_2) | instid1(VALU_DEP_1)
	v_rcp_f64_e32 v[30:31], v[28:29]
	s_waitcnt_depctr 0xfff
	v_fma_f64 v[32:33], -v[28:29], v[30:31], 1.0
	v_fma_f64 v[30:31], v[30:31], v[32:33], v[30:31]
	s_delay_alu instid0(VALU_DEP_1) | instskip(NEXT) | instid1(VALU_DEP_1)
	v_fma_f64 v[32:33], -v[28:29], v[30:31], 1.0
	v_fma_f64 v[30:31], v[30:31], v[32:33], v[30:31]
	s_delay_alu instid0(VALU_DEP_1) | instskip(NEXT) | instid1(VALU_DEP_1)
	v_mul_f64 v[32:33], v[34:35], v[30:31]
	v_fma_f64 v[28:29], -v[28:29], v[32:33], v[34:35]
	s_delay_alu instid0(VALU_DEP_1) | instskip(SKIP_1) | instid1(VALU_DEP_2)
	v_div_fmas_f64 v[28:29], v[28:29], v[30:31], v[32:33]
	v_fma_f64 v[30:31], v[5:6], v[21:22], v[23:24]
	v_div_fixup_f64 v[7:8], v[28:29], v[7:8], 1.0
	v_fma_f64 v[28:29], v[5:6], v[23:24], -v[21:22]
	s_delay_alu instid0(VALU_DEP_2) | instskip(NEXT) | instid1(VALU_DEP_2)
	v_mul_f64 v[5:6], v[30:31], v[7:8]
	v_mul_f64 v[7:8], v[28:29], v[7:8]
	s_cbranch_execz .LBB208_107
	s_branch .LBB208_108
.LBB208_106:                            ;   in Loop: Header=BB208_94 Depth=1
                                        ; implicit-def: $vgpr7_vgpr8
.LBB208_107:                            ;   in Loop: Header=BB208_94 Depth=1
	v_div_scale_f64 v[5:6], null, v[17:18], v[17:18], v[19:20]
	v_div_scale_f64 v[30:31], vcc_lo, v[19:20], v[17:18], v[19:20]
	s_delay_alu instid0(VALU_DEP_2) | instskip(SKIP_2) | instid1(VALU_DEP_1)
	v_rcp_f64_e32 v[7:8], v[5:6]
	s_waitcnt_depctr 0xfff
	v_fma_f64 v[28:29], -v[5:6], v[7:8], 1.0
	v_fma_f64 v[7:8], v[7:8], v[28:29], v[7:8]
	s_delay_alu instid0(VALU_DEP_1) | instskip(NEXT) | instid1(VALU_DEP_1)
	v_fma_f64 v[28:29], -v[5:6], v[7:8], 1.0
	v_fma_f64 v[7:8], v[7:8], v[28:29], v[7:8]
	s_delay_alu instid0(VALU_DEP_1) | instskip(NEXT) | instid1(VALU_DEP_1)
	v_mul_f64 v[28:29], v[30:31], v[7:8]
	v_fma_f64 v[5:6], -v[5:6], v[28:29], v[30:31]
	s_delay_alu instid0(VALU_DEP_1) | instskip(NEXT) | instid1(VALU_DEP_1)
	v_div_fmas_f64 v[5:6], v[5:6], v[7:8], v[28:29]
	v_div_fixup_f64 v[5:6], v[5:6], v[17:18], v[19:20]
	s_delay_alu instid0(VALU_DEP_1) | instskip(NEXT) | instid1(VALU_DEP_1)
	v_fma_f64 v[7:8], v[19:20], v[5:6], v[17:18]
	v_div_scale_f64 v[17:18], null, v[7:8], v[7:8], 1.0
	v_div_scale_f64 v[30:31], vcc_lo, 1.0, v[7:8], 1.0
	s_delay_alu instid0(VALU_DEP_2) | instskip(SKIP_2) | instid1(VALU_DEP_1)
	v_rcp_f64_e32 v[19:20], v[17:18]
	s_waitcnt_depctr 0xfff
	v_fma_f64 v[28:29], -v[17:18], v[19:20], 1.0
	v_fma_f64 v[19:20], v[19:20], v[28:29], v[19:20]
	s_delay_alu instid0(VALU_DEP_1) | instskip(NEXT) | instid1(VALU_DEP_1)
	v_fma_f64 v[28:29], -v[17:18], v[19:20], 1.0
	v_fma_f64 v[19:20], v[19:20], v[28:29], v[19:20]
	s_delay_alu instid0(VALU_DEP_1) | instskip(NEXT) | instid1(VALU_DEP_1)
	v_mul_f64 v[28:29], v[30:31], v[19:20]
	v_fma_f64 v[17:18], -v[17:18], v[28:29], v[30:31]
	s_delay_alu instid0(VALU_DEP_1) | instskip(SKIP_1) | instid1(VALU_DEP_2)
	v_div_fmas_f64 v[17:18], v[17:18], v[19:20], v[28:29]
	v_fma_f64 v[19:20], v[5:6], v[23:24], v[21:22]
	v_div_fixup_f64 v[7:8], v[17:18], v[7:8], 1.0
	v_fma_f64 v[17:18], -v[5:6], v[21:22], v[23:24]
	s_delay_alu instid0(VALU_DEP_2) | instskip(NEXT) | instid1(VALU_DEP_2)
	v_mul_f64 v[5:6], v[19:20], v[7:8]
	v_mul_f64 v[7:8], v[17:18], v[7:8]
.LBB208_108:                            ;   in Loop: Header=BB208_94 Depth=1
	s_add_i32 s11, s7, s4
	s_add_i32 s6, s7, s6
	s_lshl_b32 s11, s11, 4
	s_lshl_b32 s6, s6, 4
	v_mov_b32_e32 v17, s11
	v_mov_b32_e32 v21, s6
	s_add_i32 s7, s7, s5
	ds_store_b128 v27, v[5:8]
	s_lshl_b32 s5, s7, 4
	ds_load_b128 v[17:20], v17
	ds_load_b128 v[21:24], v21
	s_waitcnt lgkmcnt(1)
	v_mul_f64 v[28:29], v[15:16], v[19:20]
	v_mul_f64 v[19:20], v[13:14], v[19:20]
	s_delay_alu instid0(VALU_DEP_2) | instskip(SKIP_1) | instid1(VALU_DEP_3)
	v_fma_f64 v[28:29], v[13:14], v[17:18], -v[28:29]
	v_mov_b32_e32 v13, s5
	v_fma_f64 v[32:33], v[15:16], v[17:18], v[19:20]
	s_add_i32 s5, s10, 0xffffff70
	ds_load_b128 v[17:20], v13
	s_waitcnt lgkmcnt(1)
	v_mul_f64 v[30:31], v[11:12], v[23:24]
	v_mul_f64 v[23:24], v[9:10], v[23:24]
	v_mov_b32_e32 v13, s5
	ds_load_b128 v[13:16], v13
	s_waitcnt lgkmcnt(1)
	v_mul_f64 v[34:35], v[7:8], v[19:20]
	v_mul_f64 v[19:20], v[5:6], v[19:20]
	s_waitcnt lgkmcnt(0)
	v_cmp_gt_f64_e32 vcc_lo, 0, v[13:14]
	v_add_f64 v[1:2], v[1:2], -v[28:29]
	v_add_f64 v[3:4], v[3:4], -v[32:33]
	v_fma_f64 v[9:10], v[9:10], v[21:22], -v[30:31]
	v_fma_f64 v[11:12], v[11:12], v[21:22], v[23:24]
	v_fma_f64 v[21:22], v[5:6], v[17:18], -v[34:35]
	v_fma_f64 v[17:18], v[7:8], v[17:18], v[19:20]
	s_delay_alu instid0(VALU_DEP_4) | instskip(SKIP_4) | instid1(VALU_DEP_4)
	v_add_f64 v[1:2], v[1:2], -v[9:10]
	v_xor_b32_e32 v10, 0x80000000, v14
	v_add_f64 v[3:4], v[3:4], -v[11:12]
	v_xor_b32_e32 v12, 0x80000000, v16
	v_mov_b32_e32 v9, v13
	v_dual_mov_b32 v11, v15 :: v_dual_cndmask_b32 v10, v14, v10
	v_cmp_gt_f64_e32 vcc_lo, 0, v[15:16]
	s_delay_alu instid0(VALU_DEP_4) | instskip(NEXT) | instid1(VALU_DEP_1)
	v_cndmask_b32_e32 v12, v16, v12, vcc_lo
	v_cmp_ngt_f64_e32 vcc_lo, v[9:10], v[11:12]
	v_add_f64 v[9:10], v[1:2], -v[21:22]
	v_add_f64 v[11:12], v[3:4], -v[17:18]
	s_cbranch_vccz .LBB208_110
; %bb.109:                              ;   in Loop: Header=BB208_94 Depth=1
	v_div_scale_f64 v[1:2], null, v[15:16], v[15:16], v[13:14]
	v_div_scale_f64 v[7:8], vcc_lo, v[13:14], v[15:16], v[13:14]
	s_delay_alu instid0(VALU_DEP_2) | instskip(SKIP_2) | instid1(VALU_DEP_1)
	v_rcp_f64_e32 v[3:4], v[1:2]
	s_waitcnt_depctr 0xfff
	v_fma_f64 v[5:6], -v[1:2], v[3:4], 1.0
	v_fma_f64 v[3:4], v[3:4], v[5:6], v[3:4]
	s_delay_alu instid0(VALU_DEP_1) | instskip(NEXT) | instid1(VALU_DEP_1)
	v_fma_f64 v[5:6], -v[1:2], v[3:4], 1.0
	v_fma_f64 v[3:4], v[3:4], v[5:6], v[3:4]
	s_delay_alu instid0(VALU_DEP_1) | instskip(NEXT) | instid1(VALU_DEP_1)
	v_mul_f64 v[5:6], v[7:8], v[3:4]
	v_fma_f64 v[1:2], -v[1:2], v[5:6], v[7:8]
	s_delay_alu instid0(VALU_DEP_1) | instskip(NEXT) | instid1(VALU_DEP_1)
	v_div_fmas_f64 v[1:2], v[1:2], v[3:4], v[5:6]
	v_div_fixup_f64 v[1:2], v[1:2], v[15:16], v[13:14]
	s_delay_alu instid0(VALU_DEP_1) | instskip(NEXT) | instid1(VALU_DEP_1)
	v_fma_f64 v[3:4], v[13:14], v[1:2], v[15:16]
	v_div_scale_f64 v[5:6], null, v[3:4], v[3:4], 1.0
	v_div_scale_f64 v[19:20], vcc_lo, 1.0, v[3:4], 1.0
	s_delay_alu instid0(VALU_DEP_2) | instskip(SKIP_2) | instid1(VALU_DEP_1)
	v_rcp_f64_e32 v[7:8], v[5:6]
	s_waitcnt_depctr 0xfff
	v_fma_f64 v[17:18], -v[5:6], v[7:8], 1.0
	v_fma_f64 v[7:8], v[7:8], v[17:18], v[7:8]
	s_delay_alu instid0(VALU_DEP_1) | instskip(NEXT) | instid1(VALU_DEP_1)
	v_fma_f64 v[17:18], -v[5:6], v[7:8], 1.0
	v_fma_f64 v[7:8], v[7:8], v[17:18], v[7:8]
	s_delay_alu instid0(VALU_DEP_1) | instskip(NEXT) | instid1(VALU_DEP_1)
	v_mul_f64 v[17:18], v[19:20], v[7:8]
	v_fma_f64 v[5:6], -v[5:6], v[17:18], v[19:20]
	s_delay_alu instid0(VALU_DEP_1) | instskip(SKIP_1) | instid1(VALU_DEP_2)
	v_div_fmas_f64 v[5:6], v[5:6], v[7:8], v[17:18]
	v_fma_f64 v[7:8], v[1:2], v[9:10], v[11:12]
	v_div_fixup_f64 v[3:4], v[5:6], v[3:4], 1.0
	v_fma_f64 v[5:6], v[1:2], v[11:12], -v[9:10]
	s_delay_alu instid0(VALU_DEP_2) | instskip(NEXT) | instid1(VALU_DEP_2)
	v_mul_f64 v[1:2], v[7:8], v[3:4]
	v_mul_f64 v[3:4], v[5:6], v[3:4]
	s_cbranch_execz .LBB208_111
	s_branch .LBB208_112
.LBB208_110:                            ;   in Loop: Header=BB208_94 Depth=1
                                        ; implicit-def: $vgpr3_vgpr4
.LBB208_111:                            ;   in Loop: Header=BB208_94 Depth=1
	v_div_scale_f64 v[1:2], null, v[13:14], v[13:14], v[15:16]
	v_div_scale_f64 v[7:8], vcc_lo, v[15:16], v[13:14], v[15:16]
	s_delay_alu instid0(VALU_DEP_2) | instskip(SKIP_2) | instid1(VALU_DEP_1)
	v_rcp_f64_e32 v[3:4], v[1:2]
	s_waitcnt_depctr 0xfff
	v_fma_f64 v[5:6], -v[1:2], v[3:4], 1.0
	v_fma_f64 v[3:4], v[3:4], v[5:6], v[3:4]
	s_delay_alu instid0(VALU_DEP_1) | instskip(NEXT) | instid1(VALU_DEP_1)
	v_fma_f64 v[5:6], -v[1:2], v[3:4], 1.0
	v_fma_f64 v[3:4], v[3:4], v[5:6], v[3:4]
	s_delay_alu instid0(VALU_DEP_1) | instskip(NEXT) | instid1(VALU_DEP_1)
	v_mul_f64 v[5:6], v[7:8], v[3:4]
	v_fma_f64 v[1:2], -v[1:2], v[5:6], v[7:8]
	s_delay_alu instid0(VALU_DEP_1) | instskip(NEXT) | instid1(VALU_DEP_1)
	v_div_fmas_f64 v[1:2], v[1:2], v[3:4], v[5:6]
	v_div_fixup_f64 v[1:2], v[1:2], v[13:14], v[15:16]
	s_delay_alu instid0(VALU_DEP_1) | instskip(NEXT) | instid1(VALU_DEP_1)
	v_fma_f64 v[3:4], v[15:16], v[1:2], v[13:14]
	v_div_scale_f64 v[5:6], null, v[3:4], v[3:4], 1.0
	v_div_scale_f64 v[15:16], vcc_lo, 1.0, v[3:4], 1.0
	s_delay_alu instid0(VALU_DEP_2) | instskip(SKIP_2) | instid1(VALU_DEP_1)
	v_rcp_f64_e32 v[7:8], v[5:6]
	s_waitcnt_depctr 0xfff
	v_fma_f64 v[13:14], -v[5:6], v[7:8], 1.0
	v_fma_f64 v[7:8], v[7:8], v[13:14], v[7:8]
	s_delay_alu instid0(VALU_DEP_1) | instskip(NEXT) | instid1(VALU_DEP_1)
	v_fma_f64 v[13:14], -v[5:6], v[7:8], 1.0
	v_fma_f64 v[7:8], v[7:8], v[13:14], v[7:8]
	s_delay_alu instid0(VALU_DEP_1) | instskip(NEXT) | instid1(VALU_DEP_1)
	v_mul_f64 v[13:14], v[15:16], v[7:8]
	v_fma_f64 v[5:6], -v[5:6], v[13:14], v[15:16]
	s_delay_alu instid0(VALU_DEP_1) | instskip(SKIP_1) | instid1(VALU_DEP_2)
	v_div_fmas_f64 v[5:6], v[5:6], v[7:8], v[13:14]
	v_fma_f64 v[7:8], v[1:2], v[11:12], v[9:10]
	v_div_fixup_f64 v[3:4], v[5:6], v[3:4], 1.0
	v_fma_f64 v[5:6], -v[1:2], v[9:10], v[11:12]
	s_delay_alu instid0(VALU_DEP_2) | instskip(NEXT) | instid1(VALU_DEP_2)
	v_mul_f64 v[1:2], v[7:8], v[3:4]
	v_mul_f64 v[3:4], v[5:6], v[3:4]
.LBB208_112:                            ;   in Loop: Header=BB208_94 Depth=1
	s_add_i32 s5, s4, -4
	s_addk_i32 s1, 0xfe00
	s_cmp_lt_i32 s4, 7
	ds_store_b128 v26, v[1:4]
	s_cbranch_scc1 .LBB208_114
; %bb.113:                              ;   in Loop: Header=BB208_94 Depth=1
	s_mov_b32 s4, s5
	s_branch .LBB208_94
.LBB208_114:
	s_cmp_lt_i32 s5, 0
	s_cbranch_scc1 .LBB208_123
; %bb.115:
	v_lshlrev_b32_e32 v13, 4, v0
	s_lshl_b32 s1, s5, 7
	s_lshl_b32 s4, s29, 4
	s_delay_alu instid0(SALU_CYCLE_1) | instskip(NEXT) | instid1(VALU_DEP_1)
	s_add_i32 s1, s1, s4
	v_lshl_or_b32 v1, s29, 7, v13
	s_add_i32 s1, s1, -16
	s_delay_alu instid0(VALU_DEP_1)
	v_add_nc_u32_e32 v14, 0x380, v1
	s_branch .LBB208_117
.LBB208_116:                            ;   in Loop: Header=BB208_117 Depth=1
	s_add_i32 s4, s5, -1
	s_addk_i32 s1, 0xff80
	s_cmp_lt_i32 s5, 1
	s_mov_b32 s5, s4
	ds_store_b128 v15, v[9:12]
	s_cbranch_scc1 .LBB208_123
.LBB208_117:                            ; =>This Loop Header: Depth=1
                                        ;     Child Loop BB208_118 Depth 2
	v_lshl_or_b32 v5, s5, 7, v13
	s_delay_alu instid0(VALU_DEP_2)
	v_mov_b32_e32 v6, v14
	s_cmp_le_i32 s30, s5
	s_mov_b32 s4, s1
	s_mov_b32 s6, s30
	ds_load_b128 v[1:4], v5 offset:1024
	s_cbranch_scc1 .LBB208_119
	.p2align	6
.LBB208_118:                            ;   Parent Loop BB208_117 Depth=1
                                        ; =>  This Inner Loop Header: Depth=2
	v_mov_b32_e32 v11, s4
	s_add_i32 s6, s6, -1
	s_add_i32 s4, s4, -16
	s_cmp_le_i32 s6, s5
	ds_load_b128 v[7:10], v6
	ds_load_b128 v[15:18], v11
	v_add_nc_u32_e32 v6, 0xffffff80, v6
	s_waitcnt lgkmcnt(0)
	v_mul_f64 v[11:12], v[17:18], v[9:10]
	v_mul_f64 v[9:10], v[15:16], v[9:10]
	s_delay_alu instid0(VALU_DEP_2) | instskip(NEXT) | instid1(VALU_DEP_2)
	v_fma_f64 v[11:12], v[15:16], v[7:8], -v[11:12]
	v_fma_f64 v[7:8], v[17:18], v[7:8], v[9:10]
	s_delay_alu instid0(VALU_DEP_2) | instskip(NEXT) | instid1(VALU_DEP_2)
	v_add_f64 v[1:2], v[1:2], -v[11:12]
	v_add_f64 v[3:4], v[3:4], -v[7:8]
	s_cbranch_scc0 .LBB208_118
.LBB208_119:                            ;   in Loop: Header=BB208_117 Depth=1
	s_mul_i32 s4, s5, 0x90
	v_add_nc_u32_e32 v15, 0x400, v5
	v_mov_b32_e32 v5, s4
	ds_load_b128 v[5:8], v5
	s_waitcnt lgkmcnt(0)
	v_cmp_gt_f64_e32 vcc_lo, 0, v[5:6]
	v_xor_b32_e32 v10, 0x80000000, v6
	v_xor_b32_e32 v11, 0x80000000, v8
	s_delay_alu instid0(VALU_DEP_2) | instskip(SKIP_1) | instid1(VALU_DEP_3)
	v_dual_mov_b32 v9, v5 :: v_dual_cndmask_b32 v10, v6, v10
	v_cmp_gt_f64_e32 vcc_lo, 0, v[7:8]
	v_dual_cndmask_b32 v12, v8, v11 :: v_dual_mov_b32 v11, v7
	s_delay_alu instid0(VALU_DEP_1)
	v_cmp_ngt_f64_e32 vcc_lo, v[9:10], v[11:12]
	s_cbranch_vccz .LBB208_121
; %bb.120:                              ;   in Loop: Header=BB208_117 Depth=1
	v_div_scale_f64 v[9:10], null, v[7:8], v[7:8], v[5:6]
	v_div_scale_f64 v[18:19], vcc_lo, v[5:6], v[7:8], v[5:6]
	s_delay_alu instid0(VALU_DEP_2) | instskip(SKIP_2) | instid1(VALU_DEP_1)
	v_rcp_f64_e32 v[11:12], v[9:10]
	s_waitcnt_depctr 0xfff
	v_fma_f64 v[16:17], -v[9:10], v[11:12], 1.0
	v_fma_f64 v[11:12], v[11:12], v[16:17], v[11:12]
	s_delay_alu instid0(VALU_DEP_1) | instskip(NEXT) | instid1(VALU_DEP_1)
	v_fma_f64 v[16:17], -v[9:10], v[11:12], 1.0
	v_fma_f64 v[11:12], v[11:12], v[16:17], v[11:12]
	s_delay_alu instid0(VALU_DEP_1) | instskip(NEXT) | instid1(VALU_DEP_1)
	v_mul_f64 v[16:17], v[18:19], v[11:12]
	v_fma_f64 v[9:10], -v[9:10], v[16:17], v[18:19]
	s_delay_alu instid0(VALU_DEP_1) | instskip(NEXT) | instid1(VALU_DEP_1)
	v_div_fmas_f64 v[9:10], v[9:10], v[11:12], v[16:17]
	v_div_fixup_f64 v[9:10], v[9:10], v[7:8], v[5:6]
	s_delay_alu instid0(VALU_DEP_1) | instskip(NEXT) | instid1(VALU_DEP_1)
	v_fma_f64 v[11:12], v[5:6], v[9:10], v[7:8]
	v_div_scale_f64 v[16:17], null, v[11:12], v[11:12], 1.0
	v_div_scale_f64 v[22:23], vcc_lo, 1.0, v[11:12], 1.0
	s_delay_alu instid0(VALU_DEP_2) | instskip(SKIP_2) | instid1(VALU_DEP_1)
	v_rcp_f64_e32 v[18:19], v[16:17]
	s_waitcnt_depctr 0xfff
	v_fma_f64 v[20:21], -v[16:17], v[18:19], 1.0
	v_fma_f64 v[18:19], v[18:19], v[20:21], v[18:19]
	s_delay_alu instid0(VALU_DEP_1) | instskip(NEXT) | instid1(VALU_DEP_1)
	v_fma_f64 v[20:21], -v[16:17], v[18:19], 1.0
	v_fma_f64 v[18:19], v[18:19], v[20:21], v[18:19]
	s_delay_alu instid0(VALU_DEP_1) | instskip(NEXT) | instid1(VALU_DEP_1)
	v_mul_f64 v[20:21], v[22:23], v[18:19]
	v_fma_f64 v[16:17], -v[16:17], v[20:21], v[22:23]
	s_delay_alu instid0(VALU_DEP_1) | instskip(SKIP_1) | instid1(VALU_DEP_2)
	v_div_fmas_f64 v[16:17], v[16:17], v[18:19], v[20:21]
	v_fma_f64 v[18:19], v[1:2], v[9:10], v[3:4]
	v_div_fixup_f64 v[11:12], v[16:17], v[11:12], 1.0
	v_fma_f64 v[16:17], v[3:4], v[9:10], -v[1:2]
	s_delay_alu instid0(VALU_DEP_2) | instskip(NEXT) | instid1(VALU_DEP_2)
	v_mul_f64 v[9:10], v[18:19], v[11:12]
	v_mul_f64 v[11:12], v[16:17], v[11:12]
	s_cbranch_execnz .LBB208_116
	s_branch .LBB208_122
.LBB208_121:                            ;   in Loop: Header=BB208_117 Depth=1
                                        ; implicit-def: $vgpr9_vgpr10
.LBB208_122:                            ;   in Loop: Header=BB208_117 Depth=1
	v_div_scale_f64 v[9:10], null, v[5:6], v[5:6], v[7:8]
	v_div_scale_f64 v[18:19], vcc_lo, v[7:8], v[5:6], v[7:8]
	s_delay_alu instid0(VALU_DEP_2) | instskip(SKIP_2) | instid1(VALU_DEP_1)
	v_rcp_f64_e32 v[11:12], v[9:10]
	s_waitcnt_depctr 0xfff
	v_fma_f64 v[16:17], -v[9:10], v[11:12], 1.0
	v_fma_f64 v[11:12], v[11:12], v[16:17], v[11:12]
	s_delay_alu instid0(VALU_DEP_1) | instskip(NEXT) | instid1(VALU_DEP_1)
	v_fma_f64 v[16:17], -v[9:10], v[11:12], 1.0
	v_fma_f64 v[11:12], v[11:12], v[16:17], v[11:12]
	s_delay_alu instid0(VALU_DEP_1) | instskip(NEXT) | instid1(VALU_DEP_1)
	v_mul_f64 v[16:17], v[18:19], v[11:12]
	v_fma_f64 v[9:10], -v[9:10], v[16:17], v[18:19]
	s_delay_alu instid0(VALU_DEP_1) | instskip(NEXT) | instid1(VALU_DEP_1)
	v_div_fmas_f64 v[9:10], v[9:10], v[11:12], v[16:17]
	v_div_fixup_f64 v[9:10], v[9:10], v[5:6], v[7:8]
	s_delay_alu instid0(VALU_DEP_1) | instskip(NEXT) | instid1(VALU_DEP_1)
	v_fma_f64 v[5:6], v[7:8], v[9:10], v[5:6]
	v_div_scale_f64 v[7:8], null, v[5:6], v[5:6], 1.0
	v_div_scale_f64 v[18:19], vcc_lo, 1.0, v[5:6], 1.0
	s_delay_alu instid0(VALU_DEP_2) | instskip(SKIP_2) | instid1(VALU_DEP_1)
	v_rcp_f64_e32 v[11:12], v[7:8]
	s_waitcnt_depctr 0xfff
	v_fma_f64 v[16:17], -v[7:8], v[11:12], 1.0
	v_fma_f64 v[11:12], v[11:12], v[16:17], v[11:12]
	s_delay_alu instid0(VALU_DEP_1) | instskip(NEXT) | instid1(VALU_DEP_1)
	v_fma_f64 v[16:17], -v[7:8], v[11:12], 1.0
	v_fma_f64 v[11:12], v[11:12], v[16:17], v[11:12]
	s_delay_alu instid0(VALU_DEP_1) | instskip(NEXT) | instid1(VALU_DEP_1)
	v_mul_f64 v[16:17], v[18:19], v[11:12]
	v_fma_f64 v[7:8], -v[7:8], v[16:17], v[18:19]
	s_delay_alu instid0(VALU_DEP_1) | instskip(SKIP_2) | instid1(VALU_DEP_3)
	v_div_fmas_f64 v[7:8], v[7:8], v[11:12], v[16:17]
	v_fma_f64 v[11:12], v[3:4], v[9:10], v[1:2]
	v_fma_f64 v[1:2], -v[1:2], v[9:10], v[3:4]
	v_div_fixup_f64 v[5:6], v[7:8], v[5:6], 1.0
	s_delay_alu instid0(VALU_DEP_1) | instskip(NEXT) | instid1(VALU_DEP_3)
	v_mul_f64 v[9:10], v[11:12], v[5:6]
	v_mul_f64 v[11:12], v[1:2], v[5:6]
	s_branch .LBB208_116
.LBB208_123:
	s_mov_b32 s5, 0
.LBB208_124:
	s_delay_alu instid0(SALU_CYCLE_1)
	s_and_not1_b32 vcc_lo, exec_lo, s5
	s_cbranch_vccnz .LBB208_163
; %bb.125:
	s_cmp_lt_i32 s28, 4
	s_mov_b32 s5, 0
	s_cbranch_scc1 .LBB208_148
; %bb.126:
	v_lshl_or_b32 v25, v0, 4, 0x400
	s_mov_b32 s1, 0
	s_mov_b32 s4, 0
.LBB208_127:                            ; =>This Loop Header: Depth=1
                                        ;     Child Loop BB208_129 Depth 2
	s_delay_alu instid0(SALU_CYCLE_1) | instskip(NEXT) | instid1(SALU_CYCLE_1)
	s_lshl_b32 s5, s4, 3
	s_or_b32 s10, s5, 8
	v_or_b32_e32 v1, s5, v0
	s_or_b32 s7, s5, 16
	v_or_b32_e32 v2, s10, v0
	;; [unrolled: 2-line block ×3, first 2 shown]
	v_or_b32_e32 v4, s5, v0
	v_lshlrev_b32_e32 v9, 4, v1
	v_lshlrev_b32_e32 v10, 4, v2
	s_cmp_eq_u32 s4, 0
	v_lshlrev_b32_e32 v11, 4, v3
	v_lshlrev_b32_e32 v12, 4, v4
	ds_load_b128 v[17:20], v9 offset:1024
	ds_load_b128 v[13:16], v10 offset:1024
	;; [unrolled: 1-line block ×4, first 2 shown]
	s_cbranch_scc1 .LBB208_130
; %bb.128:                              ;   in Loop: Header=BB208_127 Depth=1
	v_mov_b32_e32 v21, v25
	s_mov_b32 s6, 0
	s_mov_b32 s11, s1
.LBB208_129:                            ;   Parent Loop BB208_127 Depth=1
                                        ; =>  This Inner Loop Header: Depth=2
	s_delay_alu instid0(SALU_CYCLE_1)
	v_mov_b32_e32 v22, s11
	s_add_i32 s6, s6, 1
	s_add_i32 s11, s11, 16
	s_cmp_ge_u32 s6, s4
	ds_load_b128 v[26:29], v21
	ds_load_b128 v[30:33], v22
	ds_load_b128 v[34:37], v22 offset:128
	ds_load_b128 v[38:41], v22 offset:256
	;; [unrolled: 1-line block ×3, first 2 shown]
	v_add_nc_u32_e32 v21, 0x80, v21
	s_waitcnt lgkmcnt(3)
	v_mul_f64 v[22:23], v[28:29], v[32:33]
	v_mul_f64 v[32:33], v[26:27], v[32:33]
	s_waitcnt lgkmcnt(2)
	v_mul_f64 v[46:47], v[28:29], v[36:37]
	v_mul_f64 v[36:37], v[26:27], v[36:37]
	;; [unrolled: 3-line block ×4, first 2 shown]
	v_fma_f64 v[22:23], v[26:27], v[30:31], -v[22:23]
	v_fma_f64 v[30:31], v[28:29], v[30:31], v[32:33]
	v_fma_f64 v[32:33], v[26:27], v[34:35], -v[46:47]
	v_fma_f64 v[34:35], v[28:29], v[34:35], v[36:37]
	;; [unrolled: 2-line block ×4, first 2 shown]
	v_add_f64 v[17:18], v[17:18], -v[22:23]
	v_add_f64 v[19:20], v[19:20], -v[30:31]
	;; [unrolled: 1-line block ×8, first 2 shown]
	s_cbranch_scc0 .LBB208_129
.LBB208_130:                            ;   in Loop: Header=BB208_127 Depth=1
	s_mul_i32 s6, s4, 0x90
	v_add_nc_u32_e32 v29, 0x400, v9
	v_dual_mov_b32 v9, s6 :: v_dual_add_nc_u32 v28, 0x400, v10
	v_add_nc_u32_e32 v27, 0x400, v11
	ds_load_b128 v[21:24], v9
	s_waitcnt lgkmcnt(0)
	v_dual_mov_b32 v9, v21 :: v_dual_add_nc_u32 v26, 0x400, v12
	v_cmp_gt_f64_e32 vcc_lo, 0, v[21:22]
	v_xor_b32_e32 v10, 0x80000000, v22
	v_xor_b32_e32 v11, 0x80000000, v24
	s_delay_alu instid0(VALU_DEP_2) | instskip(SKIP_1) | instid1(VALU_DEP_3)
	v_cndmask_b32_e32 v10, v22, v10, vcc_lo
	v_cmp_gt_f64_e32 vcc_lo, 0, v[23:24]
	v_dual_cndmask_b32 v12, v24, v11 :: v_dual_mov_b32 v11, v23
	s_delay_alu instid0(VALU_DEP_1)
	v_cmp_ngt_f64_e32 vcc_lo, v[9:10], v[11:12]
	s_cbranch_vccz .LBB208_132
; %bb.131:                              ;   in Loop: Header=BB208_127 Depth=1
	v_div_scale_f64 v[9:10], null, v[23:24], v[23:24], v[21:22]
	v_div_scale_f64 v[32:33], vcc_lo, v[21:22], v[23:24], v[21:22]
	s_delay_alu instid0(VALU_DEP_2) | instskip(SKIP_2) | instid1(VALU_DEP_1)
	v_rcp_f64_e32 v[11:12], v[9:10]
	s_waitcnt_depctr 0xfff
	v_fma_f64 v[30:31], -v[9:10], v[11:12], 1.0
	v_fma_f64 v[11:12], v[11:12], v[30:31], v[11:12]
	s_delay_alu instid0(VALU_DEP_1) | instskip(NEXT) | instid1(VALU_DEP_1)
	v_fma_f64 v[30:31], -v[9:10], v[11:12], 1.0
	v_fma_f64 v[11:12], v[11:12], v[30:31], v[11:12]
	s_delay_alu instid0(VALU_DEP_1) | instskip(NEXT) | instid1(VALU_DEP_1)
	v_mul_f64 v[30:31], v[32:33], v[11:12]
	v_fma_f64 v[9:10], -v[9:10], v[30:31], v[32:33]
	s_delay_alu instid0(VALU_DEP_1) | instskip(NEXT) | instid1(VALU_DEP_1)
	v_div_fmas_f64 v[9:10], v[9:10], v[11:12], v[30:31]
	v_div_fixup_f64 v[9:10], v[9:10], v[23:24], v[21:22]
	s_delay_alu instid0(VALU_DEP_1) | instskip(NEXT) | instid1(VALU_DEP_1)
	v_fma_f64 v[11:12], v[21:22], v[9:10], v[23:24]
	v_div_scale_f64 v[30:31], null, v[11:12], v[11:12], 1.0
	v_div_scale_f64 v[36:37], vcc_lo, 1.0, v[11:12], 1.0
	s_delay_alu instid0(VALU_DEP_2) | instskip(SKIP_2) | instid1(VALU_DEP_1)
	v_rcp_f64_e32 v[32:33], v[30:31]
	s_waitcnt_depctr 0xfff
	v_fma_f64 v[34:35], -v[30:31], v[32:33], 1.0
	v_fma_f64 v[32:33], v[32:33], v[34:35], v[32:33]
	s_delay_alu instid0(VALU_DEP_1) | instskip(NEXT) | instid1(VALU_DEP_1)
	v_fma_f64 v[34:35], -v[30:31], v[32:33], 1.0
	v_fma_f64 v[32:33], v[32:33], v[34:35], v[32:33]
	s_delay_alu instid0(VALU_DEP_1) | instskip(NEXT) | instid1(VALU_DEP_1)
	v_mul_f64 v[34:35], v[36:37], v[32:33]
	v_fma_f64 v[30:31], -v[30:31], v[34:35], v[36:37]
	s_delay_alu instid0(VALU_DEP_1) | instskip(SKIP_1) | instid1(VALU_DEP_2)
	v_div_fmas_f64 v[30:31], v[30:31], v[32:33], v[34:35]
	v_fma_f64 v[32:33], v[17:18], v[9:10], v[19:20]
	v_div_fixup_f64 v[11:12], v[30:31], v[11:12], 1.0
	v_fma_f64 v[30:31], v[19:20], v[9:10], -v[17:18]
	s_delay_alu instid0(VALU_DEP_2) | instskip(NEXT) | instid1(VALU_DEP_2)
	v_mul_f64 v[9:10], v[32:33], v[11:12]
	v_mul_f64 v[11:12], v[30:31], v[11:12]
	s_cbranch_execz .LBB208_133
	s_branch .LBB208_134
.LBB208_132:                            ;   in Loop: Header=BB208_127 Depth=1
                                        ; implicit-def: $vgpr11_vgpr12
.LBB208_133:                            ;   in Loop: Header=BB208_127 Depth=1
	v_div_scale_f64 v[9:10], null, v[21:22], v[21:22], v[23:24]
	v_div_scale_f64 v[32:33], vcc_lo, v[23:24], v[21:22], v[23:24]
	s_delay_alu instid0(VALU_DEP_2) | instskip(SKIP_2) | instid1(VALU_DEP_1)
	v_rcp_f64_e32 v[11:12], v[9:10]
	s_waitcnt_depctr 0xfff
	v_fma_f64 v[30:31], -v[9:10], v[11:12], 1.0
	v_fma_f64 v[11:12], v[11:12], v[30:31], v[11:12]
	s_delay_alu instid0(VALU_DEP_1) | instskip(NEXT) | instid1(VALU_DEP_1)
	v_fma_f64 v[30:31], -v[9:10], v[11:12], 1.0
	v_fma_f64 v[11:12], v[11:12], v[30:31], v[11:12]
	s_delay_alu instid0(VALU_DEP_1) | instskip(NEXT) | instid1(VALU_DEP_1)
	v_mul_f64 v[30:31], v[32:33], v[11:12]
	v_fma_f64 v[9:10], -v[9:10], v[30:31], v[32:33]
	s_delay_alu instid0(VALU_DEP_1) | instskip(NEXT) | instid1(VALU_DEP_1)
	v_div_fmas_f64 v[9:10], v[9:10], v[11:12], v[30:31]
	v_div_fixup_f64 v[9:10], v[9:10], v[21:22], v[23:24]
	s_delay_alu instid0(VALU_DEP_1) | instskip(NEXT) | instid1(VALU_DEP_1)
	v_fma_f64 v[11:12], v[23:24], v[9:10], v[21:22]
	v_div_scale_f64 v[21:22], null, v[11:12], v[11:12], 1.0
	v_div_scale_f64 v[32:33], vcc_lo, 1.0, v[11:12], 1.0
	s_delay_alu instid0(VALU_DEP_2) | instskip(SKIP_2) | instid1(VALU_DEP_1)
	v_rcp_f64_e32 v[23:24], v[21:22]
	s_waitcnt_depctr 0xfff
	v_fma_f64 v[30:31], -v[21:22], v[23:24], 1.0
	v_fma_f64 v[23:24], v[23:24], v[30:31], v[23:24]
	s_delay_alu instid0(VALU_DEP_1) | instskip(NEXT) | instid1(VALU_DEP_1)
	v_fma_f64 v[30:31], -v[21:22], v[23:24], 1.0
	v_fma_f64 v[23:24], v[23:24], v[30:31], v[23:24]
	s_delay_alu instid0(VALU_DEP_1) | instskip(NEXT) | instid1(VALU_DEP_1)
	v_mul_f64 v[30:31], v[32:33], v[23:24]
	v_fma_f64 v[21:22], -v[21:22], v[30:31], v[32:33]
	s_delay_alu instid0(VALU_DEP_1) | instskip(SKIP_2) | instid1(VALU_DEP_3)
	v_div_fmas_f64 v[21:22], v[21:22], v[23:24], v[30:31]
	v_fma_f64 v[23:24], v[19:20], v[9:10], v[17:18]
	v_fma_f64 v[17:18], -v[17:18], v[9:10], v[19:20]
	v_div_fixup_f64 v[11:12], v[21:22], v[11:12], 1.0
	s_delay_alu instid0(VALU_DEP_1) | instskip(NEXT) | instid1(VALU_DEP_3)
	v_mul_f64 v[9:10], v[23:24], v[11:12]
	v_mul_f64 v[11:12], v[17:18], v[11:12]
.LBB208_134:                            ;   in Loop: Header=BB208_127 Depth=1
	s_add_i32 s10, s10, s4
	ds_store_b128 v29, v[9:12]
	s_lshl_b32 s10, s10, 4
	s_delay_alu instid0(SALU_CYCLE_1)
	v_mov_b32_e32 v17, s10
	ds_load_b128 v[21:24], v17
	v_mov_b32_e32 v17, s6
	ds_load_b128 v[17:20], v17 offset:144
	s_waitcnt lgkmcnt(1)
	v_mul_f64 v[30:31], v[11:12], v[23:24]
	v_mul_f64 v[23:24], v[9:10], v[23:24]
	s_waitcnt lgkmcnt(0)
	v_cmp_gt_f64_e32 vcc_lo, 0, v[17:18]
	v_xor_b32_e32 v33, 0x80000000, v20
	v_mov_b32_e32 v32, v19
	v_fma_f64 v[30:31], v[9:10], v[21:22], -v[30:31]
	v_fma_f64 v[23:24], v[11:12], v[21:22], v[23:24]
	v_xor_b32_e32 v22, 0x80000000, v18
	s_delay_alu instid0(VALU_DEP_1) | instskip(SKIP_1) | instid1(VALU_DEP_4)
	v_dual_mov_b32 v21, v17 :: v_dual_cndmask_b32 v22, v18, v22
	v_cmp_gt_f64_e32 vcc_lo, 0, v[19:20]
	v_add_f64 v[23:24], v[15:16], -v[23:24]
	v_cndmask_b32_e32 v33, v20, v33, vcc_lo
	s_delay_alu instid0(VALU_DEP_1)
	v_cmp_ngt_f64_e32 vcc_lo, v[21:22], v[32:33]
	v_add_f64 v[21:22], v[13:14], -v[30:31]
	s_cbranch_vccz .LBB208_136
; %bb.135:                              ;   in Loop: Header=BB208_127 Depth=1
	v_div_scale_f64 v[13:14], null, v[19:20], v[19:20], v[17:18]
	v_div_scale_f64 v[31:32], vcc_lo, v[17:18], v[19:20], v[17:18]
	s_delay_alu instid0(VALU_DEP_2) | instskip(SKIP_2) | instid1(VALU_DEP_1)
	v_rcp_f64_e32 v[15:16], v[13:14]
	s_waitcnt_depctr 0xfff
	v_fma_f64 v[29:30], -v[13:14], v[15:16], 1.0
	v_fma_f64 v[15:16], v[15:16], v[29:30], v[15:16]
	s_delay_alu instid0(VALU_DEP_1) | instskip(NEXT) | instid1(VALU_DEP_1)
	v_fma_f64 v[29:30], -v[13:14], v[15:16], 1.0
	v_fma_f64 v[15:16], v[15:16], v[29:30], v[15:16]
	s_delay_alu instid0(VALU_DEP_1) | instskip(NEXT) | instid1(VALU_DEP_1)
	v_mul_f64 v[29:30], v[31:32], v[15:16]
	v_fma_f64 v[13:14], -v[13:14], v[29:30], v[31:32]
	s_delay_alu instid0(VALU_DEP_1) | instskip(NEXT) | instid1(VALU_DEP_1)
	v_div_fmas_f64 v[13:14], v[13:14], v[15:16], v[29:30]
	v_div_fixup_f64 v[13:14], v[13:14], v[19:20], v[17:18]
	s_delay_alu instid0(VALU_DEP_1) | instskip(NEXT) | instid1(VALU_DEP_1)
	v_fma_f64 v[15:16], v[17:18], v[13:14], v[19:20]
	v_div_scale_f64 v[29:30], null, v[15:16], v[15:16], 1.0
	v_div_scale_f64 v[35:36], vcc_lo, 1.0, v[15:16], 1.0
	s_delay_alu instid0(VALU_DEP_2) | instskip(SKIP_2) | instid1(VALU_DEP_1)
	v_rcp_f64_e32 v[31:32], v[29:30]
	s_waitcnt_depctr 0xfff
	v_fma_f64 v[33:34], -v[29:30], v[31:32], 1.0
	v_fma_f64 v[31:32], v[31:32], v[33:34], v[31:32]
	s_delay_alu instid0(VALU_DEP_1) | instskip(NEXT) | instid1(VALU_DEP_1)
	v_fma_f64 v[33:34], -v[29:30], v[31:32], 1.0
	v_fma_f64 v[31:32], v[31:32], v[33:34], v[31:32]
	s_delay_alu instid0(VALU_DEP_1) | instskip(NEXT) | instid1(VALU_DEP_1)
	v_mul_f64 v[33:34], v[35:36], v[31:32]
	v_fma_f64 v[29:30], -v[29:30], v[33:34], v[35:36]
	s_delay_alu instid0(VALU_DEP_1) | instskip(SKIP_1) | instid1(VALU_DEP_2)
	v_div_fmas_f64 v[29:30], v[29:30], v[31:32], v[33:34]
	v_fma_f64 v[31:32], v[13:14], v[21:22], v[23:24]
	v_div_fixup_f64 v[15:16], v[29:30], v[15:16], 1.0
	v_fma_f64 v[29:30], v[13:14], v[23:24], -v[21:22]
	s_delay_alu instid0(VALU_DEP_2) | instskip(NEXT) | instid1(VALU_DEP_2)
	v_mul_f64 v[13:14], v[31:32], v[15:16]
	v_mul_f64 v[15:16], v[29:30], v[15:16]
	s_cbranch_execz .LBB208_137
	s_branch .LBB208_138
.LBB208_136:                            ;   in Loop: Header=BB208_127 Depth=1
                                        ; implicit-def: $vgpr15_vgpr16
.LBB208_137:                            ;   in Loop: Header=BB208_127 Depth=1
	v_div_scale_f64 v[13:14], null, v[17:18], v[17:18], v[19:20]
	v_div_scale_f64 v[31:32], vcc_lo, v[19:20], v[17:18], v[19:20]
	s_delay_alu instid0(VALU_DEP_2) | instskip(SKIP_2) | instid1(VALU_DEP_1)
	v_rcp_f64_e32 v[15:16], v[13:14]
	s_waitcnt_depctr 0xfff
	v_fma_f64 v[29:30], -v[13:14], v[15:16], 1.0
	v_fma_f64 v[15:16], v[15:16], v[29:30], v[15:16]
	s_delay_alu instid0(VALU_DEP_1) | instskip(NEXT) | instid1(VALU_DEP_1)
	v_fma_f64 v[29:30], -v[13:14], v[15:16], 1.0
	v_fma_f64 v[15:16], v[15:16], v[29:30], v[15:16]
	s_delay_alu instid0(VALU_DEP_1) | instskip(NEXT) | instid1(VALU_DEP_1)
	v_mul_f64 v[29:30], v[31:32], v[15:16]
	v_fma_f64 v[13:14], -v[13:14], v[29:30], v[31:32]
	s_delay_alu instid0(VALU_DEP_1) | instskip(NEXT) | instid1(VALU_DEP_1)
	v_div_fmas_f64 v[13:14], v[13:14], v[15:16], v[29:30]
	v_div_fixup_f64 v[13:14], v[13:14], v[17:18], v[19:20]
	s_delay_alu instid0(VALU_DEP_1) | instskip(NEXT) | instid1(VALU_DEP_1)
	v_fma_f64 v[15:16], v[19:20], v[13:14], v[17:18]
	v_div_scale_f64 v[17:18], null, v[15:16], v[15:16], 1.0
	v_div_scale_f64 v[31:32], vcc_lo, 1.0, v[15:16], 1.0
	s_delay_alu instid0(VALU_DEP_2) | instskip(SKIP_2) | instid1(VALU_DEP_1)
	v_rcp_f64_e32 v[19:20], v[17:18]
	s_waitcnt_depctr 0xfff
	v_fma_f64 v[29:30], -v[17:18], v[19:20], 1.0
	v_fma_f64 v[19:20], v[19:20], v[29:30], v[19:20]
	s_delay_alu instid0(VALU_DEP_1) | instskip(NEXT) | instid1(VALU_DEP_1)
	v_fma_f64 v[29:30], -v[17:18], v[19:20], 1.0
	v_fma_f64 v[19:20], v[19:20], v[29:30], v[19:20]
	s_delay_alu instid0(VALU_DEP_1) | instskip(NEXT) | instid1(VALU_DEP_1)
	v_mul_f64 v[29:30], v[31:32], v[19:20]
	v_fma_f64 v[17:18], -v[17:18], v[29:30], v[31:32]
	s_delay_alu instid0(VALU_DEP_1) | instskip(SKIP_1) | instid1(VALU_DEP_2)
	v_div_fmas_f64 v[17:18], v[17:18], v[19:20], v[29:30]
	v_fma_f64 v[19:20], v[13:14], v[23:24], v[21:22]
	v_div_fixup_f64 v[15:16], v[17:18], v[15:16], 1.0
	v_fma_f64 v[17:18], -v[13:14], v[21:22], v[23:24]
	s_delay_alu instid0(VALU_DEP_2) | instskip(NEXT) | instid1(VALU_DEP_2)
	v_mul_f64 v[13:14], v[19:20], v[15:16]
	v_mul_f64 v[15:16], v[17:18], v[15:16]
.LBB208_138:                            ;   in Loop: Header=BB208_127 Depth=1
	s_add_i32 s7, s7, s4
	s_delay_alu instid0(SALU_CYCLE_1) | instskip(NEXT) | instid1(SALU_CYCLE_1)
	s_lshl_b32 s7, s7, 4
	v_mov_b32_e32 v21, s7
	ds_load_b128 v[17:20], v21
	ds_load_b128 v[21:24], v21 offset:16
	ds_store_b128 v28, v[13:16]
	s_waitcnt lgkmcnt(2)
	v_mul_f64 v[29:30], v[11:12], v[19:20]
	v_mul_f64 v[19:20], v[9:10], v[19:20]
	s_waitcnt lgkmcnt(1)
	v_mul_f64 v[31:32], v[15:16], v[23:24]
	v_mul_f64 v[23:24], v[13:14], v[23:24]
	s_delay_alu instid0(VALU_DEP_4) | instskip(NEXT) | instid1(VALU_DEP_4)
	v_fma_f64 v[29:30], v[9:10], v[17:18], -v[29:30]
	v_fma_f64 v[17:18], v[11:12], v[17:18], v[19:20]
	v_mov_b32_e32 v19, s6
	v_fma_f64 v[31:32], v[13:14], v[21:22], -v[31:32]
	v_fma_f64 v[23:24], v[15:16], v[21:22], v[23:24]
	v_add_f64 v[5:6], v[5:6], -v[29:30]
	v_add_f64 v[7:8], v[7:8], -v[17:18]
	ds_load_b128 v[17:20], v19 offset:288
	s_waitcnt lgkmcnt(0)
	v_cmp_gt_f64_e32 vcc_lo, 0, v[17:18]
	v_xor_b32_e32 v22, 0x80000000, v18
	v_xor_b32_e32 v30, 0x80000000, v20
	v_mov_b32_e32 v21, v17
	v_mov_b32_e32 v29, v19
	v_add_f64 v[23:24], v[7:8], -v[23:24]
	v_cndmask_b32_e32 v22, v18, v22, vcc_lo
	v_cmp_gt_f64_e32 vcc_lo, 0, v[19:20]
	v_cndmask_b32_e32 v30, v20, v30, vcc_lo
	s_delay_alu instid0(VALU_DEP_1)
	v_cmp_ngt_f64_e32 vcc_lo, v[21:22], v[29:30]
	v_add_f64 v[21:22], v[5:6], -v[31:32]
	s_cbranch_vccz .LBB208_140
; %bb.139:                              ;   in Loop: Header=BB208_127 Depth=1
	v_div_scale_f64 v[5:6], null, v[19:20], v[19:20], v[17:18]
	v_div_scale_f64 v[30:31], vcc_lo, v[17:18], v[19:20], v[17:18]
	s_delay_alu instid0(VALU_DEP_2) | instskip(SKIP_2) | instid1(VALU_DEP_1)
	v_rcp_f64_e32 v[7:8], v[5:6]
	s_waitcnt_depctr 0xfff
	v_fma_f64 v[28:29], -v[5:6], v[7:8], 1.0
	v_fma_f64 v[7:8], v[7:8], v[28:29], v[7:8]
	s_delay_alu instid0(VALU_DEP_1) | instskip(NEXT) | instid1(VALU_DEP_1)
	v_fma_f64 v[28:29], -v[5:6], v[7:8], 1.0
	v_fma_f64 v[7:8], v[7:8], v[28:29], v[7:8]
	s_delay_alu instid0(VALU_DEP_1) | instskip(NEXT) | instid1(VALU_DEP_1)
	v_mul_f64 v[28:29], v[30:31], v[7:8]
	v_fma_f64 v[5:6], -v[5:6], v[28:29], v[30:31]
	s_delay_alu instid0(VALU_DEP_1) | instskip(NEXT) | instid1(VALU_DEP_1)
	v_div_fmas_f64 v[5:6], v[5:6], v[7:8], v[28:29]
	v_div_fixup_f64 v[5:6], v[5:6], v[19:20], v[17:18]
	s_delay_alu instid0(VALU_DEP_1) | instskip(NEXT) | instid1(VALU_DEP_1)
	v_fma_f64 v[7:8], v[17:18], v[5:6], v[19:20]
	v_div_scale_f64 v[28:29], null, v[7:8], v[7:8], 1.0
	v_div_scale_f64 v[34:35], vcc_lo, 1.0, v[7:8], 1.0
	s_delay_alu instid0(VALU_DEP_2) | instskip(SKIP_2) | instid1(VALU_DEP_1)
	v_rcp_f64_e32 v[30:31], v[28:29]
	s_waitcnt_depctr 0xfff
	v_fma_f64 v[32:33], -v[28:29], v[30:31], 1.0
	v_fma_f64 v[30:31], v[30:31], v[32:33], v[30:31]
	s_delay_alu instid0(VALU_DEP_1) | instskip(NEXT) | instid1(VALU_DEP_1)
	v_fma_f64 v[32:33], -v[28:29], v[30:31], 1.0
	v_fma_f64 v[30:31], v[30:31], v[32:33], v[30:31]
	s_delay_alu instid0(VALU_DEP_1) | instskip(NEXT) | instid1(VALU_DEP_1)
	v_mul_f64 v[32:33], v[34:35], v[30:31]
	v_fma_f64 v[28:29], -v[28:29], v[32:33], v[34:35]
	s_delay_alu instid0(VALU_DEP_1) | instskip(SKIP_1) | instid1(VALU_DEP_2)
	v_div_fmas_f64 v[28:29], v[28:29], v[30:31], v[32:33]
	v_fma_f64 v[30:31], v[5:6], v[21:22], v[23:24]
	v_div_fixup_f64 v[7:8], v[28:29], v[7:8], 1.0
	v_fma_f64 v[28:29], v[5:6], v[23:24], -v[21:22]
	s_delay_alu instid0(VALU_DEP_2) | instskip(NEXT) | instid1(VALU_DEP_2)
	v_mul_f64 v[5:6], v[30:31], v[7:8]
	v_mul_f64 v[7:8], v[28:29], v[7:8]
	s_cbranch_execz .LBB208_141
	s_branch .LBB208_142
.LBB208_140:                            ;   in Loop: Header=BB208_127 Depth=1
                                        ; implicit-def: $vgpr7_vgpr8
.LBB208_141:                            ;   in Loop: Header=BB208_127 Depth=1
	v_div_scale_f64 v[5:6], null, v[17:18], v[17:18], v[19:20]
	v_div_scale_f64 v[30:31], vcc_lo, v[19:20], v[17:18], v[19:20]
	s_delay_alu instid0(VALU_DEP_2) | instskip(SKIP_2) | instid1(VALU_DEP_1)
	v_rcp_f64_e32 v[7:8], v[5:6]
	s_waitcnt_depctr 0xfff
	v_fma_f64 v[28:29], -v[5:6], v[7:8], 1.0
	v_fma_f64 v[7:8], v[7:8], v[28:29], v[7:8]
	s_delay_alu instid0(VALU_DEP_1) | instskip(NEXT) | instid1(VALU_DEP_1)
	v_fma_f64 v[28:29], -v[5:6], v[7:8], 1.0
	v_fma_f64 v[7:8], v[7:8], v[28:29], v[7:8]
	s_delay_alu instid0(VALU_DEP_1) | instskip(NEXT) | instid1(VALU_DEP_1)
	v_mul_f64 v[28:29], v[30:31], v[7:8]
	v_fma_f64 v[5:6], -v[5:6], v[28:29], v[30:31]
	s_delay_alu instid0(VALU_DEP_1) | instskip(NEXT) | instid1(VALU_DEP_1)
	v_div_fmas_f64 v[5:6], v[5:6], v[7:8], v[28:29]
	v_div_fixup_f64 v[5:6], v[5:6], v[17:18], v[19:20]
	s_delay_alu instid0(VALU_DEP_1) | instskip(NEXT) | instid1(VALU_DEP_1)
	v_fma_f64 v[7:8], v[19:20], v[5:6], v[17:18]
	v_div_scale_f64 v[17:18], null, v[7:8], v[7:8], 1.0
	v_div_scale_f64 v[30:31], vcc_lo, 1.0, v[7:8], 1.0
	s_delay_alu instid0(VALU_DEP_2) | instskip(SKIP_2) | instid1(VALU_DEP_1)
	v_rcp_f64_e32 v[19:20], v[17:18]
	s_waitcnt_depctr 0xfff
	v_fma_f64 v[28:29], -v[17:18], v[19:20], 1.0
	v_fma_f64 v[19:20], v[19:20], v[28:29], v[19:20]
	s_delay_alu instid0(VALU_DEP_1) | instskip(NEXT) | instid1(VALU_DEP_1)
	v_fma_f64 v[28:29], -v[17:18], v[19:20], 1.0
	v_fma_f64 v[19:20], v[19:20], v[28:29], v[19:20]
	s_delay_alu instid0(VALU_DEP_1) | instskip(NEXT) | instid1(VALU_DEP_1)
	v_mul_f64 v[28:29], v[30:31], v[19:20]
	v_fma_f64 v[17:18], -v[17:18], v[28:29], v[30:31]
	s_delay_alu instid0(VALU_DEP_1) | instskip(SKIP_1) | instid1(VALU_DEP_2)
	v_div_fmas_f64 v[17:18], v[17:18], v[19:20], v[28:29]
	v_fma_f64 v[19:20], v[5:6], v[23:24], v[21:22]
	v_div_fixup_f64 v[7:8], v[17:18], v[7:8], 1.0
	v_fma_f64 v[17:18], -v[5:6], v[21:22], v[23:24]
	s_delay_alu instid0(VALU_DEP_2) | instskip(NEXT) | instid1(VALU_DEP_2)
	v_mul_f64 v[5:6], v[19:20], v[7:8]
	v_mul_f64 v[7:8], v[17:18], v[7:8]
.LBB208_142:                            ;   in Loop: Header=BB208_127 Depth=1
	s_add_i32 s5, s5, s4
	s_delay_alu instid0(SALU_CYCLE_1) | instskip(NEXT) | instid1(SALU_CYCLE_1)
	s_lshl_b32 s5, s5, 4
	v_mov_b32_e32 v34, s5
	ds_load_b128 v[17:20], v34
	ds_load_b128 v[21:24], v34 offset:16
	ds_store_b128 v27, v[5:8]
	s_waitcnt lgkmcnt(2)
	v_mul_f64 v[28:29], v[11:12], v[19:20]
	v_mul_f64 v[19:20], v[9:10], v[19:20]
	s_waitcnt lgkmcnt(1)
	v_mul_f64 v[30:31], v[15:16], v[23:24]
	v_mul_f64 v[23:24], v[13:14], v[23:24]
	s_delay_alu instid0(VALU_DEP_4)
	v_fma_f64 v[28:29], v[9:10], v[17:18], -v[28:29]
	v_mov_b32_e32 v9, s6
	v_fma_f64 v[32:33], v[11:12], v[17:18], v[19:20]
	ds_load_b128 v[17:20], v34 offset:32
	v_fma_f64 v[13:14], v[13:14], v[21:22], -v[30:31]
	v_fma_f64 v[15:16], v[15:16], v[21:22], v[23:24]
	ds_load_b128 v[9:12], v9 offset:432
	s_waitcnt lgkmcnt(1)
	v_mul_f64 v[34:35], v[7:8], v[19:20]
	v_mul_f64 v[19:20], v[5:6], v[19:20]
	s_waitcnt lgkmcnt(0)
	v_cmp_gt_f64_e32 vcc_lo, 0, v[9:10]
	v_add_f64 v[1:2], v[1:2], -v[28:29]
	v_add_f64 v[3:4], v[3:4], -v[32:33]
	v_fma_f64 v[21:22], v[5:6], v[17:18], -v[34:35]
	v_fma_f64 v[17:18], v[7:8], v[17:18], v[19:20]
	s_delay_alu instid0(VALU_DEP_4) | instskip(SKIP_4) | instid1(VALU_DEP_4)
	v_add_f64 v[1:2], v[1:2], -v[13:14]
	v_xor_b32_e32 v14, 0x80000000, v10
	v_mov_b32_e32 v13, v9
	v_add_f64 v[3:4], v[3:4], -v[15:16]
	v_xor_b32_e32 v16, 0x80000000, v12
	v_cndmask_b32_e32 v14, v10, v14, vcc_lo
	v_cmp_gt_f64_e32 vcc_lo, 0, v[11:12]
	s_delay_alu instid0(VALU_DEP_3) | instskip(NEXT) | instid1(VALU_DEP_1)
	v_dual_mov_b32 v15, v11 :: v_dual_cndmask_b32 v16, v12, v16
	v_cmp_ngt_f64_e32 vcc_lo, v[13:14], v[15:16]
	v_add_f64 v[13:14], v[1:2], -v[21:22]
	v_add_f64 v[15:16], v[3:4], -v[17:18]
	s_cbranch_vccz .LBB208_144
; %bb.143:                              ;   in Loop: Header=BB208_127 Depth=1
	v_div_scale_f64 v[1:2], null, v[11:12], v[11:12], v[9:10]
	v_div_scale_f64 v[7:8], vcc_lo, v[9:10], v[11:12], v[9:10]
	s_delay_alu instid0(VALU_DEP_2) | instskip(SKIP_2) | instid1(VALU_DEP_1)
	v_rcp_f64_e32 v[3:4], v[1:2]
	s_waitcnt_depctr 0xfff
	v_fma_f64 v[5:6], -v[1:2], v[3:4], 1.0
	v_fma_f64 v[3:4], v[3:4], v[5:6], v[3:4]
	s_delay_alu instid0(VALU_DEP_1) | instskip(NEXT) | instid1(VALU_DEP_1)
	v_fma_f64 v[5:6], -v[1:2], v[3:4], 1.0
	v_fma_f64 v[3:4], v[3:4], v[5:6], v[3:4]
	s_delay_alu instid0(VALU_DEP_1) | instskip(NEXT) | instid1(VALU_DEP_1)
	v_mul_f64 v[5:6], v[7:8], v[3:4]
	v_fma_f64 v[1:2], -v[1:2], v[5:6], v[7:8]
	s_delay_alu instid0(VALU_DEP_1) | instskip(NEXT) | instid1(VALU_DEP_1)
	v_div_fmas_f64 v[1:2], v[1:2], v[3:4], v[5:6]
	v_div_fixup_f64 v[1:2], v[1:2], v[11:12], v[9:10]
	s_delay_alu instid0(VALU_DEP_1) | instskip(NEXT) | instid1(VALU_DEP_1)
	v_fma_f64 v[3:4], v[9:10], v[1:2], v[11:12]
	v_div_scale_f64 v[5:6], null, v[3:4], v[3:4], 1.0
	v_div_scale_f64 v[19:20], vcc_lo, 1.0, v[3:4], 1.0
	s_delay_alu instid0(VALU_DEP_2) | instskip(SKIP_2) | instid1(VALU_DEP_1)
	v_rcp_f64_e32 v[7:8], v[5:6]
	s_waitcnt_depctr 0xfff
	v_fma_f64 v[17:18], -v[5:6], v[7:8], 1.0
	v_fma_f64 v[7:8], v[7:8], v[17:18], v[7:8]
	s_delay_alu instid0(VALU_DEP_1) | instskip(NEXT) | instid1(VALU_DEP_1)
	v_fma_f64 v[17:18], -v[5:6], v[7:8], 1.0
	v_fma_f64 v[7:8], v[7:8], v[17:18], v[7:8]
	s_delay_alu instid0(VALU_DEP_1) | instskip(NEXT) | instid1(VALU_DEP_1)
	v_mul_f64 v[17:18], v[19:20], v[7:8]
	v_fma_f64 v[5:6], -v[5:6], v[17:18], v[19:20]
	s_delay_alu instid0(VALU_DEP_1) | instskip(SKIP_1) | instid1(VALU_DEP_2)
	v_div_fmas_f64 v[5:6], v[5:6], v[7:8], v[17:18]
	v_fma_f64 v[7:8], v[1:2], v[13:14], v[15:16]
	v_div_fixup_f64 v[3:4], v[5:6], v[3:4], 1.0
	v_fma_f64 v[5:6], v[1:2], v[15:16], -v[13:14]
	s_delay_alu instid0(VALU_DEP_2) | instskip(NEXT) | instid1(VALU_DEP_2)
	v_mul_f64 v[1:2], v[7:8], v[3:4]
	v_mul_f64 v[3:4], v[5:6], v[3:4]
	s_cbranch_execz .LBB208_145
	s_branch .LBB208_146
.LBB208_144:                            ;   in Loop: Header=BB208_127 Depth=1
                                        ; implicit-def: $vgpr3_vgpr4
.LBB208_145:                            ;   in Loop: Header=BB208_127 Depth=1
	v_div_scale_f64 v[1:2], null, v[9:10], v[9:10], v[11:12]
	v_div_scale_f64 v[7:8], vcc_lo, v[11:12], v[9:10], v[11:12]
	s_delay_alu instid0(VALU_DEP_2) | instskip(SKIP_2) | instid1(VALU_DEP_1)
	v_rcp_f64_e32 v[3:4], v[1:2]
	s_waitcnt_depctr 0xfff
	v_fma_f64 v[5:6], -v[1:2], v[3:4], 1.0
	v_fma_f64 v[3:4], v[3:4], v[5:6], v[3:4]
	s_delay_alu instid0(VALU_DEP_1) | instskip(NEXT) | instid1(VALU_DEP_1)
	v_fma_f64 v[5:6], -v[1:2], v[3:4], 1.0
	v_fma_f64 v[3:4], v[3:4], v[5:6], v[3:4]
	s_delay_alu instid0(VALU_DEP_1) | instskip(NEXT) | instid1(VALU_DEP_1)
	v_mul_f64 v[5:6], v[7:8], v[3:4]
	v_fma_f64 v[1:2], -v[1:2], v[5:6], v[7:8]
	s_delay_alu instid0(VALU_DEP_1) | instskip(NEXT) | instid1(VALU_DEP_1)
	v_div_fmas_f64 v[1:2], v[1:2], v[3:4], v[5:6]
	v_div_fixup_f64 v[1:2], v[1:2], v[9:10], v[11:12]
	s_delay_alu instid0(VALU_DEP_1) | instskip(NEXT) | instid1(VALU_DEP_1)
	v_fma_f64 v[3:4], v[11:12], v[1:2], v[9:10]
	v_div_scale_f64 v[5:6], null, v[3:4], v[3:4], 1.0
	v_div_scale_f64 v[11:12], vcc_lo, 1.0, v[3:4], 1.0
	s_delay_alu instid0(VALU_DEP_2) | instskip(SKIP_2) | instid1(VALU_DEP_1)
	v_rcp_f64_e32 v[7:8], v[5:6]
	s_waitcnt_depctr 0xfff
	v_fma_f64 v[9:10], -v[5:6], v[7:8], 1.0
	v_fma_f64 v[7:8], v[7:8], v[9:10], v[7:8]
	s_delay_alu instid0(VALU_DEP_1) | instskip(NEXT) | instid1(VALU_DEP_1)
	v_fma_f64 v[9:10], -v[5:6], v[7:8], 1.0
	v_fma_f64 v[7:8], v[7:8], v[9:10], v[7:8]
	s_delay_alu instid0(VALU_DEP_1) | instskip(NEXT) | instid1(VALU_DEP_1)
	v_mul_f64 v[9:10], v[11:12], v[7:8]
	v_fma_f64 v[5:6], -v[5:6], v[9:10], v[11:12]
	s_delay_alu instid0(VALU_DEP_1) | instskip(SKIP_1) | instid1(VALU_DEP_2)
	v_div_fmas_f64 v[5:6], v[5:6], v[7:8], v[9:10]
	v_fma_f64 v[7:8], v[1:2], v[15:16], v[13:14]
	v_div_fixup_f64 v[3:4], v[5:6], v[3:4], 1.0
	v_fma_f64 v[5:6], -v[1:2], v[13:14], v[15:16]
	s_delay_alu instid0(VALU_DEP_2) | instskip(NEXT) | instid1(VALU_DEP_2)
	v_mul_f64 v[1:2], v[7:8], v[3:4]
	v_mul_f64 v[3:4], v[5:6], v[3:4]
.LBB208_146:                            ;   in Loop: Header=BB208_127 Depth=1
	s_add_i32 s5, s4, 4
	s_add_i32 s4, s4, 7
	s_addk_i32 s1, 0x200
	s_cmp_ge_i32 s4, s29
	ds_store_b128 v26, v[1:4]
	s_cbranch_scc1 .LBB208_148
; %bb.147:                              ;   in Loop: Header=BB208_127 Depth=1
	s_mov_b32 s4, s5
	s_branch .LBB208_127
.LBB208_148:
	s_cmp_ge_i32 s5, s29
	s_cbranch_scc1 .LBB208_163
; %bb.149:
	v_lshl_or_b32 v13, v0, 4, 0x400
	v_lshlrev_b32_e32 v14, 4, v0
	s_add_i32 s1, s5, -1
	s_lshl_b32 s4, s5, 7
	s_mov_b32 s6, 0
	s_mov_b32 s7, s5
	s_branch .LBB208_151
.LBB208_150:                            ;   in Loop: Header=BB208_151 Depth=1
	v_add_nc_u16 v1, s7, 1
	s_add_i32 s5, s5, 1
	s_add_i32 s6, s6, 1
	s_addk_i32 s4, 0x80
	s_cmp_ge_i32 s5, s29
	v_readfirstlane_b32 s7, v1
	ds_store_b128 v15, v[9:12]
	s_cbranch_scc1 .LBB208_163
.LBB208_151:                            ; =>This Loop Header: Depth=1
                                        ;     Child Loop BB208_154 Depth 2
                                        ;     Child Loop BB208_158 Depth 2
	v_lshl_or_b32 v5, s5, 7, v14
	s_cmp_eq_u32 s5, 0
	ds_load_b128 v[1:4], v5 offset:1024
	s_cbranch_scc1 .LBB208_159
; %bb.152:                              ;   in Loop: Header=BB208_151 Depth=1
	s_add_i32 s10, s1, s6
	s_delay_alu instid0(SALU_CYCLE_1)
	s_cmp_lt_u32 s10, 3
	s_cbranch_scc1 .LBB208_156
; %bb.153:                              ;   in Loop: Header=BB208_151 Depth=1
	v_mov_b32_e32 v6, v13
	s_and_b32 s10, s5, -4
	s_mov_b32 s11, 0
	s_mov_b32 s14, s4
.LBB208_154:                            ;   Parent Loop BB208_151 Depth=1
                                        ; =>  This Inner Loop Header: Depth=2
	s_delay_alu instid0(SALU_CYCLE_1)
	v_mov_b32_e32 v31, s14
	s_add_i32 s11, s11, 4
	s_add_i32 s14, s14, 64
	s_cmp_eq_u32 s10, s11
	ds_load_b128 v[7:10], v6
	ds_load_b128 v[15:18], v31
	ds_load_b128 v[19:22], v6 offset:128
	ds_load_b128 v[23:26], v31 offset:16
	s_waitcnt lgkmcnt(2)
	v_mul_f64 v[11:12], v[17:18], v[9:10]
	v_mul_f64 v[9:10], v[15:16], v[9:10]
	s_waitcnt lgkmcnt(0)
	v_mul_f64 v[35:36], v[25:26], v[21:22]
	v_mul_f64 v[21:22], v[23:24], v[21:22]
	s_delay_alu instid0(VALU_DEP_4) | instskip(NEXT) | instid1(VALU_DEP_4)
	v_fma_f64 v[11:12], v[15:16], v[7:8], -v[11:12]
	v_fma_f64 v[37:38], v[17:18], v[7:8], v[9:10]
	ds_load_b128 v[7:10], v6 offset:256
	ds_load_b128 v[15:18], v31 offset:32
	;; [unrolled: 1-line block ×4, first 2 shown]
	v_add_nc_u32_e32 v6, 0x200, v6
	v_fma_f64 v[23:24], v[23:24], v[19:20], -v[35:36]
	v_fma_f64 v[19:20], v[25:26], v[19:20], v[21:22]
	s_waitcnt lgkmcnt(2)
	v_mul_f64 v[39:40], v[17:18], v[9:10]
	v_mul_f64 v[9:10], v[15:16], v[9:10]
	s_waitcnt lgkmcnt(0)
	v_mul_f64 v[21:22], v[31:32], v[29:30]
	v_add_f64 v[1:2], v[1:2], -v[11:12]
	v_add_f64 v[3:4], v[3:4], -v[37:38]
	v_mul_f64 v[11:12], v[33:34], v[29:30]
	v_fma_f64 v[15:16], v[15:16], v[7:8], -v[39:40]
	v_fma_f64 v[7:8], v[17:18], v[7:8], v[9:10]
	v_add_f64 v[1:2], v[1:2], -v[23:24]
	v_add_f64 v[3:4], v[3:4], -v[19:20]
	v_fma_f64 v[9:10], v[31:32], v[27:28], -v[11:12]
	v_fma_f64 v[11:12], v[33:34], v[27:28], v[21:22]
	s_delay_alu instid0(VALU_DEP_4) | instskip(NEXT) | instid1(VALU_DEP_4)
	v_add_f64 v[1:2], v[1:2], -v[15:16]
	v_add_f64 v[3:4], v[3:4], -v[7:8]
	s_delay_alu instid0(VALU_DEP_2) | instskip(NEXT) | instid1(VALU_DEP_2)
	v_add_f64 v[1:2], v[1:2], -v[9:10]
	v_add_f64 v[3:4], v[3:4], -v[11:12]
	s_cbranch_scc0 .LBB208_154
; %bb.155:                              ;   in Loop: Header=BB208_151 Depth=1
	s_and_b32 s11, s5, 3
	s_delay_alu instid0(SALU_CYCLE_1)
	s_cmp_eq_u32 s11, 0
	s_cbranch_scc0 .LBB208_157
	s_branch .LBB208_159
.LBB208_156:                            ;   in Loop: Header=BB208_151 Depth=1
	s_mov_b32 s10, 0
	s_and_b32 s11, s5, 3
	s_delay_alu instid0(SALU_CYCLE_1)
	s_cmp_eq_u32 s11, 0
	s_cbranch_scc1 .LBB208_159
.LBB208_157:                            ;   in Loop: Header=BB208_151 Depth=1
	v_lshl_add_u32 v6, s10, 7, v13
	s_and_b32 s11, s7, 3
	s_lshl_b32 s10, s10, 4
	.p2align	6
.LBB208_158:                            ;   Parent Loop BB208_151 Depth=1
                                        ; =>  This Inner Loop Header: Depth=2
	s_delay_alu instid0(SALU_CYCLE_1)
	s_add_i32 s14, s4, s10
	s_add_i32 s11, s11, -1
	v_mov_b32_e32 v11, s14
	s_add_i32 s10, s10, 16
	s_cmp_lg_u32 s11, 0
	ds_load_b128 v[7:10], v6
	ds_load_b128 v[15:18], v11
	v_add_nc_u32_e32 v6, 0x80, v6
	s_waitcnt lgkmcnt(0)
	v_mul_f64 v[11:12], v[17:18], v[9:10]
	v_mul_f64 v[9:10], v[15:16], v[9:10]
	s_delay_alu instid0(VALU_DEP_2) | instskip(NEXT) | instid1(VALU_DEP_2)
	v_fma_f64 v[11:12], v[15:16], v[7:8], -v[11:12]
	v_fma_f64 v[7:8], v[17:18], v[7:8], v[9:10]
	s_delay_alu instid0(VALU_DEP_2) | instskip(NEXT) | instid1(VALU_DEP_2)
	v_add_f64 v[1:2], v[1:2], -v[11:12]
	v_add_f64 v[3:4], v[3:4], -v[7:8]
	s_cbranch_scc1 .LBB208_158
.LBB208_159:                            ;   in Loop: Header=BB208_151 Depth=1
	s_mul_i32 s10, s5, 0x90
	v_add_nc_u32_e32 v15, 0x400, v5
	v_mov_b32_e32 v5, s10
	ds_load_b128 v[5:8], v5
	s_waitcnt lgkmcnt(0)
	v_cmp_gt_f64_e32 vcc_lo, 0, v[5:6]
	v_xor_b32_e32 v10, 0x80000000, v6
	v_xor_b32_e32 v11, 0x80000000, v8
	s_delay_alu instid0(VALU_DEP_2) | instskip(SKIP_1) | instid1(VALU_DEP_3)
	v_dual_mov_b32 v9, v5 :: v_dual_cndmask_b32 v10, v6, v10
	v_cmp_gt_f64_e32 vcc_lo, 0, v[7:8]
	v_dual_cndmask_b32 v12, v8, v11 :: v_dual_mov_b32 v11, v7
	s_delay_alu instid0(VALU_DEP_1)
	v_cmp_ngt_f64_e32 vcc_lo, v[9:10], v[11:12]
	s_cbranch_vccz .LBB208_161
; %bb.160:                              ;   in Loop: Header=BB208_151 Depth=1
	v_div_scale_f64 v[9:10], null, v[7:8], v[7:8], v[5:6]
	v_div_scale_f64 v[18:19], vcc_lo, v[5:6], v[7:8], v[5:6]
	s_delay_alu instid0(VALU_DEP_2) | instskip(SKIP_2) | instid1(VALU_DEP_1)
	v_rcp_f64_e32 v[11:12], v[9:10]
	s_waitcnt_depctr 0xfff
	v_fma_f64 v[16:17], -v[9:10], v[11:12], 1.0
	v_fma_f64 v[11:12], v[11:12], v[16:17], v[11:12]
	s_delay_alu instid0(VALU_DEP_1) | instskip(NEXT) | instid1(VALU_DEP_1)
	v_fma_f64 v[16:17], -v[9:10], v[11:12], 1.0
	v_fma_f64 v[11:12], v[11:12], v[16:17], v[11:12]
	s_delay_alu instid0(VALU_DEP_1) | instskip(NEXT) | instid1(VALU_DEP_1)
	v_mul_f64 v[16:17], v[18:19], v[11:12]
	v_fma_f64 v[9:10], -v[9:10], v[16:17], v[18:19]
	s_delay_alu instid0(VALU_DEP_1) | instskip(NEXT) | instid1(VALU_DEP_1)
	v_div_fmas_f64 v[9:10], v[9:10], v[11:12], v[16:17]
	v_div_fixup_f64 v[9:10], v[9:10], v[7:8], v[5:6]
	s_delay_alu instid0(VALU_DEP_1) | instskip(NEXT) | instid1(VALU_DEP_1)
	v_fma_f64 v[11:12], v[5:6], v[9:10], v[7:8]
	v_div_scale_f64 v[16:17], null, v[11:12], v[11:12], 1.0
	v_div_scale_f64 v[22:23], vcc_lo, 1.0, v[11:12], 1.0
	s_delay_alu instid0(VALU_DEP_2) | instskip(SKIP_2) | instid1(VALU_DEP_1)
	v_rcp_f64_e32 v[18:19], v[16:17]
	s_waitcnt_depctr 0xfff
	v_fma_f64 v[20:21], -v[16:17], v[18:19], 1.0
	v_fma_f64 v[18:19], v[18:19], v[20:21], v[18:19]
	s_delay_alu instid0(VALU_DEP_1) | instskip(NEXT) | instid1(VALU_DEP_1)
	v_fma_f64 v[20:21], -v[16:17], v[18:19], 1.0
	v_fma_f64 v[18:19], v[18:19], v[20:21], v[18:19]
	s_delay_alu instid0(VALU_DEP_1) | instskip(NEXT) | instid1(VALU_DEP_1)
	v_mul_f64 v[20:21], v[22:23], v[18:19]
	v_fma_f64 v[16:17], -v[16:17], v[20:21], v[22:23]
	s_delay_alu instid0(VALU_DEP_1) | instskip(SKIP_1) | instid1(VALU_DEP_2)
	v_div_fmas_f64 v[16:17], v[16:17], v[18:19], v[20:21]
	v_fma_f64 v[18:19], v[1:2], v[9:10], v[3:4]
	v_div_fixup_f64 v[11:12], v[16:17], v[11:12], 1.0
	v_fma_f64 v[16:17], v[3:4], v[9:10], -v[1:2]
	s_delay_alu instid0(VALU_DEP_2) | instskip(NEXT) | instid1(VALU_DEP_2)
	v_mul_f64 v[9:10], v[18:19], v[11:12]
	v_mul_f64 v[11:12], v[16:17], v[11:12]
	s_cbranch_execnz .LBB208_150
	s_branch .LBB208_162
.LBB208_161:                            ;   in Loop: Header=BB208_151 Depth=1
                                        ; implicit-def: $vgpr9_vgpr10
.LBB208_162:                            ;   in Loop: Header=BB208_151 Depth=1
	v_div_scale_f64 v[9:10], null, v[5:6], v[5:6], v[7:8]
	v_div_scale_f64 v[18:19], vcc_lo, v[7:8], v[5:6], v[7:8]
	s_delay_alu instid0(VALU_DEP_2) | instskip(SKIP_2) | instid1(VALU_DEP_1)
	v_rcp_f64_e32 v[11:12], v[9:10]
	s_waitcnt_depctr 0xfff
	v_fma_f64 v[16:17], -v[9:10], v[11:12], 1.0
	v_fma_f64 v[11:12], v[11:12], v[16:17], v[11:12]
	s_delay_alu instid0(VALU_DEP_1) | instskip(NEXT) | instid1(VALU_DEP_1)
	v_fma_f64 v[16:17], -v[9:10], v[11:12], 1.0
	v_fma_f64 v[11:12], v[11:12], v[16:17], v[11:12]
	s_delay_alu instid0(VALU_DEP_1) | instskip(NEXT) | instid1(VALU_DEP_1)
	v_mul_f64 v[16:17], v[18:19], v[11:12]
	v_fma_f64 v[9:10], -v[9:10], v[16:17], v[18:19]
	s_delay_alu instid0(VALU_DEP_1) | instskip(NEXT) | instid1(VALU_DEP_1)
	v_div_fmas_f64 v[9:10], v[9:10], v[11:12], v[16:17]
	v_div_fixup_f64 v[9:10], v[9:10], v[5:6], v[7:8]
	s_delay_alu instid0(VALU_DEP_1) | instskip(NEXT) | instid1(VALU_DEP_1)
	v_fma_f64 v[5:6], v[7:8], v[9:10], v[5:6]
	v_div_scale_f64 v[7:8], null, v[5:6], v[5:6], 1.0
	v_div_scale_f64 v[18:19], vcc_lo, 1.0, v[5:6], 1.0
	s_delay_alu instid0(VALU_DEP_2) | instskip(SKIP_2) | instid1(VALU_DEP_1)
	v_rcp_f64_e32 v[11:12], v[7:8]
	s_waitcnt_depctr 0xfff
	v_fma_f64 v[16:17], -v[7:8], v[11:12], 1.0
	v_fma_f64 v[11:12], v[11:12], v[16:17], v[11:12]
	s_delay_alu instid0(VALU_DEP_1) | instskip(NEXT) | instid1(VALU_DEP_1)
	v_fma_f64 v[16:17], -v[7:8], v[11:12], 1.0
	v_fma_f64 v[11:12], v[11:12], v[16:17], v[11:12]
	s_delay_alu instid0(VALU_DEP_1) | instskip(NEXT) | instid1(VALU_DEP_1)
	v_mul_f64 v[16:17], v[18:19], v[11:12]
	v_fma_f64 v[7:8], -v[7:8], v[16:17], v[18:19]
	s_delay_alu instid0(VALU_DEP_1) | instskip(SKIP_2) | instid1(VALU_DEP_3)
	v_div_fmas_f64 v[7:8], v[7:8], v[11:12], v[16:17]
	v_fma_f64 v[11:12], v[3:4], v[9:10], v[1:2]
	v_fma_f64 v[1:2], -v[1:2], v[9:10], v[3:4]
	v_div_fixup_f64 v[5:6], v[7:8], v[5:6], 1.0
	s_delay_alu instid0(VALU_DEP_1) | instskip(NEXT) | instid1(VALU_DEP_3)
	v_mul_f64 v[9:10], v[11:12], v[5:6]
	v_mul_f64 v[11:12], v[1:2], v[5:6]
	s_branch .LBB208_150
.LBB208_163:
	s_and_saveexec_b32 s1, s20
	s_cbranch_execz .LBB208_170
; %bb.164:
	v_lshlrev_b32_e32 v3, 4, v0
	s_ashr_i32 s1, s0, 31
	s_cmp_lt_u32 s28, 4
	s_mov_b32 s14, 0
	s_cbranch_scc1 .LBB208_167
; %bb.165:
	v_add_co_u32 v1, s4, s18, v3
	s_delay_alu instid0(VALU_DEP_1)
	v_add_co_ci_u32_e64 v2, null, s19, 0, s4
	v_lshl_or_b32 v0, v0, 4, 0x400
	s_and_b32 s14, s28, 0x7ffffffc
	s_mul_hi_i32 s15, s0, 48
	s_mul_i32 s16, s0, 48
	s_lshl_b64 s[4:5], s[0:1], 6
	s_lshl_b64 s[6:7], s[0:1], 5
	;; [unrolled: 1-line block ×3, first 2 shown]
	s_mov_b32 s17, 0
	s_set_inst_prefetch_distance 0x1
	.p2align	6
.LBB208_166:                            ; =>This Inner Loop Header: Depth=1
	ds_load_2addr_b64 v[4:7], v0 offset1:1
	ds_load_2addr_b64 v[8:11], v0 offset0:16 offset1:17
	ds_load_2addr_b64 v[12:15], v0 offset0:32 offset1:33
	;; [unrolled: 1-line block ×3, first 2 shown]
	v_add_co_u32 v20, vcc_lo, v1, s10
	v_add_co_ci_u32_e32 v21, vcc_lo, s11, v2, vcc_lo
	v_add_co_u32 v22, vcc_lo, v1, s6
	v_add_co_ci_u32_e32 v23, vcc_lo, s7, v2, vcc_lo
	;; [unrolled: 2-line block ×3, first 2 shown]
	v_add_nc_u32_e32 v0, 0x200, v0
	s_add_i32 s17, s17, 4
	s_delay_alu instid0(SALU_CYCLE_1)
	s_cmp_lg_u32 s14, s17
	s_waitcnt lgkmcnt(3)
	global_store_b128 v[1:2], v[4:7], off
	v_add_co_u32 v1, vcc_lo, v1, s4
	v_add_co_ci_u32_e32 v2, vcc_lo, s5, v2, vcc_lo
	s_waitcnt lgkmcnt(2)
	global_store_b128 v[20:21], v[8:11], off
	s_waitcnt lgkmcnt(1)
	global_store_b128 v[22:23], v[12:15], off
	;; [unrolled: 2-line block ×3, first 2 shown]
	s_cbranch_scc1 .LBB208_166
.LBB208_167:
	s_set_inst_prefetch_distance 0x2
	s_and_b32 s4, s28, 3
	s_delay_alu instid0(SALU_CYCLE_1)
	s_cmp_eq_u32 s4, 0
	s_cbranch_scc1 .LBB208_170
; %bb.168:
	s_mul_hi_i32 s7, s0, s14
	s_mul_i32 s6, s0, s14
	v_lshl_or_b32 v2, s14, 7, v3
	s_lshl_b64 s[6:7], s[6:7], 4
	s_delay_alu instid0(SALU_CYCLE_1)
	s_add_u32 s5, s6, s8
	s_addc_u32 s6, s7, s9
	s_add_u32 s2, s5, s2
	s_addc_u32 s3, s6, s3
	s_add_u32 s2, s12, s2
	s_addc_u32 s3, s13, s3
	v_add_co_u32 v0, s2, s2, v3
	s_delay_alu instid0(VALU_DEP_1)
	v_add_co_ci_u32_e64 v1, null, s3, 0, s2
	v_add_nc_u32_e32 v2, 0x400, v2
	s_lshl_b64 s[0:1], s[0:1], 4
.LBB208_169:                            ; =>This Inner Loop Header: Depth=1
	ds_load_2addr_b64 v[3:6], v2 offset1:1
	v_add_nc_u32_e32 v2, 0x80, v2
	s_add_i32 s4, s4, -1
	s_delay_alu instid0(SALU_CYCLE_1)
	s_cmp_lg_u32 s4, 0
	s_waitcnt lgkmcnt(0)
	global_store_b128 v[0:1], v[3:6], off
	v_add_co_u32 v0, vcc_lo, v0, s0
	v_add_co_ci_u32_e32 v1, vcc_lo, s1, v1, vcc_lo
	s_cbranch_scc1 .LBB208_169
.LBB208_170:
	s_nop 0
	s_sendmsg sendmsg(MSG_DEALLOC_VGPRS)
	s_endpgm
	.section	.rodata,"a",@progbits
	.p2align	6, 0x0
	.amdhsa_kernel _ZL31rocblas_trsm_small_right_deviceI19rocblas_complex_numIdES1_PKPKS1_PKPS1_Li8EEv13rocblas_fill_18rocblas_operation_17rocblas_diagonal_iiT0_T1_lilT2_lili
		.amdhsa_group_segment_fixed_size 2048
		.amdhsa_private_segment_fixed_size 0
		.amdhsa_kernarg_size 368
		.amdhsa_user_sgpr_count 14
		.amdhsa_user_sgpr_dispatch_ptr 0
		.amdhsa_user_sgpr_queue_ptr 0
		.amdhsa_user_sgpr_kernarg_segment_ptr 1
		.amdhsa_user_sgpr_dispatch_id 0
		.amdhsa_user_sgpr_private_segment_size 0
		.amdhsa_wavefront_size32 1
		.amdhsa_uses_dynamic_stack 0
		.amdhsa_enable_private_segment 0
		.amdhsa_system_sgpr_workgroup_id_x 1
		.amdhsa_system_sgpr_workgroup_id_y 0
		.amdhsa_system_sgpr_workgroup_id_z 1
		.amdhsa_system_sgpr_workgroup_info 0
		.amdhsa_system_vgpr_workitem_id 0
		.amdhsa_next_free_vgpr 81
		.amdhsa_next_free_sgpr 32
		.amdhsa_reserve_vcc 1
		.amdhsa_float_round_mode_32 0
		.amdhsa_float_round_mode_16_64 0
		.amdhsa_float_denorm_mode_32 3
		.amdhsa_float_denorm_mode_16_64 3
		.amdhsa_dx10_clamp 1
		.amdhsa_ieee_mode 1
		.amdhsa_fp16_overflow 0
		.amdhsa_workgroup_processor_mode 1
		.amdhsa_memory_ordered 1
		.amdhsa_forward_progress 0
		.amdhsa_shared_vgpr_count 0
		.amdhsa_exception_fp_ieee_invalid_op 0
		.amdhsa_exception_fp_denorm_src 0
		.amdhsa_exception_fp_ieee_div_zero 0
		.amdhsa_exception_fp_ieee_overflow 0
		.amdhsa_exception_fp_ieee_underflow 0
		.amdhsa_exception_fp_ieee_inexact 0
		.amdhsa_exception_int_div_zero 0
	.end_amdhsa_kernel
	.section	.text._ZL31rocblas_trsm_small_right_deviceI19rocblas_complex_numIdES1_PKPKS1_PKPS1_Li8EEv13rocblas_fill_18rocblas_operation_17rocblas_diagonal_iiT0_T1_lilT2_lili,"axG",@progbits,_ZL31rocblas_trsm_small_right_deviceI19rocblas_complex_numIdES1_PKPKS1_PKPS1_Li8EEv13rocblas_fill_18rocblas_operation_17rocblas_diagonal_iiT0_T1_lilT2_lili,comdat
.Lfunc_end208:
	.size	_ZL31rocblas_trsm_small_right_deviceI19rocblas_complex_numIdES1_PKPKS1_PKPS1_Li8EEv13rocblas_fill_18rocblas_operation_17rocblas_diagonal_iiT0_T1_lilT2_lili, .Lfunc_end208-_ZL31rocblas_trsm_small_right_deviceI19rocblas_complex_numIdES1_PKPKS1_PKPS1_Li8EEv13rocblas_fill_18rocblas_operation_17rocblas_diagonal_iiT0_T1_lilT2_lili
                                        ; -- End function
	.section	.AMDGPU.csdata,"",@progbits
; Kernel info:
; codeLenInByte = 19892
; NumSgprs: 34
; NumVgprs: 81
; ScratchSize: 0
; MemoryBound: 0
; FloatMode: 240
; IeeeMode: 1
; LDSByteSize: 2048 bytes/workgroup (compile time only)
; SGPRBlocks: 4
; VGPRBlocks: 10
; NumSGPRsForWavesPerEU: 34
; NumVGPRsForWavesPerEU: 81
; Occupancy: 16
; WaveLimiterHint : 0
; COMPUTE_PGM_RSRC2:SCRATCH_EN: 0
; COMPUTE_PGM_RSRC2:USER_SGPR: 14
; COMPUTE_PGM_RSRC2:TRAP_HANDLER: 0
; COMPUTE_PGM_RSRC2:TGID_X_EN: 1
; COMPUTE_PGM_RSRC2:TGID_Y_EN: 0
; COMPUTE_PGM_RSRC2:TGID_Z_EN: 1
; COMPUTE_PGM_RSRC2:TIDIG_COMP_CNT: 0
	.section	.text._ZL38rocblas_trsm_small_left_device_sharedBILi12ELi12ELb0E19rocblas_complex_numIdES1_PKPKS1_PKPS1_Ev13rocblas_fill_18rocblas_operation_17rocblas_diagonal_iiT3_T4_lilT5_lili,"axG",@progbits,_ZL38rocblas_trsm_small_left_device_sharedBILi12ELi12ELb0E19rocblas_complex_numIdES1_PKPKS1_PKPS1_Ev13rocblas_fill_18rocblas_operation_17rocblas_diagonal_iiT3_T4_lilT5_lili,comdat
	.globl	_ZL38rocblas_trsm_small_left_device_sharedBILi12ELi12ELb0E19rocblas_complex_numIdES1_PKPKS1_PKPS1_Ev13rocblas_fill_18rocblas_operation_17rocblas_diagonal_iiT3_T4_lilT5_lili ; -- Begin function _ZL38rocblas_trsm_small_left_device_sharedBILi12ELi12ELb0E19rocblas_complex_numIdES1_PKPKS1_PKPS1_Ev13rocblas_fill_18rocblas_operation_17rocblas_diagonal_iiT3_T4_lilT5_lili
	.p2align	8
	.type	_ZL38rocblas_trsm_small_left_device_sharedBILi12ELi12ELb0E19rocblas_complex_numIdES1_PKPKS1_PKPS1_Ev13rocblas_fill_18rocblas_operation_17rocblas_diagonal_iiT3_T4_lilT5_lili,@function
_ZL38rocblas_trsm_small_left_device_sharedBILi12ELi12ELb0E19rocblas_complex_numIdES1_PKPKS1_PKPS1_Ev13rocblas_fill_18rocblas_operation_17rocblas_diagonal_iiT3_T4_lilT5_lili: ; @_ZL38rocblas_trsm_small_left_device_sharedBILi12ELi12ELb0E19rocblas_complex_numIdES1_PKPKS1_PKPS1_Ev13rocblas_fill_18rocblas_operation_17rocblas_diagonal_iiT3_T4_lilT5_lili
; %bb.0:
	s_clause 0x1
	s_load_b128 s[20:23], s[0:1], 0x48
	s_load_b128 s[16:19], s[0:1], 0x4
	s_mov_b32 s2, s15
	s_mov_b32 s3, 0
	s_load_b32 s29, s[0:1], 0x70
	s_lshl_b64 s[24:25], s[2:3], 3
	s_mov_b32 s30, exec_lo
	s_waitcnt lgkmcnt(0)
	s_add_u32 s12, s20, s24
	s_addc_u32 s13, s21, s25
	s_load_b256 s[4:11], s[0:1], 0x18
	s_load_b64 s[12:13], s[12:13], 0x0
	s_min_i32 s15, s18, 12
	s_delay_alu instid0(SALU_CYCLE_1)
	s_add_i32 s28, s15, -1
	v_cmpx_gt_i32_e64 s15, v0
	s_cbranch_execz .LBB209_15
; %bb.1:
	s_load_b32 s20, s[0:1], 0x38
	s_waitcnt lgkmcnt(0)
	s_ashr_i32 s21, s20, 31
	s_cmpk_eq_i32 s16, 0x71
	s_cselect_b32 vcc_lo, -1, 0
	s_add_u32 s8, s8, s24
	s_addc_u32 s9, s9, s25
	s_cmp_lt_u32 s28, 3
	s_load_b64 s[8:9], s[8:9], 0x0
	s_cbranch_scc1 .LBB209_4
; %bb.2:
	v_lshlrev_b32_e32 v1, 4, v0
	s_lshl_b64 s[24:25], s[10:11], 4
	s_and_b32 s3, s15, -4
	s_waitcnt lgkmcnt(0)
	s_add_u32 s2, s8, s24
	s_addc_u32 s24, s9, s25
	v_add_co_u32 v1, s2, s2, v1
	s_delay_alu instid0(VALU_DEP_1) | instskip(SKIP_1) | instid1(VALU_DEP_3)
	v_add_co_ci_u32_e64 v2, null, s24, 0, s2
	v_lshlrev_b32_e32 v3, 4, v0
	v_add_co_u32 v1, s2, v1, 8
	s_delay_alu instid0(VALU_DEP_1)
	v_add_co_ci_u32_e64 v2, s2, 0, v2, s2
	s_lshl_b64 s[24:25], s[20:21], 6
	s_lshl_b64 s[26:27], s[20:21], 4
	s_mov_b32 s31, 0
.LBB209_3:                              ; =>This Inner Loop Header: Depth=1
	v_add_co_u32 v8, s2, v1, s26
	s_delay_alu instid0(VALU_DEP_1) | instskip(SKIP_1) | instid1(VALU_DEP_2)
	v_add_co_ci_u32_e64 v9, s2, s27, v2, s2
	s_add_i32 s31, s31, 4
	v_add_co_u32 v12, s2, v8, s26
	s_delay_alu instid0(VALU_DEP_1) | instskip(SKIP_1) | instid1(VALU_DEP_2)
	v_add_co_ci_u32_e64 v13, s2, s27, v9, s2
	s_cmp_eq_u32 s3, s31
	v_add_co_u32 v16, s2, v12, s26
	s_delay_alu instid0(VALU_DEP_1)
	v_add_co_ci_u32_e64 v17, s2, s27, v13, s2
	s_clause 0x3
	global_load_b128 v[4:7], v[1:2], off offset:-8
	global_load_b128 v[8:11], v[8:9], off offset:-8
	;; [unrolled: 1-line block ×4, first 2 shown]
	v_add_co_u32 v1, s2, v1, s24
	s_delay_alu instid0(VALU_DEP_1)
	v_add_co_ci_u32_e64 v2, s2, s25, v2, s2
	s_waitcnt vmcnt(3)
	v_xor_b32_e32 v20, 0x80000000, v7
	s_waitcnt vmcnt(2)
	v_xor_b32_e32 v21, 0x80000000, v11
	;; [unrolled: 2-line block ×4, first 2 shown]
	v_cndmask_b32_e32 v7, v7, v20, vcc_lo
	v_cndmask_b32_e32 v11, v11, v21, vcc_lo
	;; [unrolled: 1-line block ×3, first 2 shown]
	s_delay_alu instid0(VALU_DEP_4)
	v_cndmask_b32_e32 v19, v19, v23, vcc_lo
	ds_store_b128 v3, v[4:7]
	ds_store_b128 v3, v[8:11] offset:192
	ds_store_b128 v3, v[12:15] offset:384
	;; [unrolled: 1-line block ×3, first 2 shown]
	v_add_nc_u32_e32 v3, 0x300, v3
	s_cbranch_scc0 .LBB209_3
.LBB209_4:
	s_and_b32 s24, s15, 3
	s_delay_alu instid0(SALU_CYCLE_1)
	s_cmp_eq_u32 s24, 0
	s_cbranch_scc1 .LBB209_7
; %bb.5:
	s_mul_i32 s2, s21, s3
	s_mul_hi_u32 s25, s20, s3
	s_mul_i32 s26, s20, s3
	s_add_i32 s27, s25, s2
	s_lshl_b64 s[10:11], s[10:11], 4
	s_lshl_b64 s[26:27], s[26:27], 4
	v_lshlrev_b32_e32 v1, 4, v0
	s_mul_i32 s2, s3, 0xc0
	s_add_u32 s3, s26, s10
	s_addc_u32 s10, s27, s11
	s_waitcnt lgkmcnt(0)
	s_add_u32 s3, s8, s3
	s_addc_u32 s8, s9, s10
	v_add_co_u32 v1, s3, s3, v1
	s_delay_alu instid0(VALU_DEP_1) | instskip(SKIP_1) | instid1(VALU_DEP_3)
	v_add_co_ci_u32_e64 v2, null, s8, 0, s3
	v_lshl_add_u32 v3, v0, 4, s2
	v_add_co_u32 v1, s2, v1, 8
	s_delay_alu instid0(VALU_DEP_1)
	v_add_co_ci_u32_e64 v2, s2, 0, v2, s2
	s_lshl_b64 s[8:9], s[20:21], 4
.LBB209_6:                              ; =>This Inner Loop Header: Depth=1
	global_load_b128 v[4:7], v[1:2], off offset:-8
	v_add_co_u32 v1, s2, v1, s8
	s_delay_alu instid0(VALU_DEP_1) | instskip(SKIP_1) | instid1(SALU_CYCLE_1)
	v_add_co_ci_u32_e64 v2, s2, s9, v2, s2
	s_add_i32 s24, s24, -1
	s_cmp_lg_u32 s24, 0
	s_waitcnt vmcnt(0)
	v_xor_b32_e32 v8, 0x80000000, v7
	s_delay_alu instid0(VALU_DEP_1)
	v_cndmask_b32_e32 v7, v7, v8, vcc_lo
	ds_store_b128 v3, v[4:7]
	v_add_nc_u32_e32 v3, 0xc0, v3
	s_cbranch_scc1 .LBB209_6
.LBB209_7:
	v_mul_u32_u24_e32 v1, 13, v0
	s_cmpk_lg_i32 s17, 0x84
	s_delay_alu instid0(VALU_DEP_1)
	v_lshlrev_b32_e32 v9, 4, v1
	s_cbranch_scc0 .LBB209_13
; %bb.8:
	ds_load_b128 v[1:4], v9
	s_waitcnt lgkmcnt(0)
	v_cmp_gt_f64_e32 vcc_lo, 0, v[1:2]
	v_xor_b32_e32 v6, 0x80000000, v2
	v_mov_b32_e32 v5, v1
	v_xor_b32_e32 v7, 0x80000000, v4
	s_delay_alu instid0(VALU_DEP_3) | instskip(SKIP_1) | instid1(VALU_DEP_3)
	v_cndmask_b32_e32 v6, v2, v6, vcc_lo
	v_cmp_gt_f64_e32 vcc_lo, 0, v[3:4]
	v_dual_cndmask_b32 v8, v4, v7 :: v_dual_mov_b32 v7, v3
	s_delay_alu instid0(VALU_DEP_1) | instskip(SKIP_1) | instid1(SALU_CYCLE_1)
	v_cmp_ngt_f64_e32 vcc_lo, v[5:6], v[7:8]
                                        ; implicit-def: $vgpr7_vgpr8
	s_and_saveexec_b32 s2, vcc_lo
	s_xor_b32 s2, exec_lo, s2
	s_cbranch_execz .LBB209_10
; %bb.9:
	v_div_scale_f64 v[5:6], null, v[3:4], v[3:4], v[1:2]
	v_div_scale_f64 v[12:13], vcc_lo, v[1:2], v[3:4], v[1:2]
	s_delay_alu instid0(VALU_DEP_2) | instskip(SKIP_2) | instid1(VALU_DEP_1)
	v_rcp_f64_e32 v[7:8], v[5:6]
	s_waitcnt_depctr 0xfff
	v_fma_f64 v[10:11], -v[5:6], v[7:8], 1.0
	v_fma_f64 v[7:8], v[7:8], v[10:11], v[7:8]
	s_delay_alu instid0(VALU_DEP_1) | instskip(NEXT) | instid1(VALU_DEP_1)
	v_fma_f64 v[10:11], -v[5:6], v[7:8], 1.0
	v_fma_f64 v[7:8], v[7:8], v[10:11], v[7:8]
	s_delay_alu instid0(VALU_DEP_1) | instskip(NEXT) | instid1(VALU_DEP_1)
	v_mul_f64 v[10:11], v[12:13], v[7:8]
	v_fma_f64 v[5:6], -v[5:6], v[10:11], v[12:13]
	s_delay_alu instid0(VALU_DEP_1) | instskip(NEXT) | instid1(VALU_DEP_1)
	v_div_fmas_f64 v[5:6], v[5:6], v[7:8], v[10:11]
	v_div_fixup_f64 v[5:6], v[5:6], v[3:4], v[1:2]
	s_delay_alu instid0(VALU_DEP_1) | instskip(NEXT) | instid1(VALU_DEP_1)
	v_fma_f64 v[1:2], v[1:2], v[5:6], v[3:4]
	v_div_scale_f64 v[3:4], null, v[1:2], v[1:2], 1.0
	v_div_scale_f64 v[12:13], vcc_lo, 1.0, v[1:2], 1.0
	s_delay_alu instid0(VALU_DEP_2) | instskip(SKIP_2) | instid1(VALU_DEP_1)
	v_rcp_f64_e32 v[7:8], v[3:4]
	s_waitcnt_depctr 0xfff
	v_fma_f64 v[10:11], -v[3:4], v[7:8], 1.0
	v_fma_f64 v[7:8], v[7:8], v[10:11], v[7:8]
	s_delay_alu instid0(VALU_DEP_1) | instskip(NEXT) | instid1(VALU_DEP_1)
	v_fma_f64 v[10:11], -v[3:4], v[7:8], 1.0
	v_fma_f64 v[7:8], v[7:8], v[10:11], v[7:8]
	s_delay_alu instid0(VALU_DEP_1) | instskip(NEXT) | instid1(VALU_DEP_1)
	v_mul_f64 v[10:11], v[12:13], v[7:8]
	v_fma_f64 v[3:4], -v[3:4], v[10:11], v[12:13]
	s_delay_alu instid0(VALU_DEP_1) | instskip(SKIP_1) | instid1(VALU_DEP_2)
	v_div_fmas_f64 v[3:4], v[3:4], v[7:8], v[10:11]
	v_add_f64 v[7:8], v[5:6], 0
	v_div_fixup_f64 v[1:2], v[3:4], v[1:2], 1.0
	v_fma_f64 v[3:4], v[5:6], 0, -1.0
	s_delay_alu instid0(VALU_DEP_2) | instskip(NEXT) | instid1(VALU_DEP_2)
	v_mul_f64 v[5:6], v[7:8], v[1:2]
	v_mul_f64 v[7:8], v[3:4], v[1:2]
                                        ; implicit-def: $vgpr1_vgpr2
.LBB209_10:
	s_and_not1_saveexec_b32 s2, s2
	s_cbranch_execz .LBB209_12
; %bb.11:
	v_div_scale_f64 v[5:6], null, v[1:2], v[1:2], v[3:4]
	v_div_scale_f64 v[12:13], vcc_lo, v[3:4], v[1:2], v[3:4]
	s_delay_alu instid0(VALU_DEP_2) | instskip(SKIP_2) | instid1(VALU_DEP_1)
	v_rcp_f64_e32 v[7:8], v[5:6]
	s_waitcnt_depctr 0xfff
	v_fma_f64 v[10:11], -v[5:6], v[7:8], 1.0
	v_fma_f64 v[7:8], v[7:8], v[10:11], v[7:8]
	s_delay_alu instid0(VALU_DEP_1) | instskip(NEXT) | instid1(VALU_DEP_1)
	v_fma_f64 v[10:11], -v[5:6], v[7:8], 1.0
	v_fma_f64 v[7:8], v[7:8], v[10:11], v[7:8]
	s_delay_alu instid0(VALU_DEP_1) | instskip(NEXT) | instid1(VALU_DEP_1)
	v_mul_f64 v[10:11], v[12:13], v[7:8]
	v_fma_f64 v[5:6], -v[5:6], v[10:11], v[12:13]
	s_delay_alu instid0(VALU_DEP_1) | instskip(NEXT) | instid1(VALU_DEP_1)
	v_div_fmas_f64 v[5:6], v[5:6], v[7:8], v[10:11]
	v_div_fixup_f64 v[5:6], v[5:6], v[1:2], v[3:4]
	s_delay_alu instid0(VALU_DEP_1) | instskip(NEXT) | instid1(VALU_DEP_1)
	v_fma_f64 v[1:2], v[3:4], v[5:6], v[1:2]
	v_div_scale_f64 v[3:4], null, v[1:2], v[1:2], 1.0
	v_div_scale_f64 v[12:13], vcc_lo, 1.0, v[1:2], 1.0
	s_delay_alu instid0(VALU_DEP_2) | instskip(SKIP_2) | instid1(VALU_DEP_1)
	v_rcp_f64_e32 v[7:8], v[3:4]
	s_waitcnt_depctr 0xfff
	v_fma_f64 v[10:11], -v[3:4], v[7:8], 1.0
	v_fma_f64 v[7:8], v[7:8], v[10:11], v[7:8]
	s_delay_alu instid0(VALU_DEP_1) | instskip(NEXT) | instid1(VALU_DEP_1)
	v_fma_f64 v[10:11], -v[3:4], v[7:8], 1.0
	v_fma_f64 v[7:8], v[7:8], v[10:11], v[7:8]
	s_delay_alu instid0(VALU_DEP_1) | instskip(NEXT) | instid1(VALU_DEP_1)
	v_mul_f64 v[10:11], v[12:13], v[7:8]
	v_fma_f64 v[3:4], -v[3:4], v[10:11], v[12:13]
	s_delay_alu instid0(VALU_DEP_1) | instskip(SKIP_1) | instid1(VALU_DEP_2)
	v_div_fmas_f64 v[3:4], v[3:4], v[7:8], v[10:11]
	v_fma_f64 v[7:8], v[5:6], 0, 1.0
	v_div_fixup_f64 v[1:2], v[3:4], v[1:2], 1.0
	v_add_f64 v[3:4], -v[5:6], 0
	s_delay_alu instid0(VALU_DEP_2) | instskip(NEXT) | instid1(VALU_DEP_2)
	v_mul_f64 v[5:6], v[7:8], v[1:2]
	v_mul_f64 v[7:8], v[3:4], v[1:2]
.LBB209_12:
	s_or_b32 exec_lo, exec_lo, s2
	s_branch .LBB209_14
.LBB209_13:
	v_mov_b32_e32 v5, 0
	v_dual_mov_b32 v6, 0x3ff00000 :: v_dual_mov_b32 v7, 0
	v_mov_b32_e32 v8, 0
.LBB209_14:
	ds_store_b128 v9, v[5:8]
.LBB209_15:
	s_or_b32 exec_lo, exec_lo, s30
	s_waitcnt lgkmcnt(0)
	s_load_b32 s10, s[0:1], 0x58
	s_lshl_b64 s[0:1], s[22:23], 4
	s_mul_i32 s3, s14, -12
	s_mul_i32 s2, s14, 12
	s_waitcnt lgkmcnt(0)
	s_ashr_i32 s11, s10, 31
	s_add_u32 s17, s12, s0
	s_addc_u32 s20, s13, s1
	s_add_i32 s29, s29, -1
	s_add_i32 s3, s3, s19
	s_mul_hi_i32 s9, s10, s2
	s_cmp_ge_u32 s14, s29
	s_mul_i32 s8, s10, s2
	s_cselect_b32 s19, s3, 12
	s_lshl_b64 s[8:9], s[8:9], 4
	s_ashr_i32 s3, s2, 31
	s_add_u32 s14, s17, s8
	s_addc_u32 s17, s20, s9
	v_cmp_gt_i32_e32 vcc_lo, s19, v0
	s_cmp_gt_i32 s18, 0
	s_mov_b32 s9, 0
	s_cselect_b32 s8, -1, 0
	s_delay_alu instid0(SALU_CYCLE_1) | instskip(NEXT) | instid1(SALU_CYCLE_1)
	s_and_b32 s19, vcc_lo, s8
	s_and_saveexec_b32 s20, s19
	s_cbranch_execz .LBB209_23
; %bb.16:
	s_cmp_lt_i32 s18, 8
	s_cbranch_scc1 .LBB209_20
; %bb.17:
	v_mad_i64_i32 v[1:2], null, s10, v0, 0
	s_lshl_b32 s8, s15, 4
	s_delay_alu instid0(SALU_CYCLE_1) | instskip(SKIP_1) | instid1(VALU_DEP_1)
	s_and_b32 s21, s8, 0x80
	s_mov_b64 s[8:9], 0
	v_lshlrev_b64 v[2:3], 4, v[1:2]
	v_lshl_or_b32 v1, v0, 4, 0x900
	s_delay_alu instid0(VALU_DEP_2) | instskip(NEXT) | instid1(VALU_DEP_3)
	v_add_co_u32 v2, vcc_lo, s14, v2
	v_add_co_ci_u32_e32 v3, vcc_lo, s17, v3, vcc_lo
.LBB209_18:                             ; =>This Inner Loop Header: Depth=1
	s_delay_alu instid0(VALU_DEP_2) | instskip(NEXT) | instid1(VALU_DEP_2)
	v_add_co_u32 v32, vcc_lo, v2, s8
	v_add_co_ci_u32_e32 v33, vcc_lo, s9, v3, vcc_lo
	s_add_u32 s8, s8, 0x80
	s_addc_u32 s9, s9, 0
	s_cmp_lg_u32 s21, s8
	s_clause 0x7
	global_load_b128 v[4:7], v[32:33], off
	global_load_b128 v[8:11], v[32:33], off offset:16
	global_load_b128 v[12:15], v[32:33], off offset:32
	;; [unrolled: 1-line block ×7, first 2 shown]
	s_waitcnt vmcnt(7)
	v_mul_f64 v[36:37], s[6:7], v[6:7]
	v_mul_f64 v[6:7], s[4:5], v[6:7]
	s_waitcnt vmcnt(6)
	v_mul_f64 v[38:39], s[6:7], v[10:11]
	v_mul_f64 v[10:11], s[4:5], v[10:11]
	;; [unrolled: 3-line block ×8, first 2 shown]
	v_fma_f64 v[34:35], s[4:5], v[4:5], -v[36:37]
	v_fma_f64 v[36:37], s[6:7], v[4:5], v[6:7]
	v_fma_f64 v[4:5], s[4:5], v[8:9], -v[38:39]
	v_fma_f64 v[6:7], s[6:7], v[8:9], v[10:11]
	;; [unrolled: 2-line block ×8, first 2 shown]
	ds_store_b128 v1, v[34:37]
	ds_store_b128 v1, v[4:7] offset:192
	ds_store_b128 v1, v[8:11] offset:384
	;; [unrolled: 1-line block ×7, first 2 shown]
	v_add_nc_u32_e32 v1, 0x600, v1
	s_cbranch_scc1 .LBB209_18
; %bb.19:
	s_mov_b32 s9, 8
.LBB209_20:
	s_and_b32 s8, s15, 7
	s_delay_alu instid0(SALU_CYCLE_1)
	s_cmp_eq_u32 s8, 0
	s_cbranch_scc1 .LBB209_23
; %bb.21:
	v_lshlrev_b32_e32 v3, 4, v0
	s_lshl_b64 s[22:23], s[2:3], 4
	s_lshl_b32 s21, s9, 4
	s_mulk_i32 s9, 0xc0
	s_add_u32 s21, s12, s21
	v_add_co_u32 v4, s22, s22, v3
	s_delay_alu instid0(VALU_DEP_1) | instskip(SKIP_3) | instid1(VALU_DEP_1)
	v_add_co_ci_u32_e64 v5, null, s23, 0, s22
	s_addc_u32 s23, s13, 0
	s_add_u32 s22, s21, s0
	s_addc_u32 s23, s23, s1
	v_mul_lo_u32 v5, v5, s10
	v_mad_u64_u32 v[1:2], null, v4, s10, s[22:23]
	v_mul_lo_u32 v4, v4, s11
	v_add3_u32 v3, s9, v3, 0x900
	s_delay_alu instid0(VALU_DEP_3) | instskip(NEXT) | instid1(VALU_DEP_3)
	v_add_co_u32 v1, vcc_lo, v1, 8
	v_add3_u32 v2, v5, v2, v4
	s_delay_alu instid0(VALU_DEP_1)
	v_add_co_ci_u32_e32 v2, vcc_lo, 0, v2, vcc_lo
	.p2align	6
.LBB209_22:                             ; =>This Inner Loop Header: Depth=1
	global_load_b128 v[4:7], v[1:2], off offset:-8
	v_add_co_u32 v1, vcc_lo, v1, 16
	v_add_co_ci_u32_e32 v2, vcc_lo, 0, v2, vcc_lo
	s_add_i32 s8, s8, -1
	s_delay_alu instid0(SALU_CYCLE_1) | instskip(SKIP_3) | instid1(VALU_DEP_2)
	s_cmp_lg_u32 s8, 0
	s_waitcnt vmcnt(0)
	v_mul_f64 v[8:9], s[6:7], v[6:7]
	v_mul_f64 v[10:11], s[4:5], v[6:7]
	v_fma_f64 v[6:7], s[4:5], v[4:5], -v[8:9]
	s_delay_alu instid0(VALU_DEP_2)
	v_fma_f64 v[8:9], s[6:7], v[4:5], v[10:11]
	ds_store_b128 v3, v[6:9]
	v_add_nc_u32_e32 v3, 0xc0, v3
	s_cbranch_scc1 .LBB209_22
.LBB209_23:
	s_or_b32 exec_lo, exec_lo, s20
	s_or_b32 s6, 0, 8
	s_cmpk_eq_i32 s16, 0x6f
	s_mov_b32 s4, -1
	s_waitcnt vmcnt(0) lgkmcnt(0)
	s_waitcnt_vscnt null, 0x0
	; wave barrier
	s_waitcnt lgkmcnt(0)
	buffer_gl0_inv
	s_cbranch_scc1 .LBB209_45
; %bb.24:
	v_lshl_or_b32 v5, v0, 4, 0x900
	s_mov_b32 s5, 0
	s_delay_alu instid0(SALU_CYCLE_1)
	s_mov_b32 s4, s5
	s_mov_b32 s7, s5
	s_branch .LBB209_26
.LBB209_25:                             ;   in Loop: Header=BB209_26 Depth=1
	s_cmp_ge_i32 s7, s15
	s_cselect_b32 s8, -1, 0
	s_add_i32 s4, s4, 1
	s_delay_alu instid0(SALU_CYCLE_1) | instskip(SKIP_1) | instid1(SALU_CYCLE_1)
	s_cmp_eq_u32 s4, 3
	s_cselect_b32 s9, -1, 0
	s_or_b32 s8, s8, s9
	s_delay_alu instid0(SALU_CYCLE_1)
	s_and_not1_b32 vcc_lo, exec_lo, s8
	s_cbranch_vccz .LBB209_44
.LBB209_26:                             ; =>This Loop Header: Depth=1
                                        ;     Child Loop BB209_29 Depth 2
                                        ;       Child Loop BB209_30 Depth 3
                                        ;       Child Loop BB209_33 Depth 3
                                        ;         Child Loop BB209_34 Depth 4
                                        ;       Child Loop BB209_38 Depth 3
                                        ;         Child Loop BB209_40 Depth 4
	s_getpc_b64 s[8:9]
	s_add_u32 s8, s8, __const._ZL38rocblas_trsm_small_left_device_sharedBILi12ELi12ELb0E19rocblas_complex_numIdES1_PKPKS1_PKPS1_Ev13rocblas_fill_18rocblas_operation_17rocblas_diagonal_iiT3_T4_lilT5_lili.step_sizes@rel32@lo+4
	s_addc_u32 s9, s9, __const._ZL38rocblas_trsm_small_left_device_sharedBILi12ELi12ELb0E19rocblas_complex_numIdES1_PKPKS1_PKPS1_Ev13rocblas_fill_18rocblas_operation_17rocblas_diagonal_iiT3_T4_lilT5_lili.step_sizes@rel32@hi+12
	s_lshl_b64 s[20:21], s[4:5], 2
	s_delay_alu instid0(SALU_CYCLE_1) | instskip(SKIP_4) | instid1(SALU_CYCLE_1)
	s_add_u32 s8, s20, s8
	s_addc_u32 s9, s21, s9
	s_load_b32 s8, s[8:9], 0x0
	s_waitcnt lgkmcnt(0)
	s_add_i32 s9, s8, -1
	s_add_i32 s16, s9, s7
	s_delay_alu instid0(SALU_CYCLE_1)
	s_cmp_ge_i32 s16, s15
	s_cbranch_scc1 .LBB209_25
; %bb.27:                               ;   in Loop: Header=BB209_26 Depth=1
	s_mul_i32 s16, s7, 0xc0
	s_max_i32 s20, s8, 1
	v_add_nc_u32_e32 v6, s16, v5
	s_mul_i32 s21, s8, 0xc0
	s_mul_i32 s22, s7, 0xd0
	;; [unrolled: 1-line block ×3, first 2 shown]
	s_branch .LBB209_29
.LBB209_28:                             ;   in Loop: Header=BB209_29 Depth=2
	s_add_i32 s7, s7, s8
	v_add_nc_u32_e32 v6, s21, v6
	s_add_i32 s24, s9, s7
	s_add_i32 s16, s16, s21
	;; [unrolled: 1-line block ×3, first 2 shown]
	s_cmp_ge_i32 s24, s15
	s_cbranch_scc1 .LBB209_25
.LBB209_29:                             ;   Parent Loop BB209_26 Depth=1
                                        ; =>  This Loop Header: Depth=2
                                        ;       Child Loop BB209_30 Depth 3
                                        ;       Child Loop BB209_33 Depth 3
                                        ;         Child Loop BB209_34 Depth 4
                                        ;       Child Loop BB209_38 Depth 3
                                        ;         Child Loop BB209_40 Depth 4
	v_dual_mov_b32 v1, 0 :: v_dual_mov_b32 v2, v6
	s_mov_b32 s24, s20
.LBB209_30:                             ;   Parent Loop BB209_26 Depth=1
                                        ;     Parent Loop BB209_29 Depth=2
                                        ; =>    This Inner Loop Header: Depth=3
	ds_load_b128 v[7:10], v2
	v_add_nc_u32_e32 v2, 0xc0, v2
	s_add_i32 s24, s24, -1
	s_delay_alu instid0(SALU_CYCLE_1)
	s_cmp_eq_u32 s24, 0
	s_waitcnt lgkmcnt(0)
	scratch_store_b128 v1, v[7:10], off
	v_add_nc_u32_e32 v1, 16, v1
	s_cbranch_scc0 .LBB209_30
; %bb.31:                               ;   in Loop: Header=BB209_29 Depth=2
	s_cmp_lt_i32 s7, 1
	s_cbranch_scc1 .LBB209_36
; %bb.32:                               ;   in Loop: Header=BB209_29 Depth=2
	s_mov_b32 s24, 0
	s_mov_b32 s25, s16
	s_set_inst_prefetch_distance 0x1
	.p2align	6
.LBB209_33:                             ;   Parent Loop BB209_26 Depth=1
                                        ;     Parent Loop BB209_29 Depth=2
                                        ; =>    This Loop Header: Depth=3
                                        ;         Child Loop BB209_34 Depth 4
	s_mul_i32 s26, s24, 12
	s_mov_b32 s27, s25
	v_add_lshl_u32 v1, s26, v0, 4
	s_mov_b32 s26, s6
	s_mov_b32 s29, s20
	ds_load_b128 v[1:4], v1 offset:2304
	.p2align	6
.LBB209_34:                             ;   Parent Loop BB209_26 Depth=1
                                        ;     Parent Loop BB209_29 Depth=2
                                        ;       Parent Loop BB209_33 Depth=3
                                        ; =>      This Inner Loop Header: Depth=4
	scratch_load_b128 v[7:10], off, s26 offset:-8
	v_mov_b32_e32 v11, s27
	s_add_i32 s29, s29, -1
	s_addk_i32 s27, 0xc0
	ds_load_b128 v[11:14], v11
	s_waitcnt lgkmcnt(0)
	v_mul_f64 v[15:16], v[3:4], v[13:14]
	v_mul_f64 v[13:14], v[1:2], v[13:14]
	s_delay_alu instid0(VALU_DEP_2) | instskip(NEXT) | instid1(VALU_DEP_2)
	v_fma_f64 v[15:16], v[1:2], v[11:12], -v[15:16]
	v_fma_f64 v[11:12], v[3:4], v[11:12], v[13:14]
	s_waitcnt vmcnt(0)
	s_delay_alu instid0(VALU_DEP_2) | instskip(NEXT) | instid1(VALU_DEP_2)
	v_add_f64 v[7:8], v[7:8], -v[15:16]
	v_add_f64 v[9:10], v[9:10], -v[11:12]
	scratch_store_b128 off, v[7:10], s26 offset:-8
	s_add_i32 s26, s26, 16
	s_cmp_eq_u32 s29, 0
	s_cbranch_scc0 .LBB209_34
; %bb.35:                               ;   in Loop: Header=BB209_33 Depth=3
	s_add_i32 s24, s24, 1
	s_add_i32 s25, s25, 16
	s_cmp_ge_i32 s24, s7
	s_cbranch_scc0 .LBB209_33
.LBB209_36:                             ;   in Loop: Header=BB209_29 Depth=2
	s_set_inst_prefetch_distance 0x2
	s_mul_i32 s24, s7, 12
	s_mov_b32 s25, 0
	s_mov_b32 s26, s22
	s_branch .LBB209_38
.LBB209_37:                             ;   in Loop: Header=BB209_38 Depth=3
	s_mulk_i32 s29, 0xd0
	s_addk_i32 s26, 0xc0
	v_mov_b32_e32 v7, s29
	s_lshl_b32 s29, s25, 4
	s_add_i32 s25, s25, 1
	ds_load_b128 v[7:10], v7
	s_waitcnt vmcnt(0) lgkmcnt(0)
	v_mul_f64 v[11:12], v[9:10], v[3:4]
	v_mul_f64 v[3:4], v[7:8], v[3:4]
	s_delay_alu instid0(VALU_DEP_2) | instskip(NEXT) | instid1(VALU_DEP_2)
	v_fma_f64 v[7:8], v[7:8], v[1:2], -v[11:12]
	v_fma_f64 v[9:10], v[9:10], v[1:2], v[3:4]
	v_add_lshl_u32 v1, s27, v0, 4
	s_add_i32 s27, s29, 0
	s_cmp_eq_u32 s25, s20
	scratch_store_b128 off, v[7:10], s27
	ds_store_b128 v1, v[7:10] offset:2304
	s_cbranch_scc1 .LBB209_28
.LBB209_38:                             ;   Parent Loop BB209_26 Depth=1
                                        ;     Parent Loop BB209_29 Depth=2
                                        ; =>    This Loop Header: Depth=3
                                        ;         Child Loop BB209_40 Depth 4
	s_cmp_lg_u32 s25, 0
	s_cbranch_scc0 .LBB209_42
; %bb.39:                               ;   in Loop: Header=BB209_38 Depth=3
	s_lshl_b32 s30, s25, 4
	s_add_i32 s29, s25, s7
	s_add_i32 s27, s30, 0
	v_add_nc_u32_e64 v7, s30, 0
	scratch_load_b128 v[1:4], off, s27
	s_mul_i32 s27, s29, 12
	s_mov_b32 s30, 0
	s_mov_b32 s31, s26
	s_mov_b32 s33, s6
	.p2align	6
.LBB209_40:                             ;   Parent Loop BB209_26 Depth=1
                                        ;     Parent Loop BB209_29 Depth=2
                                        ;       Parent Loop BB209_38 Depth=3
                                        ; =>      This Inner Loop Header: Depth=4
	scratch_load_b128 v[8:11], off, s33 offset:-8
	v_mov_b32_e32 v12, s31
	s_add_i32 s30, s30, 1
	s_add_i32 s33, s33, 16
	;; [unrolled: 1-line block ×3, first 2 shown]
	s_cmp_ge_u32 s30, s25
	ds_load_b128 v[12:15], v12
	s_waitcnt vmcnt(0) lgkmcnt(0)
	v_mul_f64 v[16:17], v[14:15], v[10:11]
	v_mul_f64 v[10:11], v[12:13], v[10:11]
	s_delay_alu instid0(VALU_DEP_2) | instskip(NEXT) | instid1(VALU_DEP_2)
	v_fma_f64 v[12:13], v[12:13], v[8:9], -v[16:17]
	v_fma_f64 v[8:9], v[14:15], v[8:9], v[10:11]
	s_delay_alu instid0(VALU_DEP_2) | instskip(NEXT) | instid1(VALU_DEP_2)
	v_add_f64 v[1:2], v[1:2], -v[12:13]
	v_add_f64 v[3:4], v[3:4], -v[8:9]
	scratch_store_b128 v7, v[1:4], off
	s_cbranch_scc0 .LBB209_40
; %bb.41:                               ;   in Loop: Header=BB209_38 Depth=3
	s_branch .LBB209_37
.LBB209_42:                             ;   in Loop: Header=BB209_38 Depth=3
                                        ; implicit-def: $vgpr1_vgpr2
                                        ; implicit-def: $sgpr29
                                        ; implicit-def: $sgpr27
	s_cbranch_execz .LBB209_37
; %bb.43:                               ;   in Loop: Header=BB209_38 Depth=3
	scratch_load_b128 v[1:4], off, off
	s_mov_b32 s27, s24
	s_mov_b32 s29, s7
	s_branch .LBB209_37
.LBB209_44:
	s_mov_b32 s4, 0
.LBB209_45:
	s_delay_alu instid0(SALU_CYCLE_1)
	s_and_b32 vcc_lo, exec_lo, s4
	s_cbranch_vccz .LBB209_65
; %bb.46:
	v_lshl_or_b32 v5, v0, 4, 0x900
	s_mul_i32 s7, s15, 0xc0
	s_mov_b32 s5, 0
	s_addk_i32 s7, 0xff40
	s_mov_b32 s4, s5
	s_mov_b32 s8, s28
	s_branch .LBB209_48
.LBB209_47:                             ;   in Loop: Header=BB209_48 Depth=1
	s_cmp_lt_i32 s8, 0
	s_cselect_b32 s9, -1, 0
	s_add_i32 s4, s4, 1
	s_delay_alu instid0(SALU_CYCLE_1) | instskip(SKIP_1) | instid1(SALU_CYCLE_1)
	s_cmp_eq_u32 s4, 3
	s_cselect_b32 s16, -1, 0
	s_or_b32 s9, s9, s16
	s_delay_alu instid0(SALU_CYCLE_1)
	s_and_b32 vcc_lo, exec_lo, s9
	s_cbranch_vccnz .LBB209_65
.LBB209_48:                             ; =>This Loop Header: Depth=1
                                        ;     Child Loop BB209_51 Depth 2
                                        ;       Child Loop BB209_52 Depth 3
                                        ;       Child Loop BB209_54 Depth 3
                                        ;         Child Loop BB209_55 Depth 4
                                        ;       Child Loop BB209_59 Depth 3
                                        ;         Child Loop BB209_61 Depth 4
	s_getpc_b64 s[20:21]
	s_add_u32 s20, s20, __const._ZL38rocblas_trsm_small_left_device_sharedBILi12ELi12ELb0E19rocblas_complex_numIdES1_PKPKS1_PKPS1_Ev13rocblas_fill_18rocblas_operation_17rocblas_diagonal_iiT3_T4_lilT5_lili.step_sizes@rel32@lo+4
	s_addc_u32 s21, s21, __const._ZL38rocblas_trsm_small_left_device_sharedBILi12ELi12ELb0E19rocblas_complex_numIdES1_PKPKS1_PKPS1_Ev13rocblas_fill_18rocblas_operation_17rocblas_diagonal_iiT3_T4_lilT5_lili.step_sizes@rel32@hi+12
	s_lshl_b64 s[22:23], s[4:5], 2
	s_delay_alu instid0(SALU_CYCLE_1) | instskip(SKIP_4) | instid1(SALU_CYCLE_1)
	s_add_u32 s20, s22, s20
	s_addc_u32 s21, s23, s21
	s_load_b32 s9, s[20:21], 0x0
	s_waitcnt lgkmcnt(0)
	s_add_i32 s16, s9, -1
	s_cmp_lt_i32 s8, s16
	s_cbranch_scc1 .LBB209_47
; %bb.49:                               ;   in Loop: Header=BB209_48 Depth=1
	v_mad_u64_u32 v[6:7], null, 0xc0, s8, v[5:6]
	s_lshl_b32 s22, s8, 4
	s_lshl_b32 s23, s9, 4
	s_max_i32 s20, s9, 1
	s_mul_i32 s21, s9, 0xffffff40
	s_add_i32 s22, s7, s22
	s_sub_i32 s23, 0, s23
	s_mul_i32 s24, s8, 0xd0
	s_mul_i32 s25, s9, 0xffffff30
	s_branch .LBB209_51
.LBB209_50:                             ;   in Loop: Header=BB209_51 Depth=2
	v_add_nc_u32_e32 v6, s21, v6
	s_sub_i32 s8, s8, s9
	s_add_i32 s22, s22, s23
	s_add_i32 s24, s24, s25
	s_cmp_lt_i32 s8, s16
	s_cbranch_scc1 .LBB209_47
.LBB209_51:                             ;   Parent Loop BB209_48 Depth=1
                                        ; =>  This Loop Header: Depth=2
                                        ;       Child Loop BB209_52 Depth 3
                                        ;       Child Loop BB209_54 Depth 3
                                        ;         Child Loop BB209_55 Depth 4
                                        ;       Child Loop BB209_59 Depth 3
                                        ;         Child Loop BB209_61 Depth 4
	v_dual_mov_b32 v1, 0 :: v_dual_mov_b32 v2, v6
	s_mov_b32 s26, s20
.LBB209_52:                             ;   Parent Loop BB209_48 Depth=1
                                        ;     Parent Loop BB209_51 Depth=2
                                        ; =>    This Inner Loop Header: Depth=3
	ds_load_b128 v[7:10], v2
	v_add_nc_u32_e32 v2, 0xffffff40, v2
	s_add_i32 s26, s26, -1
	s_delay_alu instid0(SALU_CYCLE_1)
	s_cmp_eq_u32 s26, 0
	s_waitcnt lgkmcnt(0)
	scratch_store_b128 v1, v[7:10], off
	v_add_nc_u32_e32 v1, 16, v1
	s_cbranch_scc0 .LBB209_52
; %bb.53:                               ;   in Loop: Header=BB209_51 Depth=2
	s_cmp_le_i32 s28, s8
	s_mov_b32 s26, s22
	s_mov_b32 s27, s28
	s_cbranch_scc1 .LBB209_57
	.p2align	6
.LBB209_54:                             ;   Parent Loop BB209_48 Depth=1
                                        ;     Parent Loop BB209_51 Depth=2
                                        ; =>    This Loop Header: Depth=3
                                        ;         Child Loop BB209_55 Depth 4
	s_mul_i32 s29, s27, 12
	s_mov_b32 s30, s20
	v_add_lshl_u32 v1, s29, v0, 4
	s_mov_b32 s29, s6
	s_mov_b32 s31, s26
	ds_load_b128 v[1:4], v1 offset:2304
	.p2align	6
.LBB209_55:                             ;   Parent Loop BB209_48 Depth=1
                                        ;     Parent Loop BB209_51 Depth=2
                                        ;       Parent Loop BB209_54 Depth=3
                                        ; =>      This Inner Loop Header: Depth=4
	scratch_load_b128 v[7:10], off, s29 offset:-8
	v_mov_b32_e32 v11, s31
	s_add_i32 s30, s30, -1
	s_add_i32 s31, s31, -16
	ds_load_b128 v[11:14], v11
	s_waitcnt lgkmcnt(0)
	v_mul_f64 v[15:16], v[3:4], v[13:14]
	v_mul_f64 v[13:14], v[1:2], v[13:14]
	s_delay_alu instid0(VALU_DEP_2) | instskip(NEXT) | instid1(VALU_DEP_2)
	v_fma_f64 v[15:16], v[1:2], v[11:12], -v[15:16]
	v_fma_f64 v[11:12], v[3:4], v[11:12], v[13:14]
	s_waitcnt vmcnt(0)
	s_delay_alu instid0(VALU_DEP_2) | instskip(NEXT) | instid1(VALU_DEP_2)
	v_add_f64 v[7:8], v[7:8], -v[15:16]
	v_add_f64 v[9:10], v[9:10], -v[11:12]
	scratch_store_b128 off, v[7:10], s29 offset:-8
	s_add_i32 s29, s29, 16
	s_cmp_eq_u32 s30, 0
	s_cbranch_scc0 .LBB209_55
; %bb.56:                               ;   in Loop: Header=BB209_54 Depth=3
	s_add_i32 s27, s27, -1
	s_addk_i32 s26, 0xff40
	s_cmp_le_i32 s27, s8
	s_cbranch_scc0 .LBB209_54
.LBB209_57:                             ;   in Loop: Header=BB209_51 Depth=2
	s_mov_b32 s26, 0
	s_mov_b32 s27, s24
	s_branch .LBB209_59
.LBB209_58:                             ;   in Loop: Header=BB209_59 Depth=3
	s_mul_i32 s30, s29, 0xd0
	s_mul_i32 s29, s29, 12
	v_mov_b32_e32 v7, s30
	s_lshl_b32 s30, s26, 4
	s_add_i32 s26, s26, 1
	s_add_i32 s27, s27, -16
	ds_load_b128 v[7:10], v7
	s_waitcnt vmcnt(0) lgkmcnt(0)
	v_mul_f64 v[11:12], v[9:10], v[3:4]
	v_mul_f64 v[3:4], v[7:8], v[3:4]
	s_delay_alu instid0(VALU_DEP_2) | instskip(NEXT) | instid1(VALU_DEP_2)
	v_fma_f64 v[7:8], v[7:8], v[1:2], -v[11:12]
	v_fma_f64 v[9:10], v[9:10], v[1:2], v[3:4]
	v_add_lshl_u32 v1, s29, v0, 4
	s_add_i32 s29, s30, 0
	s_cmp_eq_u32 s26, s20
	scratch_store_b128 off, v[7:10], s29
	ds_store_b128 v1, v[7:10] offset:2304
	s_cbranch_scc1 .LBB209_50
.LBB209_59:                             ;   Parent Loop BB209_48 Depth=1
                                        ;     Parent Loop BB209_51 Depth=2
                                        ; =>    This Loop Header: Depth=3
                                        ;         Child Loop BB209_61 Depth 4
	s_cmp_lg_u32 s26, 0
	s_cbranch_scc0 .LBB209_63
; %bb.60:                               ;   in Loop: Header=BB209_59 Depth=3
	s_lshl_b32 s30, s26, 4
	s_mov_b32 s31, s6
	s_add_i32 s29, s30, 0
	v_add_nc_u32_e64 v7, s30, 0
	scratch_load_b128 v[1:4], off, s29
	s_sub_i32 s29, s8, s26
	s_mov_b32 s30, 0
	s_mov_b32 s33, s27
	.p2align	6
.LBB209_61:                             ;   Parent Loop BB209_48 Depth=1
                                        ;     Parent Loop BB209_51 Depth=2
                                        ;       Parent Loop BB209_59 Depth=3
                                        ; =>      This Inner Loop Header: Depth=4
	scratch_load_b128 v[8:11], off, s31 offset:-8
	v_mov_b32_e32 v12, s33
	s_add_i32 s30, s30, 1
	s_addk_i32 s33, 0xff40
	s_add_i32 s31, s31, 16
	s_cmp_ge_u32 s30, s26
	ds_load_b128 v[12:15], v12
	s_waitcnt vmcnt(0) lgkmcnt(0)
	v_mul_f64 v[16:17], v[14:15], v[10:11]
	v_mul_f64 v[10:11], v[12:13], v[10:11]
	s_delay_alu instid0(VALU_DEP_2) | instskip(NEXT) | instid1(VALU_DEP_2)
	v_fma_f64 v[12:13], v[12:13], v[8:9], -v[16:17]
	v_fma_f64 v[8:9], v[14:15], v[8:9], v[10:11]
	s_delay_alu instid0(VALU_DEP_2) | instskip(NEXT) | instid1(VALU_DEP_2)
	v_add_f64 v[1:2], v[1:2], -v[12:13]
	v_add_f64 v[3:4], v[3:4], -v[8:9]
	scratch_store_b128 v7, v[1:4], off
	s_cbranch_scc0 .LBB209_61
; %bb.62:                               ;   in Loop: Header=BB209_59 Depth=3
	s_branch .LBB209_58
.LBB209_63:                             ;   in Loop: Header=BB209_59 Depth=3
                                        ; implicit-def: $vgpr1_vgpr2
                                        ; implicit-def: $sgpr29
	s_cbranch_execz .LBB209_58
; %bb.64:                               ;   in Loop: Header=BB209_59 Depth=3
	scratch_load_b128 v[1:4], off, off
	s_mov_b32 s29, s8
	s_branch .LBB209_58
.LBB209_65:
	s_waitcnt vmcnt(0) lgkmcnt(0)
	s_waitcnt_vscnt null, 0x0
	; wave barrier
	s_waitcnt lgkmcnt(0)
	s_waitcnt_vscnt null, 0x0
	buffer_gl0_inv
	s_and_saveexec_b32 s4, s19
	s_cbranch_execz .LBB209_73
; %bb.66:
	s_cmp_lt_i32 s18, 8
	s_mov_b32 s5, 0
	s_cbranch_scc1 .LBB209_70
; %bb.67:
	v_mad_i64_i32 v[1:2], null, s10, v0, 0
	s_lshl_b32 s4, s15, 4
	s_delay_alu instid0(SALU_CYCLE_1) | instskip(SKIP_1) | instid1(VALU_DEP_1)
	s_and_b32 s6, s4, 0x80
	s_mov_b64 s[4:5], 0
	v_lshlrev_b64 v[2:3], 4, v[1:2]
	v_lshl_or_b32 v1, v0, 4, 0x900
	s_delay_alu instid0(VALU_DEP_2) | instskip(NEXT) | instid1(VALU_DEP_3)
	v_add_co_u32 v2, vcc_lo, s14, v2
	v_add_co_ci_u32_e32 v3, vcc_lo, s17, v3, vcc_lo
	s_set_inst_prefetch_distance 0x1
	.p2align	6
.LBB209_68:                             ; =>This Inner Loop Header: Depth=1
	ds_load_2addr_b64 v[4:7], v1 offset1:1
	ds_load_2addr_b64 v[8:11], v1 offset0:24 offset1:25
	ds_load_2addr_b64 v[12:15], v1 offset0:48 offset1:49
	;; [unrolled: 1-line block ×7, first 2 shown]
	v_add_co_u32 v36, vcc_lo, v2, s4
	v_add_co_ci_u32_e32 v37, vcc_lo, s5, v3, vcc_lo
	v_add_nc_u32_e32 v1, 0x600, v1
	s_add_u32 s4, s4, 0x80
	s_addc_u32 s5, s5, 0
	s_cmp_lg_u32 s6, s4
	s_waitcnt lgkmcnt(7)
	global_store_b128 v[36:37], v[4:7], off
	s_waitcnt lgkmcnt(6)
	global_store_b128 v[36:37], v[8:11], off offset:16
	s_waitcnt lgkmcnt(5)
	global_store_b128 v[36:37], v[12:15], off offset:32
	;; [unrolled: 2-line block ×7, first 2 shown]
	s_cbranch_scc1 .LBB209_68
; %bb.69:
	s_set_inst_prefetch_distance 0x2
	s_mov_b32 s5, 8
.LBB209_70:
	s_and_b32 s4, s15, 7
	s_delay_alu instid0(SALU_CYCLE_1)
	s_cmp_eq_u32 s4, 0
	s_cbranch_scc1 .LBB209_73
; %bb.71:
	v_lshlrev_b32_e32 v2, 4, v0
	s_lshl_b64 s[2:3], s[2:3], 4
	s_lshl_b32 s6, s5, 4
	s_delay_alu instid0(VALU_DEP_1) | instskip(NEXT) | instid1(VALU_DEP_1)
	v_add_co_u32 v3, s2, s2, v2
	v_add_co_ci_u32_e64 v4, null, s3, 0, s2
	s_add_u32 s2, s12, s6
	s_addc_u32 s3, s13, 0
	s_add_u32 s0, s2, s0
	s_addc_u32 s1, s3, s1
	v_mul_lo_u32 v4, v4, s10
	v_mad_u64_u32 v[0:1], null, v3, s10, s[0:1]
	v_mul_lo_u32 v3, v3, s11
	s_mul_i32 s0, s5, 0xc0
	s_delay_alu instid0(SALU_CYCLE_1) | instskip(NEXT) | instid1(VALU_DEP_2)
	v_add3_u32 v2, s0, v2, 0x900
	v_add3_u32 v1, v4, v1, v3
.LBB209_72:                             ; =>This Inner Loop Header: Depth=1
	ds_load_2addr_b64 v[3:6], v2 offset1:1
	v_add_nc_u32_e32 v2, 0xc0, v2
	s_add_i32 s4, s4, -1
	s_delay_alu instid0(SALU_CYCLE_1)
	s_cmp_lg_u32 s4, 0
	s_waitcnt lgkmcnt(0)
	global_store_b128 v[0:1], v[3:6], off
	v_add_co_u32 v0, vcc_lo, v0, 16
	v_add_co_ci_u32_e32 v1, vcc_lo, 0, v1, vcc_lo
	s_cbranch_scc1 .LBB209_72
.LBB209_73:
	s_nop 0
	s_sendmsg sendmsg(MSG_DEALLOC_VGPRS)
	s_endpgm
	.section	.rodata,"a",@progbits
	.p2align	6, 0x0
	.amdhsa_kernel _ZL38rocblas_trsm_small_left_device_sharedBILi12ELi12ELb0E19rocblas_complex_numIdES1_PKPKS1_PKPS1_Ev13rocblas_fill_18rocblas_operation_17rocblas_diagonal_iiT3_T4_lilT5_lili
		.amdhsa_group_segment_fixed_size 4608
		.amdhsa_private_segment_fixed_size 208
		.amdhsa_kernarg_size 368
		.amdhsa_user_sgpr_count 14
		.amdhsa_user_sgpr_dispatch_ptr 0
		.amdhsa_user_sgpr_queue_ptr 0
		.amdhsa_user_sgpr_kernarg_segment_ptr 1
		.amdhsa_user_sgpr_dispatch_id 0
		.amdhsa_user_sgpr_private_segment_size 0
		.amdhsa_wavefront_size32 1
		.amdhsa_uses_dynamic_stack 0
		.amdhsa_enable_private_segment 1
		.amdhsa_system_sgpr_workgroup_id_x 1
		.amdhsa_system_sgpr_workgroup_id_y 0
		.amdhsa_system_sgpr_workgroup_id_z 1
		.amdhsa_system_sgpr_workgroup_info 0
		.amdhsa_system_vgpr_workitem_id 0
		.amdhsa_next_free_vgpr 54
		.amdhsa_next_free_sgpr 34
		.amdhsa_reserve_vcc 1
		.amdhsa_float_round_mode_32 0
		.amdhsa_float_round_mode_16_64 0
		.amdhsa_float_denorm_mode_32 3
		.amdhsa_float_denorm_mode_16_64 3
		.amdhsa_dx10_clamp 1
		.amdhsa_ieee_mode 1
		.amdhsa_fp16_overflow 0
		.amdhsa_workgroup_processor_mode 1
		.amdhsa_memory_ordered 1
		.amdhsa_forward_progress 0
		.amdhsa_shared_vgpr_count 0
		.amdhsa_exception_fp_ieee_invalid_op 0
		.amdhsa_exception_fp_denorm_src 0
		.amdhsa_exception_fp_ieee_div_zero 0
		.amdhsa_exception_fp_ieee_overflow 0
		.amdhsa_exception_fp_ieee_underflow 0
		.amdhsa_exception_fp_ieee_inexact 0
		.amdhsa_exception_int_div_zero 0
	.end_amdhsa_kernel
	.section	.text._ZL38rocblas_trsm_small_left_device_sharedBILi12ELi12ELb0E19rocblas_complex_numIdES1_PKPKS1_PKPS1_Ev13rocblas_fill_18rocblas_operation_17rocblas_diagonal_iiT3_T4_lilT5_lili,"axG",@progbits,_ZL38rocblas_trsm_small_left_device_sharedBILi12ELi12ELb0E19rocblas_complex_numIdES1_PKPKS1_PKPS1_Ev13rocblas_fill_18rocblas_operation_17rocblas_diagonal_iiT3_T4_lilT5_lili,comdat
.Lfunc_end209:
	.size	_ZL38rocblas_trsm_small_left_device_sharedBILi12ELi12ELb0E19rocblas_complex_numIdES1_PKPKS1_PKPS1_Ev13rocblas_fill_18rocblas_operation_17rocblas_diagonal_iiT3_T4_lilT5_lili, .Lfunc_end209-_ZL38rocblas_trsm_small_left_device_sharedBILi12ELi12ELb0E19rocblas_complex_numIdES1_PKPKS1_PKPS1_Ev13rocblas_fill_18rocblas_operation_17rocblas_diagonal_iiT3_T4_lilT5_lili
                                        ; -- End function
	.section	.AMDGPU.csdata,"",@progbits
; Kernel info:
; codeLenInByte = 4284
; NumSgprs: 36
; NumVgprs: 54
; ScratchSize: 208
; MemoryBound: 0
; FloatMode: 240
; IeeeMode: 1
; LDSByteSize: 4608 bytes/workgroup (compile time only)
; SGPRBlocks: 4
; VGPRBlocks: 6
; NumSGPRsForWavesPerEU: 36
; NumVGPRsForWavesPerEU: 54
; Occupancy: 7
; WaveLimiterHint : 1
; COMPUTE_PGM_RSRC2:SCRATCH_EN: 1
; COMPUTE_PGM_RSRC2:USER_SGPR: 14
; COMPUTE_PGM_RSRC2:TRAP_HANDLER: 0
; COMPUTE_PGM_RSRC2:TGID_X_EN: 1
; COMPUTE_PGM_RSRC2:TGID_Y_EN: 0
; COMPUTE_PGM_RSRC2:TGID_Z_EN: 1
; COMPUTE_PGM_RSRC2:TIDIG_COMP_CNT: 0
	.section	.text._ZL30rocblas_trsm_small_left_deviceILi12ELi12ELb0E19rocblas_complex_numIdES1_PKPKS1_PKPS1_Ev13rocblas_fill_18rocblas_operation_17rocblas_diagonal_iiT3_T4_lilT5_lili,"axG",@progbits,_ZL30rocblas_trsm_small_left_deviceILi12ELi12ELb0E19rocblas_complex_numIdES1_PKPKS1_PKPS1_Ev13rocblas_fill_18rocblas_operation_17rocblas_diagonal_iiT3_T4_lilT5_lili,comdat
	.globl	_ZL30rocblas_trsm_small_left_deviceILi12ELi12ELb0E19rocblas_complex_numIdES1_PKPKS1_PKPS1_Ev13rocblas_fill_18rocblas_operation_17rocblas_diagonal_iiT3_T4_lilT5_lili ; -- Begin function _ZL30rocblas_trsm_small_left_deviceILi12ELi12ELb0E19rocblas_complex_numIdES1_PKPKS1_PKPS1_Ev13rocblas_fill_18rocblas_operation_17rocblas_diagonal_iiT3_T4_lilT5_lili
	.p2align	8
	.type	_ZL30rocblas_trsm_small_left_deviceILi12ELi12ELb0E19rocblas_complex_numIdES1_PKPKS1_PKPS1_Ev13rocblas_fill_18rocblas_operation_17rocblas_diagonal_iiT3_T4_lilT5_lili,@function
_ZL30rocblas_trsm_small_left_deviceILi12ELi12ELb0E19rocblas_complex_numIdES1_PKPKS1_PKPS1_Ev13rocblas_fill_18rocblas_operation_17rocblas_diagonal_iiT3_T4_lilT5_lili: ; @_ZL30rocblas_trsm_small_left_deviceILi12ELi12ELb0E19rocblas_complex_numIdES1_PKPKS1_PKPS1_Ev13rocblas_fill_18rocblas_operation_17rocblas_diagonal_iiT3_T4_lilT5_lili
; %bb.0:
	s_clause 0x1
	s_load_b128 s[20:23], s[0:1], 0x48
	s_load_b128 s[16:19], s[0:1], 0x4
	s_mov_b32 s2, s15
	s_mov_b32 s3, 0
	s_load_b32 s15, s[0:1], 0x70
	s_lshl_b64 s[24:25], s[2:3], 3
	s_waitcnt lgkmcnt(0)
	s_add_u32 s12, s20, s24
	s_addc_u32 s13, s21, s25
	s_load_b256 s[4:11], s[0:1], 0x18
	s_load_b64 s[12:13], s[12:13], 0x0
	s_min_i32 s29, s18, 12
	s_mov_b32 s18, exec_lo
	s_add_i32 s28, s29, -1
	v_cmpx_gt_i32_e64 s29, v0
	s_cbranch_execz .LBB210_15
; %bb.1:
	s_load_b32 s20, s[0:1], 0x38
	v_lshlrev_b32_e32 v3, 4, v0
	s_waitcnt lgkmcnt(0)
	s_ashr_i32 s21, s20, 31
	s_cmpk_eq_i32 s16, 0x71
	s_cselect_b32 vcc_lo, -1, 0
	s_add_u32 s8, s8, s24
	s_addc_u32 s9, s9, s25
	s_cmp_lt_u32 s28, 3
	s_load_b64 s[8:9], s[8:9], 0x0
	s_cbranch_scc1 .LBB210_4
; %bb.2:
	v_dual_mov_b32 v4, v3 :: v_dual_lshlrev_b32 v1, 4, v0
	s_lshl_b64 s[24:25], s[10:11], 4
	s_and_b32 s3, s29, -4
	s_waitcnt lgkmcnt(0)
	s_add_u32 s2, s8, s24
	s_addc_u32 s24, s9, s25
	v_add_co_u32 v1, s2, s2, v1
	s_delay_alu instid0(VALU_DEP_1) | instskip(SKIP_1) | instid1(VALU_DEP_2)
	v_add_co_ci_u32_e64 v2, null, s24, 0, s2
	s_lshl_b64 s[24:25], s[20:21], 6
	v_add_co_u32 v1, s2, v1, 8
	s_delay_alu instid0(VALU_DEP_1)
	v_add_co_ci_u32_e64 v2, s2, 0, v2, s2
	s_lshl_b64 s[26:27], s[20:21], 4
	s_mov_b32 s30, 0
.LBB210_3:                              ; =>This Inner Loop Header: Depth=1
	s_delay_alu instid0(VALU_DEP_2) | instskip(NEXT) | instid1(VALU_DEP_1)
	v_add_co_u32 v9, s2, v1, s26
	v_add_co_ci_u32_e64 v10, s2, s27, v2, s2
	s_add_i32 s30, s30, 4
	s_delay_alu instid0(VALU_DEP_2) | instskip(NEXT) | instid1(VALU_DEP_1)
	v_add_co_u32 v13, s2, v9, s26
	v_add_co_ci_u32_e64 v14, s2, s27, v10, s2
	s_cmp_eq_u32 s3, s30
	s_delay_alu instid0(VALU_DEP_2) | instskip(NEXT) | instid1(VALU_DEP_1)
	v_add_co_u32 v17, s2, v13, s26
	v_add_co_ci_u32_e64 v18, s2, s27, v14, s2
	s_clause 0x3
	global_load_b128 v[5:8], v[1:2], off offset:-8
	global_load_b128 v[9:12], v[9:10], off offset:-8
	global_load_b128 v[13:16], v[13:14], off offset:-8
	global_load_b128 v[17:20], v[17:18], off offset:-8
	v_add_co_u32 v1, s2, v1, s24
	s_delay_alu instid0(VALU_DEP_1)
	v_add_co_ci_u32_e64 v2, s2, s25, v2, s2
	s_waitcnt vmcnt(3)
	v_xor_b32_e32 v21, 0x80000000, v8
	s_waitcnt vmcnt(2)
	v_xor_b32_e32 v22, 0x80000000, v12
	;; [unrolled: 2-line block ×4, first 2 shown]
	v_cndmask_b32_e32 v8, v8, v21, vcc_lo
	v_cndmask_b32_e32 v12, v12, v22, vcc_lo
	;; [unrolled: 1-line block ×3, first 2 shown]
	s_delay_alu instid0(VALU_DEP_4)
	v_cndmask_b32_e32 v20, v20, v24, vcc_lo
	ds_store_b128 v4, v[5:8]
	ds_store_b128 v4, v[9:12] offset:192
	ds_store_b128 v4, v[13:16] offset:384
	;; [unrolled: 1-line block ×3, first 2 shown]
	v_add_nc_u32_e32 v4, 0x300, v4
	s_cbranch_scc0 .LBB210_3
.LBB210_4:
	s_and_b32 s24, s29, 3
	s_delay_alu instid0(SALU_CYCLE_1)
	s_cmp_eq_u32 s24, 0
	s_cbranch_scc1 .LBB210_7
; %bb.5:
	s_mul_i32 s2, s21, s3
	s_mul_hi_u32 s25, s20, s3
	s_mul_i32 s26, s20, s3
	s_add_i32 s27, s25, s2
	s_lshl_b64 s[10:11], s[10:11], 4
	s_lshl_b64 s[26:27], s[26:27], 4
	s_mul_i32 s2, s3, 0xc0
	s_add_u32 s3, s26, s10
	s_addc_u32 s10, s27, s11
	s_waitcnt lgkmcnt(0)
	s_add_u32 s3, s8, s3
	s_addc_u32 s8, s9, s10
	v_add_co_u32 v1, s3, s3, v3
	s_delay_alu instid0(VALU_DEP_1) | instskip(SKIP_1) | instid1(VALU_DEP_3)
	v_add_co_ci_u32_e64 v2, null, s8, 0, s3
	v_lshl_add_u32 v3, v0, 4, s2
	v_add_co_u32 v1, s2, v1, 8
	s_delay_alu instid0(VALU_DEP_1)
	v_add_co_ci_u32_e64 v2, s2, 0, v2, s2
	s_lshl_b64 s[8:9], s[20:21], 4
.LBB210_6:                              ; =>This Inner Loop Header: Depth=1
	global_load_b128 v[4:7], v[1:2], off offset:-8
	v_add_co_u32 v1, s2, v1, s8
	s_delay_alu instid0(VALU_DEP_1) | instskip(SKIP_1) | instid1(SALU_CYCLE_1)
	v_add_co_ci_u32_e64 v2, s2, s9, v2, s2
	s_add_i32 s24, s24, -1
	s_cmp_lg_u32 s24, 0
	s_waitcnt vmcnt(0)
	v_xor_b32_e32 v8, 0x80000000, v7
	s_delay_alu instid0(VALU_DEP_1)
	v_cndmask_b32_e32 v7, v7, v8, vcc_lo
	ds_store_b128 v3, v[4:7]
	v_add_nc_u32_e32 v3, 0xc0, v3
	s_cbranch_scc1 .LBB210_6
.LBB210_7:
	v_mul_u32_u24_e32 v1, 13, v0
	s_cmpk_lg_i32 s17, 0x84
	s_delay_alu instid0(VALU_DEP_1)
	v_lshlrev_b32_e32 v9, 4, v1
	s_cbranch_scc0 .LBB210_13
; %bb.8:
	ds_load_b128 v[1:4], v9
	s_waitcnt lgkmcnt(0)
	v_cmp_gt_f64_e32 vcc_lo, 0, v[1:2]
	v_xor_b32_e32 v6, 0x80000000, v2
	v_mov_b32_e32 v5, v1
	v_xor_b32_e32 v7, 0x80000000, v4
	s_delay_alu instid0(VALU_DEP_3) | instskip(SKIP_1) | instid1(VALU_DEP_3)
	v_cndmask_b32_e32 v6, v2, v6, vcc_lo
	v_cmp_gt_f64_e32 vcc_lo, 0, v[3:4]
	v_dual_cndmask_b32 v8, v4, v7 :: v_dual_mov_b32 v7, v3
	s_delay_alu instid0(VALU_DEP_1) | instskip(SKIP_1) | instid1(SALU_CYCLE_1)
	v_cmp_ngt_f64_e32 vcc_lo, v[5:6], v[7:8]
                                        ; implicit-def: $vgpr7_vgpr8
	s_and_saveexec_b32 s2, vcc_lo
	s_xor_b32 s2, exec_lo, s2
	s_cbranch_execz .LBB210_10
; %bb.9:
	v_div_scale_f64 v[5:6], null, v[3:4], v[3:4], v[1:2]
	v_div_scale_f64 v[12:13], vcc_lo, v[1:2], v[3:4], v[1:2]
	s_delay_alu instid0(VALU_DEP_2) | instskip(SKIP_2) | instid1(VALU_DEP_1)
	v_rcp_f64_e32 v[7:8], v[5:6]
	s_waitcnt_depctr 0xfff
	v_fma_f64 v[10:11], -v[5:6], v[7:8], 1.0
	v_fma_f64 v[7:8], v[7:8], v[10:11], v[7:8]
	s_delay_alu instid0(VALU_DEP_1) | instskip(NEXT) | instid1(VALU_DEP_1)
	v_fma_f64 v[10:11], -v[5:6], v[7:8], 1.0
	v_fma_f64 v[7:8], v[7:8], v[10:11], v[7:8]
	s_delay_alu instid0(VALU_DEP_1) | instskip(NEXT) | instid1(VALU_DEP_1)
	v_mul_f64 v[10:11], v[12:13], v[7:8]
	v_fma_f64 v[5:6], -v[5:6], v[10:11], v[12:13]
	s_delay_alu instid0(VALU_DEP_1) | instskip(NEXT) | instid1(VALU_DEP_1)
	v_div_fmas_f64 v[5:6], v[5:6], v[7:8], v[10:11]
	v_div_fixup_f64 v[5:6], v[5:6], v[3:4], v[1:2]
	s_delay_alu instid0(VALU_DEP_1) | instskip(NEXT) | instid1(VALU_DEP_1)
	v_fma_f64 v[1:2], v[1:2], v[5:6], v[3:4]
	v_div_scale_f64 v[3:4], null, v[1:2], v[1:2], 1.0
	v_div_scale_f64 v[12:13], vcc_lo, 1.0, v[1:2], 1.0
	s_delay_alu instid0(VALU_DEP_2) | instskip(SKIP_2) | instid1(VALU_DEP_1)
	v_rcp_f64_e32 v[7:8], v[3:4]
	s_waitcnt_depctr 0xfff
	v_fma_f64 v[10:11], -v[3:4], v[7:8], 1.0
	v_fma_f64 v[7:8], v[7:8], v[10:11], v[7:8]
	s_delay_alu instid0(VALU_DEP_1) | instskip(NEXT) | instid1(VALU_DEP_1)
	v_fma_f64 v[10:11], -v[3:4], v[7:8], 1.0
	v_fma_f64 v[7:8], v[7:8], v[10:11], v[7:8]
	s_delay_alu instid0(VALU_DEP_1) | instskip(NEXT) | instid1(VALU_DEP_1)
	v_mul_f64 v[10:11], v[12:13], v[7:8]
	v_fma_f64 v[3:4], -v[3:4], v[10:11], v[12:13]
	s_delay_alu instid0(VALU_DEP_1) | instskip(SKIP_1) | instid1(VALU_DEP_2)
	v_div_fmas_f64 v[3:4], v[3:4], v[7:8], v[10:11]
	v_add_f64 v[7:8], v[5:6], 0
	v_div_fixup_f64 v[1:2], v[3:4], v[1:2], 1.0
	v_fma_f64 v[3:4], v[5:6], 0, -1.0
	s_delay_alu instid0(VALU_DEP_2) | instskip(NEXT) | instid1(VALU_DEP_2)
	v_mul_f64 v[5:6], v[7:8], v[1:2]
	v_mul_f64 v[7:8], v[3:4], v[1:2]
                                        ; implicit-def: $vgpr1_vgpr2
.LBB210_10:
	s_and_not1_saveexec_b32 s2, s2
	s_cbranch_execz .LBB210_12
; %bb.11:
	v_div_scale_f64 v[5:6], null, v[1:2], v[1:2], v[3:4]
	v_div_scale_f64 v[12:13], vcc_lo, v[3:4], v[1:2], v[3:4]
	s_delay_alu instid0(VALU_DEP_2) | instskip(SKIP_2) | instid1(VALU_DEP_1)
	v_rcp_f64_e32 v[7:8], v[5:6]
	s_waitcnt_depctr 0xfff
	v_fma_f64 v[10:11], -v[5:6], v[7:8], 1.0
	v_fma_f64 v[7:8], v[7:8], v[10:11], v[7:8]
	s_delay_alu instid0(VALU_DEP_1) | instskip(NEXT) | instid1(VALU_DEP_1)
	v_fma_f64 v[10:11], -v[5:6], v[7:8], 1.0
	v_fma_f64 v[7:8], v[7:8], v[10:11], v[7:8]
	s_delay_alu instid0(VALU_DEP_1) | instskip(NEXT) | instid1(VALU_DEP_1)
	v_mul_f64 v[10:11], v[12:13], v[7:8]
	v_fma_f64 v[5:6], -v[5:6], v[10:11], v[12:13]
	s_delay_alu instid0(VALU_DEP_1) | instskip(NEXT) | instid1(VALU_DEP_1)
	v_div_fmas_f64 v[5:6], v[5:6], v[7:8], v[10:11]
	v_div_fixup_f64 v[5:6], v[5:6], v[1:2], v[3:4]
	s_delay_alu instid0(VALU_DEP_1) | instskip(NEXT) | instid1(VALU_DEP_1)
	v_fma_f64 v[1:2], v[3:4], v[5:6], v[1:2]
	v_div_scale_f64 v[3:4], null, v[1:2], v[1:2], 1.0
	v_div_scale_f64 v[12:13], vcc_lo, 1.0, v[1:2], 1.0
	s_delay_alu instid0(VALU_DEP_2) | instskip(SKIP_2) | instid1(VALU_DEP_1)
	v_rcp_f64_e32 v[7:8], v[3:4]
	s_waitcnt_depctr 0xfff
	v_fma_f64 v[10:11], -v[3:4], v[7:8], 1.0
	v_fma_f64 v[7:8], v[7:8], v[10:11], v[7:8]
	s_delay_alu instid0(VALU_DEP_1) | instskip(NEXT) | instid1(VALU_DEP_1)
	v_fma_f64 v[10:11], -v[3:4], v[7:8], 1.0
	v_fma_f64 v[7:8], v[7:8], v[10:11], v[7:8]
	s_delay_alu instid0(VALU_DEP_1) | instskip(NEXT) | instid1(VALU_DEP_1)
	v_mul_f64 v[10:11], v[12:13], v[7:8]
	v_fma_f64 v[3:4], -v[3:4], v[10:11], v[12:13]
	s_delay_alu instid0(VALU_DEP_1) | instskip(SKIP_1) | instid1(VALU_DEP_2)
	v_div_fmas_f64 v[3:4], v[3:4], v[7:8], v[10:11]
	v_fma_f64 v[7:8], v[5:6], 0, 1.0
	v_div_fixup_f64 v[1:2], v[3:4], v[1:2], 1.0
	v_add_f64 v[3:4], -v[5:6], 0
	s_delay_alu instid0(VALU_DEP_2) | instskip(NEXT) | instid1(VALU_DEP_2)
	v_mul_f64 v[5:6], v[7:8], v[1:2]
	v_mul_f64 v[7:8], v[3:4], v[1:2]
.LBB210_12:
	s_or_b32 exec_lo, exec_lo, s2
	s_branch .LBB210_14
.LBB210_13:
	v_mov_b32_e32 v5, 0
	v_dual_mov_b32 v6, 0x3ff00000 :: v_dual_mov_b32 v7, 0
	v_mov_b32_e32 v8, 0
.LBB210_14:
	ds_store_b128 v9, v[5:8]
.LBB210_15:
	s_or_b32 exec_lo, exec_lo, s18
	s_mul_i32 s2, s14, -12
	s_add_i32 s15, s15, -1
	s_add_i32 s2, s2, s19
	s_cmp_ge_u32 s14, s15
	s_waitcnt lgkmcnt(0)
	s_cselect_b32 s2, s2, 12
	; wave barrier
	buffer_gl0_inv
	v_cmp_gt_i32_e32 vcc_lo, s2, v0
	s_mov_b32 s2, -1
	s_and_saveexec_b32 s3, vcc_lo
	s_cbranch_execz .LBB210_58
; %bb.16:
	s_load_b32 s0, s[0:1], 0x58
	v_mad_u64_u32 v[1:2], null, s14, 12, v[0:1]
	s_waitcnt lgkmcnt(0)
	s_delay_alu instid0(VALU_DEP_1) | instskip(SKIP_1) | instid1(SALU_CYCLE_1)
	v_mad_i64_i32 v[2:3], null, s0, v1, 0
	s_lshl_b64 s[0:1], s[22:23], 4
	s_add_u32 s3, s12, s0
	s_addc_u32 s8, s13, s1
	s_or_b32 s20, 0, 8
	s_cmpk_eq_i32 s16, 0x6f
	s_delay_alu instid0(VALU_DEP_1) | instskip(NEXT) | instid1(VALU_DEP_1)
	v_lshlrev_b64 v[4:5], 4, v[2:3]
	v_add_co_u32 v8, vcc_lo, s3, v4
	s_delay_alu instid0(VALU_DEP_2)
	v_add_co_ci_u32_e32 v9, vcc_lo, s8, v5, vcc_lo
	s_cbranch_scc1 .LBB210_38
; %bb.17:
	s_add_u32 s2, s12, s0
	s_addc_u32 s3, s13, s1
	v_add_co_u32 v0, vcc_lo, s2, v4
	v_add_co_ci_u32_e32 v1, vcc_lo, s3, v5, vcc_lo
	s_mov_b32 s3, 0
	s_delay_alu instid0(VALU_DEP_2) | instskip(NEXT) | instid1(VALU_DEP_2)
	v_add_co_u32 v10, vcc_lo, v0, 8
	v_add_co_ci_u32_e32 v11, vcc_lo, 0, v1, vcc_lo
	s_mov_b32 s8, s3
	s_mov_b32 s10, s3
	s_branch .LBB210_19
.LBB210_18:                             ;   in Loop: Header=BB210_19 Depth=1
	s_cmp_ge_i32 s10, s29
	s_cselect_b32 s2, -1, 0
	s_add_i32 s8, s8, 1
	s_delay_alu instid0(SALU_CYCLE_1) | instskip(SKIP_1) | instid1(SALU_CYCLE_1)
	s_cmp_eq_u32 s8, 3
	s_cselect_b32 s9, -1, 0
	s_or_b32 s2, s2, s9
	s_delay_alu instid0(SALU_CYCLE_1)
	s_and_not1_b32 vcc_lo, exec_lo, s2
	s_cbranch_vccz .LBB210_37
.LBB210_19:                             ; =>This Loop Header: Depth=1
                                        ;     Child Loop BB210_22 Depth 2
                                        ;       Child Loop BB210_23 Depth 3
                                        ;       Child Loop BB210_26 Depth 3
                                        ;         Child Loop BB210_27 Depth 4
                                        ;       Child Loop BB210_31 Depth 3
                                        ;         Child Loop BB210_33 Depth 4
	s_mov_b32 s9, s3
	s_getpc_b64 s[14:15]
	s_add_u32 s14, s14, __const._ZL30rocblas_trsm_small_left_deviceILi12ELi12ELb0E19rocblas_complex_numIdES1_PKPKS1_PKPS1_Ev13rocblas_fill_18rocblas_operation_17rocblas_diagonal_iiT3_T4_lilT5_lili.step_sizes@rel32@lo+4
	s_addc_u32 s15, s15, __const._ZL30rocblas_trsm_small_left_deviceILi12ELi12ELb0E19rocblas_complex_numIdES1_PKPKS1_PKPS1_Ev13rocblas_fill_18rocblas_operation_17rocblas_diagonal_iiT3_T4_lilT5_lili.step_sizes@rel32@hi+12
	s_lshl_b64 s[16:17], s[8:9], 2
	s_delay_alu instid0(SALU_CYCLE_1) | instskip(SKIP_4) | instid1(SALU_CYCLE_1)
	s_add_u32 s14, s16, s14
	s_addc_u32 s15, s17, s15
	s_load_b32 s14, s[14:15], 0x0
	s_waitcnt lgkmcnt(0)
	s_add_i32 s9, s14, -1
	s_add_i32 s2, s9, s10
	s_delay_alu instid0(SALU_CYCLE_1)
	s_cmp_ge_i32 s2, s29
	s_cbranch_scc1 .LBB210_18
; %bb.20:                               ;   in Loop: Header=BB210_19 Depth=1
	s_ashr_i32 s11, s10, 31
	s_ashr_i32 s15, s14, 31
	s_lshl_b64 s[16:17], s[10:11], 4
	s_max_i32 s21, s14, 1
	v_add_co_u32 v6, vcc_lo, v10, s16
	v_add_co_ci_u32_e32 v7, vcc_lo, s17, v11, vcc_lo
	s_lshl_b64 s[16:17], s[14:15], 4
	s_mul_i32 s11, s10, 0xc0
	s_mul_i32 s15, s14, 0xc0
	;; [unrolled: 1-line block ×4, first 2 shown]
	s_branch .LBB210_22
.LBB210_21:                             ;   in Loop: Header=BB210_22 Depth=2
	v_add_co_u32 v6, vcc_lo, v6, s16
	s_add_i32 s10, s10, s14
	v_add_co_ci_u32_e32 v7, vcc_lo, s17, v7, vcc_lo
	s_add_i32 s2, s9, s10
	s_add_i32 s11, s11, s15
	;; [unrolled: 1-line block ×3, first 2 shown]
	s_cmp_ge_i32 s2, s29
	s_cbranch_scc1 .LBB210_18
.LBB210_22:                             ;   Parent Loop BB210_19 Depth=1
                                        ; =>  This Loop Header: Depth=2
                                        ;       Child Loop BB210_23 Depth 3
                                        ;       Child Loop BB210_26 Depth 3
                                        ;         Child Loop BB210_27 Depth 4
                                        ;       Child Loop BB210_31 Depth 3
                                        ;         Child Loop BB210_33 Depth 4
	v_dual_mov_b32 v0, v6 :: v_dual_mov_b32 v1, v7
	s_mov_b32 s2, 8
	s_mov_b32 s18, s21
	.p2align	6
.LBB210_23:                             ;   Parent Loop BB210_19 Depth=1
                                        ;     Parent Loop BB210_22 Depth=2
                                        ; =>    This Inner Loop Header: Depth=3
	global_load_b128 v[12:15], v[0:1], off offset:-8
	v_add_co_u32 v0, vcc_lo, v0, 16
	v_add_co_ci_u32_e32 v1, vcc_lo, 0, v1, vcc_lo
	s_add_i32 s18, s18, -1
	s_add_i32 s19, s2, 0
	s_add_i32 s2, s2, 16
	s_cmp_eq_u32 s18, 0
	s_waitcnt vmcnt(0)
	v_mul_f64 v[2:3], s[6:7], v[14:15]
	v_mul_f64 v[16:17], s[4:5], v[14:15]
	s_delay_alu instid0(VALU_DEP_2) | instskip(NEXT) | instid1(VALU_DEP_2)
	v_fma_f64 v[14:15], s[4:5], v[12:13], -v[2:3]
	v_fma_f64 v[16:17], s[6:7], v[12:13], v[16:17]
	scratch_store_b128 off, v[14:17], s19 offset:-8
	s_cbranch_scc0 .LBB210_23
; %bb.24:                               ;   in Loop: Header=BB210_22 Depth=2
	s_cmp_lt_i32 s10, 1
	s_cbranch_scc1 .LBB210_29
; %bb.25:                               ;   in Loop: Header=BB210_22 Depth=2
	s_mov_b32 s2, 0
	s_mov_b32 s18, s11
	s_set_inst_prefetch_distance 0x1
	.p2align	6
.LBB210_26:                             ;   Parent Loop BB210_19 Depth=1
                                        ;     Parent Loop BB210_22 Depth=2
                                        ; =>    This Loop Header: Depth=3
                                        ;         Child Loop BB210_27 Depth 4
	s_lshl_b64 s[24:25], s[2:3], 4
	s_mov_b32 s19, s20
	v_add_co_u32 v0, vcc_lo, v8, s24
	v_add_co_ci_u32_e32 v1, vcc_lo, s25, v9, vcc_lo
	s_mov_b32 s24, s18
	s_mov_b32 s25, s21
	global_load_b128 v[0:3], v[0:1], off
	.p2align	6
.LBB210_27:                             ;   Parent Loop BB210_19 Depth=1
                                        ;     Parent Loop BB210_22 Depth=2
                                        ;       Parent Loop BB210_26 Depth=3
                                        ; =>      This Inner Loop Header: Depth=4
	scratch_load_b128 v[12:15], off, s19 offset:-8
	v_mov_b32_e32 v16, s24
	s_add_i32 s25, s25, -1
	s_addk_i32 s24, 0xc0
	ds_load_b128 v[16:19], v16
	s_waitcnt vmcnt(1) lgkmcnt(0)
	v_mul_f64 v[20:21], v[2:3], v[18:19]
	v_mul_f64 v[18:19], v[0:1], v[18:19]
	s_delay_alu instid0(VALU_DEP_2) | instskip(NEXT) | instid1(VALU_DEP_2)
	v_fma_f64 v[20:21], v[0:1], v[16:17], -v[20:21]
	v_fma_f64 v[16:17], v[2:3], v[16:17], v[18:19]
	s_waitcnt vmcnt(0)
	s_delay_alu instid0(VALU_DEP_2) | instskip(NEXT) | instid1(VALU_DEP_2)
	v_add_f64 v[12:13], v[12:13], -v[20:21]
	v_add_f64 v[14:15], v[14:15], -v[16:17]
	scratch_store_b128 off, v[12:15], s19 offset:-8
	s_add_i32 s19, s19, 16
	s_cmp_eq_u32 s25, 0
	s_cbranch_scc0 .LBB210_27
; %bb.28:                               ;   in Loop: Header=BB210_26 Depth=3
	s_add_i32 s2, s2, 1
	s_add_i32 s18, s18, 16
	s_cmp_ge_i32 s2, s10
	s_cbranch_scc0 .LBB210_26
.LBB210_29:                             ;   in Loop: Header=BB210_22 Depth=2
	s_set_inst_prefetch_distance 0x2
	s_mov_b32 s2, 0
	s_mov_b32 s24, s22
	s_branch .LBB210_31
.LBB210_30:                             ;   in Loop: Header=BB210_31 Depth=3
	s_mul_i32 s19, s18, 0xd0
	s_lshl_b32 s25, s2, 4
	v_mov_b32_e32 v12, s19
	s_ashr_i32 s19, s18, 31
	s_add_i32 s2, s2, 1
	s_lshl_b64 s[18:19], s[18:19], 4
	s_addk_i32 s24, 0xc0
	ds_load_b128 v[12:15], v12
	s_waitcnt vmcnt(0) lgkmcnt(0)
	v_mul_f64 v[16:17], v[14:15], v[2:3]
	v_mul_f64 v[2:3], v[12:13], v[2:3]
	s_delay_alu instid0(VALU_DEP_2) | instskip(NEXT) | instid1(VALU_DEP_2)
	v_fma_f64 v[12:13], v[12:13], v[0:1], -v[16:17]
	v_fma_f64 v[14:15], v[14:15], v[0:1], v[2:3]
	v_add_co_u32 v0, vcc_lo, v8, s18
	v_add_co_ci_u32_e32 v1, vcc_lo, s19, v9, vcc_lo
	s_add_i32 s18, s25, 0
	s_cmp_eq_u32 s2, s21
	scratch_store_b128 off, v[12:15], s18
	global_store_b128 v[0:1], v[12:15], off
	s_cbranch_scc1 .LBB210_21
.LBB210_31:                             ;   Parent Loop BB210_19 Depth=1
                                        ;     Parent Loop BB210_22 Depth=2
                                        ; =>    This Loop Header: Depth=3
                                        ;         Child Loop BB210_33 Depth 4
	s_cmp_lg_u32 s2, 0
	s_cbranch_scc0 .LBB210_35
; %bb.32:                               ;   in Loop: Header=BB210_31 Depth=3
	s_lshl_b32 s19, s2, 4
	s_mov_b32 s25, s24
	s_add_i32 s18, s19, 0
	v_add_nc_u32_e64 v12, s19, 0
	scratch_load_b128 v[0:3], off, s18
	s_add_i32 s18, s2, s10
	s_mov_b32 s19, 0
	s_mov_b32 s26, s20
	.p2align	6
.LBB210_33:                             ;   Parent Loop BB210_19 Depth=1
                                        ;     Parent Loop BB210_22 Depth=2
                                        ;       Parent Loop BB210_31 Depth=3
                                        ; =>      This Inner Loop Header: Depth=4
	scratch_load_b128 v[13:16], off, s26 offset:-8
	v_mov_b32_e32 v17, s25
	s_add_i32 s19, s19, 1
	s_add_i32 s26, s26, 16
	;; [unrolled: 1-line block ×3, first 2 shown]
	s_cmp_ge_u32 s19, s2
	ds_load_b128 v[17:20], v17
	s_waitcnt vmcnt(0) lgkmcnt(0)
	v_mul_f64 v[21:22], v[19:20], v[15:16]
	v_mul_f64 v[15:16], v[17:18], v[15:16]
	s_delay_alu instid0(VALU_DEP_2) | instskip(NEXT) | instid1(VALU_DEP_2)
	v_fma_f64 v[17:18], v[17:18], v[13:14], -v[21:22]
	v_fma_f64 v[13:14], v[19:20], v[13:14], v[15:16]
	s_delay_alu instid0(VALU_DEP_2) | instskip(NEXT) | instid1(VALU_DEP_2)
	v_add_f64 v[0:1], v[0:1], -v[17:18]
	v_add_f64 v[2:3], v[2:3], -v[13:14]
	scratch_store_b128 v12, v[0:3], off
	s_cbranch_scc0 .LBB210_33
; %bb.34:                               ;   in Loop: Header=BB210_31 Depth=3
	s_branch .LBB210_30
.LBB210_35:                             ;   in Loop: Header=BB210_31 Depth=3
                                        ; implicit-def: $vgpr0_vgpr1
                                        ; implicit-def: $sgpr18
	s_cbranch_execz .LBB210_30
; %bb.36:                               ;   in Loop: Header=BB210_31 Depth=3
	scratch_load_b128 v[0:3], off, off
	s_mov_b32 s18, s10
	s_branch .LBB210_30
.LBB210_37:
	s_mov_b32 s2, 0
.LBB210_38:
	s_delay_alu instid0(SALU_CYCLE_1)
	s_and_b32 vcc_lo, exec_lo, s2
	s_cbranch_vccz .LBB210_58
; %bb.39:
	s_add_u32 s0, s12, s0
	s_addc_u32 s1, s13, s1
	v_add_co_u32 v0, vcc_lo, s0, v4
	v_add_co_ci_u32_e32 v1, vcc_lo, s1, v5, vcc_lo
	s_mul_i32 s12, s29, 0xc0
	s_delay_alu instid0(VALU_DEP_2) | instskip(NEXT) | instid1(VALU_DEP_2)
	v_add_co_u32 v4, vcc_lo, v0, 8
	v_add_co_ci_u32_e32 v5, vcc_lo, 0, v1, vcc_lo
	s_mov_b32 s1, 0
	s_addk_i32 s12, 0xff40
	s_mov_b32 s2, s28
	s_mov_b32 s0, s1
	s_branch .LBB210_41
.LBB210_40:                             ;   in Loop: Header=BB210_41 Depth=1
	s_cmp_lt_i32 s2, 0
	s_cselect_b32 s3, -1, 0
	s_add_i32 s0, s0, 1
	s_delay_alu instid0(SALU_CYCLE_1) | instskip(SKIP_1) | instid1(SALU_CYCLE_1)
	s_cmp_eq_u32 s0, 3
	s_cselect_b32 s8, -1, 0
	s_or_b32 s3, s3, s8
	s_delay_alu instid0(SALU_CYCLE_1)
	s_and_b32 vcc_lo, exec_lo, s3
	s_cbranch_vccnz .LBB210_58
.LBB210_41:                             ; =>This Loop Header: Depth=1
                                        ;     Child Loop BB210_44 Depth 2
                                        ;       Child Loop BB210_45 Depth 3
                                        ;       Child Loop BB210_47 Depth 3
                                        ;         Child Loop BB210_48 Depth 4
                                        ;       Child Loop BB210_52 Depth 3
                                        ;         Child Loop BB210_54 Depth 4
	s_getpc_b64 s[8:9]
	s_add_u32 s8, s8, __const._ZL30rocblas_trsm_small_left_deviceILi12ELi12ELb0E19rocblas_complex_numIdES1_PKPKS1_PKPS1_Ev13rocblas_fill_18rocblas_operation_17rocblas_diagonal_iiT3_T4_lilT5_lili.step_sizes@rel32@lo+4
	s_addc_u32 s9, s9, __const._ZL30rocblas_trsm_small_left_deviceILi12ELi12ELb0E19rocblas_complex_numIdES1_PKPKS1_PKPS1_Ev13rocblas_fill_18rocblas_operation_17rocblas_diagonal_iiT3_T4_lilT5_lili.step_sizes@rel32@hi+12
	s_lshl_b64 s[10:11], s[0:1], 2
	s_delay_alu instid0(SALU_CYCLE_1) | instskip(SKIP_4) | instid1(SALU_CYCLE_1)
	s_add_u32 s8, s10, s8
	s_addc_u32 s9, s11, s9
	s_load_b32 s13, s[8:9], 0x0
	s_waitcnt lgkmcnt(0)
	s_add_i32 s14, s13, -1
	s_cmp_lt_i32 s2, s14
	s_cbranch_scc1 .LBB210_40
; %bb.42:                               ;   in Loop: Header=BB210_41 Depth=1
	s_lshl_b32 s3, s2, 4
	s_lshl_b32 s8, s13, 4
	s_max_i32 s15, s13, 1
	s_add_i32 s16, s12, s3
	s_sub_i32 s17, 0, s8
	s_mul_i32 s18, s2, 0xd0
	s_mul_i32 s19, s13, 0xffffff30
	s_branch .LBB210_44
.LBB210_43:                             ;   in Loop: Header=BB210_44 Depth=2
	s_sub_i32 s2, s2, s13
	s_add_i32 s16, s16, s17
	s_add_i32 s18, s18, s19
	s_cmp_lt_i32 s2, s14
	s_cbranch_scc1 .LBB210_40
.LBB210_44:                             ;   Parent Loop BB210_41 Depth=1
                                        ; =>  This Loop Header: Depth=2
                                        ;       Child Loop BB210_45 Depth 3
                                        ;       Child Loop BB210_47 Depth 3
                                        ;         Child Loop BB210_48 Depth 4
                                        ;       Child Loop BB210_52 Depth 3
                                        ;         Child Loop BB210_54 Depth 4
	s_ashr_i32 s3, s2, 31
	s_delay_alu instid0(SALU_CYCLE_1) | instskip(NEXT) | instid1(SALU_CYCLE_1)
	s_lshl_b64 s[8:9], s[2:3], 4
	v_add_co_u32 v0, vcc_lo, v4, s8
	v_add_co_ci_u32_e32 v1, vcc_lo, s9, v5, vcc_lo
	s_mov_b32 s8, 8
	s_mov_b32 s9, s15
	.p2align	6
.LBB210_45:                             ;   Parent Loop BB210_41 Depth=1
                                        ;     Parent Loop BB210_44 Depth=2
                                        ; =>    This Inner Loop Header: Depth=3
	global_load_b128 v[10:13], v[0:1], off offset:-8
	v_add_co_u32 v0, vcc_lo, v0, -16
	v_add_co_ci_u32_e32 v1, vcc_lo, -1, v1, vcc_lo
	s_add_i32 s9, s9, -1
	s_add_i32 s10, s8, 0
	s_add_i32 s8, s8, 16
	s_cmp_eq_u32 s9, 0
	s_waitcnt vmcnt(0)
	v_mul_f64 v[2:3], s[6:7], v[12:13]
	v_mul_f64 v[6:7], s[4:5], v[12:13]
	s_delay_alu instid0(VALU_DEP_2) | instskip(NEXT) | instid1(VALU_DEP_2)
	v_fma_f64 v[12:13], s[4:5], v[10:11], -v[2:3]
	v_fma_f64 v[14:15], s[6:7], v[10:11], v[6:7]
	scratch_store_b128 off, v[12:15], s10 offset:-8
	s_cbranch_scc0 .LBB210_45
; %bb.46:                               ;   in Loop: Header=BB210_44 Depth=2
	s_cmp_le_i32 s28, s2
	s_mov_b32 s10, s16
	s_mov_b32 s8, s28
	s_cbranch_scc1 .LBB210_50
	.p2align	6
.LBB210_47:                             ;   Parent Loop BB210_41 Depth=1
                                        ;     Parent Loop BB210_44 Depth=2
                                        ; =>    This Loop Header: Depth=3
                                        ;         Child Loop BB210_48 Depth 4
	s_ashr_i32 s9, s8, 31
	s_mov_b32 s11, s15
	s_lshl_b64 s[22:23], s[8:9], 4
	s_mov_b32 s9, s20
	v_add_co_u32 v0, vcc_lo, v8, s22
	v_add_co_ci_u32_e32 v1, vcc_lo, s23, v9, vcc_lo
	s_mov_b32 s21, s10
	global_load_b128 v[0:3], v[0:1], off
	.p2align	6
.LBB210_48:                             ;   Parent Loop BB210_41 Depth=1
                                        ;     Parent Loop BB210_44 Depth=2
                                        ;       Parent Loop BB210_47 Depth=3
                                        ; =>      This Inner Loop Header: Depth=4
	scratch_load_b128 v[10:13], off, s9 offset:-8
	v_mov_b32_e32 v6, s21
	s_add_i32 s11, s11, -1
	s_add_i32 s21, s21, -16
	ds_load_b128 v[14:17], v6
	s_waitcnt vmcnt(1) lgkmcnt(0)
	v_mul_f64 v[6:7], v[2:3], v[16:17]
	v_mul_f64 v[16:17], v[0:1], v[16:17]
	s_delay_alu instid0(VALU_DEP_2) | instskip(NEXT) | instid1(VALU_DEP_2)
	v_fma_f64 v[6:7], v[0:1], v[14:15], -v[6:7]
	v_fma_f64 v[14:15], v[2:3], v[14:15], v[16:17]
	s_waitcnt vmcnt(0)
	s_delay_alu instid0(VALU_DEP_2) | instskip(NEXT) | instid1(VALU_DEP_2)
	v_add_f64 v[10:11], v[10:11], -v[6:7]
	v_add_f64 v[12:13], v[12:13], -v[14:15]
	scratch_store_b128 off, v[10:13], s9 offset:-8
	s_add_i32 s9, s9, 16
	s_cmp_eq_u32 s11, 0
	s_cbranch_scc0 .LBB210_48
; %bb.49:                               ;   in Loop: Header=BB210_47 Depth=3
	s_add_i32 s8, s8, -1
	s_addk_i32 s10, 0xff40
	s_cmp_le_i32 s8, s2
	s_cbranch_scc0 .LBB210_47
.LBB210_50:                             ;   in Loop: Header=BB210_44 Depth=2
	s_mov_b32 s21, 0
	s_mov_b32 s22, s18
	s_branch .LBB210_52
.LBB210_51:                             ;   in Loop: Header=BB210_52 Depth=3
	s_mulk_i32 s10, 0xd0
	s_lshl_b64 s[8:9], s[8:9], 4
	v_mov_b32_e32 v6, s10
	s_lshl_b32 s10, s21, 4
	s_add_i32 s21, s21, 1
	s_add_i32 s22, s22, -16
	ds_load_b128 v[10:13], v6
	s_waitcnt vmcnt(0) lgkmcnt(0)
	v_mul_f64 v[6:7], v[12:13], v[2:3]
	v_mul_f64 v[2:3], v[10:11], v[2:3]
	s_delay_alu instid0(VALU_DEP_2) | instskip(NEXT) | instid1(VALU_DEP_2)
	v_fma_f64 v[10:11], v[10:11], v[0:1], -v[6:7]
	v_fma_f64 v[12:13], v[12:13], v[0:1], v[2:3]
	v_add_co_u32 v0, vcc_lo, v8, s8
	v_add_co_ci_u32_e32 v1, vcc_lo, s9, v9, vcc_lo
	s_add_i32 s8, s10, 0
	s_cmp_eq_u32 s21, s15
	scratch_store_b128 off, v[10:13], s8
	global_store_b128 v[0:1], v[10:13], off
	s_cbranch_scc1 .LBB210_43
.LBB210_52:                             ;   Parent Loop BB210_41 Depth=1
                                        ;     Parent Loop BB210_44 Depth=2
                                        ; =>    This Loop Header: Depth=3
                                        ;         Child Loop BB210_54 Depth 4
	s_cmp_lg_u32 s21, 0
	s_cbranch_scc0 .LBB210_56
; %bb.53:                               ;   in Loop: Header=BB210_52 Depth=3
	s_lshl_b32 s8, s21, 4
	s_mov_b32 s10, s22
	s_add_i32 s9, s8, 0
	v_add_nc_u32_e64 v6, s8, 0
	scratch_load_b128 v[0:3], off, s9
	s_mov_b32 s8, 0
	s_mov_b32 s9, s20
	.p2align	6
.LBB210_54:                             ;   Parent Loop BB210_41 Depth=1
                                        ;     Parent Loop BB210_44 Depth=2
                                        ;       Parent Loop BB210_52 Depth=3
                                        ; =>      This Inner Loop Header: Depth=4
	scratch_load_b128 v[10:13], off, s9 offset:-8
	v_mov_b32_e32 v7, s10
	s_add_i32 s8, s8, 1
	s_addk_i32 s10, 0xff40
	s_add_i32 s9, s9, 16
	s_cmp_ge_u32 s8, s21
	ds_load_b128 v[14:17], v7
	s_waitcnt vmcnt(0) lgkmcnt(0)
	v_mul_f64 v[18:19], v[16:17], v[12:13]
	v_mul_f64 v[12:13], v[14:15], v[12:13]
	s_delay_alu instid0(VALU_DEP_2) | instskip(NEXT) | instid1(VALU_DEP_2)
	v_fma_f64 v[14:15], v[14:15], v[10:11], -v[18:19]
	v_fma_f64 v[10:11], v[16:17], v[10:11], v[12:13]
	s_delay_alu instid0(VALU_DEP_2) | instskip(NEXT) | instid1(VALU_DEP_2)
	v_add_f64 v[0:1], v[0:1], -v[14:15]
	v_add_f64 v[2:3], v[2:3], -v[10:11]
	scratch_store_b128 v6, v[0:3], off
	s_cbranch_scc0 .LBB210_54
; %bb.55:                               ;   in Loop: Header=BB210_52 Depth=3
	s_sub_i32 s10, s2, s21
	s_delay_alu instid0(SALU_CYCLE_1) | instskip(NEXT) | instid1(SALU_CYCLE_1)
	s_ashr_i32 s11, s10, 31
	s_mov_b64 s[8:9], s[10:11]
	s_branch .LBB210_51
.LBB210_56:                             ;   in Loop: Header=BB210_52 Depth=3
                                        ; implicit-def: $vgpr0_vgpr1
                                        ; implicit-def: $sgpr10
                                        ; implicit-def: $sgpr8_sgpr9
	s_cbranch_execz .LBB210_51
; %bb.57:                               ;   in Loop: Header=BB210_52 Depth=3
	scratch_load_b128 v[0:3], off, off
	s_mov_b64 s[8:9], s[2:3]
	s_mov_b32 s10, s2
	s_branch .LBB210_51
.LBB210_58:
	s_endpgm
	.section	.rodata,"a",@progbits
	.p2align	6, 0x0
	.amdhsa_kernel _ZL30rocblas_trsm_small_left_deviceILi12ELi12ELb0E19rocblas_complex_numIdES1_PKPKS1_PKPS1_Ev13rocblas_fill_18rocblas_operation_17rocblas_diagonal_iiT3_T4_lilT5_lili
		.amdhsa_group_segment_fixed_size 2304
		.amdhsa_private_segment_fixed_size 208
		.amdhsa_kernarg_size 368
		.amdhsa_user_sgpr_count 14
		.amdhsa_user_sgpr_dispatch_ptr 0
		.amdhsa_user_sgpr_queue_ptr 0
		.amdhsa_user_sgpr_kernarg_segment_ptr 1
		.amdhsa_user_sgpr_dispatch_id 0
		.amdhsa_user_sgpr_private_segment_size 0
		.amdhsa_wavefront_size32 1
		.amdhsa_uses_dynamic_stack 0
		.amdhsa_enable_private_segment 1
		.amdhsa_system_sgpr_workgroup_id_x 1
		.amdhsa_system_sgpr_workgroup_id_y 0
		.amdhsa_system_sgpr_workgroup_id_z 1
		.amdhsa_system_sgpr_workgroup_info 0
		.amdhsa_system_vgpr_workitem_id 0
		.amdhsa_next_free_vgpr 25
		.amdhsa_next_free_sgpr 31
		.amdhsa_reserve_vcc 1
		.amdhsa_float_round_mode_32 0
		.amdhsa_float_round_mode_16_64 0
		.amdhsa_float_denorm_mode_32 3
		.amdhsa_float_denorm_mode_16_64 3
		.amdhsa_dx10_clamp 1
		.amdhsa_ieee_mode 1
		.amdhsa_fp16_overflow 0
		.amdhsa_workgroup_processor_mode 1
		.amdhsa_memory_ordered 1
		.amdhsa_forward_progress 0
		.amdhsa_shared_vgpr_count 0
		.amdhsa_exception_fp_ieee_invalid_op 0
		.amdhsa_exception_fp_denorm_src 0
		.amdhsa_exception_fp_ieee_div_zero 0
		.amdhsa_exception_fp_ieee_overflow 0
		.amdhsa_exception_fp_ieee_underflow 0
		.amdhsa_exception_fp_ieee_inexact 0
		.amdhsa_exception_int_div_zero 0
	.end_amdhsa_kernel
	.section	.text._ZL30rocblas_trsm_small_left_deviceILi12ELi12ELb0E19rocblas_complex_numIdES1_PKPKS1_PKPS1_Ev13rocblas_fill_18rocblas_operation_17rocblas_diagonal_iiT3_T4_lilT5_lili,"axG",@progbits,_ZL30rocblas_trsm_small_left_deviceILi12ELi12ELb0E19rocblas_complex_numIdES1_PKPKS1_PKPS1_Ev13rocblas_fill_18rocblas_operation_17rocblas_diagonal_iiT3_T4_lilT5_lili,comdat
.Lfunc_end210:
	.size	_ZL30rocblas_trsm_small_left_deviceILi12ELi12ELb0E19rocblas_complex_numIdES1_PKPKS1_PKPS1_Ev13rocblas_fill_18rocblas_operation_17rocblas_diagonal_iiT3_T4_lilT5_lili, .Lfunc_end210-_ZL30rocblas_trsm_small_left_deviceILi12ELi12ELb0E19rocblas_complex_numIdES1_PKPKS1_PKPS1_Ev13rocblas_fill_18rocblas_operation_17rocblas_diagonal_iiT3_T4_lilT5_lili
                                        ; -- End function
	.section	.AMDGPU.csdata,"",@progbits
; Kernel info:
; codeLenInByte = 3184
; NumSgprs: 33
; NumVgprs: 25
; ScratchSize: 208
; MemoryBound: 0
; FloatMode: 240
; IeeeMode: 1
; LDSByteSize: 2304 bytes/workgroup (compile time only)
; SGPRBlocks: 4
; VGPRBlocks: 3
; NumSGPRsForWavesPerEU: 33
; NumVGPRsForWavesPerEU: 25
; Occupancy: 14
; WaveLimiterHint : 1
; COMPUTE_PGM_RSRC2:SCRATCH_EN: 1
; COMPUTE_PGM_RSRC2:USER_SGPR: 14
; COMPUTE_PGM_RSRC2:TRAP_HANDLER: 0
; COMPUTE_PGM_RSRC2:TGID_X_EN: 1
; COMPUTE_PGM_RSRC2:TGID_Y_EN: 0
; COMPUTE_PGM_RSRC2:TGID_Z_EN: 1
; COMPUTE_PGM_RSRC2:TIDIG_COMP_CNT: 0
	.section	.text._ZL38rocblas_trsm_small_left_device_sharedBILi12ELi12ELb1E19rocblas_complex_numIdES1_PKPKS1_PKPS1_Ev13rocblas_fill_18rocblas_operation_17rocblas_diagonal_iiT3_T4_lilT5_lili,"axG",@progbits,_ZL38rocblas_trsm_small_left_device_sharedBILi12ELi12ELb1E19rocblas_complex_numIdES1_PKPKS1_PKPS1_Ev13rocblas_fill_18rocblas_operation_17rocblas_diagonal_iiT3_T4_lilT5_lili,comdat
	.globl	_ZL38rocblas_trsm_small_left_device_sharedBILi12ELi12ELb1E19rocblas_complex_numIdES1_PKPKS1_PKPS1_Ev13rocblas_fill_18rocblas_operation_17rocblas_diagonal_iiT3_T4_lilT5_lili ; -- Begin function _ZL38rocblas_trsm_small_left_device_sharedBILi12ELi12ELb1E19rocblas_complex_numIdES1_PKPKS1_PKPS1_Ev13rocblas_fill_18rocblas_operation_17rocblas_diagonal_iiT3_T4_lilT5_lili
	.p2align	8
	.type	_ZL38rocblas_trsm_small_left_device_sharedBILi12ELi12ELb1E19rocblas_complex_numIdES1_PKPKS1_PKPS1_Ev13rocblas_fill_18rocblas_operation_17rocblas_diagonal_iiT3_T4_lilT5_lili,@function
_ZL38rocblas_trsm_small_left_device_sharedBILi12ELi12ELb1E19rocblas_complex_numIdES1_PKPKS1_PKPS1_Ev13rocblas_fill_18rocblas_operation_17rocblas_diagonal_iiT3_T4_lilT5_lili: ; @_ZL38rocblas_trsm_small_left_device_sharedBILi12ELi12ELb1E19rocblas_complex_numIdES1_PKPKS1_PKPS1_Ev13rocblas_fill_18rocblas_operation_17rocblas_diagonal_iiT3_T4_lilT5_lili
; %bb.0:
	s_clause 0x1
	s_load_b128 s[20:23], s[0:1], 0x48
	s_load_b128 s[16:19], s[0:1], 0x4
	s_mov_b32 s2, s15
	s_mov_b32 s3, 0
	s_load_b32 s29, s[0:1], 0x70
	s_lshl_b64 s[24:25], s[2:3], 3
	s_mov_b32 s30, exec_lo
	s_waitcnt lgkmcnt(0)
	s_add_u32 s12, s20, s24
	s_addc_u32 s13, s21, s25
	s_load_b256 s[4:11], s[0:1], 0x18
	s_load_b64 s[12:13], s[12:13], 0x0
	s_min_i32 s15, s18, 12
	s_delay_alu instid0(SALU_CYCLE_1)
	s_add_i32 s28, s15, -1
	v_cmpx_gt_i32_e64 s15, v0
	s_cbranch_execz .LBB211_15
; %bb.1:
	s_load_b32 s20, s[0:1], 0x38
	s_waitcnt lgkmcnt(0)
	s_ashr_i32 s21, s20, 31
	s_cmpk_eq_i32 s16, 0x71
	s_cselect_b32 vcc_lo, -1, 0
	s_add_u32 s8, s8, s24
	s_addc_u32 s9, s9, s25
	s_cmp_lt_u32 s28, 3
	s_load_b64 s[8:9], s[8:9], 0x0
	s_cbranch_scc1 .LBB211_4
; %bb.2:
	v_lshlrev_b32_e32 v1, 4, v0
	s_lshl_b64 s[24:25], s[10:11], 4
	s_and_b32 s3, s15, -4
	s_waitcnt lgkmcnt(0)
	s_add_u32 s2, s8, s24
	s_addc_u32 s24, s9, s25
	v_add_co_u32 v1, s2, s2, v1
	s_delay_alu instid0(VALU_DEP_1) | instskip(SKIP_1) | instid1(VALU_DEP_3)
	v_add_co_ci_u32_e64 v2, null, s24, 0, s2
	v_lshlrev_b32_e32 v3, 4, v0
	v_add_co_u32 v1, s2, v1, 8
	s_delay_alu instid0(VALU_DEP_1)
	v_add_co_ci_u32_e64 v2, s2, 0, v2, s2
	s_lshl_b64 s[24:25], s[20:21], 6
	s_lshl_b64 s[26:27], s[20:21], 4
	s_mov_b32 s31, 0
.LBB211_3:                              ; =>This Inner Loop Header: Depth=1
	v_add_co_u32 v8, s2, v1, s26
	s_delay_alu instid0(VALU_DEP_1) | instskip(SKIP_1) | instid1(VALU_DEP_2)
	v_add_co_ci_u32_e64 v9, s2, s27, v2, s2
	s_add_i32 s31, s31, 4
	v_add_co_u32 v12, s2, v8, s26
	s_delay_alu instid0(VALU_DEP_1) | instskip(SKIP_1) | instid1(VALU_DEP_2)
	v_add_co_ci_u32_e64 v13, s2, s27, v9, s2
	s_cmp_eq_u32 s3, s31
	v_add_co_u32 v16, s2, v12, s26
	s_delay_alu instid0(VALU_DEP_1)
	v_add_co_ci_u32_e64 v17, s2, s27, v13, s2
	s_clause 0x3
	global_load_b128 v[4:7], v[1:2], off offset:-8
	global_load_b128 v[8:11], v[8:9], off offset:-8
	;; [unrolled: 1-line block ×4, first 2 shown]
	v_add_co_u32 v1, s2, v1, s24
	s_delay_alu instid0(VALU_DEP_1)
	v_add_co_ci_u32_e64 v2, s2, s25, v2, s2
	s_waitcnt vmcnt(3)
	v_xor_b32_e32 v20, 0x80000000, v7
	s_waitcnt vmcnt(2)
	v_xor_b32_e32 v21, 0x80000000, v11
	;; [unrolled: 2-line block ×4, first 2 shown]
	v_cndmask_b32_e32 v7, v7, v20, vcc_lo
	v_cndmask_b32_e32 v11, v11, v21, vcc_lo
	;; [unrolled: 1-line block ×3, first 2 shown]
	s_delay_alu instid0(VALU_DEP_4)
	v_cndmask_b32_e32 v19, v19, v23, vcc_lo
	ds_store_b128 v3, v[4:7]
	ds_store_b128 v3, v[8:11] offset:192
	ds_store_b128 v3, v[12:15] offset:384
	;; [unrolled: 1-line block ×3, first 2 shown]
	v_add_nc_u32_e32 v3, 0x300, v3
	s_cbranch_scc0 .LBB211_3
.LBB211_4:
	s_and_b32 s24, s15, 3
	s_delay_alu instid0(SALU_CYCLE_1)
	s_cmp_eq_u32 s24, 0
	s_cbranch_scc1 .LBB211_7
; %bb.5:
	s_mul_i32 s2, s21, s3
	s_mul_hi_u32 s25, s20, s3
	s_mul_i32 s26, s20, s3
	s_add_i32 s27, s25, s2
	s_lshl_b64 s[10:11], s[10:11], 4
	s_lshl_b64 s[26:27], s[26:27], 4
	v_lshlrev_b32_e32 v1, 4, v0
	s_mul_i32 s2, s3, 0xc0
	s_add_u32 s3, s26, s10
	s_addc_u32 s10, s27, s11
	s_waitcnt lgkmcnt(0)
	s_add_u32 s3, s8, s3
	s_addc_u32 s8, s9, s10
	v_add_co_u32 v1, s3, s3, v1
	s_delay_alu instid0(VALU_DEP_1) | instskip(SKIP_1) | instid1(VALU_DEP_3)
	v_add_co_ci_u32_e64 v2, null, s8, 0, s3
	v_lshl_add_u32 v3, v0, 4, s2
	v_add_co_u32 v1, s2, v1, 8
	s_delay_alu instid0(VALU_DEP_1)
	v_add_co_ci_u32_e64 v2, s2, 0, v2, s2
	s_lshl_b64 s[8:9], s[20:21], 4
.LBB211_6:                              ; =>This Inner Loop Header: Depth=1
	global_load_b128 v[4:7], v[1:2], off offset:-8
	v_add_co_u32 v1, s2, v1, s8
	s_delay_alu instid0(VALU_DEP_1) | instskip(SKIP_1) | instid1(SALU_CYCLE_1)
	v_add_co_ci_u32_e64 v2, s2, s9, v2, s2
	s_add_i32 s24, s24, -1
	s_cmp_lg_u32 s24, 0
	s_waitcnt vmcnt(0)
	v_xor_b32_e32 v8, 0x80000000, v7
	s_delay_alu instid0(VALU_DEP_1)
	v_cndmask_b32_e32 v7, v7, v8, vcc_lo
	ds_store_b128 v3, v[4:7]
	v_add_nc_u32_e32 v3, 0xc0, v3
	s_cbranch_scc1 .LBB211_6
.LBB211_7:
	v_mul_u32_u24_e32 v1, 13, v0
	s_cmpk_lg_i32 s17, 0x84
	s_delay_alu instid0(VALU_DEP_1)
	v_lshlrev_b32_e32 v9, 4, v1
	s_cbranch_scc0 .LBB211_13
; %bb.8:
	ds_load_b128 v[1:4], v9
	s_waitcnt lgkmcnt(0)
	v_cmp_gt_f64_e32 vcc_lo, 0, v[1:2]
	v_xor_b32_e32 v6, 0x80000000, v2
	v_mov_b32_e32 v5, v1
	v_xor_b32_e32 v7, 0x80000000, v4
	s_delay_alu instid0(VALU_DEP_3) | instskip(SKIP_1) | instid1(VALU_DEP_3)
	v_cndmask_b32_e32 v6, v2, v6, vcc_lo
	v_cmp_gt_f64_e32 vcc_lo, 0, v[3:4]
	v_dual_cndmask_b32 v8, v4, v7 :: v_dual_mov_b32 v7, v3
	s_delay_alu instid0(VALU_DEP_1) | instskip(SKIP_1) | instid1(SALU_CYCLE_1)
	v_cmp_ngt_f64_e32 vcc_lo, v[5:6], v[7:8]
                                        ; implicit-def: $vgpr7_vgpr8
	s_and_saveexec_b32 s2, vcc_lo
	s_xor_b32 s2, exec_lo, s2
	s_cbranch_execz .LBB211_10
; %bb.9:
	v_div_scale_f64 v[5:6], null, v[3:4], v[3:4], v[1:2]
	v_div_scale_f64 v[12:13], vcc_lo, v[1:2], v[3:4], v[1:2]
	s_delay_alu instid0(VALU_DEP_2) | instskip(SKIP_2) | instid1(VALU_DEP_1)
	v_rcp_f64_e32 v[7:8], v[5:6]
	s_waitcnt_depctr 0xfff
	v_fma_f64 v[10:11], -v[5:6], v[7:8], 1.0
	v_fma_f64 v[7:8], v[7:8], v[10:11], v[7:8]
	s_delay_alu instid0(VALU_DEP_1) | instskip(NEXT) | instid1(VALU_DEP_1)
	v_fma_f64 v[10:11], -v[5:6], v[7:8], 1.0
	v_fma_f64 v[7:8], v[7:8], v[10:11], v[7:8]
	s_delay_alu instid0(VALU_DEP_1) | instskip(NEXT) | instid1(VALU_DEP_1)
	v_mul_f64 v[10:11], v[12:13], v[7:8]
	v_fma_f64 v[5:6], -v[5:6], v[10:11], v[12:13]
	s_delay_alu instid0(VALU_DEP_1) | instskip(NEXT) | instid1(VALU_DEP_1)
	v_div_fmas_f64 v[5:6], v[5:6], v[7:8], v[10:11]
	v_div_fixup_f64 v[5:6], v[5:6], v[3:4], v[1:2]
	s_delay_alu instid0(VALU_DEP_1) | instskip(NEXT) | instid1(VALU_DEP_1)
	v_fma_f64 v[1:2], v[1:2], v[5:6], v[3:4]
	v_div_scale_f64 v[3:4], null, v[1:2], v[1:2], 1.0
	v_div_scale_f64 v[12:13], vcc_lo, 1.0, v[1:2], 1.0
	s_delay_alu instid0(VALU_DEP_2) | instskip(SKIP_2) | instid1(VALU_DEP_1)
	v_rcp_f64_e32 v[7:8], v[3:4]
	s_waitcnt_depctr 0xfff
	v_fma_f64 v[10:11], -v[3:4], v[7:8], 1.0
	v_fma_f64 v[7:8], v[7:8], v[10:11], v[7:8]
	s_delay_alu instid0(VALU_DEP_1) | instskip(NEXT) | instid1(VALU_DEP_1)
	v_fma_f64 v[10:11], -v[3:4], v[7:8], 1.0
	v_fma_f64 v[7:8], v[7:8], v[10:11], v[7:8]
	s_delay_alu instid0(VALU_DEP_1) | instskip(NEXT) | instid1(VALU_DEP_1)
	v_mul_f64 v[10:11], v[12:13], v[7:8]
	v_fma_f64 v[3:4], -v[3:4], v[10:11], v[12:13]
	s_delay_alu instid0(VALU_DEP_1) | instskip(SKIP_1) | instid1(VALU_DEP_2)
	v_div_fmas_f64 v[3:4], v[3:4], v[7:8], v[10:11]
	v_add_f64 v[7:8], v[5:6], 0
	v_div_fixup_f64 v[1:2], v[3:4], v[1:2], 1.0
	v_fma_f64 v[3:4], v[5:6], 0, -1.0
	s_delay_alu instid0(VALU_DEP_2) | instskip(NEXT) | instid1(VALU_DEP_2)
	v_mul_f64 v[5:6], v[7:8], v[1:2]
	v_mul_f64 v[7:8], v[3:4], v[1:2]
                                        ; implicit-def: $vgpr1_vgpr2
.LBB211_10:
	s_and_not1_saveexec_b32 s2, s2
	s_cbranch_execz .LBB211_12
; %bb.11:
	v_div_scale_f64 v[5:6], null, v[1:2], v[1:2], v[3:4]
	v_div_scale_f64 v[12:13], vcc_lo, v[3:4], v[1:2], v[3:4]
	s_delay_alu instid0(VALU_DEP_2) | instskip(SKIP_2) | instid1(VALU_DEP_1)
	v_rcp_f64_e32 v[7:8], v[5:6]
	s_waitcnt_depctr 0xfff
	v_fma_f64 v[10:11], -v[5:6], v[7:8], 1.0
	v_fma_f64 v[7:8], v[7:8], v[10:11], v[7:8]
	s_delay_alu instid0(VALU_DEP_1) | instskip(NEXT) | instid1(VALU_DEP_1)
	v_fma_f64 v[10:11], -v[5:6], v[7:8], 1.0
	v_fma_f64 v[7:8], v[7:8], v[10:11], v[7:8]
	s_delay_alu instid0(VALU_DEP_1) | instskip(NEXT) | instid1(VALU_DEP_1)
	v_mul_f64 v[10:11], v[12:13], v[7:8]
	v_fma_f64 v[5:6], -v[5:6], v[10:11], v[12:13]
	s_delay_alu instid0(VALU_DEP_1) | instskip(NEXT) | instid1(VALU_DEP_1)
	v_div_fmas_f64 v[5:6], v[5:6], v[7:8], v[10:11]
	v_div_fixup_f64 v[5:6], v[5:6], v[1:2], v[3:4]
	s_delay_alu instid0(VALU_DEP_1) | instskip(NEXT) | instid1(VALU_DEP_1)
	v_fma_f64 v[1:2], v[3:4], v[5:6], v[1:2]
	v_div_scale_f64 v[3:4], null, v[1:2], v[1:2], 1.0
	v_div_scale_f64 v[12:13], vcc_lo, 1.0, v[1:2], 1.0
	s_delay_alu instid0(VALU_DEP_2) | instskip(SKIP_2) | instid1(VALU_DEP_1)
	v_rcp_f64_e32 v[7:8], v[3:4]
	s_waitcnt_depctr 0xfff
	v_fma_f64 v[10:11], -v[3:4], v[7:8], 1.0
	v_fma_f64 v[7:8], v[7:8], v[10:11], v[7:8]
	s_delay_alu instid0(VALU_DEP_1) | instskip(NEXT) | instid1(VALU_DEP_1)
	v_fma_f64 v[10:11], -v[3:4], v[7:8], 1.0
	v_fma_f64 v[7:8], v[7:8], v[10:11], v[7:8]
	s_delay_alu instid0(VALU_DEP_1) | instskip(NEXT) | instid1(VALU_DEP_1)
	v_mul_f64 v[10:11], v[12:13], v[7:8]
	v_fma_f64 v[3:4], -v[3:4], v[10:11], v[12:13]
	s_delay_alu instid0(VALU_DEP_1) | instskip(SKIP_1) | instid1(VALU_DEP_2)
	v_div_fmas_f64 v[3:4], v[3:4], v[7:8], v[10:11]
	v_fma_f64 v[7:8], v[5:6], 0, 1.0
	v_div_fixup_f64 v[1:2], v[3:4], v[1:2], 1.0
	v_add_f64 v[3:4], -v[5:6], 0
	s_delay_alu instid0(VALU_DEP_2) | instskip(NEXT) | instid1(VALU_DEP_2)
	v_mul_f64 v[5:6], v[7:8], v[1:2]
	v_mul_f64 v[7:8], v[3:4], v[1:2]
.LBB211_12:
	s_or_b32 exec_lo, exec_lo, s2
	s_branch .LBB211_14
.LBB211_13:
	v_mov_b32_e32 v5, 0
	v_dual_mov_b32 v6, 0x3ff00000 :: v_dual_mov_b32 v7, 0
	v_mov_b32_e32 v8, 0
.LBB211_14:
	ds_store_b128 v9, v[5:8]
.LBB211_15:
	s_or_b32 exec_lo, exec_lo, s30
	s_waitcnt lgkmcnt(0)
	s_load_b32 s10, s[0:1], 0x58
	s_lshl_b64 s[0:1], s[22:23], 4
	s_mul_i32 s3, s14, -12
	s_mul_i32 s2, s14, 12
	s_waitcnt lgkmcnt(0)
	s_ashr_i32 s11, s10, 31
	s_add_u32 s17, s12, s0
	s_addc_u32 s20, s13, s1
	s_add_i32 s29, s29, -1
	s_add_i32 s3, s3, s19
	s_mul_hi_i32 s9, s10, s2
	s_cmp_ge_u32 s14, s29
	s_mul_i32 s8, s10, s2
	s_cselect_b32 s19, s3, 12
	s_lshl_b64 s[8:9], s[8:9], 4
	s_ashr_i32 s3, s2, 31
	s_add_u32 s14, s17, s8
	s_addc_u32 s17, s20, s9
	v_cmp_gt_i32_e32 vcc_lo, s19, v0
	s_cmp_gt_i32 s18, 0
	s_mov_b32 s9, 0
	s_cselect_b32 s8, -1, 0
	s_delay_alu instid0(SALU_CYCLE_1) | instskip(NEXT) | instid1(SALU_CYCLE_1)
	s_and_b32 s19, vcc_lo, s8
	s_and_saveexec_b32 s20, s19
	s_cbranch_execz .LBB211_23
; %bb.16:
	s_cmp_lt_i32 s18, 8
	s_cbranch_scc1 .LBB211_20
; %bb.17:
	v_mad_i64_i32 v[1:2], null, s10, v0, 0
	s_lshl_b32 s8, s15, 4
	s_delay_alu instid0(SALU_CYCLE_1) | instskip(SKIP_1) | instid1(VALU_DEP_1)
	s_and_b32 s21, s8, 0x80
	s_mov_b64 s[8:9], 0
	v_lshlrev_b64 v[2:3], 4, v[1:2]
	v_lshl_or_b32 v1, v0, 4, 0x900
	s_delay_alu instid0(VALU_DEP_2) | instskip(NEXT) | instid1(VALU_DEP_3)
	v_add_co_u32 v2, vcc_lo, s14, v2
	v_add_co_ci_u32_e32 v3, vcc_lo, s17, v3, vcc_lo
.LBB211_18:                             ; =>This Inner Loop Header: Depth=1
	s_delay_alu instid0(VALU_DEP_2) | instskip(NEXT) | instid1(VALU_DEP_2)
	v_add_co_u32 v32, vcc_lo, v2, s8
	v_add_co_ci_u32_e32 v33, vcc_lo, s9, v3, vcc_lo
	s_add_u32 s8, s8, 0x80
	s_addc_u32 s9, s9, 0
	s_cmp_lg_u32 s21, s8
	s_clause 0x7
	global_load_b128 v[4:7], v[32:33], off
	global_load_b128 v[8:11], v[32:33], off offset:16
	global_load_b128 v[12:15], v[32:33], off offset:32
	;; [unrolled: 1-line block ×7, first 2 shown]
	s_waitcnt vmcnt(7)
	v_mul_f64 v[36:37], s[6:7], v[6:7]
	v_mul_f64 v[6:7], s[4:5], v[6:7]
	s_waitcnt vmcnt(6)
	v_mul_f64 v[38:39], s[6:7], v[10:11]
	v_mul_f64 v[10:11], s[4:5], v[10:11]
	;; [unrolled: 3-line block ×8, first 2 shown]
	v_fma_f64 v[34:35], s[4:5], v[4:5], -v[36:37]
	v_fma_f64 v[36:37], s[6:7], v[4:5], v[6:7]
	v_fma_f64 v[4:5], s[4:5], v[8:9], -v[38:39]
	v_fma_f64 v[6:7], s[6:7], v[8:9], v[10:11]
	;; [unrolled: 2-line block ×8, first 2 shown]
	ds_store_b128 v1, v[34:37]
	ds_store_b128 v1, v[4:7] offset:192
	ds_store_b128 v1, v[8:11] offset:384
	;; [unrolled: 1-line block ×7, first 2 shown]
	v_add_nc_u32_e32 v1, 0x600, v1
	s_cbranch_scc1 .LBB211_18
; %bb.19:
	s_mov_b32 s9, 8
.LBB211_20:
	s_and_b32 s8, s15, 7
	s_delay_alu instid0(SALU_CYCLE_1)
	s_cmp_eq_u32 s8, 0
	s_cbranch_scc1 .LBB211_23
; %bb.21:
	v_lshlrev_b32_e32 v3, 4, v0
	s_lshl_b64 s[22:23], s[2:3], 4
	s_lshl_b32 s21, s9, 4
	s_mulk_i32 s9, 0xc0
	s_add_u32 s21, s12, s21
	v_add_co_u32 v4, s22, s22, v3
	s_delay_alu instid0(VALU_DEP_1) | instskip(SKIP_3) | instid1(VALU_DEP_1)
	v_add_co_ci_u32_e64 v5, null, s23, 0, s22
	s_addc_u32 s23, s13, 0
	s_add_u32 s22, s21, s0
	s_addc_u32 s23, s23, s1
	v_mul_lo_u32 v5, v5, s10
	v_mad_u64_u32 v[1:2], null, v4, s10, s[22:23]
	v_mul_lo_u32 v4, v4, s11
	v_add3_u32 v3, s9, v3, 0x900
	s_delay_alu instid0(VALU_DEP_3) | instskip(NEXT) | instid1(VALU_DEP_3)
	v_add_co_u32 v1, vcc_lo, v1, 8
	v_add3_u32 v2, v5, v2, v4
	s_delay_alu instid0(VALU_DEP_1)
	v_add_co_ci_u32_e32 v2, vcc_lo, 0, v2, vcc_lo
	.p2align	6
.LBB211_22:                             ; =>This Inner Loop Header: Depth=1
	global_load_b128 v[4:7], v[1:2], off offset:-8
	v_add_co_u32 v1, vcc_lo, v1, 16
	v_add_co_ci_u32_e32 v2, vcc_lo, 0, v2, vcc_lo
	s_add_i32 s8, s8, -1
	s_delay_alu instid0(SALU_CYCLE_1) | instskip(SKIP_3) | instid1(VALU_DEP_2)
	s_cmp_lg_u32 s8, 0
	s_waitcnt vmcnt(0)
	v_mul_f64 v[8:9], s[6:7], v[6:7]
	v_mul_f64 v[10:11], s[4:5], v[6:7]
	v_fma_f64 v[6:7], s[4:5], v[4:5], -v[8:9]
	s_delay_alu instid0(VALU_DEP_2)
	v_fma_f64 v[8:9], s[6:7], v[4:5], v[10:11]
	ds_store_b128 v3, v[6:9]
	v_add_nc_u32_e32 v3, 0xc0, v3
	s_cbranch_scc1 .LBB211_22
.LBB211_23:
	s_or_b32 exec_lo, exec_lo, s20
	s_or_b32 s6, 0, 8
	s_cmpk_eq_i32 s16, 0x6f
	s_mov_b32 s4, -1
	s_waitcnt vmcnt(0) lgkmcnt(0)
	s_waitcnt_vscnt null, 0x0
	; wave barrier
	s_waitcnt lgkmcnt(0)
	buffer_gl0_inv
	s_cbranch_scc1 .LBB211_44
; %bb.24:
	v_lshl_or_b32 v5, v0, 4, 0x900
	s_lshl_b32 s7, s15, 4
	s_mov_b32 s5, 0
	s_add_i32 s7, s7, -16
	s_mov_b32 s4, s5
	s_mov_b32 s8, s28
	s_branch .LBB211_26
.LBB211_25:                             ;   in Loop: Header=BB211_26 Depth=1
	s_cmp_lt_i32 s8, 0
	s_cselect_b32 s9, -1, 0
	s_add_i32 s4, s4, 1
	s_delay_alu instid0(SALU_CYCLE_1) | instskip(SKIP_1) | instid1(SALU_CYCLE_1)
	s_cmp_eq_u32 s4, 3
	s_cselect_b32 s16, -1, 0
	s_or_b32 s9, s9, s16
	s_delay_alu instid0(SALU_CYCLE_1)
	s_and_not1_b32 vcc_lo, exec_lo, s9
	s_cbranch_vccz .LBB211_43
.LBB211_26:                             ; =>This Loop Header: Depth=1
                                        ;     Child Loop BB211_29 Depth 2
                                        ;       Child Loop BB211_30 Depth 3
                                        ;       Child Loop BB211_32 Depth 3
                                        ;         Child Loop BB211_33 Depth 4
                                        ;       Child Loop BB211_37 Depth 3
                                        ;         Child Loop BB211_39 Depth 4
	s_getpc_b64 s[20:21]
	s_add_u32 s20, s20, __const._ZL38rocblas_trsm_small_left_device_sharedBILi12ELi12ELb1E19rocblas_complex_numIdES1_PKPKS1_PKPS1_Ev13rocblas_fill_18rocblas_operation_17rocblas_diagonal_iiT3_T4_lilT5_lili.step_sizes@rel32@lo+4
	s_addc_u32 s21, s21, __const._ZL38rocblas_trsm_small_left_device_sharedBILi12ELi12ELb1E19rocblas_complex_numIdES1_PKPKS1_PKPS1_Ev13rocblas_fill_18rocblas_operation_17rocblas_diagonal_iiT3_T4_lilT5_lili.step_sizes@rel32@hi+12
	s_lshl_b64 s[22:23], s[4:5], 2
	s_delay_alu instid0(SALU_CYCLE_1) | instskip(SKIP_4) | instid1(SALU_CYCLE_1)
	s_add_u32 s20, s22, s20
	s_addc_u32 s21, s23, s21
	s_load_b32 s9, s[20:21], 0x0
	s_waitcnt lgkmcnt(0)
	s_add_i32 s16, s9, -1
	s_cmp_lt_i32 s8, s16
	s_cbranch_scc1 .LBB211_25
; %bb.27:                               ;   in Loop: Header=BB211_26 Depth=1
	s_mul_i32 s22, s8, 0xc0
	s_max_i32 s20, s9, 1
	v_add_nc_u32_e32 v6, s22, v5
	s_mul_i32 s21, s9, 0xffffff40
	s_add_i32 s22, s7, s22
	s_mul_i32 s23, s8, 0xd0
	s_mul_i32 s24, s9, 0xffffff30
	s_branch .LBB211_29
.LBB211_28:                             ;   in Loop: Header=BB211_29 Depth=2
	v_add_nc_u32_e32 v6, s21, v6
	s_sub_i32 s8, s8, s9
	s_add_i32 s22, s22, s21
	s_add_i32 s23, s23, s24
	s_cmp_lt_i32 s8, s16
	s_cbranch_scc1 .LBB211_25
.LBB211_29:                             ;   Parent Loop BB211_26 Depth=1
                                        ; =>  This Loop Header: Depth=2
                                        ;       Child Loop BB211_30 Depth 3
                                        ;       Child Loop BB211_32 Depth 3
                                        ;         Child Loop BB211_33 Depth 4
                                        ;       Child Loop BB211_37 Depth 3
                                        ;         Child Loop BB211_39 Depth 4
	v_dual_mov_b32 v1, 0 :: v_dual_mov_b32 v2, v6
	s_mov_b32 s25, s20
.LBB211_30:                             ;   Parent Loop BB211_26 Depth=1
                                        ;     Parent Loop BB211_29 Depth=2
                                        ; =>    This Inner Loop Header: Depth=3
	ds_load_b128 v[7:10], v2
	v_add_nc_u32_e32 v2, 0xffffff40, v2
	s_add_i32 s25, s25, -1
	s_delay_alu instid0(SALU_CYCLE_1)
	s_cmp_eq_u32 s25, 0
	s_waitcnt lgkmcnt(0)
	scratch_store_b128 v1, v[7:10], off
	v_add_nc_u32_e32 v1, 16, v1
	s_cbranch_scc0 .LBB211_30
; %bb.31:                               ;   in Loop: Header=BB211_29 Depth=2
	s_cmp_le_i32 s28, s8
	s_mov_b32 s25, s22
	s_mov_b32 s26, s28
	s_cbranch_scc1 .LBB211_35
	.p2align	6
.LBB211_32:                             ;   Parent Loop BB211_26 Depth=1
                                        ;     Parent Loop BB211_29 Depth=2
                                        ; =>    This Loop Header: Depth=3
                                        ;         Child Loop BB211_33 Depth 4
	s_mul_i32 s27, s26, 12
	s_mov_b32 s29, s25
	v_add_lshl_u32 v1, s27, v0, 4
	s_mov_b32 s27, s6
	s_mov_b32 s30, s20
	ds_load_b128 v[1:4], v1 offset:2304
	.p2align	6
.LBB211_33:                             ;   Parent Loop BB211_26 Depth=1
                                        ;     Parent Loop BB211_29 Depth=2
                                        ;       Parent Loop BB211_32 Depth=3
                                        ; =>      This Inner Loop Header: Depth=4
	scratch_load_b128 v[7:10], off, s27 offset:-8
	v_mov_b32_e32 v11, s29
	s_add_i32 s30, s30, -1
	s_addk_i32 s29, 0xff40
	ds_load_b128 v[11:14], v11
	s_waitcnt lgkmcnt(0)
	v_mul_f64 v[15:16], v[3:4], v[13:14]
	v_mul_f64 v[13:14], v[1:2], v[13:14]
	s_delay_alu instid0(VALU_DEP_2) | instskip(NEXT) | instid1(VALU_DEP_2)
	v_fma_f64 v[15:16], v[1:2], v[11:12], -v[15:16]
	v_fma_f64 v[11:12], v[3:4], v[11:12], v[13:14]
	s_waitcnt vmcnt(0)
	s_delay_alu instid0(VALU_DEP_2) | instskip(NEXT) | instid1(VALU_DEP_2)
	v_add_f64 v[7:8], v[7:8], -v[15:16]
	v_add_f64 v[9:10], v[9:10], -v[11:12]
	scratch_store_b128 off, v[7:10], s27 offset:-8
	s_add_i32 s27, s27, 16
	s_cmp_eq_u32 s30, 0
	s_cbranch_scc0 .LBB211_33
; %bb.34:                               ;   in Loop: Header=BB211_32 Depth=3
	s_add_i32 s26, s26, -1
	s_add_i32 s25, s25, -16
	s_cmp_le_i32 s26, s8
	s_cbranch_scc0 .LBB211_32
.LBB211_35:                             ;   in Loop: Header=BB211_29 Depth=2
	s_mul_i32 s25, s8, 12
	s_mov_b32 s26, 0
	s_mov_b32 s27, s23
	s_branch .LBB211_37
.LBB211_36:                             ;   in Loop: Header=BB211_37 Depth=3
	s_mulk_i32 s30, 0xd0
	s_addk_i32 s27, 0xff40
	v_mov_b32_e32 v7, s30
	s_lshl_b32 s30, s26, 4
	s_add_i32 s26, s26, 1
	ds_load_b128 v[7:10], v7
	s_waitcnt vmcnt(0) lgkmcnt(0)
	v_mul_f64 v[11:12], v[9:10], v[3:4]
	v_mul_f64 v[3:4], v[7:8], v[3:4]
	s_delay_alu instid0(VALU_DEP_2) | instskip(NEXT) | instid1(VALU_DEP_2)
	v_fma_f64 v[7:8], v[7:8], v[1:2], -v[11:12]
	v_fma_f64 v[9:10], v[9:10], v[1:2], v[3:4]
	v_add_lshl_u32 v1, s29, v0, 4
	s_add_i32 s29, s30, 0
	s_cmp_eq_u32 s26, s20
	scratch_store_b128 off, v[7:10], s29
	ds_store_b128 v1, v[7:10] offset:2304
	s_cbranch_scc1 .LBB211_28
.LBB211_37:                             ;   Parent Loop BB211_26 Depth=1
                                        ;     Parent Loop BB211_29 Depth=2
                                        ; =>    This Loop Header: Depth=3
                                        ;         Child Loop BB211_39 Depth 4
	s_cmp_lg_u32 s26, 0
	s_cbranch_scc0 .LBB211_41
; %bb.38:                               ;   in Loop: Header=BB211_37 Depth=3
	s_lshl_b32 s31, s26, 4
	s_sub_i32 s30, s8, s26
	s_add_i32 s29, s31, 0
	v_add_nc_u32_e64 v7, s31, 0
	scratch_load_b128 v[1:4], off, s29
	s_mul_i32 s29, s30, 12
	s_mov_b32 s31, 0
	s_mov_b32 s33, s6
	;; [unrolled: 1-line block ×3, first 2 shown]
	.p2align	6
.LBB211_39:                             ;   Parent Loop BB211_26 Depth=1
                                        ;     Parent Loop BB211_29 Depth=2
                                        ;       Parent Loop BB211_37 Depth=3
                                        ; =>      This Inner Loop Header: Depth=4
	scratch_load_b128 v[8:11], off, s33 offset:-8
	v_mov_b32_e32 v12, s34
	s_add_i32 s31, s31, 1
	s_add_i32 s34, s34, -16
	s_add_i32 s33, s33, 16
	s_cmp_ge_u32 s31, s26
	ds_load_b128 v[12:15], v12
	s_waitcnt vmcnt(0) lgkmcnt(0)
	v_mul_f64 v[16:17], v[14:15], v[10:11]
	v_mul_f64 v[10:11], v[12:13], v[10:11]
	s_delay_alu instid0(VALU_DEP_2) | instskip(NEXT) | instid1(VALU_DEP_2)
	v_fma_f64 v[12:13], v[12:13], v[8:9], -v[16:17]
	v_fma_f64 v[8:9], v[14:15], v[8:9], v[10:11]
	s_delay_alu instid0(VALU_DEP_2) | instskip(NEXT) | instid1(VALU_DEP_2)
	v_add_f64 v[1:2], v[1:2], -v[12:13]
	v_add_f64 v[3:4], v[3:4], -v[8:9]
	scratch_store_b128 v7, v[1:4], off
	s_cbranch_scc0 .LBB211_39
; %bb.40:                               ;   in Loop: Header=BB211_37 Depth=3
	s_branch .LBB211_36
.LBB211_41:                             ;   in Loop: Header=BB211_37 Depth=3
                                        ; implicit-def: $vgpr1_vgpr2
                                        ; implicit-def: $sgpr30
                                        ; implicit-def: $sgpr29
	s_cbranch_execz .LBB211_36
; %bb.42:                               ;   in Loop: Header=BB211_37 Depth=3
	scratch_load_b128 v[1:4], off, off
	s_mov_b32 s29, s25
	s_mov_b32 s30, s8
	s_branch .LBB211_36
.LBB211_43:
	s_mov_b32 s4, 0
.LBB211_44:
	s_delay_alu instid0(SALU_CYCLE_1)
	s_and_b32 vcc_lo, exec_lo, s4
	s_cbranch_vccz .LBB211_65
; %bb.45:
	v_lshl_or_b32 v5, v0, 4, 0x900
	s_mov_b32 s5, 0
	s_delay_alu instid0(SALU_CYCLE_1)
	s_mov_b32 s4, s5
	s_mov_b32 s7, s5
	s_branch .LBB211_47
.LBB211_46:                             ;   in Loop: Header=BB211_47 Depth=1
	s_cmp_ge_i32 s7, s15
	s_cselect_b32 s8, -1, 0
	s_add_i32 s4, s4, 1
	s_delay_alu instid0(SALU_CYCLE_1) | instskip(SKIP_1) | instid1(SALU_CYCLE_1)
	s_cmp_eq_u32 s4, 3
	s_cselect_b32 s9, -1, 0
	s_or_b32 s8, s8, s9
	s_delay_alu instid0(SALU_CYCLE_1)
	s_and_b32 vcc_lo, exec_lo, s8
	s_cbranch_vccnz .LBB211_65
.LBB211_47:                             ; =>This Loop Header: Depth=1
                                        ;     Child Loop BB211_50 Depth 2
                                        ;       Child Loop BB211_51 Depth 3
                                        ;       Child Loop BB211_54 Depth 3
                                        ;         Child Loop BB211_55 Depth 4
                                        ;       Child Loop BB211_59 Depth 3
                                        ;         Child Loop BB211_61 Depth 4
	s_getpc_b64 s[8:9]
	s_add_u32 s8, s8, __const._ZL38rocblas_trsm_small_left_device_sharedBILi12ELi12ELb1E19rocblas_complex_numIdES1_PKPKS1_PKPS1_Ev13rocblas_fill_18rocblas_operation_17rocblas_diagonal_iiT3_T4_lilT5_lili.step_sizes@rel32@lo+4
	s_addc_u32 s9, s9, __const._ZL38rocblas_trsm_small_left_device_sharedBILi12ELi12ELb1E19rocblas_complex_numIdES1_PKPKS1_PKPS1_Ev13rocblas_fill_18rocblas_operation_17rocblas_diagonal_iiT3_T4_lilT5_lili.step_sizes@rel32@hi+12
	s_lshl_b64 s[20:21], s[4:5], 2
	s_delay_alu instid0(SALU_CYCLE_1) | instskip(SKIP_4) | instid1(SALU_CYCLE_1)
	s_add_u32 s8, s20, s8
	s_addc_u32 s9, s21, s9
	s_load_b32 s8, s[8:9], 0x0
	s_waitcnt lgkmcnt(0)
	s_add_i32 s9, s8, -1
	s_add_i32 s16, s9, s7
	s_delay_alu instid0(SALU_CYCLE_1)
	s_cmp_ge_i32 s16, s15
	s_cbranch_scc1 .LBB211_46
; %bb.48:                               ;   in Loop: Header=BB211_47 Depth=1
	v_mad_u64_u32 v[6:7], null, 0xc0, s7, v[5:6]
	s_max_i32 s16, s8, 1
	s_mul_i32 s20, s8, 0xc0
	s_lshl_b32 s21, s7, 4
	s_lshl_b32 s22, s8, 4
	s_mul_i32 s23, s7, 0xd0
	s_mul_i32 s24, s8, 0xd0
	s_branch .LBB211_50
.LBB211_49:                             ;   in Loop: Header=BB211_50 Depth=2
	s_add_i32 s7, s7, s8
	v_add_nc_u32_e32 v6, s20, v6
	s_add_i32 s25, s9, s7
	s_add_i32 s21, s21, s22
	;; [unrolled: 1-line block ×3, first 2 shown]
	s_cmp_ge_i32 s25, s15
	s_cbranch_scc1 .LBB211_46
.LBB211_50:                             ;   Parent Loop BB211_47 Depth=1
                                        ; =>  This Loop Header: Depth=2
                                        ;       Child Loop BB211_51 Depth 3
                                        ;       Child Loop BB211_54 Depth 3
                                        ;         Child Loop BB211_55 Depth 4
                                        ;       Child Loop BB211_59 Depth 3
                                        ;         Child Loop BB211_61 Depth 4
	v_dual_mov_b32 v1, 0 :: v_dual_mov_b32 v2, v6
	s_mov_b32 s25, s16
.LBB211_51:                             ;   Parent Loop BB211_47 Depth=1
                                        ;     Parent Loop BB211_50 Depth=2
                                        ; =>    This Inner Loop Header: Depth=3
	ds_load_b128 v[7:10], v2
	v_add_nc_u32_e32 v2, 0xc0, v2
	s_add_i32 s25, s25, -1
	s_delay_alu instid0(SALU_CYCLE_1)
	s_cmp_eq_u32 s25, 0
	s_waitcnt lgkmcnt(0)
	scratch_store_b128 v1, v[7:10], off
	v_add_nc_u32_e32 v1, 16, v1
	s_cbranch_scc0 .LBB211_51
; %bb.52:                               ;   in Loop: Header=BB211_50 Depth=2
	s_cmp_lt_i32 s7, 1
	s_cbranch_scc1 .LBB211_57
; %bb.53:                               ;   in Loop: Header=BB211_50 Depth=2
	s_mov_b32 s25, 0
	s_mov_b32 s26, s21
	s_set_inst_prefetch_distance 0x1
	.p2align	6
.LBB211_54:                             ;   Parent Loop BB211_47 Depth=1
                                        ;     Parent Loop BB211_50 Depth=2
                                        ; =>    This Loop Header: Depth=3
                                        ;         Child Loop BB211_55 Depth 4
	s_mul_i32 s27, s25, 12
	s_mov_b32 s28, s26
	v_add_lshl_u32 v1, s27, v0, 4
	s_mov_b32 s27, s6
	s_mov_b32 s29, s16
	ds_load_b128 v[1:4], v1 offset:2304
	.p2align	6
.LBB211_55:                             ;   Parent Loop BB211_47 Depth=1
                                        ;     Parent Loop BB211_50 Depth=2
                                        ;       Parent Loop BB211_54 Depth=3
                                        ; =>      This Inner Loop Header: Depth=4
	scratch_load_b128 v[7:10], off, s27 offset:-8
	v_mov_b32_e32 v11, s28
	s_add_i32 s29, s29, -1
	s_add_i32 s28, s28, 16
	ds_load_b128 v[11:14], v11
	s_waitcnt lgkmcnt(0)
	v_mul_f64 v[15:16], v[3:4], v[13:14]
	v_mul_f64 v[13:14], v[1:2], v[13:14]
	s_delay_alu instid0(VALU_DEP_2) | instskip(NEXT) | instid1(VALU_DEP_2)
	v_fma_f64 v[15:16], v[1:2], v[11:12], -v[15:16]
	v_fma_f64 v[11:12], v[3:4], v[11:12], v[13:14]
	s_waitcnt vmcnt(0)
	s_delay_alu instid0(VALU_DEP_2) | instskip(NEXT) | instid1(VALU_DEP_2)
	v_add_f64 v[7:8], v[7:8], -v[15:16]
	v_add_f64 v[9:10], v[9:10], -v[11:12]
	scratch_store_b128 off, v[7:10], s27 offset:-8
	s_add_i32 s27, s27, 16
	s_cmp_eq_u32 s29, 0
	s_cbranch_scc0 .LBB211_55
; %bb.56:                               ;   in Loop: Header=BB211_54 Depth=3
	s_add_i32 s25, s25, 1
	s_addk_i32 s26, 0xc0
	s_cmp_ge_i32 s25, s7
	s_cbranch_scc0 .LBB211_54
.LBB211_57:                             ;   in Loop: Header=BB211_50 Depth=2
	s_set_inst_prefetch_distance 0x2
	s_mov_b32 s25, 0
	s_mov_b32 s26, s23
	s_branch .LBB211_59
.LBB211_58:                             ;   in Loop: Header=BB211_59 Depth=3
	s_mul_i32 s28, s27, 0xd0
	s_mul_i32 s27, s27, 12
	v_mov_b32_e32 v7, s28
	s_lshl_b32 s28, s25, 4
	s_add_i32 s25, s25, 1
	s_add_i32 s26, s26, 16
	ds_load_b128 v[7:10], v7
	s_waitcnt vmcnt(0) lgkmcnt(0)
	v_mul_f64 v[11:12], v[9:10], v[3:4]
	v_mul_f64 v[3:4], v[7:8], v[3:4]
	s_delay_alu instid0(VALU_DEP_2) | instskip(NEXT) | instid1(VALU_DEP_2)
	v_fma_f64 v[7:8], v[7:8], v[1:2], -v[11:12]
	v_fma_f64 v[9:10], v[9:10], v[1:2], v[3:4]
	v_add_lshl_u32 v1, s27, v0, 4
	s_add_i32 s27, s28, 0
	s_cmp_eq_u32 s25, s16
	scratch_store_b128 off, v[7:10], s27
	ds_store_b128 v1, v[7:10] offset:2304
	s_cbranch_scc1 .LBB211_49
.LBB211_59:                             ;   Parent Loop BB211_47 Depth=1
                                        ;     Parent Loop BB211_50 Depth=2
                                        ; =>    This Loop Header: Depth=3
                                        ;         Child Loop BB211_61 Depth 4
	s_cmp_lg_u32 s25, 0
	s_cbranch_scc0 .LBB211_63
; %bb.60:                               ;   in Loop: Header=BB211_59 Depth=3
	s_lshl_b32 s28, s25, 4
	s_mov_b32 s29, s6
	s_add_i32 s27, s28, 0
	v_add_nc_u32_e64 v7, s28, 0
	scratch_load_b128 v[1:4], off, s27
	s_add_i32 s27, s25, s7
	s_mov_b32 s28, 0
	s_mov_b32 s30, s26
	.p2align	6
.LBB211_61:                             ;   Parent Loop BB211_47 Depth=1
                                        ;     Parent Loop BB211_50 Depth=2
                                        ;       Parent Loop BB211_59 Depth=3
                                        ; =>      This Inner Loop Header: Depth=4
	scratch_load_b128 v[8:11], off, s29 offset:-8
	v_mov_b32_e32 v12, s30
	s_add_i32 s28, s28, 1
	s_addk_i32 s30, 0xc0
	s_add_i32 s29, s29, 16
	s_cmp_ge_u32 s28, s25
	ds_load_b128 v[12:15], v12
	s_waitcnt vmcnt(0) lgkmcnt(0)
	v_mul_f64 v[16:17], v[14:15], v[10:11]
	v_mul_f64 v[10:11], v[12:13], v[10:11]
	s_delay_alu instid0(VALU_DEP_2) | instskip(NEXT) | instid1(VALU_DEP_2)
	v_fma_f64 v[12:13], v[12:13], v[8:9], -v[16:17]
	v_fma_f64 v[8:9], v[14:15], v[8:9], v[10:11]
	s_delay_alu instid0(VALU_DEP_2) | instskip(NEXT) | instid1(VALU_DEP_2)
	v_add_f64 v[1:2], v[1:2], -v[12:13]
	v_add_f64 v[3:4], v[3:4], -v[8:9]
	scratch_store_b128 v7, v[1:4], off
	s_cbranch_scc0 .LBB211_61
; %bb.62:                               ;   in Loop: Header=BB211_59 Depth=3
	s_branch .LBB211_58
.LBB211_63:                             ;   in Loop: Header=BB211_59 Depth=3
                                        ; implicit-def: $vgpr1_vgpr2
                                        ; implicit-def: $sgpr27
	s_cbranch_execz .LBB211_58
; %bb.64:                               ;   in Loop: Header=BB211_59 Depth=3
	scratch_load_b128 v[1:4], off, off
	s_mov_b32 s27, s7
	s_branch .LBB211_58
.LBB211_65:
	s_waitcnt vmcnt(0) lgkmcnt(0)
	s_waitcnt_vscnt null, 0x0
	; wave barrier
	s_waitcnt lgkmcnt(0)
	s_waitcnt_vscnt null, 0x0
	buffer_gl0_inv
	s_and_saveexec_b32 s4, s19
	s_cbranch_execz .LBB211_73
; %bb.66:
	s_cmp_lt_i32 s18, 8
	s_mov_b32 s5, 0
	s_cbranch_scc1 .LBB211_70
; %bb.67:
	v_mad_i64_i32 v[1:2], null, s10, v0, 0
	s_lshl_b32 s4, s15, 4
	s_delay_alu instid0(SALU_CYCLE_1) | instskip(SKIP_1) | instid1(VALU_DEP_1)
	s_and_b32 s6, s4, 0x80
	s_mov_b64 s[4:5], 0
	v_lshlrev_b64 v[2:3], 4, v[1:2]
	v_lshl_or_b32 v1, v0, 4, 0x900
	s_delay_alu instid0(VALU_DEP_2) | instskip(NEXT) | instid1(VALU_DEP_3)
	v_add_co_u32 v2, vcc_lo, s14, v2
	v_add_co_ci_u32_e32 v3, vcc_lo, s17, v3, vcc_lo
	s_set_inst_prefetch_distance 0x1
	.p2align	6
.LBB211_68:                             ; =>This Inner Loop Header: Depth=1
	ds_load_2addr_b64 v[4:7], v1 offset1:1
	ds_load_2addr_b64 v[8:11], v1 offset0:24 offset1:25
	ds_load_2addr_b64 v[12:15], v1 offset0:48 offset1:49
	;; [unrolled: 1-line block ×7, first 2 shown]
	v_add_co_u32 v36, vcc_lo, v2, s4
	v_add_co_ci_u32_e32 v37, vcc_lo, s5, v3, vcc_lo
	v_add_nc_u32_e32 v1, 0x600, v1
	s_add_u32 s4, s4, 0x80
	s_addc_u32 s5, s5, 0
	s_cmp_lg_u32 s6, s4
	s_waitcnt lgkmcnt(7)
	global_store_b128 v[36:37], v[4:7], off
	s_waitcnt lgkmcnt(6)
	global_store_b128 v[36:37], v[8:11], off offset:16
	s_waitcnt lgkmcnt(5)
	global_store_b128 v[36:37], v[12:15], off offset:32
	;; [unrolled: 2-line block ×7, first 2 shown]
	s_cbranch_scc1 .LBB211_68
; %bb.69:
	s_set_inst_prefetch_distance 0x2
	s_mov_b32 s5, 8
.LBB211_70:
	s_and_b32 s4, s15, 7
	s_delay_alu instid0(SALU_CYCLE_1)
	s_cmp_eq_u32 s4, 0
	s_cbranch_scc1 .LBB211_73
; %bb.71:
	v_lshlrev_b32_e32 v2, 4, v0
	s_lshl_b64 s[2:3], s[2:3], 4
	s_lshl_b32 s6, s5, 4
	s_delay_alu instid0(VALU_DEP_1) | instskip(NEXT) | instid1(VALU_DEP_1)
	v_add_co_u32 v3, s2, s2, v2
	v_add_co_ci_u32_e64 v4, null, s3, 0, s2
	s_add_u32 s2, s12, s6
	s_addc_u32 s3, s13, 0
	s_add_u32 s0, s2, s0
	s_addc_u32 s1, s3, s1
	v_mul_lo_u32 v4, v4, s10
	v_mad_u64_u32 v[0:1], null, v3, s10, s[0:1]
	v_mul_lo_u32 v3, v3, s11
	s_mul_i32 s0, s5, 0xc0
	s_delay_alu instid0(SALU_CYCLE_1) | instskip(NEXT) | instid1(VALU_DEP_2)
	v_add3_u32 v2, s0, v2, 0x900
	v_add3_u32 v1, v4, v1, v3
.LBB211_72:                             ; =>This Inner Loop Header: Depth=1
	ds_load_2addr_b64 v[3:6], v2 offset1:1
	v_add_nc_u32_e32 v2, 0xc0, v2
	s_add_i32 s4, s4, -1
	s_delay_alu instid0(SALU_CYCLE_1)
	s_cmp_lg_u32 s4, 0
	s_waitcnt lgkmcnt(0)
	global_store_b128 v[0:1], v[3:6], off
	v_add_co_u32 v0, vcc_lo, v0, 16
	v_add_co_ci_u32_e32 v1, vcc_lo, 0, v1, vcc_lo
	s_cbranch_scc1 .LBB211_72
.LBB211_73:
	s_nop 0
	s_sendmsg sendmsg(MSG_DEALLOC_VGPRS)
	s_endpgm
	.section	.rodata,"a",@progbits
	.p2align	6, 0x0
	.amdhsa_kernel _ZL38rocblas_trsm_small_left_device_sharedBILi12ELi12ELb1E19rocblas_complex_numIdES1_PKPKS1_PKPS1_Ev13rocblas_fill_18rocblas_operation_17rocblas_diagonal_iiT3_T4_lilT5_lili
		.amdhsa_group_segment_fixed_size 4608
		.amdhsa_private_segment_fixed_size 208
		.amdhsa_kernarg_size 368
		.amdhsa_user_sgpr_count 14
		.amdhsa_user_sgpr_dispatch_ptr 0
		.amdhsa_user_sgpr_queue_ptr 0
		.amdhsa_user_sgpr_kernarg_segment_ptr 1
		.amdhsa_user_sgpr_dispatch_id 0
		.amdhsa_user_sgpr_private_segment_size 0
		.amdhsa_wavefront_size32 1
		.amdhsa_uses_dynamic_stack 0
		.amdhsa_enable_private_segment 1
		.amdhsa_system_sgpr_workgroup_id_x 1
		.amdhsa_system_sgpr_workgroup_id_y 0
		.amdhsa_system_sgpr_workgroup_id_z 1
		.amdhsa_system_sgpr_workgroup_info 0
		.amdhsa_system_vgpr_workitem_id 0
		.amdhsa_next_free_vgpr 54
		.amdhsa_next_free_sgpr 35
		.amdhsa_reserve_vcc 1
		.amdhsa_float_round_mode_32 0
		.amdhsa_float_round_mode_16_64 0
		.amdhsa_float_denorm_mode_32 3
		.amdhsa_float_denorm_mode_16_64 3
		.amdhsa_dx10_clamp 1
		.amdhsa_ieee_mode 1
		.amdhsa_fp16_overflow 0
		.amdhsa_workgroup_processor_mode 1
		.amdhsa_memory_ordered 1
		.amdhsa_forward_progress 0
		.amdhsa_shared_vgpr_count 0
		.amdhsa_exception_fp_ieee_invalid_op 0
		.amdhsa_exception_fp_denorm_src 0
		.amdhsa_exception_fp_ieee_div_zero 0
		.amdhsa_exception_fp_ieee_overflow 0
		.amdhsa_exception_fp_ieee_underflow 0
		.amdhsa_exception_fp_ieee_inexact 0
		.amdhsa_exception_int_div_zero 0
	.end_amdhsa_kernel
	.section	.text._ZL38rocblas_trsm_small_left_device_sharedBILi12ELi12ELb1E19rocblas_complex_numIdES1_PKPKS1_PKPS1_Ev13rocblas_fill_18rocblas_operation_17rocblas_diagonal_iiT3_T4_lilT5_lili,"axG",@progbits,_ZL38rocblas_trsm_small_left_device_sharedBILi12ELi12ELb1E19rocblas_complex_numIdES1_PKPKS1_PKPS1_Ev13rocblas_fill_18rocblas_operation_17rocblas_diagonal_iiT3_T4_lilT5_lili,comdat
.Lfunc_end211:
	.size	_ZL38rocblas_trsm_small_left_device_sharedBILi12ELi12ELb1E19rocblas_complex_numIdES1_PKPKS1_PKPS1_Ev13rocblas_fill_18rocblas_operation_17rocblas_diagonal_iiT3_T4_lilT5_lili, .Lfunc_end211-_ZL38rocblas_trsm_small_left_device_sharedBILi12ELi12ELb1E19rocblas_complex_numIdES1_PKPKS1_PKPS1_Ev13rocblas_fill_18rocblas_operation_17rocblas_diagonal_iiT3_T4_lilT5_lili
                                        ; -- End function
	.section	.AMDGPU.csdata,"",@progbits
; Kernel info:
; codeLenInByte = 4276
; NumSgprs: 37
; NumVgprs: 54
; ScratchSize: 208
; MemoryBound: 0
; FloatMode: 240
; IeeeMode: 1
; LDSByteSize: 4608 bytes/workgroup (compile time only)
; SGPRBlocks: 4
; VGPRBlocks: 6
; NumSGPRsForWavesPerEU: 37
; NumVGPRsForWavesPerEU: 54
; Occupancy: 7
; WaveLimiterHint : 1
; COMPUTE_PGM_RSRC2:SCRATCH_EN: 1
; COMPUTE_PGM_RSRC2:USER_SGPR: 14
; COMPUTE_PGM_RSRC2:TRAP_HANDLER: 0
; COMPUTE_PGM_RSRC2:TGID_X_EN: 1
; COMPUTE_PGM_RSRC2:TGID_Y_EN: 0
; COMPUTE_PGM_RSRC2:TGID_Z_EN: 1
; COMPUTE_PGM_RSRC2:TIDIG_COMP_CNT: 0
	.section	.text._ZL30rocblas_trsm_small_left_deviceILi12ELi12ELb1E19rocblas_complex_numIdES1_PKPKS1_PKPS1_Ev13rocblas_fill_18rocblas_operation_17rocblas_diagonal_iiT3_T4_lilT5_lili,"axG",@progbits,_ZL30rocblas_trsm_small_left_deviceILi12ELi12ELb1E19rocblas_complex_numIdES1_PKPKS1_PKPS1_Ev13rocblas_fill_18rocblas_operation_17rocblas_diagonal_iiT3_T4_lilT5_lili,comdat
	.globl	_ZL30rocblas_trsm_small_left_deviceILi12ELi12ELb1E19rocblas_complex_numIdES1_PKPKS1_PKPS1_Ev13rocblas_fill_18rocblas_operation_17rocblas_diagonal_iiT3_T4_lilT5_lili ; -- Begin function _ZL30rocblas_trsm_small_left_deviceILi12ELi12ELb1E19rocblas_complex_numIdES1_PKPKS1_PKPS1_Ev13rocblas_fill_18rocblas_operation_17rocblas_diagonal_iiT3_T4_lilT5_lili
	.p2align	8
	.type	_ZL30rocblas_trsm_small_left_deviceILi12ELi12ELb1E19rocblas_complex_numIdES1_PKPKS1_PKPS1_Ev13rocblas_fill_18rocblas_operation_17rocblas_diagonal_iiT3_T4_lilT5_lili,@function
_ZL30rocblas_trsm_small_left_deviceILi12ELi12ELb1E19rocblas_complex_numIdES1_PKPKS1_PKPS1_Ev13rocblas_fill_18rocblas_operation_17rocblas_diagonal_iiT3_T4_lilT5_lili: ; @_ZL30rocblas_trsm_small_left_deviceILi12ELi12ELb1E19rocblas_complex_numIdES1_PKPKS1_PKPS1_Ev13rocblas_fill_18rocblas_operation_17rocblas_diagonal_iiT3_T4_lilT5_lili
; %bb.0:
	s_clause 0x1
	s_load_b128 s[20:23], s[0:1], 0x48
	s_load_b128 s[16:19], s[0:1], 0x4
	s_mov_b32 s2, s15
	s_mov_b32 s3, 0
	s_load_b32 s15, s[0:1], 0x70
	s_lshl_b64 s[24:25], s[2:3], 3
	s_mov_b32 s29, exec_lo
	s_waitcnt lgkmcnt(0)
	s_add_u32 s12, s20, s24
	s_addc_u32 s13, s21, s25
	s_load_b256 s[4:11], s[0:1], 0x18
	s_load_b64 s[12:13], s[12:13], 0x0
	s_min_i32 s18, s18, 12
	s_delay_alu instid0(SALU_CYCLE_1)
	s_add_i32 s28, s18, -1
	v_cmpx_gt_i32_e64 s18, v0
	s_cbranch_execz .LBB212_15
; %bb.1:
	s_load_b32 s20, s[0:1], 0x38
	v_lshlrev_b32_e32 v3, 4, v0
	s_waitcnt lgkmcnt(0)
	s_ashr_i32 s21, s20, 31
	s_cmpk_eq_i32 s16, 0x71
	s_cselect_b32 vcc_lo, -1, 0
	s_add_u32 s8, s8, s24
	s_addc_u32 s9, s9, s25
	s_cmp_lt_u32 s28, 3
	s_load_b64 s[8:9], s[8:9], 0x0
	s_cbranch_scc1 .LBB212_4
; %bb.2:
	v_dual_mov_b32 v4, v3 :: v_dual_lshlrev_b32 v1, 4, v0
	s_lshl_b64 s[24:25], s[10:11], 4
	s_and_b32 s3, s18, -4
	s_waitcnt lgkmcnt(0)
	s_add_u32 s2, s8, s24
	s_addc_u32 s24, s9, s25
	v_add_co_u32 v1, s2, s2, v1
	s_delay_alu instid0(VALU_DEP_1) | instskip(SKIP_1) | instid1(VALU_DEP_2)
	v_add_co_ci_u32_e64 v2, null, s24, 0, s2
	s_lshl_b64 s[24:25], s[20:21], 6
	v_add_co_u32 v1, s2, v1, 8
	s_delay_alu instid0(VALU_DEP_1)
	v_add_co_ci_u32_e64 v2, s2, 0, v2, s2
	s_lshl_b64 s[26:27], s[20:21], 4
	s_mov_b32 s30, 0
.LBB212_3:                              ; =>This Inner Loop Header: Depth=1
	s_delay_alu instid0(VALU_DEP_2) | instskip(NEXT) | instid1(VALU_DEP_1)
	v_add_co_u32 v9, s2, v1, s26
	v_add_co_ci_u32_e64 v10, s2, s27, v2, s2
	s_add_i32 s30, s30, 4
	s_delay_alu instid0(VALU_DEP_2) | instskip(NEXT) | instid1(VALU_DEP_1)
	v_add_co_u32 v13, s2, v9, s26
	v_add_co_ci_u32_e64 v14, s2, s27, v10, s2
	s_cmp_eq_u32 s3, s30
	s_delay_alu instid0(VALU_DEP_2) | instskip(NEXT) | instid1(VALU_DEP_1)
	v_add_co_u32 v17, s2, v13, s26
	v_add_co_ci_u32_e64 v18, s2, s27, v14, s2
	s_clause 0x3
	global_load_b128 v[5:8], v[1:2], off offset:-8
	global_load_b128 v[9:12], v[9:10], off offset:-8
	;; [unrolled: 1-line block ×4, first 2 shown]
	v_add_co_u32 v1, s2, v1, s24
	s_delay_alu instid0(VALU_DEP_1)
	v_add_co_ci_u32_e64 v2, s2, s25, v2, s2
	s_waitcnt vmcnt(3)
	v_xor_b32_e32 v21, 0x80000000, v8
	s_waitcnt vmcnt(2)
	v_xor_b32_e32 v22, 0x80000000, v12
	;; [unrolled: 2-line block ×4, first 2 shown]
	v_cndmask_b32_e32 v8, v8, v21, vcc_lo
	v_cndmask_b32_e32 v12, v12, v22, vcc_lo
	v_cndmask_b32_e32 v16, v16, v23, vcc_lo
	s_delay_alu instid0(VALU_DEP_4)
	v_cndmask_b32_e32 v20, v20, v24, vcc_lo
	ds_store_b128 v4, v[5:8]
	ds_store_b128 v4, v[9:12] offset:192
	ds_store_b128 v4, v[13:16] offset:384
	;; [unrolled: 1-line block ×3, first 2 shown]
	v_add_nc_u32_e32 v4, 0x300, v4
	s_cbranch_scc0 .LBB212_3
.LBB212_4:
	s_and_b32 s24, s18, 3
	s_delay_alu instid0(SALU_CYCLE_1)
	s_cmp_eq_u32 s24, 0
	s_cbranch_scc1 .LBB212_7
; %bb.5:
	s_mul_i32 s2, s21, s3
	s_mul_hi_u32 s25, s20, s3
	s_mul_i32 s26, s20, s3
	s_add_i32 s27, s25, s2
	s_lshl_b64 s[10:11], s[10:11], 4
	s_lshl_b64 s[26:27], s[26:27], 4
	s_mul_i32 s2, s3, 0xc0
	s_add_u32 s3, s26, s10
	s_addc_u32 s10, s27, s11
	s_waitcnt lgkmcnt(0)
	s_add_u32 s3, s8, s3
	s_addc_u32 s8, s9, s10
	v_add_co_u32 v1, s3, s3, v3
	s_delay_alu instid0(VALU_DEP_1) | instskip(SKIP_1) | instid1(VALU_DEP_3)
	v_add_co_ci_u32_e64 v2, null, s8, 0, s3
	v_lshl_add_u32 v3, v0, 4, s2
	v_add_co_u32 v1, s2, v1, 8
	s_delay_alu instid0(VALU_DEP_1)
	v_add_co_ci_u32_e64 v2, s2, 0, v2, s2
	s_lshl_b64 s[8:9], s[20:21], 4
.LBB212_6:                              ; =>This Inner Loop Header: Depth=1
	global_load_b128 v[4:7], v[1:2], off offset:-8
	v_add_co_u32 v1, s2, v1, s8
	s_delay_alu instid0(VALU_DEP_1) | instskip(SKIP_1) | instid1(SALU_CYCLE_1)
	v_add_co_ci_u32_e64 v2, s2, s9, v2, s2
	s_add_i32 s24, s24, -1
	s_cmp_lg_u32 s24, 0
	s_waitcnt vmcnt(0)
	v_xor_b32_e32 v8, 0x80000000, v7
	s_delay_alu instid0(VALU_DEP_1)
	v_cndmask_b32_e32 v7, v7, v8, vcc_lo
	ds_store_b128 v3, v[4:7]
	v_add_nc_u32_e32 v3, 0xc0, v3
	s_cbranch_scc1 .LBB212_6
.LBB212_7:
	v_mul_u32_u24_e32 v1, 13, v0
	s_cmpk_lg_i32 s17, 0x84
	s_delay_alu instid0(VALU_DEP_1)
	v_lshlrev_b32_e32 v9, 4, v1
	s_cbranch_scc0 .LBB212_13
; %bb.8:
	ds_load_b128 v[1:4], v9
	s_waitcnt lgkmcnt(0)
	v_cmp_gt_f64_e32 vcc_lo, 0, v[1:2]
	v_xor_b32_e32 v6, 0x80000000, v2
	v_mov_b32_e32 v5, v1
	v_xor_b32_e32 v7, 0x80000000, v4
	s_delay_alu instid0(VALU_DEP_3) | instskip(SKIP_1) | instid1(VALU_DEP_3)
	v_cndmask_b32_e32 v6, v2, v6, vcc_lo
	v_cmp_gt_f64_e32 vcc_lo, 0, v[3:4]
	v_dual_cndmask_b32 v8, v4, v7 :: v_dual_mov_b32 v7, v3
	s_delay_alu instid0(VALU_DEP_1) | instskip(SKIP_1) | instid1(SALU_CYCLE_1)
	v_cmp_ngt_f64_e32 vcc_lo, v[5:6], v[7:8]
                                        ; implicit-def: $vgpr7_vgpr8
	s_and_saveexec_b32 s2, vcc_lo
	s_xor_b32 s2, exec_lo, s2
	s_cbranch_execz .LBB212_10
; %bb.9:
	v_div_scale_f64 v[5:6], null, v[3:4], v[3:4], v[1:2]
	v_div_scale_f64 v[12:13], vcc_lo, v[1:2], v[3:4], v[1:2]
	s_delay_alu instid0(VALU_DEP_2) | instskip(SKIP_2) | instid1(VALU_DEP_1)
	v_rcp_f64_e32 v[7:8], v[5:6]
	s_waitcnt_depctr 0xfff
	v_fma_f64 v[10:11], -v[5:6], v[7:8], 1.0
	v_fma_f64 v[7:8], v[7:8], v[10:11], v[7:8]
	s_delay_alu instid0(VALU_DEP_1) | instskip(NEXT) | instid1(VALU_DEP_1)
	v_fma_f64 v[10:11], -v[5:6], v[7:8], 1.0
	v_fma_f64 v[7:8], v[7:8], v[10:11], v[7:8]
	s_delay_alu instid0(VALU_DEP_1) | instskip(NEXT) | instid1(VALU_DEP_1)
	v_mul_f64 v[10:11], v[12:13], v[7:8]
	v_fma_f64 v[5:6], -v[5:6], v[10:11], v[12:13]
	s_delay_alu instid0(VALU_DEP_1) | instskip(NEXT) | instid1(VALU_DEP_1)
	v_div_fmas_f64 v[5:6], v[5:6], v[7:8], v[10:11]
	v_div_fixup_f64 v[5:6], v[5:6], v[3:4], v[1:2]
	s_delay_alu instid0(VALU_DEP_1) | instskip(NEXT) | instid1(VALU_DEP_1)
	v_fma_f64 v[1:2], v[1:2], v[5:6], v[3:4]
	v_div_scale_f64 v[3:4], null, v[1:2], v[1:2], 1.0
	v_div_scale_f64 v[12:13], vcc_lo, 1.0, v[1:2], 1.0
	s_delay_alu instid0(VALU_DEP_2) | instskip(SKIP_2) | instid1(VALU_DEP_1)
	v_rcp_f64_e32 v[7:8], v[3:4]
	s_waitcnt_depctr 0xfff
	v_fma_f64 v[10:11], -v[3:4], v[7:8], 1.0
	v_fma_f64 v[7:8], v[7:8], v[10:11], v[7:8]
	s_delay_alu instid0(VALU_DEP_1) | instskip(NEXT) | instid1(VALU_DEP_1)
	v_fma_f64 v[10:11], -v[3:4], v[7:8], 1.0
	v_fma_f64 v[7:8], v[7:8], v[10:11], v[7:8]
	s_delay_alu instid0(VALU_DEP_1) | instskip(NEXT) | instid1(VALU_DEP_1)
	v_mul_f64 v[10:11], v[12:13], v[7:8]
	v_fma_f64 v[3:4], -v[3:4], v[10:11], v[12:13]
	s_delay_alu instid0(VALU_DEP_1) | instskip(SKIP_1) | instid1(VALU_DEP_2)
	v_div_fmas_f64 v[3:4], v[3:4], v[7:8], v[10:11]
	v_add_f64 v[7:8], v[5:6], 0
	v_div_fixup_f64 v[1:2], v[3:4], v[1:2], 1.0
	v_fma_f64 v[3:4], v[5:6], 0, -1.0
	s_delay_alu instid0(VALU_DEP_2) | instskip(NEXT) | instid1(VALU_DEP_2)
	v_mul_f64 v[5:6], v[7:8], v[1:2]
	v_mul_f64 v[7:8], v[3:4], v[1:2]
                                        ; implicit-def: $vgpr1_vgpr2
.LBB212_10:
	s_and_not1_saveexec_b32 s2, s2
	s_cbranch_execz .LBB212_12
; %bb.11:
	v_div_scale_f64 v[5:6], null, v[1:2], v[1:2], v[3:4]
	v_div_scale_f64 v[12:13], vcc_lo, v[3:4], v[1:2], v[3:4]
	s_delay_alu instid0(VALU_DEP_2) | instskip(SKIP_2) | instid1(VALU_DEP_1)
	v_rcp_f64_e32 v[7:8], v[5:6]
	s_waitcnt_depctr 0xfff
	v_fma_f64 v[10:11], -v[5:6], v[7:8], 1.0
	v_fma_f64 v[7:8], v[7:8], v[10:11], v[7:8]
	s_delay_alu instid0(VALU_DEP_1) | instskip(NEXT) | instid1(VALU_DEP_1)
	v_fma_f64 v[10:11], -v[5:6], v[7:8], 1.0
	v_fma_f64 v[7:8], v[7:8], v[10:11], v[7:8]
	s_delay_alu instid0(VALU_DEP_1) | instskip(NEXT) | instid1(VALU_DEP_1)
	v_mul_f64 v[10:11], v[12:13], v[7:8]
	v_fma_f64 v[5:6], -v[5:6], v[10:11], v[12:13]
	s_delay_alu instid0(VALU_DEP_1) | instskip(NEXT) | instid1(VALU_DEP_1)
	v_div_fmas_f64 v[5:6], v[5:6], v[7:8], v[10:11]
	v_div_fixup_f64 v[5:6], v[5:6], v[1:2], v[3:4]
	s_delay_alu instid0(VALU_DEP_1) | instskip(NEXT) | instid1(VALU_DEP_1)
	v_fma_f64 v[1:2], v[3:4], v[5:6], v[1:2]
	v_div_scale_f64 v[3:4], null, v[1:2], v[1:2], 1.0
	v_div_scale_f64 v[12:13], vcc_lo, 1.0, v[1:2], 1.0
	s_delay_alu instid0(VALU_DEP_2) | instskip(SKIP_2) | instid1(VALU_DEP_1)
	v_rcp_f64_e32 v[7:8], v[3:4]
	s_waitcnt_depctr 0xfff
	v_fma_f64 v[10:11], -v[3:4], v[7:8], 1.0
	v_fma_f64 v[7:8], v[7:8], v[10:11], v[7:8]
	s_delay_alu instid0(VALU_DEP_1) | instskip(NEXT) | instid1(VALU_DEP_1)
	v_fma_f64 v[10:11], -v[3:4], v[7:8], 1.0
	v_fma_f64 v[7:8], v[7:8], v[10:11], v[7:8]
	s_delay_alu instid0(VALU_DEP_1) | instskip(NEXT) | instid1(VALU_DEP_1)
	v_mul_f64 v[10:11], v[12:13], v[7:8]
	v_fma_f64 v[3:4], -v[3:4], v[10:11], v[12:13]
	s_delay_alu instid0(VALU_DEP_1) | instskip(SKIP_1) | instid1(VALU_DEP_2)
	v_div_fmas_f64 v[3:4], v[3:4], v[7:8], v[10:11]
	v_fma_f64 v[7:8], v[5:6], 0, 1.0
	v_div_fixup_f64 v[1:2], v[3:4], v[1:2], 1.0
	v_add_f64 v[3:4], -v[5:6], 0
	s_delay_alu instid0(VALU_DEP_2) | instskip(NEXT) | instid1(VALU_DEP_2)
	v_mul_f64 v[5:6], v[7:8], v[1:2]
	v_mul_f64 v[7:8], v[3:4], v[1:2]
.LBB212_12:
	s_or_b32 exec_lo, exec_lo, s2
	s_branch .LBB212_14
.LBB212_13:
	v_mov_b32_e32 v5, 0
	v_dual_mov_b32 v6, 0x3ff00000 :: v_dual_mov_b32 v7, 0
	v_mov_b32_e32 v8, 0
.LBB212_14:
	ds_store_b128 v9, v[5:8]
.LBB212_15:
	s_or_b32 exec_lo, exec_lo, s29
	s_mul_i32 s2, s14, -12
	s_add_i32 s15, s15, -1
	s_add_i32 s2, s2, s19
	s_cmp_ge_u32 s14, s15
	s_waitcnt lgkmcnt(0)
	s_cselect_b32 s2, s2, 12
	; wave barrier
	buffer_gl0_inv
	v_cmp_gt_i32_e32 vcc_lo, s2, v0
	s_mov_b32 s2, -1
	s_and_saveexec_b32 s3, vcc_lo
	s_cbranch_execz .LBB212_58
; %bb.16:
	s_load_b32 s0, s[0:1], 0x58
	v_mad_u64_u32 v[1:2], null, s14, 12, v[0:1]
	s_waitcnt lgkmcnt(0)
	s_delay_alu instid0(VALU_DEP_1) | instskip(SKIP_1) | instid1(SALU_CYCLE_1)
	v_mad_i64_i32 v[2:3], null, s0, v1, 0
	s_lshl_b64 s[0:1], s[22:23], 4
	s_add_u32 s3, s12, s0
	s_addc_u32 s8, s13, s1
	s_or_b32 s17, 0, 8
	s_cmpk_eq_i32 s16, 0x6f
	s_delay_alu instid0(VALU_DEP_1) | instskip(NEXT) | instid1(VALU_DEP_1)
	v_lshlrev_b64 v[4:5], 4, v[2:3]
	v_add_co_u32 v6, vcc_lo, s3, v4
	s_delay_alu instid0(VALU_DEP_2)
	v_add_co_ci_u32_e32 v7, vcc_lo, s8, v5, vcc_lo
	s_cbranch_scc1 .LBB212_37
; %bb.17:
	s_add_u32 s2, s12, s0
	s_addc_u32 s3, s13, s1
	v_add_co_u32 v0, vcc_lo, s2, v4
	v_add_co_ci_u32_e32 v1, vcc_lo, s3, v5, vcc_lo
	s_lshl_b32 s16, s18, 4
	s_delay_alu instid0(VALU_DEP_2) | instskip(NEXT) | instid1(VALU_DEP_2)
	v_add_co_u32 v8, vcc_lo, v0, 8
	v_add_co_ci_u32_e32 v9, vcc_lo, 0, v1, vcc_lo
	s_mov_b32 s3, 0
	s_add_i32 s16, s16, -16
	s_mov_b32 s2, s3
	s_mov_b32 s8, s28
	s_branch .LBB212_19
.LBB212_18:                             ;   in Loop: Header=BB212_19 Depth=1
	s_cmp_lt_i32 s8, 0
	s_cselect_b32 s9, -1, 0
	s_add_i32 s2, s2, 1
	s_delay_alu instid0(SALU_CYCLE_1) | instskip(SKIP_1) | instid1(SALU_CYCLE_1)
	s_cmp_eq_u32 s2, 3
	s_cselect_b32 s10, -1, 0
	s_or_b32 s9, s9, s10
	s_delay_alu instid0(SALU_CYCLE_1)
	s_and_not1_b32 vcc_lo, exec_lo, s9
	s_cbranch_vccz .LBB212_36
.LBB212_19:                             ; =>This Loop Header: Depth=1
                                        ;     Child Loop BB212_22 Depth 2
                                        ;       Child Loop BB212_23 Depth 3
                                        ;       Child Loop BB212_25 Depth 3
                                        ;         Child Loop BB212_26 Depth 4
                                        ;       Child Loop BB212_30 Depth 3
                                        ;         Child Loop BB212_32 Depth 4
	s_getpc_b64 s[10:11]
	s_add_u32 s10, s10, __const._ZL30rocblas_trsm_small_left_deviceILi12ELi12ELb1E19rocblas_complex_numIdES1_PKPKS1_PKPS1_Ev13rocblas_fill_18rocblas_operation_17rocblas_diagonal_iiT3_T4_lilT5_lili.step_sizes@rel32@lo+4
	s_addc_u32 s11, s11, __const._ZL30rocblas_trsm_small_left_deviceILi12ELi12ELb1E19rocblas_complex_numIdES1_PKPKS1_PKPS1_Ev13rocblas_fill_18rocblas_operation_17rocblas_diagonal_iiT3_T4_lilT5_lili.step_sizes@rel32@hi+12
	s_lshl_b64 s[14:15], s[2:3], 2
	s_delay_alu instid0(SALU_CYCLE_1) | instskip(SKIP_4) | instid1(SALU_CYCLE_1)
	s_add_u32 s10, s14, s10
	s_addc_u32 s11, s15, s11
	s_load_b32 s19, s[10:11], 0x0
	s_waitcnt lgkmcnt(0)
	s_add_i32 s20, s19, -1
	s_cmp_lt_i32 s8, s20
	s_cbranch_scc1 .LBB212_18
; %bb.20:                               ;   in Loop: Header=BB212_19 Depth=1
	s_mul_i32 s9, s8, 0xc0
	s_max_i32 s21, s19, 1
	s_add_i32 s22, s16, s9
	s_mul_i32 s23, s19, 0xffffff40
	s_mul_i32 s24, s8, 0xd0
	;; [unrolled: 1-line block ×3, first 2 shown]
	s_branch .LBB212_22
.LBB212_21:                             ;   in Loop: Header=BB212_22 Depth=2
	s_sub_i32 s8, s8, s19
	s_add_i32 s22, s22, s23
	s_add_i32 s24, s24, s25
	s_cmp_lt_i32 s8, s20
	s_cbranch_scc1 .LBB212_18
.LBB212_22:                             ;   Parent Loop BB212_19 Depth=1
                                        ; =>  This Loop Header: Depth=2
                                        ;       Child Loop BB212_23 Depth 3
                                        ;       Child Loop BB212_25 Depth 3
                                        ;         Child Loop BB212_26 Depth 4
                                        ;       Child Loop BB212_30 Depth 3
                                        ;         Child Loop BB212_32 Depth 4
	s_ashr_i32 s9, s8, 31
	s_delay_alu instid0(SALU_CYCLE_1) | instskip(NEXT) | instid1(SALU_CYCLE_1)
	s_lshl_b64 s[10:11], s[8:9], 4
	v_add_co_u32 v0, vcc_lo, v8, s10
	v_add_co_ci_u32_e32 v1, vcc_lo, s11, v9, vcc_lo
	s_mov_b32 s10, 8
	s_mov_b32 s11, s21
	.p2align	6
.LBB212_23:                             ;   Parent Loop BB212_19 Depth=1
                                        ;     Parent Loop BB212_22 Depth=2
                                        ; =>    This Inner Loop Header: Depth=3
	global_load_b128 v[10:13], v[0:1], off offset:-8
	v_add_co_u32 v0, vcc_lo, v0, -16
	v_add_co_ci_u32_e32 v1, vcc_lo, -1, v1, vcc_lo
	s_add_i32 s11, s11, -1
	s_add_i32 s14, s10, 0
	s_add_i32 s10, s10, 16
	s_cmp_eq_u32 s11, 0
	s_waitcnt vmcnt(0)
	v_mul_f64 v[2:3], s[6:7], v[12:13]
	v_mul_f64 v[14:15], s[4:5], v[12:13]
	s_delay_alu instid0(VALU_DEP_2) | instskip(NEXT) | instid1(VALU_DEP_2)
	v_fma_f64 v[12:13], s[4:5], v[10:11], -v[2:3]
	v_fma_f64 v[14:15], s[6:7], v[10:11], v[14:15]
	scratch_store_b128 off, v[12:15], s14 offset:-8
	s_cbranch_scc0 .LBB212_23
; %bb.24:                               ;   in Loop: Header=BB212_22 Depth=2
	s_cmp_le_i32 s28, s8
	s_mov_b32 s14, s22
	s_mov_b32 s10, s28
	s_cbranch_scc1 .LBB212_28
	.p2align	6
.LBB212_25:                             ;   Parent Loop BB212_19 Depth=1
                                        ;     Parent Loop BB212_22 Depth=2
                                        ; =>    This Loop Header: Depth=3
                                        ;         Child Loop BB212_26 Depth 4
	s_ashr_i32 s11, s10, 31
	s_mov_b32 s15, s14
	s_lshl_b64 s[26:27], s[10:11], 4
	s_mov_b32 s11, s17
	v_add_co_u32 v0, vcc_lo, v6, s26
	v_add_co_ci_u32_e32 v1, vcc_lo, s27, v7, vcc_lo
	s_mov_b32 s26, s21
	global_load_b128 v[0:3], v[0:1], off
	.p2align	6
.LBB212_26:                             ;   Parent Loop BB212_19 Depth=1
                                        ;     Parent Loop BB212_22 Depth=2
                                        ;       Parent Loop BB212_25 Depth=3
                                        ; =>      This Inner Loop Header: Depth=4
	scratch_load_b128 v[10:13], off, s11 offset:-8
	v_mov_b32_e32 v14, s15
	s_add_i32 s26, s26, -1
	s_addk_i32 s15, 0xff40
	ds_load_b128 v[14:17], v14
	s_waitcnt vmcnt(1) lgkmcnt(0)
	v_mul_f64 v[18:19], v[2:3], v[16:17]
	v_mul_f64 v[16:17], v[0:1], v[16:17]
	s_delay_alu instid0(VALU_DEP_2) | instskip(NEXT) | instid1(VALU_DEP_2)
	v_fma_f64 v[18:19], v[0:1], v[14:15], -v[18:19]
	v_fma_f64 v[14:15], v[2:3], v[14:15], v[16:17]
	s_waitcnt vmcnt(0)
	s_delay_alu instid0(VALU_DEP_2) | instskip(NEXT) | instid1(VALU_DEP_2)
	v_add_f64 v[10:11], v[10:11], -v[18:19]
	v_add_f64 v[12:13], v[12:13], -v[14:15]
	scratch_store_b128 off, v[10:13], s11 offset:-8
	s_add_i32 s11, s11, 16
	s_cmp_eq_u32 s26, 0
	s_cbranch_scc0 .LBB212_26
; %bb.27:                               ;   in Loop: Header=BB212_25 Depth=3
	s_add_i32 s10, s10, -1
	s_add_i32 s14, s14, -16
	s_cmp_le_i32 s10, s8
	s_cbranch_scc0 .LBB212_25
.LBB212_28:                             ;   in Loop: Header=BB212_22 Depth=2
	s_mov_b32 s26, 0
	s_mov_b32 s27, s24
	s_branch .LBB212_30
.LBB212_29:                             ;   in Loop: Header=BB212_30 Depth=3
	s_mulk_i32 s14, 0xd0
	s_lshl_b64 s[10:11], s[10:11], 4
	v_mov_b32_e32 v10, s14
	s_lshl_b32 s14, s26, 4
	s_add_i32 s26, s26, 1
	s_addk_i32 s27, 0xff40
	ds_load_b128 v[10:13], v10
	s_waitcnt vmcnt(0) lgkmcnt(0)
	v_mul_f64 v[14:15], v[12:13], v[2:3]
	v_mul_f64 v[2:3], v[10:11], v[2:3]
	s_delay_alu instid0(VALU_DEP_2) | instskip(NEXT) | instid1(VALU_DEP_2)
	v_fma_f64 v[10:11], v[10:11], v[0:1], -v[14:15]
	v_fma_f64 v[12:13], v[12:13], v[0:1], v[2:3]
	v_add_co_u32 v0, vcc_lo, v6, s10
	v_add_co_ci_u32_e32 v1, vcc_lo, s11, v7, vcc_lo
	s_add_i32 s10, s14, 0
	s_cmp_eq_u32 s26, s21
	scratch_store_b128 off, v[10:13], s10
	global_store_b128 v[0:1], v[10:13], off
	s_cbranch_scc1 .LBB212_21
.LBB212_30:                             ;   Parent Loop BB212_19 Depth=1
                                        ;     Parent Loop BB212_22 Depth=2
                                        ; =>    This Loop Header: Depth=3
                                        ;         Child Loop BB212_32 Depth 4
	s_cmp_lg_u32 s26, 0
	s_cbranch_scc0 .LBB212_34
; %bb.31:                               ;   in Loop: Header=BB212_30 Depth=3
	s_lshl_b32 s10, s26, 4
	s_mov_b32 s14, s27
	s_add_i32 s11, s10, 0
	v_add_nc_u32_e64 v10, s10, 0
	scratch_load_b128 v[0:3], off, s11
	s_mov_b32 s10, 0
	s_mov_b32 s11, s17
	.p2align	6
.LBB212_32:                             ;   Parent Loop BB212_19 Depth=1
                                        ;     Parent Loop BB212_22 Depth=2
                                        ;       Parent Loop BB212_30 Depth=3
                                        ; =>      This Inner Loop Header: Depth=4
	scratch_load_b128 v[11:14], off, s11 offset:-8
	v_mov_b32_e32 v15, s14
	s_add_i32 s10, s10, 1
	s_add_i32 s14, s14, -16
	s_add_i32 s11, s11, 16
	s_cmp_ge_u32 s10, s26
	ds_load_b128 v[15:18], v15
	s_waitcnt vmcnt(0) lgkmcnt(0)
	v_mul_f64 v[19:20], v[17:18], v[13:14]
	v_mul_f64 v[13:14], v[15:16], v[13:14]
	s_delay_alu instid0(VALU_DEP_2) | instskip(NEXT) | instid1(VALU_DEP_2)
	v_fma_f64 v[15:16], v[15:16], v[11:12], -v[19:20]
	v_fma_f64 v[11:12], v[17:18], v[11:12], v[13:14]
	s_delay_alu instid0(VALU_DEP_2) | instskip(NEXT) | instid1(VALU_DEP_2)
	v_add_f64 v[0:1], v[0:1], -v[15:16]
	v_add_f64 v[2:3], v[2:3], -v[11:12]
	scratch_store_b128 v10, v[0:3], off
	s_cbranch_scc0 .LBB212_32
; %bb.33:                               ;   in Loop: Header=BB212_30 Depth=3
	s_sub_i32 s14, s8, s26
	s_delay_alu instid0(SALU_CYCLE_1) | instskip(NEXT) | instid1(SALU_CYCLE_1)
	s_ashr_i32 s15, s14, 31
	s_mov_b64 s[10:11], s[14:15]
	s_branch .LBB212_29
.LBB212_34:                             ;   in Loop: Header=BB212_30 Depth=3
                                        ; implicit-def: $vgpr0_vgpr1
                                        ; implicit-def: $sgpr14
                                        ; implicit-def: $sgpr10_sgpr11
	s_cbranch_execz .LBB212_29
; %bb.35:                               ;   in Loop: Header=BB212_30 Depth=3
	scratch_load_b128 v[0:3], off, off
	s_mov_b64 s[10:11], s[8:9]
	s_mov_b32 s14, s8
	s_branch .LBB212_29
.LBB212_36:
	s_mov_b32 s2, 0
.LBB212_37:
	s_delay_alu instid0(SALU_CYCLE_1)
	s_and_b32 vcc_lo, exec_lo, s2
	s_cbranch_vccz .LBB212_58
; %bb.38:
	s_add_u32 s0, s12, s0
	s_addc_u32 s1, s13, s1
	v_add_co_u32 v0, vcc_lo, s0, v4
	v_add_co_ci_u32_e32 v1, vcc_lo, s1, v5, vcc_lo
	s_mov_b32 s1, 0
	s_delay_alu instid0(VALU_DEP_2) | instskip(NEXT) | instid1(VALU_DEP_2)
	v_add_co_u32 v8, vcc_lo, v0, 8
	v_add_co_ci_u32_e32 v9, vcc_lo, 0, v1, vcc_lo
	s_mov_b32 s2, s1
	s_mov_b32 s8, s1
	s_branch .LBB212_40
.LBB212_39:                             ;   in Loop: Header=BB212_40 Depth=1
	s_cmp_ge_i32 s2, s18
	s_cselect_b32 s0, -1, 0
	s_add_i32 s8, s8, 1
	s_delay_alu instid0(SALU_CYCLE_1) | instskip(SKIP_1) | instid1(SALU_CYCLE_1)
	s_cmp_eq_u32 s8, 3
	s_cselect_b32 s3, -1, 0
	s_or_b32 s0, s0, s3
	s_delay_alu instid0(SALU_CYCLE_1)
	s_and_b32 vcc_lo, exec_lo, s0
	s_cbranch_vccnz .LBB212_58
.LBB212_40:                             ; =>This Loop Header: Depth=1
                                        ;     Child Loop BB212_43 Depth 2
                                        ;       Child Loop BB212_44 Depth 3
                                        ;       Child Loop BB212_47 Depth 3
                                        ;         Child Loop BB212_48 Depth 4
                                        ;       Child Loop BB212_52 Depth 3
                                        ;         Child Loop BB212_54 Depth 4
	s_mov_b32 s9, s1
	s_getpc_b64 s[10:11]
	s_add_u32 s10, s10, __const._ZL30rocblas_trsm_small_left_deviceILi12ELi12ELb1E19rocblas_complex_numIdES1_PKPKS1_PKPS1_Ev13rocblas_fill_18rocblas_operation_17rocblas_diagonal_iiT3_T4_lilT5_lili.step_sizes@rel32@lo+4
	s_addc_u32 s11, s11, __const._ZL30rocblas_trsm_small_left_deviceILi12ELi12ELb1E19rocblas_complex_numIdES1_PKPKS1_PKPS1_Ev13rocblas_fill_18rocblas_operation_17rocblas_diagonal_iiT3_T4_lilT5_lili.step_sizes@rel32@hi+12
	s_lshl_b64 s[12:13], s[8:9], 2
	s_delay_alu instid0(SALU_CYCLE_1) | instskip(SKIP_4) | instid1(SALU_CYCLE_1)
	s_add_u32 s10, s12, s10
	s_addc_u32 s11, s13, s11
	s_load_b32 s10, s[10:11], 0x0
	s_waitcnt lgkmcnt(0)
	s_add_i32 s9, s10, -1
	s_add_i32 s0, s9, s2
	s_delay_alu instid0(SALU_CYCLE_1)
	s_cmp_ge_i32 s0, s18
	s_cbranch_scc1 .LBB212_39
; %bb.41:                               ;   in Loop: Header=BB212_40 Depth=1
	s_ashr_i32 s3, s2, 31
	s_ashr_i32 s11, s10, 31
	s_lshl_b64 s[12:13], s[2:3], 4
	s_max_i32 s16, s10, 1
	v_add_co_u32 v4, vcc_lo, v8, s12
	v_add_co_ci_u32_e32 v5, vcc_lo, s13, v9, vcc_lo
	s_lshl_b64 s[12:13], s[10:11], 4
	s_lshl_b32 s3, s2, 4
	s_lshl_b32 s11, s10, 4
	s_mul_i32 s19, s2, 0xd0
	s_mul_i32 s20, s10, 0xd0
	s_branch .LBB212_43
.LBB212_42:                             ;   in Loop: Header=BB212_43 Depth=2
	v_add_co_u32 v4, vcc_lo, v4, s12
	s_add_i32 s2, s2, s10
	v_add_co_ci_u32_e32 v5, vcc_lo, s13, v5, vcc_lo
	s_add_i32 s0, s9, s2
	s_add_i32 s3, s3, s11
	;; [unrolled: 1-line block ×3, first 2 shown]
	s_cmp_ge_i32 s0, s18
	s_cbranch_scc1 .LBB212_39
.LBB212_43:                             ;   Parent Loop BB212_40 Depth=1
                                        ; =>  This Loop Header: Depth=2
                                        ;       Child Loop BB212_44 Depth 3
                                        ;       Child Loop BB212_47 Depth 3
                                        ;         Child Loop BB212_48 Depth 4
                                        ;       Child Loop BB212_52 Depth 3
                                        ;         Child Loop BB212_54 Depth 4
	v_dual_mov_b32 v0, v4 :: v_dual_mov_b32 v1, v5
	s_mov_b32 s0, 8
	s_mov_b32 s14, s16
	.p2align	6
.LBB212_44:                             ;   Parent Loop BB212_40 Depth=1
                                        ;     Parent Loop BB212_43 Depth=2
                                        ; =>    This Inner Loop Header: Depth=3
	global_load_b128 v[10:13], v[0:1], off offset:-8
	v_add_co_u32 v0, vcc_lo, v0, 16
	v_add_co_ci_u32_e32 v1, vcc_lo, 0, v1, vcc_lo
	s_add_i32 s14, s14, -1
	s_add_i32 s15, s0, 0
	s_add_i32 s0, s0, 16
	s_cmp_eq_u32 s14, 0
	s_waitcnt vmcnt(0)
	v_mul_f64 v[2:3], s[6:7], v[12:13]
	v_mul_f64 v[14:15], s[4:5], v[12:13]
	s_delay_alu instid0(VALU_DEP_2) | instskip(NEXT) | instid1(VALU_DEP_2)
	v_fma_f64 v[12:13], s[4:5], v[10:11], -v[2:3]
	v_fma_f64 v[14:15], s[6:7], v[10:11], v[14:15]
	scratch_store_b128 off, v[12:15], s15 offset:-8
	s_cbranch_scc0 .LBB212_44
; %bb.45:                               ;   in Loop: Header=BB212_43 Depth=2
	s_cmp_lt_i32 s2, 1
	s_cbranch_scc1 .LBB212_50
; %bb.46:                               ;   in Loop: Header=BB212_43 Depth=2
	s_mov_b32 s0, 0
	s_mov_b32 s14, s3
	s_set_inst_prefetch_distance 0x1
	.p2align	6
.LBB212_47:                             ;   Parent Loop BB212_40 Depth=1
                                        ;     Parent Loop BB212_43 Depth=2
                                        ; =>    This Loop Header: Depth=3
                                        ;         Child Loop BB212_48 Depth 4
	s_lshl_b64 s[22:23], s[0:1], 4
	s_mov_b32 s15, s17
	v_add_co_u32 v0, vcc_lo, v6, s22
	v_add_co_ci_u32_e32 v1, vcc_lo, s23, v7, vcc_lo
	s_mov_b32 s21, s14
	s_mov_b32 s22, s16
	global_load_b128 v[0:3], v[0:1], off
	.p2align	6
.LBB212_48:                             ;   Parent Loop BB212_40 Depth=1
                                        ;     Parent Loop BB212_43 Depth=2
                                        ;       Parent Loop BB212_47 Depth=3
                                        ; =>      This Inner Loop Header: Depth=4
	scratch_load_b128 v[10:13], off, s15 offset:-8
	v_mov_b32_e32 v14, s21
	s_add_i32 s22, s22, -1
	s_add_i32 s21, s21, 16
	ds_load_b128 v[14:17], v14
	s_waitcnt vmcnt(1) lgkmcnt(0)
	v_mul_f64 v[18:19], v[2:3], v[16:17]
	v_mul_f64 v[16:17], v[0:1], v[16:17]
	s_delay_alu instid0(VALU_DEP_2) | instskip(NEXT) | instid1(VALU_DEP_2)
	v_fma_f64 v[18:19], v[0:1], v[14:15], -v[18:19]
	v_fma_f64 v[14:15], v[2:3], v[14:15], v[16:17]
	s_waitcnt vmcnt(0)
	s_delay_alu instid0(VALU_DEP_2) | instskip(NEXT) | instid1(VALU_DEP_2)
	v_add_f64 v[10:11], v[10:11], -v[18:19]
	v_add_f64 v[12:13], v[12:13], -v[14:15]
	scratch_store_b128 off, v[10:13], s15 offset:-8
	s_add_i32 s15, s15, 16
	s_cmp_eq_u32 s22, 0
	s_cbranch_scc0 .LBB212_48
; %bb.49:                               ;   in Loop: Header=BB212_47 Depth=3
	s_add_i32 s0, s0, 1
	s_addk_i32 s14, 0xc0
	s_cmp_ge_i32 s0, s2
	s_cbranch_scc0 .LBB212_47
.LBB212_50:                             ;   in Loop: Header=BB212_43 Depth=2
	s_set_inst_prefetch_distance 0x2
	s_mov_b32 s0, 0
	s_mov_b32 s21, s19
	s_branch .LBB212_52
.LBB212_51:                             ;   in Loop: Header=BB212_52 Depth=3
	s_mul_i32 s15, s14, 0xd0
	s_lshl_b32 s22, s0, 4
	v_mov_b32_e32 v10, s15
	s_ashr_i32 s15, s14, 31
	s_add_i32 s0, s0, 1
	s_lshl_b64 s[14:15], s[14:15], 4
	s_add_i32 s21, s21, 16
	ds_load_b128 v[10:13], v10
	s_waitcnt vmcnt(0) lgkmcnt(0)
	v_mul_f64 v[14:15], v[12:13], v[2:3]
	v_mul_f64 v[2:3], v[10:11], v[2:3]
	s_delay_alu instid0(VALU_DEP_2) | instskip(NEXT) | instid1(VALU_DEP_2)
	v_fma_f64 v[10:11], v[10:11], v[0:1], -v[14:15]
	v_fma_f64 v[12:13], v[12:13], v[0:1], v[2:3]
	v_add_co_u32 v0, vcc_lo, v6, s14
	v_add_co_ci_u32_e32 v1, vcc_lo, s15, v7, vcc_lo
	s_add_i32 s14, s22, 0
	s_cmp_eq_u32 s0, s16
	scratch_store_b128 off, v[10:13], s14
	global_store_b128 v[0:1], v[10:13], off
	s_cbranch_scc1 .LBB212_42
.LBB212_52:                             ;   Parent Loop BB212_40 Depth=1
                                        ;     Parent Loop BB212_43 Depth=2
                                        ; =>    This Loop Header: Depth=3
                                        ;         Child Loop BB212_54 Depth 4
	s_cmp_lg_u32 s0, 0
	s_cbranch_scc0 .LBB212_56
; %bb.53:                               ;   in Loop: Header=BB212_52 Depth=3
	s_lshl_b32 s15, s0, 4
	s_mov_b32 s22, s17
	s_add_i32 s14, s15, 0
	v_add_nc_u32_e64 v10, s15, 0
	scratch_load_b128 v[0:3], off, s14
	s_add_i32 s14, s0, s2
	s_mov_b32 s15, 0
	s_mov_b32 s23, s21
	.p2align	6
.LBB212_54:                             ;   Parent Loop BB212_40 Depth=1
                                        ;     Parent Loop BB212_43 Depth=2
                                        ;       Parent Loop BB212_52 Depth=3
                                        ; =>      This Inner Loop Header: Depth=4
	scratch_load_b128 v[11:14], off, s22 offset:-8
	v_mov_b32_e32 v15, s23
	s_add_i32 s15, s15, 1
	s_addk_i32 s23, 0xc0
	s_add_i32 s22, s22, 16
	s_cmp_ge_u32 s15, s0
	ds_load_b128 v[15:18], v15
	s_waitcnt vmcnt(0) lgkmcnt(0)
	v_mul_f64 v[19:20], v[17:18], v[13:14]
	v_mul_f64 v[13:14], v[15:16], v[13:14]
	s_delay_alu instid0(VALU_DEP_2) | instskip(NEXT) | instid1(VALU_DEP_2)
	v_fma_f64 v[15:16], v[15:16], v[11:12], -v[19:20]
	v_fma_f64 v[11:12], v[17:18], v[11:12], v[13:14]
	s_delay_alu instid0(VALU_DEP_2) | instskip(NEXT) | instid1(VALU_DEP_2)
	v_add_f64 v[0:1], v[0:1], -v[15:16]
	v_add_f64 v[2:3], v[2:3], -v[11:12]
	scratch_store_b128 v10, v[0:3], off
	s_cbranch_scc0 .LBB212_54
; %bb.55:                               ;   in Loop: Header=BB212_52 Depth=3
	s_branch .LBB212_51
.LBB212_56:                             ;   in Loop: Header=BB212_52 Depth=3
                                        ; implicit-def: $vgpr0_vgpr1
                                        ; implicit-def: $sgpr14
	s_cbranch_execz .LBB212_51
; %bb.57:                               ;   in Loop: Header=BB212_52 Depth=3
	scratch_load_b128 v[0:3], off, off
	s_mov_b32 s14, s2
	s_branch .LBB212_51
.LBB212_58:
	s_endpgm
	.section	.rodata,"a",@progbits
	.p2align	6, 0x0
	.amdhsa_kernel _ZL30rocblas_trsm_small_left_deviceILi12ELi12ELb1E19rocblas_complex_numIdES1_PKPKS1_PKPS1_Ev13rocblas_fill_18rocblas_operation_17rocblas_diagonal_iiT3_T4_lilT5_lili
		.amdhsa_group_segment_fixed_size 2304
		.amdhsa_private_segment_fixed_size 208
		.amdhsa_kernarg_size 368
		.amdhsa_user_sgpr_count 14
		.amdhsa_user_sgpr_dispatch_ptr 0
		.amdhsa_user_sgpr_queue_ptr 0
		.amdhsa_user_sgpr_kernarg_segment_ptr 1
		.amdhsa_user_sgpr_dispatch_id 0
		.amdhsa_user_sgpr_private_segment_size 0
		.amdhsa_wavefront_size32 1
		.amdhsa_uses_dynamic_stack 0
		.amdhsa_enable_private_segment 1
		.amdhsa_system_sgpr_workgroup_id_x 1
		.amdhsa_system_sgpr_workgroup_id_y 0
		.amdhsa_system_sgpr_workgroup_id_z 1
		.amdhsa_system_sgpr_workgroup_info 0
		.amdhsa_system_vgpr_workitem_id 0
		.amdhsa_next_free_vgpr 25
		.amdhsa_next_free_sgpr 31
		.amdhsa_reserve_vcc 1
		.amdhsa_float_round_mode_32 0
		.amdhsa_float_round_mode_16_64 0
		.amdhsa_float_denorm_mode_32 3
		.amdhsa_float_denorm_mode_16_64 3
		.amdhsa_dx10_clamp 1
		.amdhsa_ieee_mode 1
		.amdhsa_fp16_overflow 0
		.amdhsa_workgroup_processor_mode 1
		.amdhsa_memory_ordered 1
		.amdhsa_forward_progress 0
		.amdhsa_shared_vgpr_count 0
		.amdhsa_exception_fp_ieee_invalid_op 0
		.amdhsa_exception_fp_denorm_src 0
		.amdhsa_exception_fp_ieee_div_zero 0
		.amdhsa_exception_fp_ieee_overflow 0
		.amdhsa_exception_fp_ieee_underflow 0
		.amdhsa_exception_fp_ieee_inexact 0
		.amdhsa_exception_int_div_zero 0
	.end_amdhsa_kernel
	.section	.text._ZL30rocblas_trsm_small_left_deviceILi12ELi12ELb1E19rocblas_complex_numIdES1_PKPKS1_PKPS1_Ev13rocblas_fill_18rocblas_operation_17rocblas_diagonal_iiT3_T4_lilT5_lili,"axG",@progbits,_ZL30rocblas_trsm_small_left_deviceILi12ELi12ELb1E19rocblas_complex_numIdES1_PKPKS1_PKPS1_Ev13rocblas_fill_18rocblas_operation_17rocblas_diagonal_iiT3_T4_lilT5_lili,comdat
.Lfunc_end212:
	.size	_ZL30rocblas_trsm_small_left_deviceILi12ELi12ELb1E19rocblas_complex_numIdES1_PKPKS1_PKPS1_Ev13rocblas_fill_18rocblas_operation_17rocblas_diagonal_iiT3_T4_lilT5_lili, .Lfunc_end212-_ZL30rocblas_trsm_small_left_deviceILi12ELi12ELb1E19rocblas_complex_numIdES1_PKPKS1_PKPS1_Ev13rocblas_fill_18rocblas_operation_17rocblas_diagonal_iiT3_T4_lilT5_lili
                                        ; -- End function
	.section	.AMDGPU.csdata,"",@progbits
; Kernel info:
; codeLenInByte = 3180
; NumSgprs: 33
; NumVgprs: 25
; ScratchSize: 208
; MemoryBound: 0
; FloatMode: 240
; IeeeMode: 1
; LDSByteSize: 2304 bytes/workgroup (compile time only)
; SGPRBlocks: 4
; VGPRBlocks: 3
; NumSGPRsForWavesPerEU: 33
; NumVGPRsForWavesPerEU: 25
; Occupancy: 14
; WaveLimiterHint : 1
; COMPUTE_PGM_RSRC2:SCRATCH_EN: 1
; COMPUTE_PGM_RSRC2:USER_SGPR: 14
; COMPUTE_PGM_RSRC2:TRAP_HANDLER: 0
; COMPUTE_PGM_RSRC2:TGID_X_EN: 1
; COMPUTE_PGM_RSRC2:TGID_Y_EN: 0
; COMPUTE_PGM_RSRC2:TGID_Z_EN: 1
; COMPUTE_PGM_RSRC2:TIDIG_COMP_CNT: 0
	.section	.text._ZL31rocblas_trsm_small_right_deviceI19rocblas_complex_numIdES1_PKPKS1_PKPS1_Li12EEv13rocblas_fill_18rocblas_operation_17rocblas_diagonal_iiT0_T1_lilT2_lili,"axG",@progbits,_ZL31rocblas_trsm_small_right_deviceI19rocblas_complex_numIdES1_PKPKS1_PKPS1_Li12EEv13rocblas_fill_18rocblas_operation_17rocblas_diagonal_iiT0_T1_lilT2_lili,comdat
	.globl	_ZL31rocblas_trsm_small_right_deviceI19rocblas_complex_numIdES1_PKPKS1_PKPS1_Li12EEv13rocblas_fill_18rocblas_operation_17rocblas_diagonal_iiT0_T1_lilT2_lili ; -- Begin function _ZL31rocblas_trsm_small_right_deviceI19rocblas_complex_numIdES1_PKPKS1_PKPS1_Li12EEv13rocblas_fill_18rocblas_operation_17rocblas_diagonal_iiT0_T1_lilT2_lili
	.p2align	8
	.type	_ZL31rocblas_trsm_small_right_deviceI19rocblas_complex_numIdES1_PKPKS1_PKPS1_Li12EEv13rocblas_fill_18rocblas_operation_17rocblas_diagonal_iiT0_T1_lilT2_lili,@function
_ZL31rocblas_trsm_small_right_deviceI19rocblas_complex_numIdES1_PKPKS1_PKPS1_Li12EEv13rocblas_fill_18rocblas_operation_17rocblas_diagonal_iiT0_T1_lilT2_lili: ; @_ZL31rocblas_trsm_small_right_deviceI19rocblas_complex_numIdES1_PKPKS1_PKPS1_Li12EEv13rocblas_fill_18rocblas_operation_17rocblas_diagonal_iiT0_T1_lilT2_lili
; %bb.0:
	s_mov_b32 s2, s15
	s_clause 0x1
	s_load_b128 s[20:23], s[0:1], 0x48
	s_load_b32 s15, s[0:1], 0x10
	s_mov_b32 s3, 0
	s_load_b128 s[16:19], s[0:1], 0x0
	s_lshl_b64 s[24:25], s[2:3], 3
	s_mov_b32 s30, exec_lo
	s_waitcnt lgkmcnt(0)
	s_add_u32 s12, s20, s24
	s_addc_u32 s13, s21, s25
	s_load_b256 s[4:11], s[0:1], 0x18
	s_load_b64 s[12:13], s[12:13], 0x0
	s_min_i32 s28, s15, 12
	s_delay_alu instid0(SALU_CYCLE_1)
	s_add_i32 s29, s28, -1
	v_cmpx_gt_i32_e64 s28, v0
	s_cbranch_execz .LBB213_9
; %bb.1:
	s_load_b32 s20, s[0:1], 0x38
	s_waitcnt lgkmcnt(0)
	s_ashr_i32 s21, s20, 31
	s_cmpk_eq_i32 s17, 0x71
	s_cselect_b32 vcc_lo, -1, 0
	s_add_u32 s8, s8, s24
	s_addc_u32 s9, s9, s25
	s_cmp_lt_u32 s29, 3
	s_load_b64 s[8:9], s[8:9], 0x0
	s_cbranch_scc1 .LBB213_4
; %bb.2:
	v_lshlrev_b32_e32 v1, 4, v0
	s_lshl_b64 s[24:25], s[10:11], 4
	s_and_b32 s3, s28, -4
	s_waitcnt lgkmcnt(0)
	s_add_u32 s2, s8, s24
	s_addc_u32 s24, s9, s25
	v_add_co_u32 v1, s2, s2, v1
	s_delay_alu instid0(VALU_DEP_1) | instskip(SKIP_1) | instid1(VALU_DEP_3)
	v_add_co_ci_u32_e64 v2, null, s24, 0, s2
	v_lshlrev_b32_e32 v3, 4, v0
	v_add_co_u32 v1, s2, v1, 8
	s_delay_alu instid0(VALU_DEP_1)
	v_add_co_ci_u32_e64 v2, s2, 0, v2, s2
	s_lshl_b64 s[24:25], s[20:21], 6
	s_lshl_b64 s[26:27], s[20:21], 4
	s_mov_b32 s31, 0
.LBB213_3:                              ; =>This Inner Loop Header: Depth=1
	v_add_co_u32 v8, s2, v1, s26
	s_delay_alu instid0(VALU_DEP_1) | instskip(SKIP_1) | instid1(VALU_DEP_2)
	v_add_co_ci_u32_e64 v9, s2, s27, v2, s2
	s_add_i32 s31, s31, 4
	v_add_co_u32 v12, s2, v8, s26
	s_delay_alu instid0(VALU_DEP_1) | instskip(SKIP_1) | instid1(VALU_DEP_2)
	v_add_co_ci_u32_e64 v13, s2, s27, v9, s2
	s_cmp_eq_u32 s3, s31
	v_add_co_u32 v16, s2, v12, s26
	s_delay_alu instid0(VALU_DEP_1)
	v_add_co_ci_u32_e64 v17, s2, s27, v13, s2
	s_clause 0x3
	global_load_b128 v[4:7], v[1:2], off offset:-8
	global_load_b128 v[8:11], v[8:9], off offset:-8
	global_load_b128 v[12:15], v[12:13], off offset:-8
	global_load_b128 v[16:19], v[16:17], off offset:-8
	v_add_co_u32 v1, s2, v1, s24
	s_delay_alu instid0(VALU_DEP_1)
	v_add_co_ci_u32_e64 v2, s2, s25, v2, s2
	s_waitcnt vmcnt(3)
	v_xor_b32_e32 v20, 0x80000000, v7
	s_waitcnt vmcnt(2)
	v_xor_b32_e32 v21, 0x80000000, v11
	;; [unrolled: 2-line block ×4, first 2 shown]
	v_cndmask_b32_e32 v7, v7, v20, vcc_lo
	v_cndmask_b32_e32 v11, v11, v21, vcc_lo
	;; [unrolled: 1-line block ×3, first 2 shown]
	s_delay_alu instid0(VALU_DEP_4)
	v_cndmask_b32_e32 v19, v19, v23, vcc_lo
	ds_store_b128 v3, v[4:7]
	ds_store_b128 v3, v[8:11] offset:192
	ds_store_b128 v3, v[12:15] offset:384
	ds_store_b128 v3, v[16:19] offset:576
	v_add_nc_u32_e32 v3, 0x300, v3
	s_cbranch_scc0 .LBB213_3
.LBB213_4:
	s_and_b32 s24, s28, 3
	s_delay_alu instid0(SALU_CYCLE_1)
	s_cmp_eq_u32 s24, 0
	s_cbranch_scc1 .LBB213_7
; %bb.5:
	s_mul_i32 s2, s21, s3
	s_mul_hi_u32 s25, s20, s3
	s_mul_i32 s26, s20, s3
	s_add_i32 s27, s25, s2
	s_lshl_b64 s[10:11], s[10:11], 4
	s_lshl_b64 s[26:27], s[26:27], 4
	v_lshlrev_b32_e32 v1, 4, v0
	s_mul_i32 s2, s3, 0xc0
	s_add_u32 s3, s26, s10
	s_addc_u32 s10, s27, s11
	s_waitcnt lgkmcnt(0)
	s_add_u32 s3, s8, s3
	s_addc_u32 s8, s9, s10
	v_add_co_u32 v1, s3, s3, v1
	s_delay_alu instid0(VALU_DEP_1) | instskip(SKIP_1) | instid1(VALU_DEP_3)
	v_add_co_ci_u32_e64 v2, null, s8, 0, s3
	v_lshl_add_u32 v3, v0, 4, s2
	v_add_co_u32 v1, s2, v1, 8
	s_delay_alu instid0(VALU_DEP_1)
	v_add_co_ci_u32_e64 v2, s2, 0, v2, s2
	s_lshl_b64 s[8:9], s[20:21], 4
.LBB213_6:                              ; =>This Inner Loop Header: Depth=1
	global_load_b128 v[4:7], v[1:2], off offset:-8
	v_add_co_u32 v1, s2, v1, s8
	s_delay_alu instid0(VALU_DEP_1) | instskip(SKIP_1) | instid1(SALU_CYCLE_1)
	v_add_co_ci_u32_e64 v2, s2, s9, v2, s2
	s_add_i32 s24, s24, -1
	s_cmp_lg_u32 s24, 0
	s_waitcnt vmcnt(0)
	v_xor_b32_e32 v8, 0x80000000, v7
	s_delay_alu instid0(VALU_DEP_1)
	v_cndmask_b32_e32 v7, v7, v8, vcc_lo
	ds_store_b128 v3, v[4:7]
	v_add_nc_u32_e32 v3, 0xc0, v3
	s_cbranch_scc1 .LBB213_6
.LBB213_7:
	s_cmpk_eq_i32 s18, 0x84
	s_cbranch_scc0 .LBB213_9
; %bb.8:
	v_mul_u32_u24_e32 v3, 13, v0
	v_dual_mov_b32 v1, 0 :: v_dual_mov_b32 v2, 0x3ff00000
	s_delay_alu instid0(VALU_DEP_1)
	v_dual_mov_b32 v4, v1 :: v_dual_lshlrev_b32 v5, 4, v3
	v_mov_b32_e32 v3, v1
	ds_store_b128 v5, v[1:4]
.LBB213_9:
	s_or_b32 exec_lo, exec_lo, s30
	s_waitcnt lgkmcnt(0)
	s_clause 0x1
	s_load_b32 s8, s[0:1], 0x70
	s_load_b32 s0, s[0:1], 0x58
	s_lshl_b64 s[2:3], s[22:23], 4
	s_mul_i32 s10, s14, -12
	s_add_u32 s1, s12, s2
	s_addc_u32 s9, s13, s3
	s_add_i32 s10, s10, s19
	s_mul_i32 s18, s14, 0xc0
	s_mov_b32 s23, 0
	s_waitcnt lgkmcnt(0)
	s_add_i32 s8, s8, -1
	s_delay_alu instid0(SALU_CYCLE_1)
	s_cmp_ge_u32 s14, s8
	s_mul_hi_i32 s14, s14, 0xc0
	s_cselect_b32 s8, s10, 12
	s_add_u32 s19, s1, s18
	s_addc_u32 s20, s9, s14
	v_cmp_gt_i32_e32 vcc_lo, s8, v0
	s_cmp_gt_i32 s15, 0
	s_cselect_b32 s1, -1, 0
	s_delay_alu instid0(SALU_CYCLE_1) | instskip(NEXT) | instid1(SALU_CYCLE_1)
	s_and_b32 s21, vcc_lo, s1
	s_and_saveexec_b32 s22, s21
	s_cbranch_execz .LBB213_16
; %bb.10:
	s_ashr_i32 s1, s0, 31
	s_cmp_lt_u32 s15, 4
	s_cbranch_scc1 .LBB213_13
; %bb.11:
	v_lshlrev_b32_e32 v1, 4, v0
	v_lshl_or_b32 v3, v0, 4, 0x900
	s_and_b32 s23, s15, 0x7ffffffc
	s_lshl_b64 s[10:11], s[0:1], 4
	s_mov_b32 s24, 0
	v_add_co_u32 v1, s8, s19, v1
	s_delay_alu instid0(VALU_DEP_1)
	v_add_co_ci_u32_e64 v2, null, s20, 0, s8
	s_lshl_b64 s[8:9], s[0:1], 6
.LBB213_12:                             ; =>This Inner Loop Header: Depth=1
	s_delay_alu instid0(VALU_DEP_2) | instskip(NEXT) | instid1(VALU_DEP_2)
	v_add_co_u32 v8, vcc_lo, v1, s10
	v_add_co_ci_u32_e32 v9, vcc_lo, s11, v2, vcc_lo
	global_load_b128 v[4:7], v[1:2], off
	v_add_co_u32 v12, vcc_lo, v8, s10
	v_add_co_ci_u32_e32 v13, vcc_lo, s11, v9, vcc_lo
	global_load_b128 v[8:11], v[8:9], off
	v_add_co_u32 v16, vcc_lo, v12, s10
	v_add_co_ci_u32_e32 v17, vcc_lo, s11, v13, vcc_lo
	v_add_co_u32 v1, vcc_lo, v1, s8
	s_clause 0x1
	global_load_b128 v[12:15], v[12:13], off
	global_load_b128 v[16:19], v[16:17], off
	v_add_co_ci_u32_e32 v2, vcc_lo, s9, v2, vcc_lo
	s_add_i32 s24, s24, 4
	s_delay_alu instid0(SALU_CYCLE_1)
	s_cmp_lg_u32 s23, s24
	s_waitcnt vmcnt(3)
	v_mul_f64 v[20:21], s[6:7], v[6:7]
	v_mul_f64 v[6:7], s[4:5], v[6:7]
	s_waitcnt vmcnt(2)
	v_mul_f64 v[22:23], s[6:7], v[10:11]
	v_mul_f64 v[10:11], s[4:5], v[10:11]
	s_waitcnt vmcnt(1)
	v_mul_f64 v[24:25], s[6:7], v[14:15]
	v_mul_f64 v[14:15], s[4:5], v[14:15]
	s_waitcnt vmcnt(0)
	v_mul_f64 v[26:27], s[6:7], v[18:19]
	v_mul_f64 v[28:29], s[4:5], v[18:19]
	v_fma_f64 v[18:19], s[4:5], v[4:5], -v[20:21]
	v_fma_f64 v[20:21], s[6:7], v[4:5], v[6:7]
	v_fma_f64 v[4:5], s[4:5], v[8:9], -v[22:23]
	v_fma_f64 v[6:7], s[6:7], v[8:9], v[10:11]
	;; [unrolled: 2-line block ×4, first 2 shown]
	ds_store_b128 v3, v[18:21]
	ds_store_b128 v3, v[4:7] offset:192
	ds_store_b128 v3, v[8:11] offset:384
	;; [unrolled: 1-line block ×3, first 2 shown]
	v_add_nc_u32_e32 v3, 0x300, v3
	s_cbranch_scc1 .LBB213_12
.LBB213_13:
	s_and_b32 s10, s15, 3
	s_delay_alu instid0(SALU_CYCLE_1)
	s_cmp_eq_u32 s10, 0
	s_cbranch_scc1 .LBB213_16
; %bb.14:
	s_mul_hi_i32 s9, s0, s23
	s_mul_i32 s8, s0, s23
	v_lshlrev_b32_e32 v1, 4, v0
	s_lshl_b64 s[8:9], s[8:9], 4
	s_mul_i32 s11, s23, 0xc0
	s_add_u32 s8, s8, s18
	s_addc_u32 s9, s9, s14
	s_add_u32 s8, s8, s2
	s_addc_u32 s9, s9, s3
	;; [unrolled: 2-line block ×3, first 2 shown]
	v_add_co_u32 v2, s8, s8, v1
	s_delay_alu instid0(VALU_DEP_1) | instskip(SKIP_1) | instid1(VALU_DEP_3)
	v_add_co_ci_u32_e64 v4, null, s9, 0, s8
	v_add3_u32 v3, s11, v1, 0x900
	v_add_co_u32 v1, vcc_lo, v2, 8
	s_delay_alu instid0(VALU_DEP_3)
	v_add_co_ci_u32_e32 v2, vcc_lo, 0, v4, vcc_lo
	s_lshl_b64 s[8:9], s[0:1], 4
	.p2align	6
.LBB213_15:                             ; =>This Inner Loop Header: Depth=1
	global_load_b128 v[4:7], v[1:2], off offset:-8
	v_add_co_u32 v1, vcc_lo, v1, s8
	v_add_co_ci_u32_e32 v2, vcc_lo, s9, v2, vcc_lo
	s_add_i32 s10, s10, -1
	s_delay_alu instid0(SALU_CYCLE_1) | instskip(SKIP_3) | instid1(VALU_DEP_2)
	s_cmp_lg_u32 s10, 0
	s_waitcnt vmcnt(0)
	v_mul_f64 v[8:9], s[6:7], v[6:7]
	v_mul_f64 v[10:11], s[4:5], v[6:7]
	v_fma_f64 v[6:7], s[4:5], v[4:5], -v[8:9]
	s_delay_alu instid0(VALU_DEP_2)
	v_fma_f64 v[8:9], s[6:7], v[4:5], v[10:11]
	ds_store_b128 v3, v[6:9]
	v_add_nc_u32_e32 v3, 0xc0, v3
	s_cbranch_scc1 .LBB213_15
.LBB213_16:
	s_or_b32 exec_lo, exec_lo, s22
	s_cmpk_eq_i32 s17, 0x6f
	s_waitcnt lgkmcnt(0)
	s_cselect_b32 s1, -1, 0
	s_cmpk_eq_i32 s16, 0x79
	; wave barrier
	buffer_gl0_inv
	s_cselect_b32 s5, -1, 0
	s_cmpk_lg_i32 s16, 0x79
	s_cselect_b32 s4, -1, 0
	s_and_b32 s5, s5, s1
	s_delay_alu instid0(SALU_CYCLE_1)
	s_and_not1_b32 vcc_lo, exec_lo, s5
	s_mov_b32 s5, -1
	s_cbranch_vccz .LBB213_124
; %bb.17:
	s_cmpk_lg_i32 s16, 0x7a
	s_cselect_b32 s5, -1, 0
	s_xor_b32 s1, s1, -1
	s_delay_alu instid0(SALU_CYCLE_1)
	s_or_b32 s5, s5, s1
	s_cmp_gt_i32 s15, 3
	s_cselect_b32 s1, -1, 0
	s_and_b32 vcc_lo, exec_lo, s5
	s_mov_b32 s5, -1
	s_cbranch_vccz .LBB213_91
; %bb.18:
	s_and_not1_b32 vcc_lo, exec_lo, s4
	s_mov_b32 s4, -1
	s_cbranch_vccnz .LBB213_58
; %bb.19:
	s_and_not1_b32 vcc_lo, exec_lo, s1
	s_mov_b32 s6, 0
	s_cbranch_vccnz .LBB213_42
; %bb.20:
	v_lshl_or_b32 v25, v0, 4, 0x900
	s_mov_b32 s4, 0
	s_mov_b32 s5, 0
.LBB213_21:                             ; =>This Loop Header: Depth=1
                                        ;     Child Loop BB213_23 Depth 2
	s_delay_alu instid0(SALU_CYCLE_1) | instskip(NEXT) | instid1(SALU_CYCLE_1)
	s_mul_i32 s6, s5, 12
	s_add_i32 s7, s6, 12
	v_add_lshl_u32 v13, s6, v0, 4
	s_add_i32 s6, s6, 24
	v_add_lshl_u32 v14, s7, v0, 4
	v_add_lshl_u32 v15, s6, v0, 4
	s_cmp_eq_u32 s5, 0
	ds_load_b128 v[17:20], v13 offset:2304
	ds_load_b128 v[9:12], v14 offset:2304
	;; [unrolled: 1-line block ×4, first 2 shown]
	s_cbranch_scc1 .LBB213_24
; %bb.22:                               ;   in Loop: Header=BB213_21 Depth=1
	v_mov_b32_e32 v16, v25
	s_mov_b32 s8, 0
	s_mov_b32 s9, s4
.LBB213_23:                             ;   Parent Loop BB213_21 Depth=1
                                        ; =>  This Inner Loop Header: Depth=2
	s_delay_alu instid0(SALU_CYCLE_1)
	v_mov_b32_e32 v58, s9
	s_add_i32 s8, s8, 2
	s_addk_i32 s9, 0x180
	s_cmp_ge_u32 s8, s5
	ds_load_b128 v[21:24], v16
	ds_load_b128 v[26:29], v58
	ds_load_b128 v[30:33], v58 offset:16
	ds_load_b128 v[34:37], v58 offset:32
	;; [unrolled: 1-line block ×8, first 2 shown]
	v_add_nc_u32_e32 v16, 0x180, v16
	s_waitcnt lgkmcnt(8)
	v_mul_f64 v[62:63], v[23:24], v[28:29]
	v_mul_f64 v[28:29], v[21:22], v[28:29]
	s_waitcnt lgkmcnt(7)
	v_mul_f64 v[64:65], v[23:24], v[32:33]
	v_mul_f64 v[32:33], v[21:22], v[32:33]
	;; [unrolled: 3-line block ×8, first 2 shown]
	v_fma_f64 v[62:63], v[21:22], v[26:27], -v[62:63]
	v_fma_f64 v[26:27], v[23:24], v[26:27], v[28:29]
	v_fma_f64 v[28:29], v[21:22], v[30:31], -v[64:65]
	v_fma_f64 v[30:31], v[23:24], v[30:31], v[32:33]
	;; [unrolled: 2-line block ×8, first 2 shown]
	v_add_f64 v[17:18], v[17:18], -v[62:63]
	v_add_f64 v[19:20], v[19:20], -v[26:27]
	;; [unrolled: 1-line block ×16, first 2 shown]
	s_cbranch_scc0 .LBB213_23
.LBB213_24:                             ;   in Loop: Header=BB213_21 Depth=1
	s_mul_i32 s8, s5, 0xd0
	s_delay_alu instid0(SALU_CYCLE_1)
	v_dual_mov_b32 v13, s8 :: v_dual_add_nc_u32 v28, 0x900, v13
	ds_load_b128 v[21:24], v13
	s_waitcnt lgkmcnt(0)
	v_dual_mov_b32 v13, v21 :: v_dual_add_nc_u32 v26, 0x900, v15
	v_cmp_gt_f64_e32 vcc_lo, 0, v[21:22]
	v_xor_b32_e32 v15, 0x80000000, v24
	v_add_nc_u32_e32 v27, 0x900, v14
	v_xor_b32_e32 v14, 0x80000000, v22
	s_delay_alu instid0(VALU_DEP_1) | instskip(SKIP_2) | instid1(VALU_DEP_1)
	v_cndmask_b32_e32 v14, v22, v14, vcc_lo
	v_cmp_gt_f64_e32 vcc_lo, 0, v[23:24]
	v_dual_cndmask_b32 v16, v24, v15 :: v_dual_mov_b32 v15, v23
	v_cmp_ngt_f64_e32 vcc_lo, v[13:14], v[15:16]
	s_cbranch_vccz .LBB213_26
; %bb.25:                               ;   in Loop: Header=BB213_21 Depth=1
	v_div_scale_f64 v[13:14], null, v[23:24], v[23:24], v[21:22]
	v_div_scale_f64 v[31:32], vcc_lo, v[21:22], v[23:24], v[21:22]
	s_delay_alu instid0(VALU_DEP_2) | instskip(SKIP_2) | instid1(VALU_DEP_1)
	v_rcp_f64_e32 v[15:16], v[13:14]
	s_waitcnt_depctr 0xfff
	v_fma_f64 v[29:30], -v[13:14], v[15:16], 1.0
	v_fma_f64 v[15:16], v[15:16], v[29:30], v[15:16]
	s_delay_alu instid0(VALU_DEP_1) | instskip(NEXT) | instid1(VALU_DEP_1)
	v_fma_f64 v[29:30], -v[13:14], v[15:16], 1.0
	v_fma_f64 v[15:16], v[15:16], v[29:30], v[15:16]
	s_delay_alu instid0(VALU_DEP_1) | instskip(NEXT) | instid1(VALU_DEP_1)
	v_mul_f64 v[29:30], v[31:32], v[15:16]
	v_fma_f64 v[13:14], -v[13:14], v[29:30], v[31:32]
	s_delay_alu instid0(VALU_DEP_1) | instskip(NEXT) | instid1(VALU_DEP_1)
	v_div_fmas_f64 v[13:14], v[13:14], v[15:16], v[29:30]
	v_div_fixup_f64 v[13:14], v[13:14], v[23:24], v[21:22]
	s_delay_alu instid0(VALU_DEP_1) | instskip(NEXT) | instid1(VALU_DEP_1)
	v_fma_f64 v[15:16], v[21:22], v[13:14], v[23:24]
	v_div_scale_f64 v[29:30], null, v[15:16], v[15:16], 1.0
	v_div_scale_f64 v[35:36], vcc_lo, 1.0, v[15:16], 1.0
	s_delay_alu instid0(VALU_DEP_2) | instskip(SKIP_2) | instid1(VALU_DEP_1)
	v_rcp_f64_e32 v[31:32], v[29:30]
	s_waitcnt_depctr 0xfff
	v_fma_f64 v[33:34], -v[29:30], v[31:32], 1.0
	v_fma_f64 v[31:32], v[31:32], v[33:34], v[31:32]
	s_delay_alu instid0(VALU_DEP_1) | instskip(NEXT) | instid1(VALU_DEP_1)
	v_fma_f64 v[33:34], -v[29:30], v[31:32], 1.0
	v_fma_f64 v[31:32], v[31:32], v[33:34], v[31:32]
	s_delay_alu instid0(VALU_DEP_1) | instskip(NEXT) | instid1(VALU_DEP_1)
	v_mul_f64 v[33:34], v[35:36], v[31:32]
	v_fma_f64 v[29:30], -v[29:30], v[33:34], v[35:36]
	s_delay_alu instid0(VALU_DEP_1) | instskip(SKIP_1) | instid1(VALU_DEP_2)
	v_div_fmas_f64 v[29:30], v[29:30], v[31:32], v[33:34]
	v_fma_f64 v[31:32], v[17:18], v[13:14], v[19:20]
	v_div_fixup_f64 v[15:16], v[29:30], v[15:16], 1.0
	v_fma_f64 v[29:30], v[19:20], v[13:14], -v[17:18]
	s_delay_alu instid0(VALU_DEP_2) | instskip(NEXT) | instid1(VALU_DEP_2)
	v_mul_f64 v[13:14], v[31:32], v[15:16]
	v_mul_f64 v[15:16], v[29:30], v[15:16]
	s_cbranch_execz .LBB213_27
	s_branch .LBB213_28
.LBB213_26:                             ;   in Loop: Header=BB213_21 Depth=1
                                        ; implicit-def: $vgpr15_vgpr16
.LBB213_27:                             ;   in Loop: Header=BB213_21 Depth=1
	v_div_scale_f64 v[13:14], null, v[21:22], v[21:22], v[23:24]
	v_div_scale_f64 v[31:32], vcc_lo, v[23:24], v[21:22], v[23:24]
	s_delay_alu instid0(VALU_DEP_2) | instskip(SKIP_2) | instid1(VALU_DEP_1)
	v_rcp_f64_e32 v[15:16], v[13:14]
	s_waitcnt_depctr 0xfff
	v_fma_f64 v[29:30], -v[13:14], v[15:16], 1.0
	v_fma_f64 v[15:16], v[15:16], v[29:30], v[15:16]
	s_delay_alu instid0(VALU_DEP_1) | instskip(NEXT) | instid1(VALU_DEP_1)
	v_fma_f64 v[29:30], -v[13:14], v[15:16], 1.0
	v_fma_f64 v[15:16], v[15:16], v[29:30], v[15:16]
	s_delay_alu instid0(VALU_DEP_1) | instskip(NEXT) | instid1(VALU_DEP_1)
	v_mul_f64 v[29:30], v[31:32], v[15:16]
	v_fma_f64 v[13:14], -v[13:14], v[29:30], v[31:32]
	s_delay_alu instid0(VALU_DEP_1) | instskip(NEXT) | instid1(VALU_DEP_1)
	v_div_fmas_f64 v[13:14], v[13:14], v[15:16], v[29:30]
	v_div_fixup_f64 v[13:14], v[13:14], v[21:22], v[23:24]
	s_delay_alu instid0(VALU_DEP_1) | instskip(NEXT) | instid1(VALU_DEP_1)
	v_fma_f64 v[15:16], v[23:24], v[13:14], v[21:22]
	v_div_scale_f64 v[21:22], null, v[15:16], v[15:16], 1.0
	v_div_scale_f64 v[31:32], vcc_lo, 1.0, v[15:16], 1.0
	s_delay_alu instid0(VALU_DEP_2) | instskip(SKIP_2) | instid1(VALU_DEP_1)
	v_rcp_f64_e32 v[23:24], v[21:22]
	s_waitcnt_depctr 0xfff
	v_fma_f64 v[29:30], -v[21:22], v[23:24], 1.0
	v_fma_f64 v[23:24], v[23:24], v[29:30], v[23:24]
	s_delay_alu instid0(VALU_DEP_1) | instskip(NEXT) | instid1(VALU_DEP_1)
	v_fma_f64 v[29:30], -v[21:22], v[23:24], 1.0
	v_fma_f64 v[23:24], v[23:24], v[29:30], v[23:24]
	s_delay_alu instid0(VALU_DEP_1) | instskip(NEXT) | instid1(VALU_DEP_1)
	v_mul_f64 v[29:30], v[31:32], v[23:24]
	v_fma_f64 v[21:22], -v[21:22], v[29:30], v[31:32]
	s_delay_alu instid0(VALU_DEP_1) | instskip(SKIP_2) | instid1(VALU_DEP_3)
	v_div_fmas_f64 v[21:22], v[21:22], v[23:24], v[29:30]
	v_fma_f64 v[23:24], v[19:20], v[13:14], v[17:18]
	v_fma_f64 v[17:18], -v[17:18], v[13:14], v[19:20]
	v_div_fixup_f64 v[15:16], v[21:22], v[15:16], 1.0
	s_delay_alu instid0(VALU_DEP_1) | instskip(NEXT) | instid1(VALU_DEP_3)
	v_mul_f64 v[13:14], v[23:24], v[15:16]
	v_mul_f64 v[15:16], v[17:18], v[15:16]
.LBB213_28:                             ;   in Loop: Header=BB213_21 Depth=1
	v_mov_b32_e32 v17, s8
	ds_load_b128 v[21:24], v17 offset:16
	ds_load_b128 v[17:20], v17 offset:208
	ds_store_b128 v28, v[13:16]
	s_waitcnt lgkmcnt(2)
	v_mul_f64 v[29:30], v[15:16], v[23:24]
	v_mul_f64 v[23:24], v[13:14], v[23:24]
	s_waitcnt lgkmcnt(1)
	v_cmp_gt_f64_e32 vcc_lo, 0, v[17:18]
	v_xor_b32_e32 v32, 0x80000000, v20
	v_mov_b32_e32 v31, v19
	v_fma_f64 v[29:30], v[13:14], v[21:22], -v[29:30]
	v_fma_f64 v[23:24], v[15:16], v[21:22], v[23:24]
	v_xor_b32_e32 v22, 0x80000000, v18
	s_delay_alu instid0(VALU_DEP_1) | instskip(SKIP_4) | instid1(VALU_DEP_1)
	v_cndmask_b32_e32 v22, v18, v22, vcc_lo
	v_cmp_gt_f64_e32 vcc_lo, 0, v[19:20]
	v_mov_b32_e32 v21, v17
	v_add_f64 v[23:24], v[11:12], -v[23:24]
	v_cndmask_b32_e32 v32, v20, v32, vcc_lo
	v_cmp_ngt_f64_e32 vcc_lo, v[21:22], v[31:32]
	v_add_f64 v[21:22], v[9:10], -v[29:30]
	s_cbranch_vccz .LBB213_30
; %bb.29:                               ;   in Loop: Header=BB213_21 Depth=1
	v_div_scale_f64 v[9:10], null, v[19:20], v[19:20], v[17:18]
	v_div_scale_f64 v[30:31], vcc_lo, v[17:18], v[19:20], v[17:18]
	s_delay_alu instid0(VALU_DEP_2) | instskip(SKIP_2) | instid1(VALU_DEP_1)
	v_rcp_f64_e32 v[11:12], v[9:10]
	s_waitcnt_depctr 0xfff
	v_fma_f64 v[28:29], -v[9:10], v[11:12], 1.0
	v_fma_f64 v[11:12], v[11:12], v[28:29], v[11:12]
	s_delay_alu instid0(VALU_DEP_1) | instskip(NEXT) | instid1(VALU_DEP_1)
	v_fma_f64 v[28:29], -v[9:10], v[11:12], 1.0
	v_fma_f64 v[11:12], v[11:12], v[28:29], v[11:12]
	s_delay_alu instid0(VALU_DEP_1) | instskip(NEXT) | instid1(VALU_DEP_1)
	v_mul_f64 v[28:29], v[30:31], v[11:12]
	v_fma_f64 v[9:10], -v[9:10], v[28:29], v[30:31]
	s_delay_alu instid0(VALU_DEP_1) | instskip(NEXT) | instid1(VALU_DEP_1)
	v_div_fmas_f64 v[9:10], v[9:10], v[11:12], v[28:29]
	v_div_fixup_f64 v[9:10], v[9:10], v[19:20], v[17:18]
	s_delay_alu instid0(VALU_DEP_1) | instskip(NEXT) | instid1(VALU_DEP_1)
	v_fma_f64 v[11:12], v[17:18], v[9:10], v[19:20]
	v_div_scale_f64 v[28:29], null, v[11:12], v[11:12], 1.0
	v_div_scale_f64 v[34:35], vcc_lo, 1.0, v[11:12], 1.0
	s_delay_alu instid0(VALU_DEP_2) | instskip(SKIP_2) | instid1(VALU_DEP_1)
	v_rcp_f64_e32 v[30:31], v[28:29]
	s_waitcnt_depctr 0xfff
	v_fma_f64 v[32:33], -v[28:29], v[30:31], 1.0
	v_fma_f64 v[30:31], v[30:31], v[32:33], v[30:31]
	s_delay_alu instid0(VALU_DEP_1) | instskip(NEXT) | instid1(VALU_DEP_1)
	v_fma_f64 v[32:33], -v[28:29], v[30:31], 1.0
	v_fma_f64 v[30:31], v[30:31], v[32:33], v[30:31]
	s_delay_alu instid0(VALU_DEP_1) | instskip(NEXT) | instid1(VALU_DEP_1)
	v_mul_f64 v[32:33], v[34:35], v[30:31]
	v_fma_f64 v[28:29], -v[28:29], v[32:33], v[34:35]
	s_delay_alu instid0(VALU_DEP_1) | instskip(SKIP_1) | instid1(VALU_DEP_2)
	v_div_fmas_f64 v[28:29], v[28:29], v[30:31], v[32:33]
	v_fma_f64 v[30:31], v[9:10], v[21:22], v[23:24]
	v_div_fixup_f64 v[11:12], v[28:29], v[11:12], 1.0
	v_fma_f64 v[28:29], v[9:10], v[23:24], -v[21:22]
	s_delay_alu instid0(VALU_DEP_2) | instskip(NEXT) | instid1(VALU_DEP_2)
	v_mul_f64 v[9:10], v[30:31], v[11:12]
	v_mul_f64 v[11:12], v[28:29], v[11:12]
	s_cbranch_execz .LBB213_31
	s_branch .LBB213_32
.LBB213_30:                             ;   in Loop: Header=BB213_21 Depth=1
                                        ; implicit-def: $vgpr11_vgpr12
.LBB213_31:                             ;   in Loop: Header=BB213_21 Depth=1
	v_div_scale_f64 v[9:10], null, v[17:18], v[17:18], v[19:20]
	v_div_scale_f64 v[30:31], vcc_lo, v[19:20], v[17:18], v[19:20]
	s_delay_alu instid0(VALU_DEP_2) | instskip(SKIP_2) | instid1(VALU_DEP_1)
	v_rcp_f64_e32 v[11:12], v[9:10]
	s_waitcnt_depctr 0xfff
	v_fma_f64 v[28:29], -v[9:10], v[11:12], 1.0
	v_fma_f64 v[11:12], v[11:12], v[28:29], v[11:12]
	s_delay_alu instid0(VALU_DEP_1) | instskip(NEXT) | instid1(VALU_DEP_1)
	v_fma_f64 v[28:29], -v[9:10], v[11:12], 1.0
	v_fma_f64 v[11:12], v[11:12], v[28:29], v[11:12]
	s_delay_alu instid0(VALU_DEP_1) | instskip(NEXT) | instid1(VALU_DEP_1)
	v_mul_f64 v[28:29], v[30:31], v[11:12]
	v_fma_f64 v[9:10], -v[9:10], v[28:29], v[30:31]
	s_delay_alu instid0(VALU_DEP_1) | instskip(NEXT) | instid1(VALU_DEP_1)
	v_div_fmas_f64 v[9:10], v[9:10], v[11:12], v[28:29]
	v_div_fixup_f64 v[9:10], v[9:10], v[17:18], v[19:20]
	s_delay_alu instid0(VALU_DEP_1) | instskip(NEXT) | instid1(VALU_DEP_1)
	v_fma_f64 v[11:12], v[19:20], v[9:10], v[17:18]
	v_div_scale_f64 v[17:18], null, v[11:12], v[11:12], 1.0
	v_div_scale_f64 v[30:31], vcc_lo, 1.0, v[11:12], 1.0
	s_delay_alu instid0(VALU_DEP_2) | instskip(SKIP_2) | instid1(VALU_DEP_1)
	v_rcp_f64_e32 v[19:20], v[17:18]
	s_waitcnt_depctr 0xfff
	v_fma_f64 v[28:29], -v[17:18], v[19:20], 1.0
	v_fma_f64 v[19:20], v[19:20], v[28:29], v[19:20]
	s_delay_alu instid0(VALU_DEP_1) | instskip(NEXT) | instid1(VALU_DEP_1)
	v_fma_f64 v[28:29], -v[17:18], v[19:20], 1.0
	v_fma_f64 v[19:20], v[19:20], v[28:29], v[19:20]
	s_delay_alu instid0(VALU_DEP_1) | instskip(NEXT) | instid1(VALU_DEP_1)
	v_mul_f64 v[28:29], v[30:31], v[19:20]
	v_fma_f64 v[17:18], -v[17:18], v[28:29], v[30:31]
	s_delay_alu instid0(VALU_DEP_1) | instskip(SKIP_1) | instid1(VALU_DEP_2)
	v_div_fmas_f64 v[17:18], v[17:18], v[19:20], v[28:29]
	v_fma_f64 v[19:20], v[9:10], v[23:24], v[21:22]
	v_div_fixup_f64 v[11:12], v[17:18], v[11:12], 1.0
	v_fma_f64 v[17:18], -v[9:10], v[21:22], v[23:24]
	s_delay_alu instid0(VALU_DEP_2) | instskip(NEXT) | instid1(VALU_DEP_2)
	v_mul_f64 v[9:10], v[19:20], v[11:12]
	v_mul_f64 v[11:12], v[17:18], v[11:12]
.LBB213_32:                             ;   in Loop: Header=BB213_21 Depth=1
	s_add_i32 s7, s7, s5
	s_delay_alu instid0(SALU_CYCLE_1) | instskip(NEXT) | instid1(SALU_CYCLE_1)
	s_lshl_b32 s7, s7, 4
	v_dual_mov_b32 v17, s8 :: v_dual_mov_b32 v28, s7
	ds_load_b128 v[21:24], v17 offset:32
	ds_load_b128 v[17:20], v17 offset:416
	;; [unrolled: 1-line block ×3, first 2 shown]
	ds_store_b128 v27, v[9:12]
	s_waitcnt lgkmcnt(3)
	v_mul_f64 v[32:33], v[15:16], v[23:24]
	v_mul_f64 v[23:24], v[13:14], v[23:24]
	s_waitcnt lgkmcnt(1)
	v_mul_f64 v[34:35], v[11:12], v[30:31]
	v_mul_f64 v[30:31], v[9:10], v[30:31]
	v_cmp_gt_f64_e32 vcc_lo, 0, v[17:18]
	v_fma_f64 v[32:33], v[13:14], v[21:22], -v[32:33]
	v_fma_f64 v[21:22], v[15:16], v[21:22], v[23:24]
	v_fma_f64 v[23:24], v[9:10], v[28:29], -v[34:35]
	v_fma_f64 v[28:29], v[11:12], v[28:29], v[30:31]
	v_xor_b32_e32 v31, 0x80000000, v20
	v_mov_b32_e32 v30, v19
	v_add_f64 v[5:6], v[5:6], -v[32:33]
	v_add_f64 v[7:8], v[7:8], -v[21:22]
	v_xor_b32_e32 v22, 0x80000000, v18
	s_delay_alu instid0(VALU_DEP_1) | instskip(SKIP_2) | instid1(VALU_DEP_1)
	v_dual_mov_b32 v21, v17 :: v_dual_cndmask_b32 v22, v18, v22
	v_cmp_gt_f64_e32 vcc_lo, 0, v[19:20]
	v_cndmask_b32_e32 v31, v20, v31, vcc_lo
	v_cmp_ngt_f64_e32 vcc_lo, v[21:22], v[30:31]
	v_add_f64 v[21:22], v[5:6], -v[23:24]
	v_add_f64 v[23:24], v[7:8], -v[28:29]
	s_cbranch_vccz .LBB213_34
; %bb.33:                               ;   in Loop: Header=BB213_21 Depth=1
	v_div_scale_f64 v[5:6], null, v[19:20], v[19:20], v[17:18]
	v_div_scale_f64 v[29:30], vcc_lo, v[17:18], v[19:20], v[17:18]
	s_delay_alu instid0(VALU_DEP_2) | instskip(SKIP_2) | instid1(VALU_DEP_1)
	v_rcp_f64_e32 v[7:8], v[5:6]
	s_waitcnt_depctr 0xfff
	v_fma_f64 v[27:28], -v[5:6], v[7:8], 1.0
	v_fma_f64 v[7:8], v[7:8], v[27:28], v[7:8]
	s_delay_alu instid0(VALU_DEP_1) | instskip(NEXT) | instid1(VALU_DEP_1)
	v_fma_f64 v[27:28], -v[5:6], v[7:8], 1.0
	v_fma_f64 v[7:8], v[7:8], v[27:28], v[7:8]
	s_delay_alu instid0(VALU_DEP_1) | instskip(NEXT) | instid1(VALU_DEP_1)
	v_mul_f64 v[27:28], v[29:30], v[7:8]
	v_fma_f64 v[5:6], -v[5:6], v[27:28], v[29:30]
	s_delay_alu instid0(VALU_DEP_1) | instskip(NEXT) | instid1(VALU_DEP_1)
	v_div_fmas_f64 v[5:6], v[5:6], v[7:8], v[27:28]
	v_div_fixup_f64 v[5:6], v[5:6], v[19:20], v[17:18]
	s_delay_alu instid0(VALU_DEP_1) | instskip(NEXT) | instid1(VALU_DEP_1)
	v_fma_f64 v[7:8], v[17:18], v[5:6], v[19:20]
	v_div_scale_f64 v[27:28], null, v[7:8], v[7:8], 1.0
	v_div_scale_f64 v[33:34], vcc_lo, 1.0, v[7:8], 1.0
	s_delay_alu instid0(VALU_DEP_2) | instskip(SKIP_2) | instid1(VALU_DEP_1)
	v_rcp_f64_e32 v[29:30], v[27:28]
	s_waitcnt_depctr 0xfff
	v_fma_f64 v[31:32], -v[27:28], v[29:30], 1.0
	v_fma_f64 v[29:30], v[29:30], v[31:32], v[29:30]
	s_delay_alu instid0(VALU_DEP_1) | instskip(NEXT) | instid1(VALU_DEP_1)
	v_fma_f64 v[31:32], -v[27:28], v[29:30], 1.0
	v_fma_f64 v[29:30], v[29:30], v[31:32], v[29:30]
	s_delay_alu instid0(VALU_DEP_1) | instskip(NEXT) | instid1(VALU_DEP_1)
	v_mul_f64 v[31:32], v[33:34], v[29:30]
	v_fma_f64 v[27:28], -v[27:28], v[31:32], v[33:34]
	s_delay_alu instid0(VALU_DEP_1) | instskip(SKIP_1) | instid1(VALU_DEP_2)
	v_div_fmas_f64 v[27:28], v[27:28], v[29:30], v[31:32]
	v_fma_f64 v[29:30], v[5:6], v[21:22], v[23:24]
	v_div_fixup_f64 v[7:8], v[27:28], v[7:8], 1.0
	v_fma_f64 v[27:28], v[5:6], v[23:24], -v[21:22]
	s_delay_alu instid0(VALU_DEP_2) | instskip(NEXT) | instid1(VALU_DEP_2)
	v_mul_f64 v[5:6], v[29:30], v[7:8]
	v_mul_f64 v[7:8], v[27:28], v[7:8]
	s_cbranch_execz .LBB213_35
	s_branch .LBB213_36
.LBB213_34:                             ;   in Loop: Header=BB213_21 Depth=1
                                        ; implicit-def: $vgpr7_vgpr8
.LBB213_35:                             ;   in Loop: Header=BB213_21 Depth=1
	v_div_scale_f64 v[5:6], null, v[17:18], v[17:18], v[19:20]
	v_div_scale_f64 v[29:30], vcc_lo, v[19:20], v[17:18], v[19:20]
	s_delay_alu instid0(VALU_DEP_2) | instskip(SKIP_2) | instid1(VALU_DEP_1)
	v_rcp_f64_e32 v[7:8], v[5:6]
	s_waitcnt_depctr 0xfff
	v_fma_f64 v[27:28], -v[5:6], v[7:8], 1.0
	v_fma_f64 v[7:8], v[7:8], v[27:28], v[7:8]
	s_delay_alu instid0(VALU_DEP_1) | instskip(NEXT) | instid1(VALU_DEP_1)
	v_fma_f64 v[27:28], -v[5:6], v[7:8], 1.0
	v_fma_f64 v[7:8], v[7:8], v[27:28], v[7:8]
	s_delay_alu instid0(VALU_DEP_1) | instskip(NEXT) | instid1(VALU_DEP_1)
	v_mul_f64 v[27:28], v[29:30], v[7:8]
	v_fma_f64 v[5:6], -v[5:6], v[27:28], v[29:30]
	s_delay_alu instid0(VALU_DEP_1) | instskip(NEXT) | instid1(VALU_DEP_1)
	v_div_fmas_f64 v[5:6], v[5:6], v[7:8], v[27:28]
	v_div_fixup_f64 v[5:6], v[5:6], v[17:18], v[19:20]
	s_delay_alu instid0(VALU_DEP_1) | instskip(NEXT) | instid1(VALU_DEP_1)
	v_fma_f64 v[7:8], v[19:20], v[5:6], v[17:18]
	v_div_scale_f64 v[17:18], null, v[7:8], v[7:8], 1.0
	v_div_scale_f64 v[29:30], vcc_lo, 1.0, v[7:8], 1.0
	s_delay_alu instid0(VALU_DEP_2) | instskip(SKIP_2) | instid1(VALU_DEP_1)
	v_rcp_f64_e32 v[19:20], v[17:18]
	s_waitcnt_depctr 0xfff
	v_fma_f64 v[27:28], -v[17:18], v[19:20], 1.0
	v_fma_f64 v[19:20], v[19:20], v[27:28], v[19:20]
	s_delay_alu instid0(VALU_DEP_1) | instskip(NEXT) | instid1(VALU_DEP_1)
	v_fma_f64 v[27:28], -v[17:18], v[19:20], 1.0
	v_fma_f64 v[19:20], v[19:20], v[27:28], v[19:20]
	s_delay_alu instid0(VALU_DEP_1) | instskip(NEXT) | instid1(VALU_DEP_1)
	v_mul_f64 v[27:28], v[29:30], v[19:20]
	v_fma_f64 v[17:18], -v[17:18], v[27:28], v[29:30]
	s_delay_alu instid0(VALU_DEP_1) | instskip(SKIP_1) | instid1(VALU_DEP_2)
	v_div_fmas_f64 v[17:18], v[17:18], v[19:20], v[27:28]
	v_fma_f64 v[19:20], v[5:6], v[23:24], v[21:22]
	v_div_fixup_f64 v[7:8], v[17:18], v[7:8], 1.0
	v_fma_f64 v[17:18], -v[5:6], v[21:22], v[23:24]
	s_delay_alu instid0(VALU_DEP_2) | instskip(NEXT) | instid1(VALU_DEP_2)
	v_mul_f64 v[5:6], v[19:20], v[7:8]
	v_mul_f64 v[7:8], v[17:18], v[7:8]
.LBB213_36:                             ;   in Loop: Header=BB213_21 Depth=1
	v_mov_b32_e32 v17, s8
	s_add_i32 s6, s6, s5
	ds_load_b128 v[21:24], v17 offset:48
	ds_load_b128 v[17:20], v17 offset:624
	v_mov_b32_e32 v27, s7
	s_lshl_b32 s6, s6, 4
	ds_store_b128 v26, v[5:8]
	v_mov_b32_e32 v31, s6
	ds_load_b128 v[27:30], v27 offset:48
	ds_load_b128 v[31:34], v31 offset:48
	s_waitcnt lgkmcnt(4)
	v_mul_f64 v[35:36], v[15:16], v[23:24]
	v_mul_f64 v[23:24], v[13:14], v[23:24]
	s_waitcnt lgkmcnt(3)
	v_cmp_gt_f64_e32 vcc_lo, 0, v[17:18]
	s_waitcnt lgkmcnt(1)
	v_mul_f64 v[37:38], v[11:12], v[29:30]
	v_mul_f64 v[29:30], v[9:10], v[29:30]
	v_fma_f64 v[13:14], v[13:14], v[21:22], -v[35:36]
	v_fma_f64 v[15:16], v[15:16], v[21:22], v[23:24]
	s_waitcnt lgkmcnt(0)
	v_mul_f64 v[21:22], v[7:8], v[33:34]
	v_mul_f64 v[23:24], v[5:6], v[33:34]
	v_fma_f64 v[9:10], v[9:10], v[27:28], -v[37:38]
	v_fma_f64 v[11:12], v[11:12], v[27:28], v[29:30]
	v_add_f64 v[1:2], v[1:2], -v[13:14]
	v_add_f64 v[3:4], v[3:4], -v[15:16]
	v_fma_f64 v[13:14], v[5:6], v[31:32], -v[21:22]
	v_fma_f64 v[15:16], v[7:8], v[31:32], v[23:24]
	s_delay_alu instid0(VALU_DEP_4) | instskip(SKIP_4) | instid1(VALU_DEP_4)
	v_add_f64 v[1:2], v[1:2], -v[9:10]
	v_xor_b32_e32 v10, 0x80000000, v18
	v_add_f64 v[3:4], v[3:4], -v[11:12]
	v_xor_b32_e32 v12, 0x80000000, v20
	v_mov_b32_e32 v9, v17
	v_dual_mov_b32 v11, v19 :: v_dual_cndmask_b32 v10, v18, v10
	v_cmp_gt_f64_e32 vcc_lo, 0, v[19:20]
	s_delay_alu instid0(VALU_DEP_4) | instskip(NEXT) | instid1(VALU_DEP_1)
	v_cndmask_b32_e32 v12, v20, v12, vcc_lo
	v_cmp_ngt_f64_e32 vcc_lo, v[9:10], v[11:12]
	v_add_f64 v[9:10], v[1:2], -v[13:14]
	v_add_f64 v[11:12], v[3:4], -v[15:16]
	s_cbranch_vccz .LBB213_38
; %bb.37:                               ;   in Loop: Header=BB213_21 Depth=1
	v_div_scale_f64 v[1:2], null, v[19:20], v[19:20], v[17:18]
	v_div_scale_f64 v[7:8], vcc_lo, v[17:18], v[19:20], v[17:18]
	s_delay_alu instid0(VALU_DEP_2) | instskip(SKIP_2) | instid1(VALU_DEP_1)
	v_rcp_f64_e32 v[3:4], v[1:2]
	s_waitcnt_depctr 0xfff
	v_fma_f64 v[5:6], -v[1:2], v[3:4], 1.0
	v_fma_f64 v[3:4], v[3:4], v[5:6], v[3:4]
	s_delay_alu instid0(VALU_DEP_1) | instskip(NEXT) | instid1(VALU_DEP_1)
	v_fma_f64 v[5:6], -v[1:2], v[3:4], 1.0
	v_fma_f64 v[3:4], v[3:4], v[5:6], v[3:4]
	s_delay_alu instid0(VALU_DEP_1) | instskip(NEXT) | instid1(VALU_DEP_1)
	v_mul_f64 v[5:6], v[7:8], v[3:4]
	v_fma_f64 v[1:2], -v[1:2], v[5:6], v[7:8]
	s_delay_alu instid0(VALU_DEP_1) | instskip(NEXT) | instid1(VALU_DEP_1)
	v_div_fmas_f64 v[1:2], v[1:2], v[3:4], v[5:6]
	v_div_fixup_f64 v[1:2], v[1:2], v[19:20], v[17:18]
	s_delay_alu instid0(VALU_DEP_1) | instskip(NEXT) | instid1(VALU_DEP_1)
	v_fma_f64 v[3:4], v[17:18], v[1:2], v[19:20]
	v_div_scale_f64 v[5:6], null, v[3:4], v[3:4], 1.0
	v_div_scale_f64 v[15:16], vcc_lo, 1.0, v[3:4], 1.0
	s_delay_alu instid0(VALU_DEP_2) | instskip(SKIP_2) | instid1(VALU_DEP_1)
	v_rcp_f64_e32 v[7:8], v[5:6]
	s_waitcnt_depctr 0xfff
	v_fma_f64 v[13:14], -v[5:6], v[7:8], 1.0
	v_fma_f64 v[7:8], v[7:8], v[13:14], v[7:8]
	s_delay_alu instid0(VALU_DEP_1) | instskip(NEXT) | instid1(VALU_DEP_1)
	v_fma_f64 v[13:14], -v[5:6], v[7:8], 1.0
	v_fma_f64 v[7:8], v[7:8], v[13:14], v[7:8]
	s_delay_alu instid0(VALU_DEP_1) | instskip(NEXT) | instid1(VALU_DEP_1)
	v_mul_f64 v[13:14], v[15:16], v[7:8]
	v_fma_f64 v[5:6], -v[5:6], v[13:14], v[15:16]
	s_delay_alu instid0(VALU_DEP_1) | instskip(SKIP_1) | instid1(VALU_DEP_2)
	v_div_fmas_f64 v[5:6], v[5:6], v[7:8], v[13:14]
	v_fma_f64 v[7:8], v[1:2], v[9:10], v[11:12]
	v_div_fixup_f64 v[3:4], v[5:6], v[3:4], 1.0
	v_fma_f64 v[5:6], v[1:2], v[11:12], -v[9:10]
	s_delay_alu instid0(VALU_DEP_2) | instskip(NEXT) | instid1(VALU_DEP_2)
	v_mul_f64 v[1:2], v[7:8], v[3:4]
	v_mul_f64 v[3:4], v[5:6], v[3:4]
	s_cbranch_execz .LBB213_39
	s_branch .LBB213_40
.LBB213_38:                             ;   in Loop: Header=BB213_21 Depth=1
                                        ; implicit-def: $vgpr3_vgpr4
.LBB213_39:                             ;   in Loop: Header=BB213_21 Depth=1
	v_div_scale_f64 v[1:2], null, v[17:18], v[17:18], v[19:20]
	v_div_scale_f64 v[7:8], vcc_lo, v[19:20], v[17:18], v[19:20]
	s_delay_alu instid0(VALU_DEP_2) | instskip(SKIP_2) | instid1(VALU_DEP_1)
	v_rcp_f64_e32 v[3:4], v[1:2]
	s_waitcnt_depctr 0xfff
	v_fma_f64 v[5:6], -v[1:2], v[3:4], 1.0
	v_fma_f64 v[3:4], v[3:4], v[5:6], v[3:4]
	s_delay_alu instid0(VALU_DEP_1) | instskip(NEXT) | instid1(VALU_DEP_1)
	v_fma_f64 v[5:6], -v[1:2], v[3:4], 1.0
	v_fma_f64 v[3:4], v[3:4], v[5:6], v[3:4]
	s_delay_alu instid0(VALU_DEP_1) | instskip(NEXT) | instid1(VALU_DEP_1)
	v_mul_f64 v[5:6], v[7:8], v[3:4]
	v_fma_f64 v[1:2], -v[1:2], v[5:6], v[7:8]
	s_delay_alu instid0(VALU_DEP_1) | instskip(NEXT) | instid1(VALU_DEP_1)
	v_div_fmas_f64 v[1:2], v[1:2], v[3:4], v[5:6]
	v_div_fixup_f64 v[1:2], v[1:2], v[17:18], v[19:20]
	s_delay_alu instid0(VALU_DEP_1) | instskip(NEXT) | instid1(VALU_DEP_1)
	v_fma_f64 v[3:4], v[19:20], v[1:2], v[17:18]
	v_div_scale_f64 v[5:6], null, v[3:4], v[3:4], 1.0
	v_div_scale_f64 v[15:16], vcc_lo, 1.0, v[3:4], 1.0
	s_delay_alu instid0(VALU_DEP_2) | instskip(SKIP_2) | instid1(VALU_DEP_1)
	v_rcp_f64_e32 v[7:8], v[5:6]
	s_waitcnt_depctr 0xfff
	v_fma_f64 v[13:14], -v[5:6], v[7:8], 1.0
	v_fma_f64 v[7:8], v[7:8], v[13:14], v[7:8]
	s_delay_alu instid0(VALU_DEP_1) | instskip(NEXT) | instid1(VALU_DEP_1)
	v_fma_f64 v[13:14], -v[5:6], v[7:8], 1.0
	v_fma_f64 v[7:8], v[7:8], v[13:14], v[7:8]
	s_delay_alu instid0(VALU_DEP_1) | instskip(NEXT) | instid1(VALU_DEP_1)
	v_mul_f64 v[13:14], v[15:16], v[7:8]
	v_fma_f64 v[5:6], -v[5:6], v[13:14], v[15:16]
	s_delay_alu instid0(VALU_DEP_1) | instskip(SKIP_1) | instid1(VALU_DEP_2)
	v_div_fmas_f64 v[5:6], v[5:6], v[7:8], v[13:14]
	v_fma_f64 v[7:8], v[1:2], v[11:12], v[9:10]
	v_div_fixup_f64 v[3:4], v[5:6], v[3:4], 1.0
	v_fma_f64 v[5:6], -v[1:2], v[9:10], v[11:12]
	s_delay_alu instid0(VALU_DEP_2) | instskip(NEXT) | instid1(VALU_DEP_2)
	v_mul_f64 v[1:2], v[7:8], v[3:4]
	v_mul_f64 v[3:4], v[5:6], v[3:4]
.LBB213_40:                             ;   in Loop: Header=BB213_21 Depth=1
	s_add_i32 s6, s5, 4
	s_add_i32 s5, s5, 7
	;; [unrolled: 1-line block ×3, first 2 shown]
	s_cmp_ge_i32 s5, s28
	ds_store_b128 v26, v[1:4] offset:192
	s_cbranch_scc1 .LBB213_42
; %bb.41:                               ;   in Loop: Header=BB213_21 Depth=1
	s_mov_b32 s5, s6
	s_branch .LBB213_21
.LBB213_42:
	s_cmp_ge_i32 s6, s28
	s_cbranch_scc1 .LBB213_57
; %bb.43:
	v_lshl_or_b32 v13, v0, 4, 0x900
	s_add_i32 s4, s6, -1
	s_lshl_b32 s5, s6, 4
	s_mov_b32 s7, 0
	s_mov_b32 s8, s6
	s_branch .LBB213_45
.LBB213_44:                             ;   in Loop: Header=BB213_45 Depth=1
	v_add_nc_u16 v1, s8, 1
	s_add_i32 s6, s6, 1
	s_add_i32 s7, s7, 1
	s_add_i32 s5, s5, 16
	s_cmp_ge_i32 s6, s28
	v_readfirstlane_b32 s8, v1
	ds_store_b128 v14, v[9:12]
	s_cbranch_scc1 .LBB213_57
.LBB213_45:                             ; =>This Loop Header: Depth=1
                                        ;     Child Loop BB213_48 Depth 2
                                        ;     Child Loop BB213_52 Depth 2
	s_mul_i32 s9, s6, 12
	s_cmp_eq_u32 s6, 0
	v_add_lshl_u32 v5, s9, v0, 4
	ds_load_b128 v[1:4], v5 offset:2304
	s_cbranch_scc1 .LBB213_53
; %bb.46:                               ;   in Loop: Header=BB213_45 Depth=1
	s_add_i32 s9, s4, s7
	s_delay_alu instid0(SALU_CYCLE_1)
	s_cmp_lt_u32 s9, 3
	s_cbranch_scc1 .LBB213_50
; %bb.47:                               ;   in Loop: Header=BB213_45 Depth=1
	v_mov_b32_e32 v6, v13
	s_and_b32 s9, s6, -4
	s_mov_b32 s10, 0
	s_mov_b32 s11, s5
.LBB213_48:                             ;   Parent Loop BB213_45 Depth=1
                                        ; =>  This Inner Loop Header: Depth=2
	s_delay_alu instid0(SALU_CYCLE_1)
	v_mov_b32_e32 v30, s11
	s_add_i32 s10, s10, 4
	s_addk_i32 s11, 0x300
	s_cmp_eq_u32 s9, s10
	ds_load_b128 v[7:10], v6
	ds_load_b128 v[14:17], v30
	ds_load_b128 v[18:21], v6 offset:192
	ds_load_b128 v[22:25], v30 offset:192
	s_waitcnt lgkmcnt(2)
	v_mul_f64 v[11:12], v[16:17], v[9:10]
	v_mul_f64 v[9:10], v[14:15], v[9:10]
	s_waitcnt lgkmcnt(0)
	v_mul_f64 v[34:35], v[24:25], v[20:21]
	v_mul_f64 v[20:21], v[22:23], v[20:21]
	s_delay_alu instid0(VALU_DEP_4) | instskip(NEXT) | instid1(VALU_DEP_4)
	v_fma_f64 v[11:12], v[14:15], v[7:8], -v[11:12]
	v_fma_f64 v[36:37], v[16:17], v[7:8], v[9:10]
	ds_load_b128 v[7:10], v6 offset:384
	ds_load_b128 v[14:17], v30 offset:384
	;; [unrolled: 1-line block ×4, first 2 shown]
	v_fma_f64 v[22:23], v[22:23], v[18:19], -v[34:35]
	v_fma_f64 v[18:19], v[24:25], v[18:19], v[20:21]
	v_add_nc_u32_e32 v6, 0x300, v6
	s_waitcnt lgkmcnt(2)
	v_mul_f64 v[38:39], v[16:17], v[9:10]
	v_mul_f64 v[9:10], v[14:15], v[9:10]
	s_waitcnt lgkmcnt(0)
	v_mul_f64 v[20:21], v[30:31], v[28:29]
	v_add_f64 v[1:2], v[1:2], -v[11:12]
	v_add_f64 v[3:4], v[3:4], -v[36:37]
	v_mul_f64 v[11:12], v[32:33], v[28:29]
	v_fma_f64 v[14:15], v[14:15], v[7:8], -v[38:39]
	v_fma_f64 v[7:8], v[16:17], v[7:8], v[9:10]
	v_add_f64 v[1:2], v[1:2], -v[22:23]
	v_add_f64 v[3:4], v[3:4], -v[18:19]
	v_fma_f64 v[9:10], v[30:31], v[26:27], -v[11:12]
	v_fma_f64 v[11:12], v[32:33], v[26:27], v[20:21]
	s_delay_alu instid0(VALU_DEP_4) | instskip(NEXT) | instid1(VALU_DEP_4)
	v_add_f64 v[1:2], v[1:2], -v[14:15]
	v_add_f64 v[3:4], v[3:4], -v[7:8]
	s_delay_alu instid0(VALU_DEP_2) | instskip(NEXT) | instid1(VALU_DEP_2)
	v_add_f64 v[1:2], v[1:2], -v[9:10]
	v_add_f64 v[3:4], v[3:4], -v[11:12]
	s_cbranch_scc0 .LBB213_48
; %bb.49:                               ;   in Loop: Header=BB213_45 Depth=1
	s_and_b32 s10, s6, 3
	s_delay_alu instid0(SALU_CYCLE_1)
	s_cmp_eq_u32 s10, 0
	s_cbranch_scc0 .LBB213_51
	s_branch .LBB213_53
.LBB213_50:                             ;   in Loop: Header=BB213_45 Depth=1
	s_mov_b32 s9, 0
	s_and_b32 s10, s6, 3
	s_delay_alu instid0(SALU_CYCLE_1)
	s_cmp_eq_u32 s10, 0
	s_cbranch_scc1 .LBB213_53
.LBB213_51:                             ;   in Loop: Header=BB213_45 Depth=1
	s_and_b32 s10, s8, 3
	s_mulk_i32 s9, 0xc0
	.p2align	6
.LBB213_52:                             ;   Parent Loop BB213_45 Depth=1
                                        ; =>  This Inner Loop Header: Depth=2
	s_delay_alu instid0(SALU_CYCLE_1)
	s_add_i32 s11, s5, s9
	v_add_nc_u32_e32 v6, s9, v13
	v_mov_b32_e32 v10, s11
	s_add_i32 s10, s10, -1
	s_addk_i32 s9, 0xc0
	s_cmp_lg_u32 s10, 0
	ds_load_b128 v[6:9], v6
	ds_load_b128 v[14:17], v10
	s_waitcnt lgkmcnt(0)
	v_mul_f64 v[10:11], v[16:17], v[8:9]
	v_mul_f64 v[8:9], v[14:15], v[8:9]
	s_delay_alu instid0(VALU_DEP_2) | instskip(NEXT) | instid1(VALU_DEP_2)
	v_fma_f64 v[10:11], v[14:15], v[6:7], -v[10:11]
	v_fma_f64 v[6:7], v[16:17], v[6:7], v[8:9]
	s_delay_alu instid0(VALU_DEP_2) | instskip(NEXT) | instid1(VALU_DEP_2)
	v_add_f64 v[1:2], v[1:2], -v[10:11]
	v_add_f64 v[3:4], v[3:4], -v[6:7]
	s_cbranch_scc1 .LBB213_52
.LBB213_53:                             ;   in Loop: Header=BB213_45 Depth=1
	s_mul_i32 s9, s6, 0xd0
	s_delay_alu instid0(SALU_CYCLE_1)
	v_dual_mov_b32 v5, s9 :: v_dual_add_nc_u32 v14, 0x900, v5
	ds_load_b128 v[5:8], v5
	s_waitcnt lgkmcnt(0)
	v_cmp_gt_f64_e32 vcc_lo, 0, v[5:6]
	v_xor_b32_e32 v10, 0x80000000, v6
	v_mov_b32_e32 v9, v5
	v_xor_b32_e32 v11, 0x80000000, v8
	s_delay_alu instid0(VALU_DEP_3) | instskip(SKIP_1) | instid1(VALU_DEP_3)
	v_cndmask_b32_e32 v10, v6, v10, vcc_lo
	v_cmp_gt_f64_e32 vcc_lo, 0, v[7:8]
	v_dual_cndmask_b32 v12, v8, v11 :: v_dual_mov_b32 v11, v7
	s_delay_alu instid0(VALU_DEP_1)
	v_cmp_ngt_f64_e32 vcc_lo, v[9:10], v[11:12]
	s_cbranch_vccz .LBB213_55
; %bb.54:                               ;   in Loop: Header=BB213_45 Depth=1
	v_div_scale_f64 v[9:10], null, v[7:8], v[7:8], v[5:6]
	v_div_scale_f64 v[17:18], vcc_lo, v[5:6], v[7:8], v[5:6]
	s_delay_alu instid0(VALU_DEP_2) | instskip(SKIP_2) | instid1(VALU_DEP_1)
	v_rcp_f64_e32 v[11:12], v[9:10]
	s_waitcnt_depctr 0xfff
	v_fma_f64 v[15:16], -v[9:10], v[11:12], 1.0
	v_fma_f64 v[11:12], v[11:12], v[15:16], v[11:12]
	s_delay_alu instid0(VALU_DEP_1) | instskip(NEXT) | instid1(VALU_DEP_1)
	v_fma_f64 v[15:16], -v[9:10], v[11:12], 1.0
	v_fma_f64 v[11:12], v[11:12], v[15:16], v[11:12]
	s_delay_alu instid0(VALU_DEP_1) | instskip(NEXT) | instid1(VALU_DEP_1)
	v_mul_f64 v[15:16], v[17:18], v[11:12]
	v_fma_f64 v[9:10], -v[9:10], v[15:16], v[17:18]
	s_delay_alu instid0(VALU_DEP_1) | instskip(NEXT) | instid1(VALU_DEP_1)
	v_div_fmas_f64 v[9:10], v[9:10], v[11:12], v[15:16]
	v_div_fixup_f64 v[9:10], v[9:10], v[7:8], v[5:6]
	s_delay_alu instid0(VALU_DEP_1) | instskip(NEXT) | instid1(VALU_DEP_1)
	v_fma_f64 v[11:12], v[5:6], v[9:10], v[7:8]
	v_div_scale_f64 v[15:16], null, v[11:12], v[11:12], 1.0
	v_div_scale_f64 v[21:22], vcc_lo, 1.0, v[11:12], 1.0
	s_delay_alu instid0(VALU_DEP_2) | instskip(SKIP_2) | instid1(VALU_DEP_1)
	v_rcp_f64_e32 v[17:18], v[15:16]
	s_waitcnt_depctr 0xfff
	v_fma_f64 v[19:20], -v[15:16], v[17:18], 1.0
	v_fma_f64 v[17:18], v[17:18], v[19:20], v[17:18]
	s_delay_alu instid0(VALU_DEP_1) | instskip(NEXT) | instid1(VALU_DEP_1)
	v_fma_f64 v[19:20], -v[15:16], v[17:18], 1.0
	v_fma_f64 v[17:18], v[17:18], v[19:20], v[17:18]
	s_delay_alu instid0(VALU_DEP_1) | instskip(NEXT) | instid1(VALU_DEP_1)
	v_mul_f64 v[19:20], v[21:22], v[17:18]
	v_fma_f64 v[15:16], -v[15:16], v[19:20], v[21:22]
	s_delay_alu instid0(VALU_DEP_1) | instskip(SKIP_1) | instid1(VALU_DEP_2)
	v_div_fmas_f64 v[15:16], v[15:16], v[17:18], v[19:20]
	v_fma_f64 v[17:18], v[1:2], v[9:10], v[3:4]
	v_div_fixup_f64 v[11:12], v[15:16], v[11:12], 1.0
	v_fma_f64 v[15:16], v[3:4], v[9:10], -v[1:2]
	s_delay_alu instid0(VALU_DEP_2) | instskip(NEXT) | instid1(VALU_DEP_2)
	v_mul_f64 v[9:10], v[17:18], v[11:12]
	v_mul_f64 v[11:12], v[15:16], v[11:12]
	s_cbranch_execnz .LBB213_44
	s_branch .LBB213_56
.LBB213_55:                             ;   in Loop: Header=BB213_45 Depth=1
                                        ; implicit-def: $vgpr9_vgpr10
.LBB213_56:                             ;   in Loop: Header=BB213_45 Depth=1
	v_div_scale_f64 v[9:10], null, v[5:6], v[5:6], v[7:8]
	v_div_scale_f64 v[17:18], vcc_lo, v[7:8], v[5:6], v[7:8]
	s_delay_alu instid0(VALU_DEP_2) | instskip(SKIP_2) | instid1(VALU_DEP_1)
	v_rcp_f64_e32 v[11:12], v[9:10]
	s_waitcnt_depctr 0xfff
	v_fma_f64 v[15:16], -v[9:10], v[11:12], 1.0
	v_fma_f64 v[11:12], v[11:12], v[15:16], v[11:12]
	s_delay_alu instid0(VALU_DEP_1) | instskip(NEXT) | instid1(VALU_DEP_1)
	v_fma_f64 v[15:16], -v[9:10], v[11:12], 1.0
	v_fma_f64 v[11:12], v[11:12], v[15:16], v[11:12]
	s_delay_alu instid0(VALU_DEP_1) | instskip(NEXT) | instid1(VALU_DEP_1)
	v_mul_f64 v[15:16], v[17:18], v[11:12]
	v_fma_f64 v[9:10], -v[9:10], v[15:16], v[17:18]
	s_delay_alu instid0(VALU_DEP_1) | instskip(NEXT) | instid1(VALU_DEP_1)
	v_div_fmas_f64 v[9:10], v[9:10], v[11:12], v[15:16]
	v_div_fixup_f64 v[9:10], v[9:10], v[5:6], v[7:8]
	s_delay_alu instid0(VALU_DEP_1) | instskip(NEXT) | instid1(VALU_DEP_1)
	v_fma_f64 v[5:6], v[7:8], v[9:10], v[5:6]
	v_div_scale_f64 v[7:8], null, v[5:6], v[5:6], 1.0
	v_div_scale_f64 v[17:18], vcc_lo, 1.0, v[5:6], 1.0
	s_delay_alu instid0(VALU_DEP_2) | instskip(SKIP_2) | instid1(VALU_DEP_1)
	v_rcp_f64_e32 v[11:12], v[7:8]
	s_waitcnt_depctr 0xfff
	v_fma_f64 v[15:16], -v[7:8], v[11:12], 1.0
	v_fma_f64 v[11:12], v[11:12], v[15:16], v[11:12]
	s_delay_alu instid0(VALU_DEP_1) | instskip(NEXT) | instid1(VALU_DEP_1)
	v_fma_f64 v[15:16], -v[7:8], v[11:12], 1.0
	v_fma_f64 v[11:12], v[11:12], v[15:16], v[11:12]
	s_delay_alu instid0(VALU_DEP_1) | instskip(NEXT) | instid1(VALU_DEP_1)
	v_mul_f64 v[15:16], v[17:18], v[11:12]
	v_fma_f64 v[7:8], -v[7:8], v[15:16], v[17:18]
	s_delay_alu instid0(VALU_DEP_1) | instskip(SKIP_2) | instid1(VALU_DEP_3)
	v_div_fmas_f64 v[7:8], v[7:8], v[11:12], v[15:16]
	v_fma_f64 v[11:12], v[3:4], v[9:10], v[1:2]
	v_fma_f64 v[1:2], -v[1:2], v[9:10], v[3:4]
	v_div_fixup_f64 v[5:6], v[7:8], v[5:6], 1.0
	s_delay_alu instid0(VALU_DEP_1) | instskip(NEXT) | instid1(VALU_DEP_3)
	v_mul_f64 v[9:10], v[11:12], v[5:6]
	v_mul_f64 v[11:12], v[1:2], v[5:6]
	s_branch .LBB213_44
.LBB213_57:
	s_mov_b32 s4, 0
.LBB213_58:
	s_delay_alu instid0(SALU_CYCLE_1)
	s_and_b32 vcc_lo, exec_lo, s4
	s_cbranch_vccz .LBB213_90
; %bb.59:
	s_and_not1_b32 vcc_lo, exec_lo, s1
	s_mov_b32 s6, s29
	s_cbranch_vccnz .LBB213_81
; %bb.60:
	v_lshlrev_b32_e32 v1, 4, v0
	s_mul_i32 s4, s28, 0xc0
	s_mov_b32 s5, s29
	s_delay_alu instid0(VALU_DEP_1) | instskip(SKIP_1) | instid1(SALU_CYCLE_1)
	v_add3_u32 v25, s4, v1, 0x780
	s_mul_i32 s4, s28, 0xd0
	s_addk_i32 s4, 0xfe40
.LBB213_61:                             ; =>This Loop Header: Depth=1
                                        ;     Child Loop BB213_62 Depth 2
	s_mul_i32 s8, s5, 12
	s_delay_alu instid0(VALU_DEP_1)
	v_mov_b32_e32 v16, v25
	s_add_i32 s7, s8, -12
	v_add_lshl_u32 v13, s8, v0, 4
	s_sub_i32 s6, s8, 24
	v_add_lshl_u32 v15, s7, v0, 4
	v_add_lshl_u32 v14, s6, v0, 4
	s_cmp_le_i32 s29, s5
	ds_load_b128 v[17:20], v13 offset:2304
	ds_load_b128 v[9:12], v15 offset:2304
	;; [unrolled: 1-line block ×4, first 2 shown]
	s_mov_b32 s9, s4
	s_mov_b32 s10, s29
	s_cbranch_scc1 .LBB213_63
.LBB213_62:                             ;   Parent Loop BB213_61 Depth=1
                                        ; =>  This Inner Loop Header: Depth=2
	v_mov_b32_e32 v58, s9
	s_add_i32 s10, s10, -2
	s_addk_i32 s9, 0xfe80
	s_cmp_le_i32 s10, s5
	ds_load_b128 v[21:24], v16 offset:192
	ds_load_b128 v[26:29], v58 offset:240
	;; [unrolled: 1-line block ×5, first 2 shown]
	ds_load_b128 v[42:45], v16
	ds_load_b128 v[46:49], v58 offset:48
	ds_load_b128 v[50:53], v58 offset:32
	;; [unrolled: 1-line block ×3, first 2 shown]
	ds_load_b128 v[58:61], v58
	v_add_nc_u32_e32 v16, 0xfffffe80, v16
	s_waitcnt lgkmcnt(8)
	v_mul_f64 v[62:63], v[23:24], v[28:29]
	v_mul_f64 v[28:29], v[21:22], v[28:29]
	s_waitcnt lgkmcnt(7)
	v_mul_f64 v[64:65], v[23:24], v[32:33]
	v_mul_f64 v[32:33], v[21:22], v[32:33]
	;; [unrolled: 3-line block ×8, first 2 shown]
	v_fma_f64 v[62:63], v[21:22], v[26:27], -v[62:63]
	v_fma_f64 v[26:27], v[23:24], v[26:27], v[28:29]
	v_fma_f64 v[28:29], v[21:22], v[30:31], -v[64:65]
	v_fma_f64 v[30:31], v[23:24], v[30:31], v[32:33]
	;; [unrolled: 2-line block ×8, first 2 shown]
	v_add_f64 v[17:18], v[17:18], -v[62:63]
	v_add_f64 v[19:20], v[19:20], -v[26:27]
	;; [unrolled: 1-line block ×16, first 2 shown]
	s_cbranch_scc0 .LBB213_62
.LBB213_63:                             ;   in Loop: Header=BB213_61 Depth=1
	s_mul_i32 s9, s5, 0xd0
	v_add_nc_u32_e32 v29, 0x900, v13
	v_dual_mov_b32 v13, s9 :: v_dual_add_nc_u32 v28, 0x900, v15
	ds_load_b128 v[21:24], v13
	s_waitcnt lgkmcnt(0)
	v_dual_mov_b32 v13, v21 :: v_dual_add_nc_u32 v26, 0x840, v14
	v_cmp_gt_f64_e32 vcc_lo, 0, v[21:22]
	v_xor_b32_e32 v15, 0x80000000, v24
	v_add_nc_u32_e32 v27, 0x900, v14
	v_xor_b32_e32 v14, 0x80000000, v22
	s_delay_alu instid0(VALU_DEP_1) | instskip(SKIP_2) | instid1(VALU_DEP_1)
	v_cndmask_b32_e32 v14, v22, v14, vcc_lo
	v_cmp_gt_f64_e32 vcc_lo, 0, v[23:24]
	v_dual_cndmask_b32 v16, v24, v15 :: v_dual_mov_b32 v15, v23
	v_cmp_ngt_f64_e32 vcc_lo, v[13:14], v[15:16]
	s_cbranch_vccz .LBB213_65
; %bb.64:                               ;   in Loop: Header=BB213_61 Depth=1
	v_div_scale_f64 v[13:14], null, v[23:24], v[23:24], v[21:22]
	v_div_scale_f64 v[32:33], vcc_lo, v[21:22], v[23:24], v[21:22]
	s_delay_alu instid0(VALU_DEP_2) | instskip(SKIP_2) | instid1(VALU_DEP_1)
	v_rcp_f64_e32 v[15:16], v[13:14]
	s_waitcnt_depctr 0xfff
	v_fma_f64 v[30:31], -v[13:14], v[15:16], 1.0
	v_fma_f64 v[15:16], v[15:16], v[30:31], v[15:16]
	s_delay_alu instid0(VALU_DEP_1) | instskip(NEXT) | instid1(VALU_DEP_1)
	v_fma_f64 v[30:31], -v[13:14], v[15:16], 1.0
	v_fma_f64 v[15:16], v[15:16], v[30:31], v[15:16]
	s_delay_alu instid0(VALU_DEP_1) | instskip(NEXT) | instid1(VALU_DEP_1)
	v_mul_f64 v[30:31], v[32:33], v[15:16]
	v_fma_f64 v[13:14], -v[13:14], v[30:31], v[32:33]
	s_delay_alu instid0(VALU_DEP_1) | instskip(NEXT) | instid1(VALU_DEP_1)
	v_div_fmas_f64 v[13:14], v[13:14], v[15:16], v[30:31]
	v_div_fixup_f64 v[13:14], v[13:14], v[23:24], v[21:22]
	s_delay_alu instid0(VALU_DEP_1) | instskip(NEXT) | instid1(VALU_DEP_1)
	v_fma_f64 v[15:16], v[21:22], v[13:14], v[23:24]
	v_div_scale_f64 v[30:31], null, v[15:16], v[15:16], 1.0
	v_div_scale_f64 v[36:37], vcc_lo, 1.0, v[15:16], 1.0
	s_delay_alu instid0(VALU_DEP_2) | instskip(SKIP_2) | instid1(VALU_DEP_1)
	v_rcp_f64_e32 v[32:33], v[30:31]
	s_waitcnt_depctr 0xfff
	v_fma_f64 v[34:35], -v[30:31], v[32:33], 1.0
	v_fma_f64 v[32:33], v[32:33], v[34:35], v[32:33]
	s_delay_alu instid0(VALU_DEP_1) | instskip(NEXT) | instid1(VALU_DEP_1)
	v_fma_f64 v[34:35], -v[30:31], v[32:33], 1.0
	v_fma_f64 v[32:33], v[32:33], v[34:35], v[32:33]
	s_delay_alu instid0(VALU_DEP_1) | instskip(NEXT) | instid1(VALU_DEP_1)
	v_mul_f64 v[34:35], v[36:37], v[32:33]
	v_fma_f64 v[30:31], -v[30:31], v[34:35], v[36:37]
	s_delay_alu instid0(VALU_DEP_1) | instskip(SKIP_1) | instid1(VALU_DEP_2)
	v_div_fmas_f64 v[30:31], v[30:31], v[32:33], v[34:35]
	v_fma_f64 v[32:33], v[17:18], v[13:14], v[19:20]
	v_div_fixup_f64 v[15:16], v[30:31], v[15:16], 1.0
	v_fma_f64 v[30:31], v[19:20], v[13:14], -v[17:18]
	s_delay_alu instid0(VALU_DEP_2) | instskip(NEXT) | instid1(VALU_DEP_2)
	v_mul_f64 v[13:14], v[32:33], v[15:16]
	v_mul_f64 v[15:16], v[30:31], v[15:16]
	s_cbranch_execz .LBB213_66
	s_branch .LBB213_67
.LBB213_65:                             ;   in Loop: Header=BB213_61 Depth=1
                                        ; implicit-def: $vgpr15_vgpr16
.LBB213_66:                             ;   in Loop: Header=BB213_61 Depth=1
	v_div_scale_f64 v[13:14], null, v[21:22], v[21:22], v[23:24]
	v_div_scale_f64 v[32:33], vcc_lo, v[23:24], v[21:22], v[23:24]
	s_delay_alu instid0(VALU_DEP_2) | instskip(SKIP_2) | instid1(VALU_DEP_1)
	v_rcp_f64_e32 v[15:16], v[13:14]
	s_waitcnt_depctr 0xfff
	v_fma_f64 v[30:31], -v[13:14], v[15:16], 1.0
	v_fma_f64 v[15:16], v[15:16], v[30:31], v[15:16]
	s_delay_alu instid0(VALU_DEP_1) | instskip(NEXT) | instid1(VALU_DEP_1)
	v_fma_f64 v[30:31], -v[13:14], v[15:16], 1.0
	v_fma_f64 v[15:16], v[15:16], v[30:31], v[15:16]
	s_delay_alu instid0(VALU_DEP_1) | instskip(NEXT) | instid1(VALU_DEP_1)
	v_mul_f64 v[30:31], v[32:33], v[15:16]
	v_fma_f64 v[13:14], -v[13:14], v[30:31], v[32:33]
	s_delay_alu instid0(VALU_DEP_1) | instskip(NEXT) | instid1(VALU_DEP_1)
	v_div_fmas_f64 v[13:14], v[13:14], v[15:16], v[30:31]
	v_div_fixup_f64 v[13:14], v[13:14], v[21:22], v[23:24]
	s_delay_alu instid0(VALU_DEP_1) | instskip(NEXT) | instid1(VALU_DEP_1)
	v_fma_f64 v[15:16], v[23:24], v[13:14], v[21:22]
	v_div_scale_f64 v[21:22], null, v[15:16], v[15:16], 1.0
	v_div_scale_f64 v[32:33], vcc_lo, 1.0, v[15:16], 1.0
	s_delay_alu instid0(VALU_DEP_2) | instskip(SKIP_2) | instid1(VALU_DEP_1)
	v_rcp_f64_e32 v[23:24], v[21:22]
	s_waitcnt_depctr 0xfff
	v_fma_f64 v[30:31], -v[21:22], v[23:24], 1.0
	v_fma_f64 v[23:24], v[23:24], v[30:31], v[23:24]
	s_delay_alu instid0(VALU_DEP_1) | instskip(NEXT) | instid1(VALU_DEP_1)
	v_fma_f64 v[30:31], -v[21:22], v[23:24], 1.0
	v_fma_f64 v[23:24], v[23:24], v[30:31], v[23:24]
	s_delay_alu instid0(VALU_DEP_1) | instskip(NEXT) | instid1(VALU_DEP_1)
	v_mul_f64 v[30:31], v[32:33], v[23:24]
	v_fma_f64 v[21:22], -v[21:22], v[30:31], v[32:33]
	s_delay_alu instid0(VALU_DEP_1) | instskip(SKIP_2) | instid1(VALU_DEP_3)
	v_div_fmas_f64 v[21:22], v[21:22], v[23:24], v[30:31]
	v_fma_f64 v[23:24], v[19:20], v[13:14], v[17:18]
	v_fma_f64 v[17:18], -v[17:18], v[13:14], v[19:20]
	v_div_fixup_f64 v[15:16], v[21:22], v[15:16], 1.0
	s_delay_alu instid0(VALU_DEP_1) | instskip(NEXT) | instid1(VALU_DEP_3)
	v_mul_f64 v[13:14], v[23:24], v[15:16]
	v_mul_f64 v[15:16], v[17:18], v[15:16]
.LBB213_67:                             ;   in Loop: Header=BB213_61 Depth=1
	s_add_i32 s10, s5, s8
	s_addk_i32 s9, 0xff30
	s_lshl_b32 s10, s10, 4
	ds_store_b128 v29, v[13:16]
	s_add_i32 s10, s10, -16
	s_delay_alu instid0(SALU_CYCLE_1)
	v_mov_b32_e32 v17, s10
	ds_load_b128 v[21:24], v17
	v_mov_b32_e32 v17, s9
	ds_load_b128 v[17:20], v17
	s_waitcnt lgkmcnt(1)
	v_mul_f64 v[30:31], v[15:16], v[23:24]
	v_mul_f64 v[23:24], v[13:14], v[23:24]
	s_waitcnt lgkmcnt(0)
	v_cmp_gt_f64_e32 vcc_lo, 0, v[17:18]
	v_xor_b32_e32 v33, 0x80000000, v20
	v_mov_b32_e32 v32, v19
	v_fma_f64 v[30:31], v[13:14], v[21:22], -v[30:31]
	v_fma_f64 v[23:24], v[15:16], v[21:22], v[23:24]
	v_xor_b32_e32 v22, 0x80000000, v18
	s_delay_alu instid0(VALU_DEP_1) | instskip(SKIP_1) | instid1(VALU_DEP_4)
	v_dual_mov_b32 v21, v17 :: v_dual_cndmask_b32 v22, v18, v22
	v_cmp_gt_f64_e32 vcc_lo, 0, v[19:20]
	v_add_f64 v[23:24], v[11:12], -v[23:24]
	v_cndmask_b32_e32 v33, v20, v33, vcc_lo
	s_delay_alu instid0(VALU_DEP_1)
	v_cmp_ngt_f64_e32 vcc_lo, v[21:22], v[32:33]
	v_add_f64 v[21:22], v[9:10], -v[30:31]
	s_cbranch_vccz .LBB213_69
; %bb.68:                               ;   in Loop: Header=BB213_61 Depth=1
	v_div_scale_f64 v[9:10], null, v[19:20], v[19:20], v[17:18]
	v_div_scale_f64 v[31:32], vcc_lo, v[17:18], v[19:20], v[17:18]
	s_delay_alu instid0(VALU_DEP_2) | instskip(SKIP_2) | instid1(VALU_DEP_1)
	v_rcp_f64_e32 v[11:12], v[9:10]
	s_waitcnt_depctr 0xfff
	v_fma_f64 v[29:30], -v[9:10], v[11:12], 1.0
	v_fma_f64 v[11:12], v[11:12], v[29:30], v[11:12]
	s_delay_alu instid0(VALU_DEP_1) | instskip(NEXT) | instid1(VALU_DEP_1)
	v_fma_f64 v[29:30], -v[9:10], v[11:12], 1.0
	v_fma_f64 v[11:12], v[11:12], v[29:30], v[11:12]
	s_delay_alu instid0(VALU_DEP_1) | instskip(NEXT) | instid1(VALU_DEP_1)
	v_mul_f64 v[29:30], v[31:32], v[11:12]
	v_fma_f64 v[9:10], -v[9:10], v[29:30], v[31:32]
	s_delay_alu instid0(VALU_DEP_1) | instskip(NEXT) | instid1(VALU_DEP_1)
	v_div_fmas_f64 v[9:10], v[9:10], v[11:12], v[29:30]
	v_div_fixup_f64 v[9:10], v[9:10], v[19:20], v[17:18]
	s_delay_alu instid0(VALU_DEP_1) | instskip(NEXT) | instid1(VALU_DEP_1)
	v_fma_f64 v[11:12], v[17:18], v[9:10], v[19:20]
	v_div_scale_f64 v[29:30], null, v[11:12], v[11:12], 1.0
	v_div_scale_f64 v[35:36], vcc_lo, 1.0, v[11:12], 1.0
	s_delay_alu instid0(VALU_DEP_2) | instskip(SKIP_2) | instid1(VALU_DEP_1)
	v_rcp_f64_e32 v[31:32], v[29:30]
	s_waitcnt_depctr 0xfff
	v_fma_f64 v[33:34], -v[29:30], v[31:32], 1.0
	v_fma_f64 v[31:32], v[31:32], v[33:34], v[31:32]
	s_delay_alu instid0(VALU_DEP_1) | instskip(NEXT) | instid1(VALU_DEP_1)
	v_fma_f64 v[33:34], -v[29:30], v[31:32], 1.0
	v_fma_f64 v[31:32], v[31:32], v[33:34], v[31:32]
	s_delay_alu instid0(VALU_DEP_1) | instskip(NEXT) | instid1(VALU_DEP_1)
	v_mul_f64 v[33:34], v[35:36], v[31:32]
	v_fma_f64 v[29:30], -v[29:30], v[33:34], v[35:36]
	s_delay_alu instid0(VALU_DEP_1) | instskip(SKIP_1) | instid1(VALU_DEP_2)
	v_div_fmas_f64 v[29:30], v[29:30], v[31:32], v[33:34]
	v_fma_f64 v[31:32], v[9:10], v[21:22], v[23:24]
	v_div_fixup_f64 v[11:12], v[29:30], v[11:12], 1.0
	v_fma_f64 v[29:30], v[9:10], v[23:24], -v[21:22]
	s_delay_alu instid0(VALU_DEP_2) | instskip(NEXT) | instid1(VALU_DEP_2)
	v_mul_f64 v[9:10], v[31:32], v[11:12]
	v_mul_f64 v[11:12], v[29:30], v[11:12]
	s_cbranch_execz .LBB213_70
	s_branch .LBB213_71
.LBB213_69:                             ;   in Loop: Header=BB213_61 Depth=1
                                        ; implicit-def: $vgpr11_vgpr12
.LBB213_70:                             ;   in Loop: Header=BB213_61 Depth=1
	v_div_scale_f64 v[9:10], null, v[17:18], v[17:18], v[19:20]
	v_div_scale_f64 v[31:32], vcc_lo, v[19:20], v[17:18], v[19:20]
	s_delay_alu instid0(VALU_DEP_2) | instskip(SKIP_2) | instid1(VALU_DEP_1)
	v_rcp_f64_e32 v[11:12], v[9:10]
	s_waitcnt_depctr 0xfff
	v_fma_f64 v[29:30], -v[9:10], v[11:12], 1.0
	v_fma_f64 v[11:12], v[11:12], v[29:30], v[11:12]
	s_delay_alu instid0(VALU_DEP_1) | instskip(NEXT) | instid1(VALU_DEP_1)
	v_fma_f64 v[29:30], -v[9:10], v[11:12], 1.0
	v_fma_f64 v[11:12], v[11:12], v[29:30], v[11:12]
	s_delay_alu instid0(VALU_DEP_1) | instskip(NEXT) | instid1(VALU_DEP_1)
	v_mul_f64 v[29:30], v[31:32], v[11:12]
	v_fma_f64 v[9:10], -v[9:10], v[29:30], v[31:32]
	s_delay_alu instid0(VALU_DEP_1) | instskip(NEXT) | instid1(VALU_DEP_1)
	v_div_fmas_f64 v[9:10], v[9:10], v[11:12], v[29:30]
	v_div_fixup_f64 v[9:10], v[9:10], v[17:18], v[19:20]
	s_delay_alu instid0(VALU_DEP_1) | instskip(NEXT) | instid1(VALU_DEP_1)
	v_fma_f64 v[11:12], v[19:20], v[9:10], v[17:18]
	v_div_scale_f64 v[17:18], null, v[11:12], v[11:12], 1.0
	v_div_scale_f64 v[31:32], vcc_lo, 1.0, v[11:12], 1.0
	s_delay_alu instid0(VALU_DEP_2) | instskip(SKIP_2) | instid1(VALU_DEP_1)
	v_rcp_f64_e32 v[19:20], v[17:18]
	s_waitcnt_depctr 0xfff
	v_fma_f64 v[29:30], -v[17:18], v[19:20], 1.0
	v_fma_f64 v[19:20], v[19:20], v[29:30], v[19:20]
	s_delay_alu instid0(VALU_DEP_1) | instskip(NEXT) | instid1(VALU_DEP_1)
	v_fma_f64 v[29:30], -v[17:18], v[19:20], 1.0
	v_fma_f64 v[19:20], v[19:20], v[29:30], v[19:20]
	s_delay_alu instid0(VALU_DEP_1) | instskip(NEXT) | instid1(VALU_DEP_1)
	v_mul_f64 v[29:30], v[31:32], v[19:20]
	v_fma_f64 v[17:18], -v[17:18], v[29:30], v[31:32]
	s_delay_alu instid0(VALU_DEP_1) | instskip(SKIP_1) | instid1(VALU_DEP_2)
	v_div_fmas_f64 v[17:18], v[17:18], v[19:20], v[29:30]
	v_fma_f64 v[19:20], v[9:10], v[23:24], v[21:22]
	v_div_fixup_f64 v[11:12], v[17:18], v[11:12], 1.0
	v_fma_f64 v[17:18], -v[9:10], v[21:22], v[23:24]
	s_delay_alu instid0(VALU_DEP_2) | instskip(NEXT) | instid1(VALU_DEP_2)
	v_mul_f64 v[9:10], v[19:20], v[11:12]
	v_mul_f64 v[11:12], v[17:18], v[11:12]
.LBB213_71:                             ;   in Loop: Header=BB213_61 Depth=1
	s_add_i32 s10, s5, -2
	s_addk_i32 s9, 0xff30
	s_add_i32 s11, s8, s10
	s_add_i32 s10, s7, s10
	s_lshl_b32 s11, s11, 4
	s_lshl_b32 s10, s10, 4
	v_mov_b32_e32 v17, s11
	v_mov_b32_e32 v21, s10
	ds_store_b128 v28, v[9:12]
	ds_load_b128 v[17:20], v17
	ds_load_b128 v[21:24], v21
	s_waitcnt lgkmcnt(1)
	v_mul_f64 v[29:30], v[15:16], v[19:20]
	v_mul_f64 v[19:20], v[13:14], v[19:20]
	s_waitcnt lgkmcnt(0)
	v_mul_f64 v[31:32], v[11:12], v[23:24]
	v_mul_f64 v[23:24], v[9:10], v[23:24]
	s_delay_alu instid0(VALU_DEP_4) | instskip(NEXT) | instid1(VALU_DEP_4)
	v_fma_f64 v[29:30], v[13:14], v[17:18], -v[29:30]
	v_fma_f64 v[17:18], v[15:16], v[17:18], v[19:20]
	v_mov_b32_e32 v19, s9
	v_fma_f64 v[31:32], v[9:10], v[21:22], -v[31:32]
	v_fma_f64 v[23:24], v[11:12], v[21:22], v[23:24]
	v_add_f64 v[5:6], v[5:6], -v[29:30]
	v_add_f64 v[7:8], v[7:8], -v[17:18]
	ds_load_b128 v[17:20], v19
	s_waitcnt lgkmcnt(0)
	v_cmp_gt_f64_e32 vcc_lo, 0, v[17:18]
	v_xor_b32_e32 v22, 0x80000000, v18
	v_xor_b32_e32 v30, 0x80000000, v20
	v_mov_b32_e32 v21, v17
	v_mov_b32_e32 v29, v19
	v_add_f64 v[23:24], v[7:8], -v[23:24]
	v_cndmask_b32_e32 v22, v18, v22, vcc_lo
	v_cmp_gt_f64_e32 vcc_lo, 0, v[19:20]
	v_cndmask_b32_e32 v30, v20, v30, vcc_lo
	s_delay_alu instid0(VALU_DEP_1)
	v_cmp_ngt_f64_e32 vcc_lo, v[21:22], v[29:30]
	v_add_f64 v[21:22], v[5:6], -v[31:32]
	s_cbranch_vccz .LBB213_73
; %bb.72:                               ;   in Loop: Header=BB213_61 Depth=1
	v_div_scale_f64 v[5:6], null, v[19:20], v[19:20], v[17:18]
	v_div_scale_f64 v[30:31], vcc_lo, v[17:18], v[19:20], v[17:18]
	s_delay_alu instid0(VALU_DEP_2) | instskip(SKIP_2) | instid1(VALU_DEP_1)
	v_rcp_f64_e32 v[7:8], v[5:6]
	s_waitcnt_depctr 0xfff
	v_fma_f64 v[28:29], -v[5:6], v[7:8], 1.0
	v_fma_f64 v[7:8], v[7:8], v[28:29], v[7:8]
	s_delay_alu instid0(VALU_DEP_1) | instskip(NEXT) | instid1(VALU_DEP_1)
	v_fma_f64 v[28:29], -v[5:6], v[7:8], 1.0
	v_fma_f64 v[7:8], v[7:8], v[28:29], v[7:8]
	s_delay_alu instid0(VALU_DEP_1) | instskip(NEXT) | instid1(VALU_DEP_1)
	v_mul_f64 v[28:29], v[30:31], v[7:8]
	v_fma_f64 v[5:6], -v[5:6], v[28:29], v[30:31]
	s_delay_alu instid0(VALU_DEP_1) | instskip(NEXT) | instid1(VALU_DEP_1)
	v_div_fmas_f64 v[5:6], v[5:6], v[7:8], v[28:29]
	v_div_fixup_f64 v[5:6], v[5:6], v[19:20], v[17:18]
	s_delay_alu instid0(VALU_DEP_1) | instskip(NEXT) | instid1(VALU_DEP_1)
	v_fma_f64 v[7:8], v[17:18], v[5:6], v[19:20]
	v_div_scale_f64 v[28:29], null, v[7:8], v[7:8], 1.0
	v_div_scale_f64 v[34:35], vcc_lo, 1.0, v[7:8], 1.0
	s_delay_alu instid0(VALU_DEP_2) | instskip(SKIP_2) | instid1(VALU_DEP_1)
	v_rcp_f64_e32 v[30:31], v[28:29]
	s_waitcnt_depctr 0xfff
	v_fma_f64 v[32:33], -v[28:29], v[30:31], 1.0
	v_fma_f64 v[30:31], v[30:31], v[32:33], v[30:31]
	s_delay_alu instid0(VALU_DEP_1) | instskip(NEXT) | instid1(VALU_DEP_1)
	v_fma_f64 v[32:33], -v[28:29], v[30:31], 1.0
	v_fma_f64 v[30:31], v[30:31], v[32:33], v[30:31]
	s_delay_alu instid0(VALU_DEP_1) | instskip(NEXT) | instid1(VALU_DEP_1)
	v_mul_f64 v[32:33], v[34:35], v[30:31]
	v_fma_f64 v[28:29], -v[28:29], v[32:33], v[34:35]
	s_delay_alu instid0(VALU_DEP_1) | instskip(SKIP_1) | instid1(VALU_DEP_2)
	v_div_fmas_f64 v[28:29], v[28:29], v[30:31], v[32:33]
	v_fma_f64 v[30:31], v[5:6], v[21:22], v[23:24]
	v_div_fixup_f64 v[7:8], v[28:29], v[7:8], 1.0
	v_fma_f64 v[28:29], v[5:6], v[23:24], -v[21:22]
	s_delay_alu instid0(VALU_DEP_2) | instskip(NEXT) | instid1(VALU_DEP_2)
	v_mul_f64 v[5:6], v[30:31], v[7:8]
	v_mul_f64 v[7:8], v[28:29], v[7:8]
	s_cbranch_execz .LBB213_74
	s_branch .LBB213_75
.LBB213_73:                             ;   in Loop: Header=BB213_61 Depth=1
                                        ; implicit-def: $vgpr7_vgpr8
.LBB213_74:                             ;   in Loop: Header=BB213_61 Depth=1
	v_div_scale_f64 v[5:6], null, v[17:18], v[17:18], v[19:20]
	v_div_scale_f64 v[30:31], vcc_lo, v[19:20], v[17:18], v[19:20]
	s_delay_alu instid0(VALU_DEP_2) | instskip(SKIP_2) | instid1(VALU_DEP_1)
	v_rcp_f64_e32 v[7:8], v[5:6]
	s_waitcnt_depctr 0xfff
	v_fma_f64 v[28:29], -v[5:6], v[7:8], 1.0
	v_fma_f64 v[7:8], v[7:8], v[28:29], v[7:8]
	s_delay_alu instid0(VALU_DEP_1) | instskip(NEXT) | instid1(VALU_DEP_1)
	v_fma_f64 v[28:29], -v[5:6], v[7:8], 1.0
	v_fma_f64 v[7:8], v[7:8], v[28:29], v[7:8]
	s_delay_alu instid0(VALU_DEP_1) | instskip(NEXT) | instid1(VALU_DEP_1)
	v_mul_f64 v[28:29], v[30:31], v[7:8]
	v_fma_f64 v[5:6], -v[5:6], v[28:29], v[30:31]
	s_delay_alu instid0(VALU_DEP_1) | instskip(NEXT) | instid1(VALU_DEP_1)
	v_div_fmas_f64 v[5:6], v[5:6], v[7:8], v[28:29]
	v_div_fixup_f64 v[5:6], v[5:6], v[17:18], v[19:20]
	s_delay_alu instid0(VALU_DEP_1) | instskip(NEXT) | instid1(VALU_DEP_1)
	v_fma_f64 v[7:8], v[19:20], v[5:6], v[17:18]
	v_div_scale_f64 v[17:18], null, v[7:8], v[7:8], 1.0
	v_div_scale_f64 v[30:31], vcc_lo, 1.0, v[7:8], 1.0
	s_delay_alu instid0(VALU_DEP_2) | instskip(SKIP_2) | instid1(VALU_DEP_1)
	v_rcp_f64_e32 v[19:20], v[17:18]
	s_waitcnt_depctr 0xfff
	v_fma_f64 v[28:29], -v[17:18], v[19:20], 1.0
	v_fma_f64 v[19:20], v[19:20], v[28:29], v[19:20]
	s_delay_alu instid0(VALU_DEP_1) | instskip(NEXT) | instid1(VALU_DEP_1)
	v_fma_f64 v[28:29], -v[17:18], v[19:20], 1.0
	v_fma_f64 v[19:20], v[19:20], v[28:29], v[19:20]
	s_delay_alu instid0(VALU_DEP_1) | instskip(NEXT) | instid1(VALU_DEP_1)
	v_mul_f64 v[28:29], v[30:31], v[19:20]
	v_fma_f64 v[17:18], -v[17:18], v[28:29], v[30:31]
	s_delay_alu instid0(VALU_DEP_1) | instskip(SKIP_1) | instid1(VALU_DEP_2)
	v_div_fmas_f64 v[17:18], v[17:18], v[19:20], v[28:29]
	v_fma_f64 v[19:20], v[5:6], v[23:24], v[21:22]
	v_div_fixup_f64 v[7:8], v[17:18], v[7:8], 1.0
	v_fma_f64 v[17:18], -v[5:6], v[21:22], v[23:24]
	s_delay_alu instid0(VALU_DEP_2) | instskip(NEXT) | instid1(VALU_DEP_2)
	v_mul_f64 v[5:6], v[19:20], v[7:8]
	v_mul_f64 v[7:8], v[17:18], v[7:8]
.LBB213_75:                             ;   in Loop: Header=BB213_61 Depth=1
	s_add_i32 s10, s5, -3
	ds_store_b128 v27, v[5:8]
	s_add_i32 s8, s8, s10
	s_add_i32 s7, s7, s10
	s_lshl_b32 s8, s8, 4
	s_lshl_b32 s7, s7, 4
	v_mov_b32_e32 v17, s8
	v_mov_b32_e32 v21, s7
	s_add_i32 s6, s6, s10
	s_delay_alu instid0(SALU_CYCLE_1)
	s_lshl_b32 s6, s6, 4
	ds_load_b128 v[17:20], v17
	ds_load_b128 v[21:24], v21
	s_waitcnt lgkmcnt(1)
	v_mul_f64 v[28:29], v[15:16], v[19:20]
	v_mul_f64 v[19:20], v[13:14], v[19:20]
	s_delay_alu instid0(VALU_DEP_2) | instskip(SKIP_1) | instid1(VALU_DEP_3)
	v_fma_f64 v[28:29], v[13:14], v[17:18], -v[28:29]
	v_mov_b32_e32 v13, s6
	v_fma_f64 v[32:33], v[15:16], v[17:18], v[19:20]
	s_add_i32 s6, s9, 0xffffff30
	ds_load_b128 v[17:20], v13
	s_waitcnt lgkmcnt(1)
	v_mul_f64 v[30:31], v[11:12], v[23:24]
	v_mul_f64 v[23:24], v[9:10], v[23:24]
	v_mov_b32_e32 v13, s6
	ds_load_b128 v[13:16], v13
	s_waitcnt lgkmcnt(1)
	v_mul_f64 v[34:35], v[7:8], v[19:20]
	v_mul_f64 v[19:20], v[5:6], v[19:20]
	s_waitcnt lgkmcnt(0)
	v_cmp_gt_f64_e32 vcc_lo, 0, v[13:14]
	v_add_f64 v[1:2], v[1:2], -v[28:29]
	v_add_f64 v[3:4], v[3:4], -v[32:33]
	v_fma_f64 v[9:10], v[9:10], v[21:22], -v[30:31]
	v_fma_f64 v[11:12], v[11:12], v[21:22], v[23:24]
	v_fma_f64 v[21:22], v[5:6], v[17:18], -v[34:35]
	v_fma_f64 v[17:18], v[7:8], v[17:18], v[19:20]
	s_delay_alu instid0(VALU_DEP_4) | instskip(SKIP_4) | instid1(VALU_DEP_4)
	v_add_f64 v[1:2], v[1:2], -v[9:10]
	v_xor_b32_e32 v10, 0x80000000, v14
	v_add_f64 v[3:4], v[3:4], -v[11:12]
	v_xor_b32_e32 v12, 0x80000000, v16
	v_mov_b32_e32 v9, v13
	v_dual_mov_b32 v11, v15 :: v_dual_cndmask_b32 v10, v14, v10
	v_cmp_gt_f64_e32 vcc_lo, 0, v[15:16]
	s_delay_alu instid0(VALU_DEP_4) | instskip(NEXT) | instid1(VALU_DEP_1)
	v_cndmask_b32_e32 v12, v16, v12, vcc_lo
	v_cmp_ngt_f64_e32 vcc_lo, v[9:10], v[11:12]
	v_add_f64 v[9:10], v[1:2], -v[21:22]
	v_add_f64 v[11:12], v[3:4], -v[17:18]
	s_cbranch_vccz .LBB213_77
; %bb.76:                               ;   in Loop: Header=BB213_61 Depth=1
	v_div_scale_f64 v[1:2], null, v[15:16], v[15:16], v[13:14]
	v_div_scale_f64 v[7:8], vcc_lo, v[13:14], v[15:16], v[13:14]
	s_delay_alu instid0(VALU_DEP_2) | instskip(SKIP_2) | instid1(VALU_DEP_1)
	v_rcp_f64_e32 v[3:4], v[1:2]
	s_waitcnt_depctr 0xfff
	v_fma_f64 v[5:6], -v[1:2], v[3:4], 1.0
	v_fma_f64 v[3:4], v[3:4], v[5:6], v[3:4]
	s_delay_alu instid0(VALU_DEP_1) | instskip(NEXT) | instid1(VALU_DEP_1)
	v_fma_f64 v[5:6], -v[1:2], v[3:4], 1.0
	v_fma_f64 v[3:4], v[3:4], v[5:6], v[3:4]
	s_delay_alu instid0(VALU_DEP_1) | instskip(NEXT) | instid1(VALU_DEP_1)
	v_mul_f64 v[5:6], v[7:8], v[3:4]
	v_fma_f64 v[1:2], -v[1:2], v[5:6], v[7:8]
	s_delay_alu instid0(VALU_DEP_1) | instskip(NEXT) | instid1(VALU_DEP_1)
	v_div_fmas_f64 v[1:2], v[1:2], v[3:4], v[5:6]
	v_div_fixup_f64 v[1:2], v[1:2], v[15:16], v[13:14]
	s_delay_alu instid0(VALU_DEP_1) | instskip(NEXT) | instid1(VALU_DEP_1)
	v_fma_f64 v[3:4], v[13:14], v[1:2], v[15:16]
	v_div_scale_f64 v[5:6], null, v[3:4], v[3:4], 1.0
	v_div_scale_f64 v[19:20], vcc_lo, 1.0, v[3:4], 1.0
	s_delay_alu instid0(VALU_DEP_2) | instskip(SKIP_2) | instid1(VALU_DEP_1)
	v_rcp_f64_e32 v[7:8], v[5:6]
	s_waitcnt_depctr 0xfff
	v_fma_f64 v[17:18], -v[5:6], v[7:8], 1.0
	v_fma_f64 v[7:8], v[7:8], v[17:18], v[7:8]
	s_delay_alu instid0(VALU_DEP_1) | instskip(NEXT) | instid1(VALU_DEP_1)
	v_fma_f64 v[17:18], -v[5:6], v[7:8], 1.0
	v_fma_f64 v[7:8], v[7:8], v[17:18], v[7:8]
	s_delay_alu instid0(VALU_DEP_1) | instskip(NEXT) | instid1(VALU_DEP_1)
	v_mul_f64 v[17:18], v[19:20], v[7:8]
	v_fma_f64 v[5:6], -v[5:6], v[17:18], v[19:20]
	s_delay_alu instid0(VALU_DEP_1) | instskip(SKIP_1) | instid1(VALU_DEP_2)
	v_div_fmas_f64 v[5:6], v[5:6], v[7:8], v[17:18]
	v_fma_f64 v[7:8], v[1:2], v[9:10], v[11:12]
	v_div_fixup_f64 v[3:4], v[5:6], v[3:4], 1.0
	v_fma_f64 v[5:6], v[1:2], v[11:12], -v[9:10]
	s_delay_alu instid0(VALU_DEP_2) | instskip(NEXT) | instid1(VALU_DEP_2)
	v_mul_f64 v[1:2], v[7:8], v[3:4]
	v_mul_f64 v[3:4], v[5:6], v[3:4]
	s_cbranch_execz .LBB213_78
	s_branch .LBB213_79
.LBB213_77:                             ;   in Loop: Header=BB213_61 Depth=1
                                        ; implicit-def: $vgpr3_vgpr4
.LBB213_78:                             ;   in Loop: Header=BB213_61 Depth=1
	v_div_scale_f64 v[1:2], null, v[13:14], v[13:14], v[15:16]
	v_div_scale_f64 v[7:8], vcc_lo, v[15:16], v[13:14], v[15:16]
	s_delay_alu instid0(VALU_DEP_2) | instskip(SKIP_2) | instid1(VALU_DEP_1)
	v_rcp_f64_e32 v[3:4], v[1:2]
	s_waitcnt_depctr 0xfff
	v_fma_f64 v[5:6], -v[1:2], v[3:4], 1.0
	v_fma_f64 v[3:4], v[3:4], v[5:6], v[3:4]
	s_delay_alu instid0(VALU_DEP_1) | instskip(NEXT) | instid1(VALU_DEP_1)
	v_fma_f64 v[5:6], -v[1:2], v[3:4], 1.0
	v_fma_f64 v[3:4], v[3:4], v[5:6], v[3:4]
	s_delay_alu instid0(VALU_DEP_1) | instskip(NEXT) | instid1(VALU_DEP_1)
	v_mul_f64 v[5:6], v[7:8], v[3:4]
	v_fma_f64 v[1:2], -v[1:2], v[5:6], v[7:8]
	s_delay_alu instid0(VALU_DEP_1) | instskip(NEXT) | instid1(VALU_DEP_1)
	v_div_fmas_f64 v[1:2], v[1:2], v[3:4], v[5:6]
	v_div_fixup_f64 v[1:2], v[1:2], v[13:14], v[15:16]
	s_delay_alu instid0(VALU_DEP_1) | instskip(NEXT) | instid1(VALU_DEP_1)
	v_fma_f64 v[3:4], v[15:16], v[1:2], v[13:14]
	v_div_scale_f64 v[5:6], null, v[3:4], v[3:4], 1.0
	v_div_scale_f64 v[15:16], vcc_lo, 1.0, v[3:4], 1.0
	s_delay_alu instid0(VALU_DEP_2) | instskip(SKIP_2) | instid1(VALU_DEP_1)
	v_rcp_f64_e32 v[7:8], v[5:6]
	s_waitcnt_depctr 0xfff
	v_fma_f64 v[13:14], -v[5:6], v[7:8], 1.0
	v_fma_f64 v[7:8], v[7:8], v[13:14], v[7:8]
	s_delay_alu instid0(VALU_DEP_1) | instskip(NEXT) | instid1(VALU_DEP_1)
	v_fma_f64 v[13:14], -v[5:6], v[7:8], 1.0
	v_fma_f64 v[7:8], v[7:8], v[13:14], v[7:8]
	s_delay_alu instid0(VALU_DEP_1) | instskip(NEXT) | instid1(VALU_DEP_1)
	v_mul_f64 v[13:14], v[15:16], v[7:8]
	v_fma_f64 v[5:6], -v[5:6], v[13:14], v[15:16]
	s_delay_alu instid0(VALU_DEP_1) | instskip(SKIP_1) | instid1(VALU_DEP_2)
	v_div_fmas_f64 v[5:6], v[5:6], v[7:8], v[13:14]
	v_fma_f64 v[7:8], v[1:2], v[11:12], v[9:10]
	v_div_fixup_f64 v[3:4], v[5:6], v[3:4], 1.0
	v_fma_f64 v[5:6], -v[1:2], v[9:10], v[11:12]
	s_delay_alu instid0(VALU_DEP_2) | instskip(NEXT) | instid1(VALU_DEP_2)
	v_mul_f64 v[1:2], v[7:8], v[3:4]
	v_mul_f64 v[3:4], v[5:6], v[3:4]
.LBB213_79:                             ;   in Loop: Header=BB213_61 Depth=1
	s_add_i32 s6, s5, -4
	s_sub_i32 s4, s4, 64
	s_cmp_lt_i32 s5, 7
	ds_store_b128 v26, v[1:4]
	s_cbranch_scc1 .LBB213_81
; %bb.80:                               ;   in Loop: Header=BB213_61 Depth=1
	s_mov_b32 s5, s6
	s_branch .LBB213_61
.LBB213_81:
	s_cmp_lt_i32 s6, 0
	s_cbranch_scc1 .LBB213_90
; %bb.82:
	v_lshlrev_b32_e32 v1, 4, v0
	s_mul_i32 s4, s28, 0xc0
	s_lshl_b32 s5, s6, 4
	s_delay_alu instid0(VALU_DEP_1) | instskip(SKIP_1) | instid1(SALU_CYCLE_1)
	v_add3_u32 v13, s4, v1, 0x840
	s_add_i32 s4, s4, s5
	s_addk_i32 s4, 0xff40
	s_branch .LBB213_84
.LBB213_83:                             ;   in Loop: Header=BB213_84 Depth=1
	s_add_i32 s5, s6, -1
	s_add_i32 s4, s4, -16
	s_cmp_lt_i32 s6, 1
	s_mov_b32 s6, s5
	ds_store_b128 v14, v[9:12]
	s_cbranch_scc1 .LBB213_90
.LBB213_84:                             ; =>This Loop Header: Depth=1
                                        ;     Child Loop BB213_85 Depth 2
	s_mul_i32 s5, s6, 12
	v_mov_b32_e32 v6, v13
	v_add_lshl_u32 v5, s5, v0, 4
	s_cmp_le_i32 s29, s6
	s_mov_b32 s5, s4
	s_mov_b32 s7, s29
	ds_load_b128 v[1:4], v5 offset:2304
	s_cbranch_scc1 .LBB213_86
	.p2align	6
.LBB213_85:                             ;   Parent Loop BB213_84 Depth=1
                                        ; =>  This Inner Loop Header: Depth=2
	v_mov_b32_e32 v11, s5
	s_add_i32 s7, s7, -1
	s_addk_i32 s5, 0xff40
	s_cmp_le_i32 s7, s6
	ds_load_b128 v[7:10], v6
	ds_load_b128 v[14:17], v11
	v_add_nc_u32_e32 v6, 0xffffff40, v6
	s_waitcnt lgkmcnt(0)
	v_mul_f64 v[11:12], v[16:17], v[9:10]
	v_mul_f64 v[9:10], v[14:15], v[9:10]
	s_delay_alu instid0(VALU_DEP_2) | instskip(NEXT) | instid1(VALU_DEP_2)
	v_fma_f64 v[11:12], v[14:15], v[7:8], -v[11:12]
	v_fma_f64 v[7:8], v[16:17], v[7:8], v[9:10]
	s_delay_alu instid0(VALU_DEP_2) | instskip(NEXT) | instid1(VALU_DEP_2)
	v_add_f64 v[1:2], v[1:2], -v[11:12]
	v_add_f64 v[3:4], v[3:4], -v[7:8]
	s_cbranch_scc0 .LBB213_85
.LBB213_86:                             ;   in Loop: Header=BB213_84 Depth=1
	s_mul_i32 s5, s6, 0xd0
	s_delay_alu instid0(SALU_CYCLE_1)
	v_dual_mov_b32 v5, s5 :: v_dual_add_nc_u32 v14, 0x900, v5
	ds_load_b128 v[5:8], v5
	s_waitcnt lgkmcnt(0)
	v_cmp_gt_f64_e32 vcc_lo, 0, v[5:6]
	v_xor_b32_e32 v10, 0x80000000, v6
	v_mov_b32_e32 v9, v5
	v_xor_b32_e32 v11, 0x80000000, v8
	s_delay_alu instid0(VALU_DEP_3) | instskip(SKIP_1) | instid1(VALU_DEP_3)
	v_cndmask_b32_e32 v10, v6, v10, vcc_lo
	v_cmp_gt_f64_e32 vcc_lo, 0, v[7:8]
	v_dual_cndmask_b32 v12, v8, v11 :: v_dual_mov_b32 v11, v7
	s_delay_alu instid0(VALU_DEP_1)
	v_cmp_ngt_f64_e32 vcc_lo, v[9:10], v[11:12]
	s_cbranch_vccz .LBB213_88
; %bb.87:                               ;   in Loop: Header=BB213_84 Depth=1
	v_div_scale_f64 v[9:10], null, v[7:8], v[7:8], v[5:6]
	v_div_scale_f64 v[17:18], vcc_lo, v[5:6], v[7:8], v[5:6]
	s_delay_alu instid0(VALU_DEP_2) | instskip(SKIP_2) | instid1(VALU_DEP_1)
	v_rcp_f64_e32 v[11:12], v[9:10]
	s_waitcnt_depctr 0xfff
	v_fma_f64 v[15:16], -v[9:10], v[11:12], 1.0
	v_fma_f64 v[11:12], v[11:12], v[15:16], v[11:12]
	s_delay_alu instid0(VALU_DEP_1) | instskip(NEXT) | instid1(VALU_DEP_1)
	v_fma_f64 v[15:16], -v[9:10], v[11:12], 1.0
	v_fma_f64 v[11:12], v[11:12], v[15:16], v[11:12]
	s_delay_alu instid0(VALU_DEP_1) | instskip(NEXT) | instid1(VALU_DEP_1)
	v_mul_f64 v[15:16], v[17:18], v[11:12]
	v_fma_f64 v[9:10], -v[9:10], v[15:16], v[17:18]
	s_delay_alu instid0(VALU_DEP_1) | instskip(NEXT) | instid1(VALU_DEP_1)
	v_div_fmas_f64 v[9:10], v[9:10], v[11:12], v[15:16]
	v_div_fixup_f64 v[9:10], v[9:10], v[7:8], v[5:6]
	s_delay_alu instid0(VALU_DEP_1) | instskip(NEXT) | instid1(VALU_DEP_1)
	v_fma_f64 v[11:12], v[5:6], v[9:10], v[7:8]
	v_div_scale_f64 v[15:16], null, v[11:12], v[11:12], 1.0
	v_div_scale_f64 v[21:22], vcc_lo, 1.0, v[11:12], 1.0
	s_delay_alu instid0(VALU_DEP_2) | instskip(SKIP_2) | instid1(VALU_DEP_1)
	v_rcp_f64_e32 v[17:18], v[15:16]
	s_waitcnt_depctr 0xfff
	v_fma_f64 v[19:20], -v[15:16], v[17:18], 1.0
	v_fma_f64 v[17:18], v[17:18], v[19:20], v[17:18]
	s_delay_alu instid0(VALU_DEP_1) | instskip(NEXT) | instid1(VALU_DEP_1)
	v_fma_f64 v[19:20], -v[15:16], v[17:18], 1.0
	v_fma_f64 v[17:18], v[17:18], v[19:20], v[17:18]
	s_delay_alu instid0(VALU_DEP_1) | instskip(NEXT) | instid1(VALU_DEP_1)
	v_mul_f64 v[19:20], v[21:22], v[17:18]
	v_fma_f64 v[15:16], -v[15:16], v[19:20], v[21:22]
	s_delay_alu instid0(VALU_DEP_1) | instskip(SKIP_1) | instid1(VALU_DEP_2)
	v_div_fmas_f64 v[15:16], v[15:16], v[17:18], v[19:20]
	v_fma_f64 v[17:18], v[1:2], v[9:10], v[3:4]
	v_div_fixup_f64 v[11:12], v[15:16], v[11:12], 1.0
	v_fma_f64 v[15:16], v[3:4], v[9:10], -v[1:2]
	s_delay_alu instid0(VALU_DEP_2) | instskip(NEXT) | instid1(VALU_DEP_2)
	v_mul_f64 v[9:10], v[17:18], v[11:12]
	v_mul_f64 v[11:12], v[15:16], v[11:12]
	s_cbranch_execnz .LBB213_83
	s_branch .LBB213_89
.LBB213_88:                             ;   in Loop: Header=BB213_84 Depth=1
                                        ; implicit-def: $vgpr9_vgpr10
.LBB213_89:                             ;   in Loop: Header=BB213_84 Depth=1
	v_div_scale_f64 v[9:10], null, v[5:6], v[5:6], v[7:8]
	v_div_scale_f64 v[17:18], vcc_lo, v[7:8], v[5:6], v[7:8]
	s_delay_alu instid0(VALU_DEP_2) | instskip(SKIP_2) | instid1(VALU_DEP_1)
	v_rcp_f64_e32 v[11:12], v[9:10]
	s_waitcnt_depctr 0xfff
	v_fma_f64 v[15:16], -v[9:10], v[11:12], 1.0
	v_fma_f64 v[11:12], v[11:12], v[15:16], v[11:12]
	s_delay_alu instid0(VALU_DEP_1) | instskip(NEXT) | instid1(VALU_DEP_1)
	v_fma_f64 v[15:16], -v[9:10], v[11:12], 1.0
	v_fma_f64 v[11:12], v[11:12], v[15:16], v[11:12]
	s_delay_alu instid0(VALU_DEP_1) | instskip(NEXT) | instid1(VALU_DEP_1)
	v_mul_f64 v[15:16], v[17:18], v[11:12]
	v_fma_f64 v[9:10], -v[9:10], v[15:16], v[17:18]
	s_delay_alu instid0(VALU_DEP_1) | instskip(NEXT) | instid1(VALU_DEP_1)
	v_div_fmas_f64 v[9:10], v[9:10], v[11:12], v[15:16]
	v_div_fixup_f64 v[9:10], v[9:10], v[5:6], v[7:8]
	s_delay_alu instid0(VALU_DEP_1) | instskip(NEXT) | instid1(VALU_DEP_1)
	v_fma_f64 v[5:6], v[7:8], v[9:10], v[5:6]
	v_div_scale_f64 v[7:8], null, v[5:6], v[5:6], 1.0
	v_div_scale_f64 v[17:18], vcc_lo, 1.0, v[5:6], 1.0
	s_delay_alu instid0(VALU_DEP_2) | instskip(SKIP_2) | instid1(VALU_DEP_1)
	v_rcp_f64_e32 v[11:12], v[7:8]
	s_waitcnt_depctr 0xfff
	v_fma_f64 v[15:16], -v[7:8], v[11:12], 1.0
	v_fma_f64 v[11:12], v[11:12], v[15:16], v[11:12]
	s_delay_alu instid0(VALU_DEP_1) | instskip(NEXT) | instid1(VALU_DEP_1)
	v_fma_f64 v[15:16], -v[7:8], v[11:12], 1.0
	v_fma_f64 v[11:12], v[11:12], v[15:16], v[11:12]
	s_delay_alu instid0(VALU_DEP_1) | instskip(NEXT) | instid1(VALU_DEP_1)
	v_mul_f64 v[15:16], v[17:18], v[11:12]
	v_fma_f64 v[7:8], -v[7:8], v[15:16], v[17:18]
	s_delay_alu instid0(VALU_DEP_1) | instskip(SKIP_2) | instid1(VALU_DEP_3)
	v_div_fmas_f64 v[7:8], v[7:8], v[11:12], v[15:16]
	v_fma_f64 v[11:12], v[3:4], v[9:10], v[1:2]
	v_fma_f64 v[1:2], -v[1:2], v[9:10], v[3:4]
	v_div_fixup_f64 v[5:6], v[7:8], v[5:6], 1.0
	s_delay_alu instid0(VALU_DEP_1) | instskip(NEXT) | instid1(VALU_DEP_3)
	v_mul_f64 v[9:10], v[11:12], v[5:6]
	v_mul_f64 v[11:12], v[1:2], v[5:6]
	s_branch .LBB213_83
.LBB213_90:
	s_mov_b32 s5, 0
.LBB213_91:
	s_delay_alu instid0(SALU_CYCLE_1)
	s_and_not1_b32 vcc_lo, exec_lo, s5
	s_cbranch_vccnz .LBB213_123
; %bb.92:
	s_and_not1_b32 vcc_lo, exec_lo, s1
	s_mul_i32 s1, s28, 0xc0
	s_mov_b32 s6, s29
	s_cbranch_vccnz .LBB213_114
; %bb.93:
	v_lshlrev_b32_e32 v1, 4, v0
	s_mul_i32 s4, s28, 0xd0
	s_mov_b32 s5, s29
	s_addk_i32 s4, 0xfce0
	s_delay_alu instid0(VALU_DEP_1)
	v_add3_u32 v25, s1, v1, 0x780
.LBB213_94:                             ; =>This Loop Header: Depth=1
                                        ;     Child Loop BB213_95 Depth 2
	s_mul_i32 s6, s5, 12
	s_delay_alu instid0(VALU_DEP_1)
	v_mov_b32_e32 v21, v25
	s_add_i32 s8, s6, -12
	v_add_lshl_u32 v13, s6, v0, 4
	s_sub_i32 s7, s6, 24
	v_add_lshl_u32 v14, s8, v0, 4
	s_sub_i32 s6, s6, 36
	v_add_lshl_u32 v15, s7, v0, 4
	v_add_lshl_u32 v16, s6, v0, 4
	ds_load_b128 v[17:20], v13 offset:2304
	ds_load_b128 v[9:12], v14 offset:2304
	ds_load_b128 v[5:8], v15 offset:2304
	ds_load_b128 v[1:4], v16 offset:2304
	s_cmp_le_i32 s29, s5
	s_mov_b32 s9, s4
	s_mov_b32 s10, s29
	s_cbranch_scc1 .LBB213_96
.LBB213_95:                             ;   Parent Loop BB213_94 Depth=1
                                        ; =>  This Inner Loop Header: Depth=2
	v_mov_b32_e32 v22, s9
	s_add_i32 s10, s10, -2
	s_sub_i32 s9, s9, 32
	s_cmp_le_i32 s10, s5
	ds_load_b128 v[26:29], v21 offset:192
	ds_load_b128 v[30:33], v22 offset:592
	;; [unrolled: 1-line block ×5, first 2 shown]
	ds_load_b128 v[46:49], v22
	ds_load_b128 v[50:53], v21
	ds_load_b128 v[54:57], v22 offset:576
	ds_load_b128 v[58:61], v22 offset:384
	;; [unrolled: 1-line block ×3, first 2 shown]
	v_add_nc_u32_e32 v21, 0xfffffe80, v21
	s_waitcnt lgkmcnt(8)
	v_mul_f64 v[22:23], v[28:29], v[32:33]
	v_mul_f64 v[32:33], v[26:27], v[32:33]
	s_waitcnt lgkmcnt(7)
	v_mul_f64 v[66:67], v[28:29], v[36:37]
	v_mul_f64 v[36:37], v[26:27], v[36:37]
	;; [unrolled: 3-line block ×7, first 2 shown]
	v_mul_f64 v[78:79], v[52:53], v[48:49]
	v_mul_f64 v[48:49], v[50:51], v[48:49]
	v_fma_f64 v[22:23], v[26:27], v[30:31], -v[22:23]
	v_fma_f64 v[30:31], v[28:29], v[30:31], v[32:33]
	v_fma_f64 v[32:33], v[26:27], v[34:35], -v[66:67]
	v_fma_f64 v[34:35], v[28:29], v[34:35], v[36:37]
	;; [unrolled: 2-line block ×8, first 2 shown]
	v_add_f64 v[17:18], v[17:18], -v[22:23]
	v_add_f64 v[19:20], v[19:20], -v[30:31]
	;; [unrolled: 1-line block ×16, first 2 shown]
	s_cbranch_scc0 .LBB213_95
.LBB213_96:                             ;   in Loop: Header=BB213_94 Depth=1
	s_mul_i32 s9, s5, 0xd0
	v_add_nc_u32_e32 v29, 0x900, v13
	v_dual_mov_b32 v13, s9 :: v_dual_add_nc_u32 v28, 0x900, v14
	v_add_nc_u32_e32 v27, 0x900, v15
	ds_load_b128 v[21:24], v13
	s_waitcnt lgkmcnt(0)
	v_dual_mov_b32 v13, v21 :: v_dual_add_nc_u32 v26, 0x900, v16
	v_cmp_gt_f64_e32 vcc_lo, 0, v[21:22]
	v_xor_b32_e32 v14, 0x80000000, v22
	v_xor_b32_e32 v15, 0x80000000, v24
	s_delay_alu instid0(VALU_DEP_2) | instskip(SKIP_1) | instid1(VALU_DEP_3)
	v_cndmask_b32_e32 v14, v22, v14, vcc_lo
	v_cmp_gt_f64_e32 vcc_lo, 0, v[23:24]
	v_dual_cndmask_b32 v16, v24, v15 :: v_dual_mov_b32 v15, v23
	s_delay_alu instid0(VALU_DEP_1)
	v_cmp_ngt_f64_e32 vcc_lo, v[13:14], v[15:16]
	s_cbranch_vccz .LBB213_98
; %bb.97:                               ;   in Loop: Header=BB213_94 Depth=1
	v_div_scale_f64 v[13:14], null, v[23:24], v[23:24], v[21:22]
	v_div_scale_f64 v[32:33], vcc_lo, v[21:22], v[23:24], v[21:22]
	s_delay_alu instid0(VALU_DEP_2) | instskip(SKIP_2) | instid1(VALU_DEP_1)
	v_rcp_f64_e32 v[15:16], v[13:14]
	s_waitcnt_depctr 0xfff
	v_fma_f64 v[30:31], -v[13:14], v[15:16], 1.0
	v_fma_f64 v[15:16], v[15:16], v[30:31], v[15:16]
	s_delay_alu instid0(VALU_DEP_1) | instskip(NEXT) | instid1(VALU_DEP_1)
	v_fma_f64 v[30:31], -v[13:14], v[15:16], 1.0
	v_fma_f64 v[15:16], v[15:16], v[30:31], v[15:16]
	s_delay_alu instid0(VALU_DEP_1) | instskip(NEXT) | instid1(VALU_DEP_1)
	v_mul_f64 v[30:31], v[32:33], v[15:16]
	v_fma_f64 v[13:14], -v[13:14], v[30:31], v[32:33]
	s_delay_alu instid0(VALU_DEP_1) | instskip(NEXT) | instid1(VALU_DEP_1)
	v_div_fmas_f64 v[13:14], v[13:14], v[15:16], v[30:31]
	v_div_fixup_f64 v[13:14], v[13:14], v[23:24], v[21:22]
	s_delay_alu instid0(VALU_DEP_1) | instskip(NEXT) | instid1(VALU_DEP_1)
	v_fma_f64 v[15:16], v[21:22], v[13:14], v[23:24]
	v_div_scale_f64 v[30:31], null, v[15:16], v[15:16], 1.0
	v_div_scale_f64 v[36:37], vcc_lo, 1.0, v[15:16], 1.0
	s_delay_alu instid0(VALU_DEP_2) | instskip(SKIP_2) | instid1(VALU_DEP_1)
	v_rcp_f64_e32 v[32:33], v[30:31]
	s_waitcnt_depctr 0xfff
	v_fma_f64 v[34:35], -v[30:31], v[32:33], 1.0
	v_fma_f64 v[32:33], v[32:33], v[34:35], v[32:33]
	s_delay_alu instid0(VALU_DEP_1) | instskip(NEXT) | instid1(VALU_DEP_1)
	v_fma_f64 v[34:35], -v[30:31], v[32:33], 1.0
	v_fma_f64 v[32:33], v[32:33], v[34:35], v[32:33]
	s_delay_alu instid0(VALU_DEP_1) | instskip(NEXT) | instid1(VALU_DEP_1)
	v_mul_f64 v[34:35], v[36:37], v[32:33]
	v_fma_f64 v[30:31], -v[30:31], v[34:35], v[36:37]
	s_delay_alu instid0(VALU_DEP_1) | instskip(SKIP_1) | instid1(VALU_DEP_2)
	v_div_fmas_f64 v[30:31], v[30:31], v[32:33], v[34:35]
	v_fma_f64 v[32:33], v[17:18], v[13:14], v[19:20]
	v_div_fixup_f64 v[15:16], v[30:31], v[15:16], 1.0
	v_fma_f64 v[30:31], v[19:20], v[13:14], -v[17:18]
	s_delay_alu instid0(VALU_DEP_2) | instskip(NEXT) | instid1(VALU_DEP_2)
	v_mul_f64 v[13:14], v[32:33], v[15:16]
	v_mul_f64 v[15:16], v[30:31], v[15:16]
	s_cbranch_execz .LBB213_99
	s_branch .LBB213_100
.LBB213_98:                             ;   in Loop: Header=BB213_94 Depth=1
                                        ; implicit-def: $vgpr15_vgpr16
.LBB213_99:                             ;   in Loop: Header=BB213_94 Depth=1
	v_div_scale_f64 v[13:14], null, v[21:22], v[21:22], v[23:24]
	v_div_scale_f64 v[32:33], vcc_lo, v[23:24], v[21:22], v[23:24]
	s_delay_alu instid0(VALU_DEP_2) | instskip(SKIP_2) | instid1(VALU_DEP_1)
	v_rcp_f64_e32 v[15:16], v[13:14]
	s_waitcnt_depctr 0xfff
	v_fma_f64 v[30:31], -v[13:14], v[15:16], 1.0
	v_fma_f64 v[15:16], v[15:16], v[30:31], v[15:16]
	s_delay_alu instid0(VALU_DEP_1) | instskip(NEXT) | instid1(VALU_DEP_1)
	v_fma_f64 v[30:31], -v[13:14], v[15:16], 1.0
	v_fma_f64 v[15:16], v[15:16], v[30:31], v[15:16]
	s_delay_alu instid0(VALU_DEP_1) | instskip(NEXT) | instid1(VALU_DEP_1)
	v_mul_f64 v[30:31], v[32:33], v[15:16]
	v_fma_f64 v[13:14], -v[13:14], v[30:31], v[32:33]
	s_delay_alu instid0(VALU_DEP_1) | instskip(NEXT) | instid1(VALU_DEP_1)
	v_div_fmas_f64 v[13:14], v[13:14], v[15:16], v[30:31]
	v_div_fixup_f64 v[13:14], v[13:14], v[21:22], v[23:24]
	s_delay_alu instid0(VALU_DEP_1) | instskip(NEXT) | instid1(VALU_DEP_1)
	v_fma_f64 v[15:16], v[23:24], v[13:14], v[21:22]
	v_div_scale_f64 v[21:22], null, v[15:16], v[15:16], 1.0
	v_div_scale_f64 v[32:33], vcc_lo, 1.0, v[15:16], 1.0
	s_delay_alu instid0(VALU_DEP_2) | instskip(SKIP_2) | instid1(VALU_DEP_1)
	v_rcp_f64_e32 v[23:24], v[21:22]
	s_waitcnt_depctr 0xfff
	v_fma_f64 v[30:31], -v[21:22], v[23:24], 1.0
	v_fma_f64 v[23:24], v[23:24], v[30:31], v[23:24]
	s_delay_alu instid0(VALU_DEP_1) | instskip(NEXT) | instid1(VALU_DEP_1)
	v_fma_f64 v[30:31], -v[21:22], v[23:24], 1.0
	v_fma_f64 v[23:24], v[23:24], v[30:31], v[23:24]
	s_delay_alu instid0(VALU_DEP_1) | instskip(NEXT) | instid1(VALU_DEP_1)
	v_mul_f64 v[30:31], v[32:33], v[23:24]
	v_fma_f64 v[21:22], -v[21:22], v[30:31], v[32:33]
	s_delay_alu instid0(VALU_DEP_1) | instskip(SKIP_2) | instid1(VALU_DEP_3)
	v_div_fmas_f64 v[21:22], v[21:22], v[23:24], v[30:31]
	v_fma_f64 v[23:24], v[19:20], v[13:14], v[17:18]
	v_fma_f64 v[17:18], -v[17:18], v[13:14], v[19:20]
	v_div_fixup_f64 v[15:16], v[21:22], v[15:16], 1.0
	s_delay_alu instid0(VALU_DEP_1) | instskip(NEXT) | instid1(VALU_DEP_3)
	v_mul_f64 v[13:14], v[23:24], v[15:16]
	v_mul_f64 v[15:16], v[17:18], v[15:16]
.LBB213_100:                            ;   in Loop: Header=BB213_94 Depth=1
	s_add_i32 s8, s8, s5
	s_addk_i32 s9, 0xff30
	s_lshl_b32 s8, s8, 4
	ds_store_b128 v29, v[13:16]
	v_mov_b32_e32 v17, s8
	ds_load_b128 v[21:24], v17
	v_mov_b32_e32 v17, s9
	ds_load_b128 v[17:20], v17
	s_waitcnt lgkmcnt(1)
	v_mul_f64 v[30:31], v[15:16], v[23:24]
	v_mul_f64 v[23:24], v[13:14], v[23:24]
	s_waitcnt lgkmcnt(0)
	v_cmp_gt_f64_e32 vcc_lo, 0, v[17:18]
	v_xor_b32_e32 v33, 0x80000000, v20
	v_mov_b32_e32 v32, v19
	v_fma_f64 v[30:31], v[13:14], v[21:22], -v[30:31]
	v_fma_f64 v[23:24], v[15:16], v[21:22], v[23:24]
	v_xor_b32_e32 v22, 0x80000000, v18
	s_delay_alu instid0(VALU_DEP_1) | instskip(SKIP_1) | instid1(VALU_DEP_4)
	v_dual_mov_b32 v21, v17 :: v_dual_cndmask_b32 v22, v18, v22
	v_cmp_gt_f64_e32 vcc_lo, 0, v[19:20]
	v_add_f64 v[23:24], v[11:12], -v[23:24]
	v_cndmask_b32_e32 v33, v20, v33, vcc_lo
	s_delay_alu instid0(VALU_DEP_1)
	v_cmp_ngt_f64_e32 vcc_lo, v[21:22], v[32:33]
	v_add_f64 v[21:22], v[9:10], -v[30:31]
	s_cbranch_vccz .LBB213_102
; %bb.101:                              ;   in Loop: Header=BB213_94 Depth=1
	v_div_scale_f64 v[9:10], null, v[19:20], v[19:20], v[17:18]
	v_div_scale_f64 v[31:32], vcc_lo, v[17:18], v[19:20], v[17:18]
	s_delay_alu instid0(VALU_DEP_2) | instskip(SKIP_2) | instid1(VALU_DEP_1)
	v_rcp_f64_e32 v[11:12], v[9:10]
	s_waitcnt_depctr 0xfff
	v_fma_f64 v[29:30], -v[9:10], v[11:12], 1.0
	v_fma_f64 v[11:12], v[11:12], v[29:30], v[11:12]
	s_delay_alu instid0(VALU_DEP_1) | instskip(NEXT) | instid1(VALU_DEP_1)
	v_fma_f64 v[29:30], -v[9:10], v[11:12], 1.0
	v_fma_f64 v[11:12], v[11:12], v[29:30], v[11:12]
	s_delay_alu instid0(VALU_DEP_1) | instskip(NEXT) | instid1(VALU_DEP_1)
	v_mul_f64 v[29:30], v[31:32], v[11:12]
	v_fma_f64 v[9:10], -v[9:10], v[29:30], v[31:32]
	s_delay_alu instid0(VALU_DEP_1) | instskip(NEXT) | instid1(VALU_DEP_1)
	v_div_fmas_f64 v[9:10], v[9:10], v[11:12], v[29:30]
	v_div_fixup_f64 v[9:10], v[9:10], v[19:20], v[17:18]
	s_delay_alu instid0(VALU_DEP_1) | instskip(NEXT) | instid1(VALU_DEP_1)
	v_fma_f64 v[11:12], v[17:18], v[9:10], v[19:20]
	v_div_scale_f64 v[29:30], null, v[11:12], v[11:12], 1.0
	v_div_scale_f64 v[35:36], vcc_lo, 1.0, v[11:12], 1.0
	s_delay_alu instid0(VALU_DEP_2) | instskip(SKIP_2) | instid1(VALU_DEP_1)
	v_rcp_f64_e32 v[31:32], v[29:30]
	s_waitcnt_depctr 0xfff
	v_fma_f64 v[33:34], -v[29:30], v[31:32], 1.0
	v_fma_f64 v[31:32], v[31:32], v[33:34], v[31:32]
	s_delay_alu instid0(VALU_DEP_1) | instskip(NEXT) | instid1(VALU_DEP_1)
	v_fma_f64 v[33:34], -v[29:30], v[31:32], 1.0
	v_fma_f64 v[31:32], v[31:32], v[33:34], v[31:32]
	s_delay_alu instid0(VALU_DEP_1) | instskip(NEXT) | instid1(VALU_DEP_1)
	v_mul_f64 v[33:34], v[35:36], v[31:32]
	v_fma_f64 v[29:30], -v[29:30], v[33:34], v[35:36]
	s_delay_alu instid0(VALU_DEP_1) | instskip(SKIP_1) | instid1(VALU_DEP_2)
	v_div_fmas_f64 v[29:30], v[29:30], v[31:32], v[33:34]
	v_fma_f64 v[31:32], v[9:10], v[21:22], v[23:24]
	v_div_fixup_f64 v[11:12], v[29:30], v[11:12], 1.0
	v_fma_f64 v[29:30], v[9:10], v[23:24], -v[21:22]
	s_delay_alu instid0(VALU_DEP_2) | instskip(NEXT) | instid1(VALU_DEP_2)
	v_mul_f64 v[9:10], v[31:32], v[11:12]
	v_mul_f64 v[11:12], v[29:30], v[11:12]
	s_cbranch_execz .LBB213_103
	s_branch .LBB213_104
.LBB213_102:                            ;   in Loop: Header=BB213_94 Depth=1
                                        ; implicit-def: $vgpr11_vgpr12
.LBB213_103:                            ;   in Loop: Header=BB213_94 Depth=1
	v_div_scale_f64 v[9:10], null, v[17:18], v[17:18], v[19:20]
	v_div_scale_f64 v[31:32], vcc_lo, v[19:20], v[17:18], v[19:20]
	s_delay_alu instid0(VALU_DEP_2) | instskip(SKIP_2) | instid1(VALU_DEP_1)
	v_rcp_f64_e32 v[11:12], v[9:10]
	s_waitcnt_depctr 0xfff
	v_fma_f64 v[29:30], -v[9:10], v[11:12], 1.0
	v_fma_f64 v[11:12], v[11:12], v[29:30], v[11:12]
	s_delay_alu instid0(VALU_DEP_1) | instskip(NEXT) | instid1(VALU_DEP_1)
	v_fma_f64 v[29:30], -v[9:10], v[11:12], 1.0
	v_fma_f64 v[11:12], v[11:12], v[29:30], v[11:12]
	s_delay_alu instid0(VALU_DEP_1) | instskip(NEXT) | instid1(VALU_DEP_1)
	v_mul_f64 v[29:30], v[31:32], v[11:12]
	v_fma_f64 v[9:10], -v[9:10], v[29:30], v[31:32]
	s_delay_alu instid0(VALU_DEP_1) | instskip(NEXT) | instid1(VALU_DEP_1)
	v_div_fmas_f64 v[9:10], v[9:10], v[11:12], v[29:30]
	v_div_fixup_f64 v[9:10], v[9:10], v[17:18], v[19:20]
	s_delay_alu instid0(VALU_DEP_1) | instskip(NEXT) | instid1(VALU_DEP_1)
	v_fma_f64 v[11:12], v[19:20], v[9:10], v[17:18]
	v_div_scale_f64 v[17:18], null, v[11:12], v[11:12], 1.0
	v_div_scale_f64 v[31:32], vcc_lo, 1.0, v[11:12], 1.0
	s_delay_alu instid0(VALU_DEP_2) | instskip(SKIP_2) | instid1(VALU_DEP_1)
	v_rcp_f64_e32 v[19:20], v[17:18]
	s_waitcnt_depctr 0xfff
	v_fma_f64 v[29:30], -v[17:18], v[19:20], 1.0
	v_fma_f64 v[19:20], v[19:20], v[29:30], v[19:20]
	s_delay_alu instid0(VALU_DEP_1) | instskip(NEXT) | instid1(VALU_DEP_1)
	v_fma_f64 v[29:30], -v[17:18], v[19:20], 1.0
	v_fma_f64 v[19:20], v[19:20], v[29:30], v[19:20]
	s_delay_alu instid0(VALU_DEP_1) | instskip(NEXT) | instid1(VALU_DEP_1)
	v_mul_f64 v[29:30], v[31:32], v[19:20]
	v_fma_f64 v[17:18], -v[17:18], v[29:30], v[31:32]
	s_delay_alu instid0(VALU_DEP_1) | instskip(SKIP_1) | instid1(VALU_DEP_2)
	v_div_fmas_f64 v[17:18], v[17:18], v[19:20], v[29:30]
	v_fma_f64 v[19:20], v[9:10], v[23:24], v[21:22]
	v_div_fixup_f64 v[11:12], v[17:18], v[11:12], 1.0
	v_fma_f64 v[17:18], -v[9:10], v[21:22], v[23:24]
	s_delay_alu instid0(VALU_DEP_2) | instskip(NEXT) | instid1(VALU_DEP_2)
	v_mul_f64 v[9:10], v[19:20], v[11:12]
	v_mul_f64 v[11:12], v[17:18], v[11:12]
.LBB213_104:                            ;   in Loop: Header=BB213_94 Depth=1
	s_add_i32 s8, s7, s5
	ds_store_b128 v28, v[9:12]
	s_lshl_b32 s8, s8, 4
	s_delay_alu instid0(SALU_CYCLE_1) | instskip(SKIP_1) | instid1(SALU_CYCLE_1)
	v_mov_b32_e32 v17, s8
	s_add_i32 s8, s5, -1
	s_add_i32 s7, s7, s8
	s_delay_alu instid0(SALU_CYCLE_1)
	s_lshl_b32 s7, s7, 4
	ds_load_b128 v[17:20], v17
	v_mov_b32_e32 v21, s7
	s_add_i32 s7, s9, 0xffffff30
	ds_load_b128 v[21:24], v21
	s_waitcnt lgkmcnt(1)
	v_mul_f64 v[29:30], v[15:16], v[19:20]
	v_mul_f64 v[19:20], v[13:14], v[19:20]
	s_waitcnt lgkmcnt(0)
	v_mul_f64 v[31:32], v[11:12], v[23:24]
	v_mul_f64 v[23:24], v[9:10], v[23:24]
	s_delay_alu instid0(VALU_DEP_4) | instskip(NEXT) | instid1(VALU_DEP_4)
	v_fma_f64 v[29:30], v[13:14], v[17:18], -v[29:30]
	v_fma_f64 v[17:18], v[15:16], v[17:18], v[19:20]
	v_mov_b32_e32 v19, s7
	v_fma_f64 v[31:32], v[9:10], v[21:22], -v[31:32]
	v_fma_f64 v[23:24], v[11:12], v[21:22], v[23:24]
	v_add_f64 v[5:6], v[5:6], -v[29:30]
	v_add_f64 v[7:8], v[7:8], -v[17:18]
	ds_load_b128 v[17:20], v19
	s_waitcnt lgkmcnt(0)
	v_cmp_gt_f64_e32 vcc_lo, 0, v[17:18]
	v_xor_b32_e32 v22, 0x80000000, v18
	v_xor_b32_e32 v30, 0x80000000, v20
	v_mov_b32_e32 v21, v17
	v_mov_b32_e32 v29, v19
	v_add_f64 v[23:24], v[7:8], -v[23:24]
	v_cndmask_b32_e32 v22, v18, v22, vcc_lo
	v_cmp_gt_f64_e32 vcc_lo, 0, v[19:20]
	v_cndmask_b32_e32 v30, v20, v30, vcc_lo
	s_delay_alu instid0(VALU_DEP_1)
	v_cmp_ngt_f64_e32 vcc_lo, v[21:22], v[29:30]
	v_add_f64 v[21:22], v[5:6], -v[31:32]
	s_cbranch_vccz .LBB213_106
; %bb.105:                              ;   in Loop: Header=BB213_94 Depth=1
	v_div_scale_f64 v[5:6], null, v[19:20], v[19:20], v[17:18]
	v_div_scale_f64 v[30:31], vcc_lo, v[17:18], v[19:20], v[17:18]
	s_delay_alu instid0(VALU_DEP_2) | instskip(SKIP_2) | instid1(VALU_DEP_1)
	v_rcp_f64_e32 v[7:8], v[5:6]
	s_waitcnt_depctr 0xfff
	v_fma_f64 v[28:29], -v[5:6], v[7:8], 1.0
	v_fma_f64 v[7:8], v[7:8], v[28:29], v[7:8]
	s_delay_alu instid0(VALU_DEP_1) | instskip(NEXT) | instid1(VALU_DEP_1)
	v_fma_f64 v[28:29], -v[5:6], v[7:8], 1.0
	v_fma_f64 v[7:8], v[7:8], v[28:29], v[7:8]
	s_delay_alu instid0(VALU_DEP_1) | instskip(NEXT) | instid1(VALU_DEP_1)
	v_mul_f64 v[28:29], v[30:31], v[7:8]
	v_fma_f64 v[5:6], -v[5:6], v[28:29], v[30:31]
	s_delay_alu instid0(VALU_DEP_1) | instskip(NEXT) | instid1(VALU_DEP_1)
	v_div_fmas_f64 v[5:6], v[5:6], v[7:8], v[28:29]
	v_div_fixup_f64 v[5:6], v[5:6], v[19:20], v[17:18]
	s_delay_alu instid0(VALU_DEP_1) | instskip(NEXT) | instid1(VALU_DEP_1)
	v_fma_f64 v[7:8], v[17:18], v[5:6], v[19:20]
	v_div_scale_f64 v[28:29], null, v[7:8], v[7:8], 1.0
	v_div_scale_f64 v[34:35], vcc_lo, 1.0, v[7:8], 1.0
	s_delay_alu instid0(VALU_DEP_2) | instskip(SKIP_2) | instid1(VALU_DEP_1)
	v_rcp_f64_e32 v[30:31], v[28:29]
	s_waitcnt_depctr 0xfff
	v_fma_f64 v[32:33], -v[28:29], v[30:31], 1.0
	v_fma_f64 v[30:31], v[30:31], v[32:33], v[30:31]
	s_delay_alu instid0(VALU_DEP_1) | instskip(NEXT) | instid1(VALU_DEP_1)
	v_fma_f64 v[32:33], -v[28:29], v[30:31], 1.0
	v_fma_f64 v[30:31], v[30:31], v[32:33], v[30:31]
	s_delay_alu instid0(VALU_DEP_1) | instskip(NEXT) | instid1(VALU_DEP_1)
	v_mul_f64 v[32:33], v[34:35], v[30:31]
	v_fma_f64 v[28:29], -v[28:29], v[32:33], v[34:35]
	s_delay_alu instid0(VALU_DEP_1) | instskip(SKIP_1) | instid1(VALU_DEP_2)
	v_div_fmas_f64 v[28:29], v[28:29], v[30:31], v[32:33]
	v_fma_f64 v[30:31], v[5:6], v[21:22], v[23:24]
	v_div_fixup_f64 v[7:8], v[28:29], v[7:8], 1.0
	v_fma_f64 v[28:29], v[5:6], v[23:24], -v[21:22]
	s_delay_alu instid0(VALU_DEP_2) | instskip(NEXT) | instid1(VALU_DEP_2)
	v_mul_f64 v[5:6], v[30:31], v[7:8]
	v_mul_f64 v[7:8], v[28:29], v[7:8]
	s_cbranch_execz .LBB213_107
	s_branch .LBB213_108
.LBB213_106:                            ;   in Loop: Header=BB213_94 Depth=1
                                        ; implicit-def: $vgpr7_vgpr8
.LBB213_107:                            ;   in Loop: Header=BB213_94 Depth=1
	v_div_scale_f64 v[5:6], null, v[17:18], v[17:18], v[19:20]
	v_div_scale_f64 v[30:31], vcc_lo, v[19:20], v[17:18], v[19:20]
	s_delay_alu instid0(VALU_DEP_2) | instskip(SKIP_2) | instid1(VALU_DEP_1)
	v_rcp_f64_e32 v[7:8], v[5:6]
	s_waitcnt_depctr 0xfff
	v_fma_f64 v[28:29], -v[5:6], v[7:8], 1.0
	v_fma_f64 v[7:8], v[7:8], v[28:29], v[7:8]
	s_delay_alu instid0(VALU_DEP_1) | instskip(NEXT) | instid1(VALU_DEP_1)
	v_fma_f64 v[28:29], -v[5:6], v[7:8], 1.0
	v_fma_f64 v[7:8], v[7:8], v[28:29], v[7:8]
	s_delay_alu instid0(VALU_DEP_1) | instskip(NEXT) | instid1(VALU_DEP_1)
	v_mul_f64 v[28:29], v[30:31], v[7:8]
	v_fma_f64 v[5:6], -v[5:6], v[28:29], v[30:31]
	s_delay_alu instid0(VALU_DEP_1) | instskip(NEXT) | instid1(VALU_DEP_1)
	v_div_fmas_f64 v[5:6], v[5:6], v[7:8], v[28:29]
	v_div_fixup_f64 v[5:6], v[5:6], v[17:18], v[19:20]
	s_delay_alu instid0(VALU_DEP_1) | instskip(NEXT) | instid1(VALU_DEP_1)
	v_fma_f64 v[7:8], v[19:20], v[5:6], v[17:18]
	v_div_scale_f64 v[17:18], null, v[7:8], v[7:8], 1.0
	v_div_scale_f64 v[30:31], vcc_lo, 1.0, v[7:8], 1.0
	s_delay_alu instid0(VALU_DEP_2) | instskip(SKIP_2) | instid1(VALU_DEP_1)
	v_rcp_f64_e32 v[19:20], v[17:18]
	s_waitcnt_depctr 0xfff
	v_fma_f64 v[28:29], -v[17:18], v[19:20], 1.0
	v_fma_f64 v[19:20], v[19:20], v[28:29], v[19:20]
	s_delay_alu instid0(VALU_DEP_1) | instskip(NEXT) | instid1(VALU_DEP_1)
	v_fma_f64 v[28:29], -v[17:18], v[19:20], 1.0
	v_fma_f64 v[19:20], v[19:20], v[28:29], v[19:20]
	s_delay_alu instid0(VALU_DEP_1) | instskip(NEXT) | instid1(VALU_DEP_1)
	v_mul_f64 v[28:29], v[30:31], v[19:20]
	v_fma_f64 v[17:18], -v[17:18], v[28:29], v[30:31]
	s_delay_alu instid0(VALU_DEP_1) | instskip(SKIP_1) | instid1(VALU_DEP_2)
	v_div_fmas_f64 v[17:18], v[17:18], v[19:20], v[28:29]
	v_fma_f64 v[19:20], v[5:6], v[23:24], v[21:22]
	v_div_fixup_f64 v[7:8], v[17:18], v[7:8], 1.0
	v_fma_f64 v[17:18], -v[5:6], v[21:22], v[23:24]
	s_delay_alu instid0(VALU_DEP_2) | instskip(NEXT) | instid1(VALU_DEP_2)
	v_mul_f64 v[5:6], v[19:20], v[7:8]
	v_mul_f64 v[7:8], v[17:18], v[7:8]
.LBB213_108:                            ;   in Loop: Header=BB213_94 Depth=1
	s_add_i32 s9, s6, s5
	s_add_i32 s6, s6, s8
	s_lshl_b32 s9, s9, 4
	s_lshl_b32 s6, s6, 4
	v_mov_b32_e32 v17, s9
	v_mov_b32_e32 v21, s6
	s_sub_i32 s6, s9, 32
	ds_store_b128 v27, v[5:8]
	ds_load_b128 v[17:20], v17
	ds_load_b128 v[21:24], v21
	s_waitcnt lgkmcnt(1)
	v_mul_f64 v[28:29], v[15:16], v[19:20]
	v_mul_f64 v[19:20], v[13:14], v[19:20]
	s_delay_alu instid0(VALU_DEP_2) | instskip(SKIP_1) | instid1(VALU_DEP_3)
	v_fma_f64 v[28:29], v[13:14], v[17:18], -v[28:29]
	v_mov_b32_e32 v13, s6
	v_fma_f64 v[32:33], v[15:16], v[17:18], v[19:20]
	s_add_i32 s6, s7, 0xffffff30
	ds_load_b128 v[17:20], v13
	s_waitcnt lgkmcnt(1)
	v_mul_f64 v[30:31], v[11:12], v[23:24]
	v_mul_f64 v[23:24], v[9:10], v[23:24]
	v_mov_b32_e32 v13, s6
	ds_load_b128 v[13:16], v13
	s_waitcnt lgkmcnt(1)
	v_mul_f64 v[34:35], v[7:8], v[19:20]
	v_mul_f64 v[19:20], v[5:6], v[19:20]
	s_waitcnt lgkmcnt(0)
	v_cmp_gt_f64_e32 vcc_lo, 0, v[13:14]
	v_add_f64 v[1:2], v[1:2], -v[28:29]
	v_add_f64 v[3:4], v[3:4], -v[32:33]
	v_fma_f64 v[9:10], v[9:10], v[21:22], -v[30:31]
	v_fma_f64 v[11:12], v[11:12], v[21:22], v[23:24]
	v_fma_f64 v[21:22], v[5:6], v[17:18], -v[34:35]
	v_fma_f64 v[17:18], v[7:8], v[17:18], v[19:20]
	s_delay_alu instid0(VALU_DEP_4) | instskip(SKIP_4) | instid1(VALU_DEP_4)
	v_add_f64 v[1:2], v[1:2], -v[9:10]
	v_xor_b32_e32 v10, 0x80000000, v14
	v_add_f64 v[3:4], v[3:4], -v[11:12]
	v_xor_b32_e32 v12, 0x80000000, v16
	v_mov_b32_e32 v9, v13
	v_dual_mov_b32 v11, v15 :: v_dual_cndmask_b32 v10, v14, v10
	v_cmp_gt_f64_e32 vcc_lo, 0, v[15:16]
	s_delay_alu instid0(VALU_DEP_4) | instskip(NEXT) | instid1(VALU_DEP_1)
	v_cndmask_b32_e32 v12, v16, v12, vcc_lo
	v_cmp_ngt_f64_e32 vcc_lo, v[9:10], v[11:12]
	v_add_f64 v[9:10], v[1:2], -v[21:22]
	v_add_f64 v[11:12], v[3:4], -v[17:18]
	s_cbranch_vccz .LBB213_110
; %bb.109:                              ;   in Loop: Header=BB213_94 Depth=1
	v_div_scale_f64 v[1:2], null, v[15:16], v[15:16], v[13:14]
	v_div_scale_f64 v[7:8], vcc_lo, v[13:14], v[15:16], v[13:14]
	s_delay_alu instid0(VALU_DEP_2) | instskip(SKIP_2) | instid1(VALU_DEP_1)
	v_rcp_f64_e32 v[3:4], v[1:2]
	s_waitcnt_depctr 0xfff
	v_fma_f64 v[5:6], -v[1:2], v[3:4], 1.0
	v_fma_f64 v[3:4], v[3:4], v[5:6], v[3:4]
	s_delay_alu instid0(VALU_DEP_1) | instskip(NEXT) | instid1(VALU_DEP_1)
	v_fma_f64 v[5:6], -v[1:2], v[3:4], 1.0
	v_fma_f64 v[3:4], v[3:4], v[5:6], v[3:4]
	s_delay_alu instid0(VALU_DEP_1) | instskip(NEXT) | instid1(VALU_DEP_1)
	v_mul_f64 v[5:6], v[7:8], v[3:4]
	v_fma_f64 v[1:2], -v[1:2], v[5:6], v[7:8]
	s_delay_alu instid0(VALU_DEP_1) | instskip(NEXT) | instid1(VALU_DEP_1)
	v_div_fmas_f64 v[1:2], v[1:2], v[3:4], v[5:6]
	v_div_fixup_f64 v[1:2], v[1:2], v[15:16], v[13:14]
	s_delay_alu instid0(VALU_DEP_1) | instskip(NEXT) | instid1(VALU_DEP_1)
	v_fma_f64 v[3:4], v[13:14], v[1:2], v[15:16]
	v_div_scale_f64 v[5:6], null, v[3:4], v[3:4], 1.0
	v_div_scale_f64 v[19:20], vcc_lo, 1.0, v[3:4], 1.0
	s_delay_alu instid0(VALU_DEP_2) | instskip(SKIP_2) | instid1(VALU_DEP_1)
	v_rcp_f64_e32 v[7:8], v[5:6]
	s_waitcnt_depctr 0xfff
	v_fma_f64 v[17:18], -v[5:6], v[7:8], 1.0
	v_fma_f64 v[7:8], v[7:8], v[17:18], v[7:8]
	s_delay_alu instid0(VALU_DEP_1) | instskip(NEXT) | instid1(VALU_DEP_1)
	v_fma_f64 v[17:18], -v[5:6], v[7:8], 1.0
	v_fma_f64 v[7:8], v[7:8], v[17:18], v[7:8]
	s_delay_alu instid0(VALU_DEP_1) | instskip(NEXT) | instid1(VALU_DEP_1)
	v_mul_f64 v[17:18], v[19:20], v[7:8]
	v_fma_f64 v[5:6], -v[5:6], v[17:18], v[19:20]
	s_delay_alu instid0(VALU_DEP_1) | instskip(SKIP_1) | instid1(VALU_DEP_2)
	v_div_fmas_f64 v[5:6], v[5:6], v[7:8], v[17:18]
	v_fma_f64 v[7:8], v[1:2], v[9:10], v[11:12]
	v_div_fixup_f64 v[3:4], v[5:6], v[3:4], 1.0
	v_fma_f64 v[5:6], v[1:2], v[11:12], -v[9:10]
	s_delay_alu instid0(VALU_DEP_2) | instskip(NEXT) | instid1(VALU_DEP_2)
	v_mul_f64 v[1:2], v[7:8], v[3:4]
	v_mul_f64 v[3:4], v[5:6], v[3:4]
	s_cbranch_execz .LBB213_111
	s_branch .LBB213_112
.LBB213_110:                            ;   in Loop: Header=BB213_94 Depth=1
                                        ; implicit-def: $vgpr3_vgpr4
.LBB213_111:                            ;   in Loop: Header=BB213_94 Depth=1
	v_div_scale_f64 v[1:2], null, v[13:14], v[13:14], v[15:16]
	v_div_scale_f64 v[7:8], vcc_lo, v[15:16], v[13:14], v[15:16]
	s_delay_alu instid0(VALU_DEP_2) | instskip(SKIP_2) | instid1(VALU_DEP_1)
	v_rcp_f64_e32 v[3:4], v[1:2]
	s_waitcnt_depctr 0xfff
	v_fma_f64 v[5:6], -v[1:2], v[3:4], 1.0
	v_fma_f64 v[3:4], v[3:4], v[5:6], v[3:4]
	s_delay_alu instid0(VALU_DEP_1) | instskip(NEXT) | instid1(VALU_DEP_1)
	v_fma_f64 v[5:6], -v[1:2], v[3:4], 1.0
	v_fma_f64 v[3:4], v[3:4], v[5:6], v[3:4]
	s_delay_alu instid0(VALU_DEP_1) | instskip(NEXT) | instid1(VALU_DEP_1)
	v_mul_f64 v[5:6], v[7:8], v[3:4]
	v_fma_f64 v[1:2], -v[1:2], v[5:6], v[7:8]
	s_delay_alu instid0(VALU_DEP_1) | instskip(NEXT) | instid1(VALU_DEP_1)
	v_div_fmas_f64 v[1:2], v[1:2], v[3:4], v[5:6]
	v_div_fixup_f64 v[1:2], v[1:2], v[13:14], v[15:16]
	s_delay_alu instid0(VALU_DEP_1) | instskip(NEXT) | instid1(VALU_DEP_1)
	v_fma_f64 v[3:4], v[15:16], v[1:2], v[13:14]
	v_div_scale_f64 v[5:6], null, v[3:4], v[3:4], 1.0
	v_div_scale_f64 v[15:16], vcc_lo, 1.0, v[3:4], 1.0
	s_delay_alu instid0(VALU_DEP_2) | instskip(SKIP_2) | instid1(VALU_DEP_1)
	v_rcp_f64_e32 v[7:8], v[5:6]
	s_waitcnt_depctr 0xfff
	v_fma_f64 v[13:14], -v[5:6], v[7:8], 1.0
	v_fma_f64 v[7:8], v[7:8], v[13:14], v[7:8]
	s_delay_alu instid0(VALU_DEP_1) | instskip(NEXT) | instid1(VALU_DEP_1)
	v_fma_f64 v[13:14], -v[5:6], v[7:8], 1.0
	v_fma_f64 v[7:8], v[7:8], v[13:14], v[7:8]
	s_delay_alu instid0(VALU_DEP_1) | instskip(NEXT) | instid1(VALU_DEP_1)
	v_mul_f64 v[13:14], v[15:16], v[7:8]
	v_fma_f64 v[5:6], -v[5:6], v[13:14], v[15:16]
	s_delay_alu instid0(VALU_DEP_1) | instskip(SKIP_1) | instid1(VALU_DEP_2)
	v_div_fmas_f64 v[5:6], v[5:6], v[7:8], v[13:14]
	v_fma_f64 v[7:8], v[1:2], v[11:12], v[9:10]
	v_div_fixup_f64 v[3:4], v[5:6], v[3:4], 1.0
	v_fma_f64 v[5:6], -v[1:2], v[9:10], v[11:12]
	s_delay_alu instid0(VALU_DEP_2) | instskip(NEXT) | instid1(VALU_DEP_2)
	v_mul_f64 v[1:2], v[7:8], v[3:4]
	v_mul_f64 v[3:4], v[5:6], v[3:4]
.LBB213_112:                            ;   in Loop: Header=BB213_94 Depth=1
	s_add_i32 s6, s5, -4
	s_addk_i32 s4, 0xfd00
	s_cmp_lt_i32 s5, 7
	ds_store_b128 v26, v[1:4]
	s_cbranch_scc1 .LBB213_114
; %bb.113:                              ;   in Loop: Header=BB213_94 Depth=1
	s_mov_b32 s5, s6
	s_branch .LBB213_94
.LBB213_114:
	s_cmp_lt_i32 s6, 0
	s_cbranch_scc1 .LBB213_123
; %bb.115:
	v_lshlrev_b32_e32 v1, 4, v0
	s_mul_i32 s4, s6, 0xc0
	s_lshl_b32 s5, s28, 4
	s_delay_alu instid0(VALU_DEP_1) | instskip(SKIP_1) | instid1(SALU_CYCLE_1)
	v_add3_u32 v13, s1, v1, 0x840
	s_add_i32 s1, s4, s5
	s_add_i32 s1, s1, -16
	s_branch .LBB213_117
.LBB213_116:                            ;   in Loop: Header=BB213_117 Depth=1
	s_add_i32 s4, s6, -1
	s_addk_i32 s1, 0xff40
	s_cmp_lt_i32 s6, 1
	s_mov_b32 s6, s4
	ds_store_b128 v14, v[9:12]
	s_cbranch_scc1 .LBB213_123
.LBB213_117:                            ; =>This Loop Header: Depth=1
                                        ;     Child Loop BB213_118 Depth 2
	s_mul_i32 s4, s6, 12
	v_mov_b32_e32 v6, v13
	v_add_lshl_u32 v5, s4, v0, 4
	s_cmp_le_i32 s29, s6
	s_mov_b32 s4, s1
	s_mov_b32 s5, s29
	ds_load_b128 v[1:4], v5 offset:2304
	s_cbranch_scc1 .LBB213_119
	.p2align	6
.LBB213_118:                            ;   Parent Loop BB213_117 Depth=1
                                        ; =>  This Inner Loop Header: Depth=2
	v_mov_b32_e32 v11, s4
	s_add_i32 s5, s5, -1
	s_add_i32 s4, s4, -16
	s_cmp_le_i32 s5, s6
	ds_load_b128 v[7:10], v6
	ds_load_b128 v[14:17], v11
	v_add_nc_u32_e32 v6, 0xffffff40, v6
	s_waitcnt lgkmcnt(0)
	v_mul_f64 v[11:12], v[16:17], v[9:10]
	v_mul_f64 v[9:10], v[14:15], v[9:10]
	s_delay_alu instid0(VALU_DEP_2) | instskip(NEXT) | instid1(VALU_DEP_2)
	v_fma_f64 v[11:12], v[14:15], v[7:8], -v[11:12]
	v_fma_f64 v[7:8], v[16:17], v[7:8], v[9:10]
	s_delay_alu instid0(VALU_DEP_2) | instskip(NEXT) | instid1(VALU_DEP_2)
	v_add_f64 v[1:2], v[1:2], -v[11:12]
	v_add_f64 v[3:4], v[3:4], -v[7:8]
	s_cbranch_scc0 .LBB213_118
.LBB213_119:                            ;   in Loop: Header=BB213_117 Depth=1
	s_mul_i32 s4, s6, 0xd0
	s_delay_alu instid0(SALU_CYCLE_1)
	v_dual_mov_b32 v5, s4 :: v_dual_add_nc_u32 v14, 0x900, v5
	ds_load_b128 v[5:8], v5
	s_waitcnt lgkmcnt(0)
	v_cmp_gt_f64_e32 vcc_lo, 0, v[5:6]
	v_xor_b32_e32 v10, 0x80000000, v6
	v_mov_b32_e32 v9, v5
	v_xor_b32_e32 v11, 0x80000000, v8
	s_delay_alu instid0(VALU_DEP_3) | instskip(SKIP_1) | instid1(VALU_DEP_3)
	v_cndmask_b32_e32 v10, v6, v10, vcc_lo
	v_cmp_gt_f64_e32 vcc_lo, 0, v[7:8]
	v_dual_cndmask_b32 v12, v8, v11 :: v_dual_mov_b32 v11, v7
	s_delay_alu instid0(VALU_DEP_1)
	v_cmp_ngt_f64_e32 vcc_lo, v[9:10], v[11:12]
	s_cbranch_vccz .LBB213_121
; %bb.120:                              ;   in Loop: Header=BB213_117 Depth=1
	v_div_scale_f64 v[9:10], null, v[7:8], v[7:8], v[5:6]
	v_div_scale_f64 v[17:18], vcc_lo, v[5:6], v[7:8], v[5:6]
	s_delay_alu instid0(VALU_DEP_2) | instskip(SKIP_2) | instid1(VALU_DEP_1)
	v_rcp_f64_e32 v[11:12], v[9:10]
	s_waitcnt_depctr 0xfff
	v_fma_f64 v[15:16], -v[9:10], v[11:12], 1.0
	v_fma_f64 v[11:12], v[11:12], v[15:16], v[11:12]
	s_delay_alu instid0(VALU_DEP_1) | instskip(NEXT) | instid1(VALU_DEP_1)
	v_fma_f64 v[15:16], -v[9:10], v[11:12], 1.0
	v_fma_f64 v[11:12], v[11:12], v[15:16], v[11:12]
	s_delay_alu instid0(VALU_DEP_1) | instskip(NEXT) | instid1(VALU_DEP_1)
	v_mul_f64 v[15:16], v[17:18], v[11:12]
	v_fma_f64 v[9:10], -v[9:10], v[15:16], v[17:18]
	s_delay_alu instid0(VALU_DEP_1) | instskip(NEXT) | instid1(VALU_DEP_1)
	v_div_fmas_f64 v[9:10], v[9:10], v[11:12], v[15:16]
	v_div_fixup_f64 v[9:10], v[9:10], v[7:8], v[5:6]
	s_delay_alu instid0(VALU_DEP_1) | instskip(NEXT) | instid1(VALU_DEP_1)
	v_fma_f64 v[11:12], v[5:6], v[9:10], v[7:8]
	v_div_scale_f64 v[15:16], null, v[11:12], v[11:12], 1.0
	v_div_scale_f64 v[21:22], vcc_lo, 1.0, v[11:12], 1.0
	s_delay_alu instid0(VALU_DEP_2) | instskip(SKIP_2) | instid1(VALU_DEP_1)
	v_rcp_f64_e32 v[17:18], v[15:16]
	s_waitcnt_depctr 0xfff
	v_fma_f64 v[19:20], -v[15:16], v[17:18], 1.0
	v_fma_f64 v[17:18], v[17:18], v[19:20], v[17:18]
	s_delay_alu instid0(VALU_DEP_1) | instskip(NEXT) | instid1(VALU_DEP_1)
	v_fma_f64 v[19:20], -v[15:16], v[17:18], 1.0
	v_fma_f64 v[17:18], v[17:18], v[19:20], v[17:18]
	s_delay_alu instid0(VALU_DEP_1) | instskip(NEXT) | instid1(VALU_DEP_1)
	v_mul_f64 v[19:20], v[21:22], v[17:18]
	v_fma_f64 v[15:16], -v[15:16], v[19:20], v[21:22]
	s_delay_alu instid0(VALU_DEP_1) | instskip(SKIP_1) | instid1(VALU_DEP_2)
	v_div_fmas_f64 v[15:16], v[15:16], v[17:18], v[19:20]
	v_fma_f64 v[17:18], v[1:2], v[9:10], v[3:4]
	v_div_fixup_f64 v[11:12], v[15:16], v[11:12], 1.0
	v_fma_f64 v[15:16], v[3:4], v[9:10], -v[1:2]
	s_delay_alu instid0(VALU_DEP_2) | instskip(NEXT) | instid1(VALU_DEP_2)
	v_mul_f64 v[9:10], v[17:18], v[11:12]
	v_mul_f64 v[11:12], v[15:16], v[11:12]
	s_cbranch_execnz .LBB213_116
	s_branch .LBB213_122
.LBB213_121:                            ;   in Loop: Header=BB213_117 Depth=1
                                        ; implicit-def: $vgpr9_vgpr10
.LBB213_122:                            ;   in Loop: Header=BB213_117 Depth=1
	v_div_scale_f64 v[9:10], null, v[5:6], v[5:6], v[7:8]
	v_div_scale_f64 v[17:18], vcc_lo, v[7:8], v[5:6], v[7:8]
	s_delay_alu instid0(VALU_DEP_2) | instskip(SKIP_2) | instid1(VALU_DEP_1)
	v_rcp_f64_e32 v[11:12], v[9:10]
	s_waitcnt_depctr 0xfff
	v_fma_f64 v[15:16], -v[9:10], v[11:12], 1.0
	v_fma_f64 v[11:12], v[11:12], v[15:16], v[11:12]
	s_delay_alu instid0(VALU_DEP_1) | instskip(NEXT) | instid1(VALU_DEP_1)
	v_fma_f64 v[15:16], -v[9:10], v[11:12], 1.0
	v_fma_f64 v[11:12], v[11:12], v[15:16], v[11:12]
	s_delay_alu instid0(VALU_DEP_1) | instskip(NEXT) | instid1(VALU_DEP_1)
	v_mul_f64 v[15:16], v[17:18], v[11:12]
	v_fma_f64 v[9:10], -v[9:10], v[15:16], v[17:18]
	s_delay_alu instid0(VALU_DEP_1) | instskip(NEXT) | instid1(VALU_DEP_1)
	v_div_fmas_f64 v[9:10], v[9:10], v[11:12], v[15:16]
	v_div_fixup_f64 v[9:10], v[9:10], v[5:6], v[7:8]
	s_delay_alu instid0(VALU_DEP_1) | instskip(NEXT) | instid1(VALU_DEP_1)
	v_fma_f64 v[5:6], v[7:8], v[9:10], v[5:6]
	v_div_scale_f64 v[7:8], null, v[5:6], v[5:6], 1.0
	v_div_scale_f64 v[17:18], vcc_lo, 1.0, v[5:6], 1.0
	s_delay_alu instid0(VALU_DEP_2) | instskip(SKIP_2) | instid1(VALU_DEP_1)
	v_rcp_f64_e32 v[11:12], v[7:8]
	s_waitcnt_depctr 0xfff
	v_fma_f64 v[15:16], -v[7:8], v[11:12], 1.0
	v_fma_f64 v[11:12], v[11:12], v[15:16], v[11:12]
	s_delay_alu instid0(VALU_DEP_1) | instskip(NEXT) | instid1(VALU_DEP_1)
	v_fma_f64 v[15:16], -v[7:8], v[11:12], 1.0
	v_fma_f64 v[11:12], v[11:12], v[15:16], v[11:12]
	s_delay_alu instid0(VALU_DEP_1) | instskip(NEXT) | instid1(VALU_DEP_1)
	v_mul_f64 v[15:16], v[17:18], v[11:12]
	v_fma_f64 v[7:8], -v[7:8], v[15:16], v[17:18]
	s_delay_alu instid0(VALU_DEP_1) | instskip(SKIP_2) | instid1(VALU_DEP_3)
	v_div_fmas_f64 v[7:8], v[7:8], v[11:12], v[15:16]
	v_fma_f64 v[11:12], v[3:4], v[9:10], v[1:2]
	v_fma_f64 v[1:2], -v[1:2], v[9:10], v[3:4]
	v_div_fixup_f64 v[5:6], v[7:8], v[5:6], 1.0
	s_delay_alu instid0(VALU_DEP_1) | instskip(NEXT) | instid1(VALU_DEP_3)
	v_mul_f64 v[9:10], v[11:12], v[5:6]
	v_mul_f64 v[11:12], v[1:2], v[5:6]
	s_branch .LBB213_116
.LBB213_123:
	s_mov_b32 s5, 0
.LBB213_124:
	s_delay_alu instid0(SALU_CYCLE_1)
	s_and_not1_b32 vcc_lo, exec_lo, s5
	s_cbranch_vccnz .LBB213_163
; %bb.125:
	s_cmp_lt_i32 s15, 4
	s_mov_b32 s5, 0
	s_cbranch_scc1 .LBB213_148
; %bb.126:
	v_lshl_or_b32 v25, v0, 4, 0x900
	s_mov_b32 s1, 0
	s_mov_b32 s4, 0
.LBB213_127:                            ; =>This Loop Header: Depth=1
                                        ;     Child Loop BB213_129 Depth 2
	s_delay_alu instid0(SALU_CYCLE_1) | instskip(NEXT) | instid1(SALU_CYCLE_1)
	s_mul_i32 s5, s4, 12
	s_add_i32 s8, s5, 12
	v_add_lshl_u32 v13, s5, v0, 4
	s_add_i32 s6, s5, 24
	v_add_lshl_u32 v14, s8, v0, 4
	;; [unrolled: 2-line block ×3, first 2 shown]
	v_add_lshl_u32 v16, s5, v0, 4
	ds_load_b128 v[17:20], v13 offset:2304
	ds_load_b128 v[9:12], v14 offset:2304
	;; [unrolled: 1-line block ×4, first 2 shown]
	s_cmp_eq_u32 s4, 0
	s_cbranch_scc1 .LBB213_130
; %bb.128:                              ;   in Loop: Header=BB213_127 Depth=1
	v_mov_b32_e32 v21, v25
	s_mov_b32 s7, 0
	s_mov_b32 s9, s1
.LBB213_129:                            ;   Parent Loop BB213_127 Depth=1
                                        ; =>  This Inner Loop Header: Depth=2
	s_delay_alu instid0(SALU_CYCLE_1)
	v_mov_b32_e32 v22, s9
	s_add_i32 s7, s7, 2
	s_add_i32 s9, s9, 32
	s_cmp_ge_u32 s7, s4
	ds_load_b128 v[26:29], v21
	ds_load_b128 v[30:33], v22
	ds_load_b128 v[34:37], v22 offset:192
	ds_load_b128 v[38:41], v22 offset:384
	;; [unrolled: 1-line block ×8, first 2 shown]
	v_add_nc_u32_e32 v21, 0x180, v21
	s_waitcnt lgkmcnt(8)
	v_mul_f64 v[22:23], v[28:29], v[32:33]
	v_mul_f64 v[32:33], v[26:27], v[32:33]
	s_waitcnt lgkmcnt(7)
	v_mul_f64 v[66:67], v[28:29], v[36:37]
	v_mul_f64 v[36:37], v[26:27], v[36:37]
	;; [unrolled: 3-line block ×8, first 2 shown]
	v_fma_f64 v[22:23], v[26:27], v[30:31], -v[22:23]
	v_fma_f64 v[30:31], v[28:29], v[30:31], v[32:33]
	v_fma_f64 v[32:33], v[26:27], v[34:35], -v[66:67]
	v_fma_f64 v[34:35], v[28:29], v[34:35], v[36:37]
	;; [unrolled: 2-line block ×8, first 2 shown]
	v_add_f64 v[17:18], v[17:18], -v[22:23]
	v_add_f64 v[19:20], v[19:20], -v[30:31]
	;; [unrolled: 1-line block ×16, first 2 shown]
	s_cbranch_scc0 .LBB213_129
.LBB213_130:                            ;   in Loop: Header=BB213_127 Depth=1
	s_mul_i32 s7, s4, 0xd0
	v_add_nc_u32_e32 v29, 0x900, v13
	v_dual_mov_b32 v13, s7 :: v_dual_add_nc_u32 v28, 0x900, v14
	v_add_nc_u32_e32 v27, 0x900, v15
	ds_load_b128 v[21:24], v13
	s_waitcnt lgkmcnt(0)
	v_dual_mov_b32 v13, v21 :: v_dual_add_nc_u32 v26, 0x900, v16
	v_cmp_gt_f64_e32 vcc_lo, 0, v[21:22]
	v_xor_b32_e32 v14, 0x80000000, v22
	v_xor_b32_e32 v15, 0x80000000, v24
	s_delay_alu instid0(VALU_DEP_2) | instskip(SKIP_1) | instid1(VALU_DEP_3)
	v_cndmask_b32_e32 v14, v22, v14, vcc_lo
	v_cmp_gt_f64_e32 vcc_lo, 0, v[23:24]
	v_dual_cndmask_b32 v16, v24, v15 :: v_dual_mov_b32 v15, v23
	s_delay_alu instid0(VALU_DEP_1)
	v_cmp_ngt_f64_e32 vcc_lo, v[13:14], v[15:16]
	s_cbranch_vccz .LBB213_132
; %bb.131:                              ;   in Loop: Header=BB213_127 Depth=1
	v_div_scale_f64 v[13:14], null, v[23:24], v[23:24], v[21:22]
	v_div_scale_f64 v[32:33], vcc_lo, v[21:22], v[23:24], v[21:22]
	s_delay_alu instid0(VALU_DEP_2) | instskip(SKIP_2) | instid1(VALU_DEP_1)
	v_rcp_f64_e32 v[15:16], v[13:14]
	s_waitcnt_depctr 0xfff
	v_fma_f64 v[30:31], -v[13:14], v[15:16], 1.0
	v_fma_f64 v[15:16], v[15:16], v[30:31], v[15:16]
	s_delay_alu instid0(VALU_DEP_1) | instskip(NEXT) | instid1(VALU_DEP_1)
	v_fma_f64 v[30:31], -v[13:14], v[15:16], 1.0
	v_fma_f64 v[15:16], v[15:16], v[30:31], v[15:16]
	s_delay_alu instid0(VALU_DEP_1) | instskip(NEXT) | instid1(VALU_DEP_1)
	v_mul_f64 v[30:31], v[32:33], v[15:16]
	v_fma_f64 v[13:14], -v[13:14], v[30:31], v[32:33]
	s_delay_alu instid0(VALU_DEP_1) | instskip(NEXT) | instid1(VALU_DEP_1)
	v_div_fmas_f64 v[13:14], v[13:14], v[15:16], v[30:31]
	v_div_fixup_f64 v[13:14], v[13:14], v[23:24], v[21:22]
	s_delay_alu instid0(VALU_DEP_1) | instskip(NEXT) | instid1(VALU_DEP_1)
	v_fma_f64 v[15:16], v[21:22], v[13:14], v[23:24]
	v_div_scale_f64 v[30:31], null, v[15:16], v[15:16], 1.0
	v_div_scale_f64 v[36:37], vcc_lo, 1.0, v[15:16], 1.0
	s_delay_alu instid0(VALU_DEP_2) | instskip(SKIP_2) | instid1(VALU_DEP_1)
	v_rcp_f64_e32 v[32:33], v[30:31]
	s_waitcnt_depctr 0xfff
	v_fma_f64 v[34:35], -v[30:31], v[32:33], 1.0
	v_fma_f64 v[32:33], v[32:33], v[34:35], v[32:33]
	s_delay_alu instid0(VALU_DEP_1) | instskip(NEXT) | instid1(VALU_DEP_1)
	v_fma_f64 v[34:35], -v[30:31], v[32:33], 1.0
	v_fma_f64 v[32:33], v[32:33], v[34:35], v[32:33]
	s_delay_alu instid0(VALU_DEP_1) | instskip(NEXT) | instid1(VALU_DEP_1)
	v_mul_f64 v[34:35], v[36:37], v[32:33]
	v_fma_f64 v[30:31], -v[30:31], v[34:35], v[36:37]
	s_delay_alu instid0(VALU_DEP_1) | instskip(SKIP_1) | instid1(VALU_DEP_2)
	v_div_fmas_f64 v[30:31], v[30:31], v[32:33], v[34:35]
	v_fma_f64 v[32:33], v[17:18], v[13:14], v[19:20]
	v_div_fixup_f64 v[15:16], v[30:31], v[15:16], 1.0
	v_fma_f64 v[30:31], v[19:20], v[13:14], -v[17:18]
	s_delay_alu instid0(VALU_DEP_2) | instskip(NEXT) | instid1(VALU_DEP_2)
	v_mul_f64 v[13:14], v[32:33], v[15:16]
	v_mul_f64 v[15:16], v[30:31], v[15:16]
	s_cbranch_execz .LBB213_133
	s_branch .LBB213_134
.LBB213_132:                            ;   in Loop: Header=BB213_127 Depth=1
                                        ; implicit-def: $vgpr15_vgpr16
.LBB213_133:                            ;   in Loop: Header=BB213_127 Depth=1
	v_div_scale_f64 v[13:14], null, v[21:22], v[21:22], v[23:24]
	v_div_scale_f64 v[32:33], vcc_lo, v[23:24], v[21:22], v[23:24]
	s_delay_alu instid0(VALU_DEP_2) | instskip(SKIP_2) | instid1(VALU_DEP_1)
	v_rcp_f64_e32 v[15:16], v[13:14]
	s_waitcnt_depctr 0xfff
	v_fma_f64 v[30:31], -v[13:14], v[15:16], 1.0
	v_fma_f64 v[15:16], v[15:16], v[30:31], v[15:16]
	s_delay_alu instid0(VALU_DEP_1) | instskip(NEXT) | instid1(VALU_DEP_1)
	v_fma_f64 v[30:31], -v[13:14], v[15:16], 1.0
	v_fma_f64 v[15:16], v[15:16], v[30:31], v[15:16]
	s_delay_alu instid0(VALU_DEP_1) | instskip(NEXT) | instid1(VALU_DEP_1)
	v_mul_f64 v[30:31], v[32:33], v[15:16]
	v_fma_f64 v[13:14], -v[13:14], v[30:31], v[32:33]
	s_delay_alu instid0(VALU_DEP_1) | instskip(NEXT) | instid1(VALU_DEP_1)
	v_div_fmas_f64 v[13:14], v[13:14], v[15:16], v[30:31]
	v_div_fixup_f64 v[13:14], v[13:14], v[21:22], v[23:24]
	s_delay_alu instid0(VALU_DEP_1) | instskip(NEXT) | instid1(VALU_DEP_1)
	v_fma_f64 v[15:16], v[23:24], v[13:14], v[21:22]
	v_div_scale_f64 v[21:22], null, v[15:16], v[15:16], 1.0
	v_div_scale_f64 v[32:33], vcc_lo, 1.0, v[15:16], 1.0
	s_delay_alu instid0(VALU_DEP_2) | instskip(SKIP_2) | instid1(VALU_DEP_1)
	v_rcp_f64_e32 v[23:24], v[21:22]
	s_waitcnt_depctr 0xfff
	v_fma_f64 v[30:31], -v[21:22], v[23:24], 1.0
	v_fma_f64 v[23:24], v[23:24], v[30:31], v[23:24]
	s_delay_alu instid0(VALU_DEP_1) | instskip(NEXT) | instid1(VALU_DEP_1)
	v_fma_f64 v[30:31], -v[21:22], v[23:24], 1.0
	v_fma_f64 v[23:24], v[23:24], v[30:31], v[23:24]
	s_delay_alu instid0(VALU_DEP_1) | instskip(NEXT) | instid1(VALU_DEP_1)
	v_mul_f64 v[30:31], v[32:33], v[23:24]
	v_fma_f64 v[21:22], -v[21:22], v[30:31], v[32:33]
	s_delay_alu instid0(VALU_DEP_1) | instskip(SKIP_2) | instid1(VALU_DEP_3)
	v_div_fmas_f64 v[21:22], v[21:22], v[23:24], v[30:31]
	v_fma_f64 v[23:24], v[19:20], v[13:14], v[17:18]
	v_fma_f64 v[17:18], -v[17:18], v[13:14], v[19:20]
	v_div_fixup_f64 v[15:16], v[21:22], v[15:16], 1.0
	s_delay_alu instid0(VALU_DEP_1) | instskip(NEXT) | instid1(VALU_DEP_3)
	v_mul_f64 v[13:14], v[23:24], v[15:16]
	v_mul_f64 v[15:16], v[17:18], v[15:16]
.LBB213_134:                            ;   in Loop: Header=BB213_127 Depth=1
	s_add_i32 s8, s8, s4
	ds_store_b128 v29, v[13:16]
	s_lshl_b32 s8, s8, 4
	s_delay_alu instid0(SALU_CYCLE_1)
	v_mov_b32_e32 v17, s8
	ds_load_b128 v[21:24], v17
	v_mov_b32_e32 v17, s7
	ds_load_b128 v[17:20], v17 offset:208
	s_waitcnt lgkmcnt(1)
	v_mul_f64 v[30:31], v[15:16], v[23:24]
	v_mul_f64 v[23:24], v[13:14], v[23:24]
	s_waitcnt lgkmcnt(0)
	v_cmp_gt_f64_e32 vcc_lo, 0, v[17:18]
	v_xor_b32_e32 v33, 0x80000000, v20
	v_mov_b32_e32 v32, v19
	v_fma_f64 v[30:31], v[13:14], v[21:22], -v[30:31]
	v_fma_f64 v[23:24], v[15:16], v[21:22], v[23:24]
	v_xor_b32_e32 v22, 0x80000000, v18
	s_delay_alu instid0(VALU_DEP_1) | instskip(SKIP_1) | instid1(VALU_DEP_4)
	v_dual_mov_b32 v21, v17 :: v_dual_cndmask_b32 v22, v18, v22
	v_cmp_gt_f64_e32 vcc_lo, 0, v[19:20]
	v_add_f64 v[23:24], v[11:12], -v[23:24]
	v_cndmask_b32_e32 v33, v20, v33, vcc_lo
	s_delay_alu instid0(VALU_DEP_1)
	v_cmp_ngt_f64_e32 vcc_lo, v[21:22], v[32:33]
	v_add_f64 v[21:22], v[9:10], -v[30:31]
	s_cbranch_vccz .LBB213_136
; %bb.135:                              ;   in Loop: Header=BB213_127 Depth=1
	v_div_scale_f64 v[9:10], null, v[19:20], v[19:20], v[17:18]
	v_div_scale_f64 v[31:32], vcc_lo, v[17:18], v[19:20], v[17:18]
	s_delay_alu instid0(VALU_DEP_2) | instskip(SKIP_2) | instid1(VALU_DEP_1)
	v_rcp_f64_e32 v[11:12], v[9:10]
	s_waitcnt_depctr 0xfff
	v_fma_f64 v[29:30], -v[9:10], v[11:12], 1.0
	v_fma_f64 v[11:12], v[11:12], v[29:30], v[11:12]
	s_delay_alu instid0(VALU_DEP_1) | instskip(NEXT) | instid1(VALU_DEP_1)
	v_fma_f64 v[29:30], -v[9:10], v[11:12], 1.0
	v_fma_f64 v[11:12], v[11:12], v[29:30], v[11:12]
	s_delay_alu instid0(VALU_DEP_1) | instskip(NEXT) | instid1(VALU_DEP_1)
	v_mul_f64 v[29:30], v[31:32], v[11:12]
	v_fma_f64 v[9:10], -v[9:10], v[29:30], v[31:32]
	s_delay_alu instid0(VALU_DEP_1) | instskip(NEXT) | instid1(VALU_DEP_1)
	v_div_fmas_f64 v[9:10], v[9:10], v[11:12], v[29:30]
	v_div_fixup_f64 v[9:10], v[9:10], v[19:20], v[17:18]
	s_delay_alu instid0(VALU_DEP_1) | instskip(NEXT) | instid1(VALU_DEP_1)
	v_fma_f64 v[11:12], v[17:18], v[9:10], v[19:20]
	v_div_scale_f64 v[29:30], null, v[11:12], v[11:12], 1.0
	v_div_scale_f64 v[35:36], vcc_lo, 1.0, v[11:12], 1.0
	s_delay_alu instid0(VALU_DEP_2) | instskip(SKIP_2) | instid1(VALU_DEP_1)
	v_rcp_f64_e32 v[31:32], v[29:30]
	s_waitcnt_depctr 0xfff
	v_fma_f64 v[33:34], -v[29:30], v[31:32], 1.0
	v_fma_f64 v[31:32], v[31:32], v[33:34], v[31:32]
	s_delay_alu instid0(VALU_DEP_1) | instskip(NEXT) | instid1(VALU_DEP_1)
	v_fma_f64 v[33:34], -v[29:30], v[31:32], 1.0
	v_fma_f64 v[31:32], v[31:32], v[33:34], v[31:32]
	s_delay_alu instid0(VALU_DEP_1) | instskip(NEXT) | instid1(VALU_DEP_1)
	v_mul_f64 v[33:34], v[35:36], v[31:32]
	v_fma_f64 v[29:30], -v[29:30], v[33:34], v[35:36]
	s_delay_alu instid0(VALU_DEP_1) | instskip(SKIP_1) | instid1(VALU_DEP_2)
	v_div_fmas_f64 v[29:30], v[29:30], v[31:32], v[33:34]
	v_fma_f64 v[31:32], v[9:10], v[21:22], v[23:24]
	v_div_fixup_f64 v[11:12], v[29:30], v[11:12], 1.0
	v_fma_f64 v[29:30], v[9:10], v[23:24], -v[21:22]
	s_delay_alu instid0(VALU_DEP_2) | instskip(NEXT) | instid1(VALU_DEP_2)
	v_mul_f64 v[9:10], v[31:32], v[11:12]
	v_mul_f64 v[11:12], v[29:30], v[11:12]
	s_cbranch_execz .LBB213_137
	s_branch .LBB213_138
.LBB213_136:                            ;   in Loop: Header=BB213_127 Depth=1
                                        ; implicit-def: $vgpr11_vgpr12
.LBB213_137:                            ;   in Loop: Header=BB213_127 Depth=1
	v_div_scale_f64 v[9:10], null, v[17:18], v[17:18], v[19:20]
	v_div_scale_f64 v[31:32], vcc_lo, v[19:20], v[17:18], v[19:20]
	s_delay_alu instid0(VALU_DEP_2) | instskip(SKIP_2) | instid1(VALU_DEP_1)
	v_rcp_f64_e32 v[11:12], v[9:10]
	s_waitcnt_depctr 0xfff
	v_fma_f64 v[29:30], -v[9:10], v[11:12], 1.0
	v_fma_f64 v[11:12], v[11:12], v[29:30], v[11:12]
	s_delay_alu instid0(VALU_DEP_1) | instskip(NEXT) | instid1(VALU_DEP_1)
	v_fma_f64 v[29:30], -v[9:10], v[11:12], 1.0
	v_fma_f64 v[11:12], v[11:12], v[29:30], v[11:12]
	s_delay_alu instid0(VALU_DEP_1) | instskip(NEXT) | instid1(VALU_DEP_1)
	v_mul_f64 v[29:30], v[31:32], v[11:12]
	v_fma_f64 v[9:10], -v[9:10], v[29:30], v[31:32]
	s_delay_alu instid0(VALU_DEP_1) | instskip(NEXT) | instid1(VALU_DEP_1)
	v_div_fmas_f64 v[9:10], v[9:10], v[11:12], v[29:30]
	v_div_fixup_f64 v[9:10], v[9:10], v[17:18], v[19:20]
	s_delay_alu instid0(VALU_DEP_1) | instskip(NEXT) | instid1(VALU_DEP_1)
	v_fma_f64 v[11:12], v[19:20], v[9:10], v[17:18]
	v_div_scale_f64 v[17:18], null, v[11:12], v[11:12], 1.0
	v_div_scale_f64 v[31:32], vcc_lo, 1.0, v[11:12], 1.0
	s_delay_alu instid0(VALU_DEP_2) | instskip(SKIP_2) | instid1(VALU_DEP_1)
	v_rcp_f64_e32 v[19:20], v[17:18]
	s_waitcnt_depctr 0xfff
	v_fma_f64 v[29:30], -v[17:18], v[19:20], 1.0
	v_fma_f64 v[19:20], v[19:20], v[29:30], v[19:20]
	s_delay_alu instid0(VALU_DEP_1) | instskip(NEXT) | instid1(VALU_DEP_1)
	v_fma_f64 v[29:30], -v[17:18], v[19:20], 1.0
	v_fma_f64 v[19:20], v[19:20], v[29:30], v[19:20]
	s_delay_alu instid0(VALU_DEP_1) | instskip(NEXT) | instid1(VALU_DEP_1)
	v_mul_f64 v[29:30], v[31:32], v[19:20]
	v_fma_f64 v[17:18], -v[17:18], v[29:30], v[31:32]
	s_delay_alu instid0(VALU_DEP_1) | instskip(SKIP_1) | instid1(VALU_DEP_2)
	v_div_fmas_f64 v[17:18], v[17:18], v[19:20], v[29:30]
	v_fma_f64 v[19:20], v[9:10], v[23:24], v[21:22]
	v_div_fixup_f64 v[11:12], v[17:18], v[11:12], 1.0
	v_fma_f64 v[17:18], -v[9:10], v[21:22], v[23:24]
	s_delay_alu instid0(VALU_DEP_2) | instskip(NEXT) | instid1(VALU_DEP_2)
	v_mul_f64 v[9:10], v[19:20], v[11:12]
	v_mul_f64 v[11:12], v[17:18], v[11:12]
.LBB213_138:                            ;   in Loop: Header=BB213_127 Depth=1
	s_add_i32 s6, s6, s4
	s_delay_alu instid0(SALU_CYCLE_1) | instskip(NEXT) | instid1(SALU_CYCLE_1)
	s_lshl_b32 s6, s6, 4
	v_mov_b32_e32 v21, s6
	ds_load_b128 v[17:20], v21
	ds_load_b128 v[21:24], v21 offset:16
	ds_store_b128 v28, v[9:12]
	s_waitcnt lgkmcnt(2)
	v_mul_f64 v[29:30], v[15:16], v[19:20]
	v_mul_f64 v[19:20], v[13:14], v[19:20]
	s_waitcnt lgkmcnt(1)
	v_mul_f64 v[31:32], v[11:12], v[23:24]
	v_mul_f64 v[23:24], v[9:10], v[23:24]
	s_delay_alu instid0(VALU_DEP_4) | instskip(NEXT) | instid1(VALU_DEP_4)
	v_fma_f64 v[29:30], v[13:14], v[17:18], -v[29:30]
	v_fma_f64 v[17:18], v[15:16], v[17:18], v[19:20]
	v_mov_b32_e32 v19, s7
	v_fma_f64 v[31:32], v[9:10], v[21:22], -v[31:32]
	v_fma_f64 v[23:24], v[11:12], v[21:22], v[23:24]
	v_add_f64 v[5:6], v[5:6], -v[29:30]
	v_add_f64 v[7:8], v[7:8], -v[17:18]
	ds_load_b128 v[17:20], v19 offset:416
	s_waitcnt lgkmcnt(0)
	v_cmp_gt_f64_e32 vcc_lo, 0, v[17:18]
	v_xor_b32_e32 v22, 0x80000000, v18
	v_xor_b32_e32 v30, 0x80000000, v20
	v_mov_b32_e32 v21, v17
	v_mov_b32_e32 v29, v19
	v_add_f64 v[23:24], v[7:8], -v[23:24]
	v_cndmask_b32_e32 v22, v18, v22, vcc_lo
	v_cmp_gt_f64_e32 vcc_lo, 0, v[19:20]
	v_cndmask_b32_e32 v30, v20, v30, vcc_lo
	s_delay_alu instid0(VALU_DEP_1)
	v_cmp_ngt_f64_e32 vcc_lo, v[21:22], v[29:30]
	v_add_f64 v[21:22], v[5:6], -v[31:32]
	s_cbranch_vccz .LBB213_140
; %bb.139:                              ;   in Loop: Header=BB213_127 Depth=1
	v_div_scale_f64 v[5:6], null, v[19:20], v[19:20], v[17:18]
	v_div_scale_f64 v[30:31], vcc_lo, v[17:18], v[19:20], v[17:18]
	s_delay_alu instid0(VALU_DEP_2) | instskip(SKIP_2) | instid1(VALU_DEP_1)
	v_rcp_f64_e32 v[7:8], v[5:6]
	s_waitcnt_depctr 0xfff
	v_fma_f64 v[28:29], -v[5:6], v[7:8], 1.0
	v_fma_f64 v[7:8], v[7:8], v[28:29], v[7:8]
	s_delay_alu instid0(VALU_DEP_1) | instskip(NEXT) | instid1(VALU_DEP_1)
	v_fma_f64 v[28:29], -v[5:6], v[7:8], 1.0
	v_fma_f64 v[7:8], v[7:8], v[28:29], v[7:8]
	s_delay_alu instid0(VALU_DEP_1) | instskip(NEXT) | instid1(VALU_DEP_1)
	v_mul_f64 v[28:29], v[30:31], v[7:8]
	v_fma_f64 v[5:6], -v[5:6], v[28:29], v[30:31]
	s_delay_alu instid0(VALU_DEP_1) | instskip(NEXT) | instid1(VALU_DEP_1)
	v_div_fmas_f64 v[5:6], v[5:6], v[7:8], v[28:29]
	v_div_fixup_f64 v[5:6], v[5:6], v[19:20], v[17:18]
	s_delay_alu instid0(VALU_DEP_1) | instskip(NEXT) | instid1(VALU_DEP_1)
	v_fma_f64 v[7:8], v[17:18], v[5:6], v[19:20]
	v_div_scale_f64 v[28:29], null, v[7:8], v[7:8], 1.0
	v_div_scale_f64 v[34:35], vcc_lo, 1.0, v[7:8], 1.0
	s_delay_alu instid0(VALU_DEP_2) | instskip(SKIP_2) | instid1(VALU_DEP_1)
	v_rcp_f64_e32 v[30:31], v[28:29]
	s_waitcnt_depctr 0xfff
	v_fma_f64 v[32:33], -v[28:29], v[30:31], 1.0
	v_fma_f64 v[30:31], v[30:31], v[32:33], v[30:31]
	s_delay_alu instid0(VALU_DEP_1) | instskip(NEXT) | instid1(VALU_DEP_1)
	v_fma_f64 v[32:33], -v[28:29], v[30:31], 1.0
	v_fma_f64 v[30:31], v[30:31], v[32:33], v[30:31]
	s_delay_alu instid0(VALU_DEP_1) | instskip(NEXT) | instid1(VALU_DEP_1)
	v_mul_f64 v[32:33], v[34:35], v[30:31]
	v_fma_f64 v[28:29], -v[28:29], v[32:33], v[34:35]
	s_delay_alu instid0(VALU_DEP_1) | instskip(SKIP_1) | instid1(VALU_DEP_2)
	v_div_fmas_f64 v[28:29], v[28:29], v[30:31], v[32:33]
	v_fma_f64 v[30:31], v[5:6], v[21:22], v[23:24]
	v_div_fixup_f64 v[7:8], v[28:29], v[7:8], 1.0
	v_fma_f64 v[28:29], v[5:6], v[23:24], -v[21:22]
	s_delay_alu instid0(VALU_DEP_2) | instskip(NEXT) | instid1(VALU_DEP_2)
	v_mul_f64 v[5:6], v[30:31], v[7:8]
	v_mul_f64 v[7:8], v[28:29], v[7:8]
	s_cbranch_execz .LBB213_141
	s_branch .LBB213_142
.LBB213_140:                            ;   in Loop: Header=BB213_127 Depth=1
                                        ; implicit-def: $vgpr7_vgpr8
.LBB213_141:                            ;   in Loop: Header=BB213_127 Depth=1
	v_div_scale_f64 v[5:6], null, v[17:18], v[17:18], v[19:20]
	v_div_scale_f64 v[30:31], vcc_lo, v[19:20], v[17:18], v[19:20]
	s_delay_alu instid0(VALU_DEP_2) | instskip(SKIP_2) | instid1(VALU_DEP_1)
	v_rcp_f64_e32 v[7:8], v[5:6]
	s_waitcnt_depctr 0xfff
	v_fma_f64 v[28:29], -v[5:6], v[7:8], 1.0
	v_fma_f64 v[7:8], v[7:8], v[28:29], v[7:8]
	s_delay_alu instid0(VALU_DEP_1) | instskip(NEXT) | instid1(VALU_DEP_1)
	v_fma_f64 v[28:29], -v[5:6], v[7:8], 1.0
	v_fma_f64 v[7:8], v[7:8], v[28:29], v[7:8]
	s_delay_alu instid0(VALU_DEP_1) | instskip(NEXT) | instid1(VALU_DEP_1)
	v_mul_f64 v[28:29], v[30:31], v[7:8]
	v_fma_f64 v[5:6], -v[5:6], v[28:29], v[30:31]
	s_delay_alu instid0(VALU_DEP_1) | instskip(NEXT) | instid1(VALU_DEP_1)
	v_div_fmas_f64 v[5:6], v[5:6], v[7:8], v[28:29]
	v_div_fixup_f64 v[5:6], v[5:6], v[17:18], v[19:20]
	s_delay_alu instid0(VALU_DEP_1) | instskip(NEXT) | instid1(VALU_DEP_1)
	v_fma_f64 v[7:8], v[19:20], v[5:6], v[17:18]
	v_div_scale_f64 v[17:18], null, v[7:8], v[7:8], 1.0
	v_div_scale_f64 v[30:31], vcc_lo, 1.0, v[7:8], 1.0
	s_delay_alu instid0(VALU_DEP_2) | instskip(SKIP_2) | instid1(VALU_DEP_1)
	v_rcp_f64_e32 v[19:20], v[17:18]
	s_waitcnt_depctr 0xfff
	v_fma_f64 v[28:29], -v[17:18], v[19:20], 1.0
	v_fma_f64 v[19:20], v[19:20], v[28:29], v[19:20]
	s_delay_alu instid0(VALU_DEP_1) | instskip(NEXT) | instid1(VALU_DEP_1)
	v_fma_f64 v[28:29], -v[17:18], v[19:20], 1.0
	v_fma_f64 v[19:20], v[19:20], v[28:29], v[19:20]
	s_delay_alu instid0(VALU_DEP_1) | instskip(NEXT) | instid1(VALU_DEP_1)
	v_mul_f64 v[28:29], v[30:31], v[19:20]
	v_fma_f64 v[17:18], -v[17:18], v[28:29], v[30:31]
	s_delay_alu instid0(VALU_DEP_1) | instskip(SKIP_1) | instid1(VALU_DEP_2)
	v_div_fmas_f64 v[17:18], v[17:18], v[19:20], v[28:29]
	v_fma_f64 v[19:20], v[5:6], v[23:24], v[21:22]
	v_div_fixup_f64 v[7:8], v[17:18], v[7:8], 1.0
	v_fma_f64 v[17:18], -v[5:6], v[21:22], v[23:24]
	s_delay_alu instid0(VALU_DEP_2) | instskip(NEXT) | instid1(VALU_DEP_2)
	v_mul_f64 v[5:6], v[19:20], v[7:8]
	v_mul_f64 v[7:8], v[17:18], v[7:8]
.LBB213_142:                            ;   in Loop: Header=BB213_127 Depth=1
	s_add_i32 s5, s5, s4
	s_delay_alu instid0(SALU_CYCLE_1) | instskip(NEXT) | instid1(SALU_CYCLE_1)
	s_lshl_b32 s5, s5, 4
	v_mov_b32_e32 v34, s5
	ds_load_b128 v[17:20], v34
	ds_load_b128 v[21:24], v34 offset:16
	ds_store_b128 v27, v[5:8]
	s_waitcnt lgkmcnt(2)
	v_mul_f64 v[28:29], v[15:16], v[19:20]
	v_mul_f64 v[19:20], v[13:14], v[19:20]
	s_waitcnt lgkmcnt(1)
	v_mul_f64 v[30:31], v[11:12], v[23:24]
	v_mul_f64 v[23:24], v[9:10], v[23:24]
	s_delay_alu instid0(VALU_DEP_4)
	v_fma_f64 v[28:29], v[13:14], v[17:18], -v[28:29]
	v_mov_b32_e32 v13, s7
	v_fma_f64 v[32:33], v[15:16], v[17:18], v[19:20]
	ds_load_b128 v[17:20], v34 offset:32
	v_fma_f64 v[9:10], v[9:10], v[21:22], -v[30:31]
	v_fma_f64 v[11:12], v[11:12], v[21:22], v[23:24]
	ds_load_b128 v[13:16], v13 offset:624
	s_waitcnt lgkmcnt(1)
	v_mul_f64 v[34:35], v[7:8], v[19:20]
	v_mul_f64 v[19:20], v[5:6], v[19:20]
	s_waitcnt lgkmcnt(0)
	v_cmp_gt_f64_e32 vcc_lo, 0, v[13:14]
	v_add_f64 v[1:2], v[1:2], -v[28:29]
	v_add_f64 v[3:4], v[3:4], -v[32:33]
	v_fma_f64 v[21:22], v[5:6], v[17:18], -v[34:35]
	v_fma_f64 v[17:18], v[7:8], v[17:18], v[19:20]
	s_delay_alu instid0(VALU_DEP_4) | instskip(SKIP_4) | instid1(VALU_DEP_4)
	v_add_f64 v[1:2], v[1:2], -v[9:10]
	v_xor_b32_e32 v10, 0x80000000, v14
	v_mov_b32_e32 v9, v13
	v_add_f64 v[3:4], v[3:4], -v[11:12]
	v_xor_b32_e32 v12, 0x80000000, v16
	v_cndmask_b32_e32 v10, v14, v10, vcc_lo
	v_cmp_gt_f64_e32 vcc_lo, 0, v[15:16]
	s_delay_alu instid0(VALU_DEP_3) | instskip(NEXT) | instid1(VALU_DEP_1)
	v_dual_mov_b32 v11, v15 :: v_dual_cndmask_b32 v12, v16, v12
	v_cmp_ngt_f64_e32 vcc_lo, v[9:10], v[11:12]
	v_add_f64 v[9:10], v[1:2], -v[21:22]
	v_add_f64 v[11:12], v[3:4], -v[17:18]
	s_cbranch_vccz .LBB213_144
; %bb.143:                              ;   in Loop: Header=BB213_127 Depth=1
	v_div_scale_f64 v[1:2], null, v[15:16], v[15:16], v[13:14]
	v_div_scale_f64 v[7:8], vcc_lo, v[13:14], v[15:16], v[13:14]
	s_delay_alu instid0(VALU_DEP_2) | instskip(SKIP_2) | instid1(VALU_DEP_1)
	v_rcp_f64_e32 v[3:4], v[1:2]
	s_waitcnt_depctr 0xfff
	v_fma_f64 v[5:6], -v[1:2], v[3:4], 1.0
	v_fma_f64 v[3:4], v[3:4], v[5:6], v[3:4]
	s_delay_alu instid0(VALU_DEP_1) | instskip(NEXT) | instid1(VALU_DEP_1)
	v_fma_f64 v[5:6], -v[1:2], v[3:4], 1.0
	v_fma_f64 v[3:4], v[3:4], v[5:6], v[3:4]
	s_delay_alu instid0(VALU_DEP_1) | instskip(NEXT) | instid1(VALU_DEP_1)
	v_mul_f64 v[5:6], v[7:8], v[3:4]
	v_fma_f64 v[1:2], -v[1:2], v[5:6], v[7:8]
	s_delay_alu instid0(VALU_DEP_1) | instskip(NEXT) | instid1(VALU_DEP_1)
	v_div_fmas_f64 v[1:2], v[1:2], v[3:4], v[5:6]
	v_div_fixup_f64 v[1:2], v[1:2], v[15:16], v[13:14]
	s_delay_alu instid0(VALU_DEP_1) | instskip(NEXT) | instid1(VALU_DEP_1)
	v_fma_f64 v[3:4], v[13:14], v[1:2], v[15:16]
	v_div_scale_f64 v[5:6], null, v[3:4], v[3:4], 1.0
	v_div_scale_f64 v[19:20], vcc_lo, 1.0, v[3:4], 1.0
	s_delay_alu instid0(VALU_DEP_2) | instskip(SKIP_2) | instid1(VALU_DEP_1)
	v_rcp_f64_e32 v[7:8], v[5:6]
	s_waitcnt_depctr 0xfff
	v_fma_f64 v[17:18], -v[5:6], v[7:8], 1.0
	v_fma_f64 v[7:8], v[7:8], v[17:18], v[7:8]
	s_delay_alu instid0(VALU_DEP_1) | instskip(NEXT) | instid1(VALU_DEP_1)
	v_fma_f64 v[17:18], -v[5:6], v[7:8], 1.0
	v_fma_f64 v[7:8], v[7:8], v[17:18], v[7:8]
	s_delay_alu instid0(VALU_DEP_1) | instskip(NEXT) | instid1(VALU_DEP_1)
	v_mul_f64 v[17:18], v[19:20], v[7:8]
	v_fma_f64 v[5:6], -v[5:6], v[17:18], v[19:20]
	s_delay_alu instid0(VALU_DEP_1) | instskip(SKIP_1) | instid1(VALU_DEP_2)
	v_div_fmas_f64 v[5:6], v[5:6], v[7:8], v[17:18]
	v_fma_f64 v[7:8], v[1:2], v[9:10], v[11:12]
	v_div_fixup_f64 v[3:4], v[5:6], v[3:4], 1.0
	v_fma_f64 v[5:6], v[1:2], v[11:12], -v[9:10]
	s_delay_alu instid0(VALU_DEP_2) | instskip(NEXT) | instid1(VALU_DEP_2)
	v_mul_f64 v[1:2], v[7:8], v[3:4]
	v_mul_f64 v[3:4], v[5:6], v[3:4]
	s_cbranch_execz .LBB213_145
	s_branch .LBB213_146
.LBB213_144:                            ;   in Loop: Header=BB213_127 Depth=1
                                        ; implicit-def: $vgpr3_vgpr4
.LBB213_145:                            ;   in Loop: Header=BB213_127 Depth=1
	v_div_scale_f64 v[1:2], null, v[13:14], v[13:14], v[15:16]
	v_div_scale_f64 v[7:8], vcc_lo, v[15:16], v[13:14], v[15:16]
	s_delay_alu instid0(VALU_DEP_2) | instskip(SKIP_2) | instid1(VALU_DEP_1)
	v_rcp_f64_e32 v[3:4], v[1:2]
	s_waitcnt_depctr 0xfff
	v_fma_f64 v[5:6], -v[1:2], v[3:4], 1.0
	v_fma_f64 v[3:4], v[3:4], v[5:6], v[3:4]
	s_delay_alu instid0(VALU_DEP_1) | instskip(NEXT) | instid1(VALU_DEP_1)
	v_fma_f64 v[5:6], -v[1:2], v[3:4], 1.0
	v_fma_f64 v[3:4], v[3:4], v[5:6], v[3:4]
	s_delay_alu instid0(VALU_DEP_1) | instskip(NEXT) | instid1(VALU_DEP_1)
	v_mul_f64 v[5:6], v[7:8], v[3:4]
	v_fma_f64 v[1:2], -v[1:2], v[5:6], v[7:8]
	s_delay_alu instid0(VALU_DEP_1) | instskip(NEXT) | instid1(VALU_DEP_1)
	v_div_fmas_f64 v[1:2], v[1:2], v[3:4], v[5:6]
	v_div_fixup_f64 v[1:2], v[1:2], v[13:14], v[15:16]
	s_delay_alu instid0(VALU_DEP_1) | instskip(NEXT) | instid1(VALU_DEP_1)
	v_fma_f64 v[3:4], v[15:16], v[1:2], v[13:14]
	v_div_scale_f64 v[5:6], null, v[3:4], v[3:4], 1.0
	v_div_scale_f64 v[15:16], vcc_lo, 1.0, v[3:4], 1.0
	s_delay_alu instid0(VALU_DEP_2) | instskip(SKIP_2) | instid1(VALU_DEP_1)
	v_rcp_f64_e32 v[7:8], v[5:6]
	s_waitcnt_depctr 0xfff
	v_fma_f64 v[13:14], -v[5:6], v[7:8], 1.0
	v_fma_f64 v[7:8], v[7:8], v[13:14], v[7:8]
	s_delay_alu instid0(VALU_DEP_1) | instskip(NEXT) | instid1(VALU_DEP_1)
	v_fma_f64 v[13:14], -v[5:6], v[7:8], 1.0
	v_fma_f64 v[7:8], v[7:8], v[13:14], v[7:8]
	s_delay_alu instid0(VALU_DEP_1) | instskip(NEXT) | instid1(VALU_DEP_1)
	v_mul_f64 v[13:14], v[15:16], v[7:8]
	v_fma_f64 v[5:6], -v[5:6], v[13:14], v[15:16]
	s_delay_alu instid0(VALU_DEP_1) | instskip(SKIP_1) | instid1(VALU_DEP_2)
	v_div_fmas_f64 v[5:6], v[5:6], v[7:8], v[13:14]
	v_fma_f64 v[7:8], v[1:2], v[11:12], v[9:10]
	v_div_fixup_f64 v[3:4], v[5:6], v[3:4], 1.0
	v_fma_f64 v[5:6], -v[1:2], v[9:10], v[11:12]
	s_delay_alu instid0(VALU_DEP_2) | instskip(NEXT) | instid1(VALU_DEP_2)
	v_mul_f64 v[1:2], v[7:8], v[3:4]
	v_mul_f64 v[3:4], v[5:6], v[3:4]
.LBB213_146:                            ;   in Loop: Header=BB213_127 Depth=1
	s_add_i32 s5, s4, 4
	s_add_i32 s4, s4, 7
	s_addk_i32 s1, 0x300
	s_cmp_ge_i32 s4, s28
	ds_store_b128 v26, v[1:4]
	s_cbranch_scc1 .LBB213_148
; %bb.147:                              ;   in Loop: Header=BB213_127 Depth=1
	s_mov_b32 s4, s5
	s_branch .LBB213_127
.LBB213_148:
	s_cmp_ge_i32 s5, s28
	s_cbranch_scc1 .LBB213_163
; %bb.149:
	v_lshl_or_b32 v13, v0, 4, 0x900
	s_add_i32 s1, s5, -1
	s_mul_i32 s4, s5, 0xc0
	s_mov_b32 s6, 0
	s_mov_b32 s7, s5
	s_branch .LBB213_151
.LBB213_150:                            ;   in Loop: Header=BB213_151 Depth=1
	v_add_nc_u16 v1, s7, 1
	s_add_i32 s5, s5, 1
	s_add_i32 s6, s6, 1
	s_addk_i32 s4, 0xc0
	s_cmp_ge_i32 s5, s28
	v_readfirstlane_b32 s7, v1
	ds_store_b128 v14, v[9:12]
	s_cbranch_scc1 .LBB213_163
.LBB213_151:                            ; =>This Loop Header: Depth=1
                                        ;     Child Loop BB213_154 Depth 2
                                        ;     Child Loop BB213_158 Depth 2
	s_mul_i32 s8, s5, 12
	s_cmp_eq_u32 s5, 0
	v_add_lshl_u32 v7, s8, v0, 4
	ds_load_b128 v[1:4], v7 offset:2304
	s_cbranch_scc1 .LBB213_159
; %bb.152:                              ;   in Loop: Header=BB213_151 Depth=1
	s_add_i32 s8, s1, s6
	s_delay_alu instid0(SALU_CYCLE_1)
	s_cmp_lt_u32 s8, 3
	s_cbranch_scc1 .LBB213_156
; %bb.153:                              ;   in Loop: Header=BB213_151 Depth=1
	v_mov_b32_e32 v5, v13
	s_and_b32 s8, s5, -4
	s_mov_b32 s9, 0
	s_mov_b32 s10, s4
.LBB213_154:                            ;   Parent Loop BB213_151 Depth=1
                                        ; =>  This Inner Loop Header: Depth=2
	s_delay_alu instid0(SALU_CYCLE_1)
	v_mov_b32_e32 v6, s10
	s_add_i32 s9, s9, 4
	s_add_i32 s10, s10, 64
	s_cmp_eq_u32 s8, s9
	ds_load_b128 v[8:11], v5
	ds_load_b128 v[14:17], v6
	ds_load_b128 v[18:21], v5 offset:192
	ds_load_b128 v[22:25], v6 offset:16
	s_waitcnt lgkmcnt(2)
	v_mul_f64 v[26:27], v[16:17], v[10:11]
	v_mul_f64 v[10:11], v[14:15], v[10:11]
	s_waitcnt lgkmcnt(0)
	v_mul_f64 v[34:35], v[24:25], v[20:21]
	v_mul_f64 v[20:21], v[22:23], v[20:21]
	s_delay_alu instid0(VALU_DEP_4) | instskip(NEXT) | instid1(VALU_DEP_4)
	v_fma_f64 v[36:37], v[14:15], v[8:9], -v[26:27]
	v_fma_f64 v[38:39], v[16:17], v[8:9], v[10:11]
	ds_load_b128 v[8:11], v5 offset:384
	ds_load_b128 v[14:17], v6 offset:32
	;; [unrolled: 1-line block ×4, first 2 shown]
	v_add_nc_u32_e32 v5, 0x300, v5
	v_fma_f64 v[22:23], v[22:23], v[18:19], -v[34:35]
	v_fma_f64 v[18:19], v[24:25], v[18:19], v[20:21]
	s_waitcnt lgkmcnt(2)
	v_mul_f64 v[40:41], v[16:17], v[10:11]
	v_mul_f64 v[10:11], v[14:15], v[10:11]
	s_waitcnt lgkmcnt(0)
	v_mul_f64 v[20:21], v[32:33], v[28:29]
	v_mul_f64 v[24:25], v[30:31], v[28:29]
	v_add_f64 v[1:2], v[1:2], -v[36:37]
	v_add_f64 v[3:4], v[3:4], -v[38:39]
	v_fma_f64 v[14:15], v[14:15], v[8:9], -v[40:41]
	v_fma_f64 v[8:9], v[16:17], v[8:9], v[10:11]
	v_fma_f64 v[10:11], v[30:31], v[26:27], -v[20:21]
	v_fma_f64 v[16:17], v[32:33], v[26:27], v[24:25]
	v_add_f64 v[1:2], v[1:2], -v[22:23]
	v_add_f64 v[3:4], v[3:4], -v[18:19]
	s_delay_alu instid0(VALU_DEP_2) | instskip(NEXT) | instid1(VALU_DEP_2)
	v_add_f64 v[1:2], v[1:2], -v[14:15]
	v_add_f64 v[3:4], v[3:4], -v[8:9]
	s_delay_alu instid0(VALU_DEP_2) | instskip(NEXT) | instid1(VALU_DEP_2)
	v_add_f64 v[1:2], v[1:2], -v[10:11]
	v_add_f64 v[3:4], v[3:4], -v[16:17]
	s_cbranch_scc0 .LBB213_154
; %bb.155:                              ;   in Loop: Header=BB213_151 Depth=1
	s_and_b32 s9, s5, 3
	s_delay_alu instid0(SALU_CYCLE_1)
	s_cmp_eq_u32 s9, 0
	s_cbranch_scc0 .LBB213_157
	s_branch .LBB213_159
.LBB213_156:                            ;   in Loop: Header=BB213_151 Depth=1
	s_mov_b32 s8, 0
	s_and_b32 s9, s5, 3
	s_delay_alu instid0(SALU_CYCLE_1)
	s_cmp_eq_u32 s9, 0
	s_cbranch_scc1 .LBB213_159
.LBB213_157:                            ;   in Loop: Header=BB213_151 Depth=1
	v_mad_u64_u32 v[5:6], null, 0xc0, s8, v[13:14]
	s_and_b32 s9, s7, 3
	s_lshl_b32 s8, s8, 4
	.p2align	6
.LBB213_158:                            ;   Parent Loop BB213_151 Depth=1
                                        ; =>  This Inner Loop Header: Depth=2
	s_delay_alu instid0(SALU_CYCLE_1)
	s_add_i32 s10, s4, s8
	s_add_i32 s9, s9, -1
	v_mov_b32_e32 v6, s10
	s_add_i32 s8, s8, 16
	s_cmp_lg_u32 s9, 0
	ds_load_b128 v[8:11], v5
	ds_load_b128 v[14:17], v6
	v_add_nc_u32_e32 v5, 0xc0, v5
	s_waitcnt lgkmcnt(0)
	v_mul_f64 v[18:19], v[16:17], v[10:11]
	v_mul_f64 v[10:11], v[14:15], v[10:11]
	s_delay_alu instid0(VALU_DEP_2) | instskip(NEXT) | instid1(VALU_DEP_2)
	v_fma_f64 v[14:15], v[14:15], v[8:9], -v[18:19]
	v_fma_f64 v[8:9], v[16:17], v[8:9], v[10:11]
	s_delay_alu instid0(VALU_DEP_2) | instskip(NEXT) | instid1(VALU_DEP_2)
	v_add_f64 v[1:2], v[1:2], -v[14:15]
	v_add_f64 v[3:4], v[3:4], -v[8:9]
	s_cbranch_scc1 .LBB213_158
.LBB213_159:                            ;   in Loop: Header=BB213_151 Depth=1
	s_mul_i32 s8, s5, 0xd0
	s_delay_alu instid0(SALU_CYCLE_1)
	v_dual_mov_b32 v5, s8 :: v_dual_add_nc_u32 v14, 0x900, v7
	ds_load_b128 v[5:8], v5
	s_waitcnt lgkmcnt(0)
	v_cmp_gt_f64_e32 vcc_lo, 0, v[5:6]
	v_xor_b32_e32 v10, 0x80000000, v6
	v_mov_b32_e32 v9, v5
	v_xor_b32_e32 v11, 0x80000000, v8
	s_delay_alu instid0(VALU_DEP_3) | instskip(SKIP_1) | instid1(VALU_DEP_3)
	v_cndmask_b32_e32 v10, v6, v10, vcc_lo
	v_cmp_gt_f64_e32 vcc_lo, 0, v[7:8]
	v_dual_cndmask_b32 v12, v8, v11 :: v_dual_mov_b32 v11, v7
	s_delay_alu instid0(VALU_DEP_1)
	v_cmp_ngt_f64_e32 vcc_lo, v[9:10], v[11:12]
	s_cbranch_vccz .LBB213_161
; %bb.160:                              ;   in Loop: Header=BB213_151 Depth=1
	v_div_scale_f64 v[9:10], null, v[7:8], v[7:8], v[5:6]
	v_div_scale_f64 v[17:18], vcc_lo, v[5:6], v[7:8], v[5:6]
	s_delay_alu instid0(VALU_DEP_2) | instskip(SKIP_2) | instid1(VALU_DEP_1)
	v_rcp_f64_e32 v[11:12], v[9:10]
	s_waitcnt_depctr 0xfff
	v_fma_f64 v[15:16], -v[9:10], v[11:12], 1.0
	v_fma_f64 v[11:12], v[11:12], v[15:16], v[11:12]
	s_delay_alu instid0(VALU_DEP_1) | instskip(NEXT) | instid1(VALU_DEP_1)
	v_fma_f64 v[15:16], -v[9:10], v[11:12], 1.0
	v_fma_f64 v[11:12], v[11:12], v[15:16], v[11:12]
	s_delay_alu instid0(VALU_DEP_1) | instskip(NEXT) | instid1(VALU_DEP_1)
	v_mul_f64 v[15:16], v[17:18], v[11:12]
	v_fma_f64 v[9:10], -v[9:10], v[15:16], v[17:18]
	s_delay_alu instid0(VALU_DEP_1) | instskip(NEXT) | instid1(VALU_DEP_1)
	v_div_fmas_f64 v[9:10], v[9:10], v[11:12], v[15:16]
	v_div_fixup_f64 v[9:10], v[9:10], v[7:8], v[5:6]
	s_delay_alu instid0(VALU_DEP_1) | instskip(NEXT) | instid1(VALU_DEP_1)
	v_fma_f64 v[11:12], v[5:6], v[9:10], v[7:8]
	v_div_scale_f64 v[15:16], null, v[11:12], v[11:12], 1.0
	v_div_scale_f64 v[21:22], vcc_lo, 1.0, v[11:12], 1.0
	s_delay_alu instid0(VALU_DEP_2) | instskip(SKIP_2) | instid1(VALU_DEP_1)
	v_rcp_f64_e32 v[17:18], v[15:16]
	s_waitcnt_depctr 0xfff
	v_fma_f64 v[19:20], -v[15:16], v[17:18], 1.0
	v_fma_f64 v[17:18], v[17:18], v[19:20], v[17:18]
	s_delay_alu instid0(VALU_DEP_1) | instskip(NEXT) | instid1(VALU_DEP_1)
	v_fma_f64 v[19:20], -v[15:16], v[17:18], 1.0
	v_fma_f64 v[17:18], v[17:18], v[19:20], v[17:18]
	s_delay_alu instid0(VALU_DEP_1) | instskip(NEXT) | instid1(VALU_DEP_1)
	v_mul_f64 v[19:20], v[21:22], v[17:18]
	v_fma_f64 v[15:16], -v[15:16], v[19:20], v[21:22]
	s_delay_alu instid0(VALU_DEP_1) | instskip(SKIP_1) | instid1(VALU_DEP_2)
	v_div_fmas_f64 v[15:16], v[15:16], v[17:18], v[19:20]
	v_fma_f64 v[17:18], v[1:2], v[9:10], v[3:4]
	v_div_fixup_f64 v[11:12], v[15:16], v[11:12], 1.0
	v_fma_f64 v[15:16], v[3:4], v[9:10], -v[1:2]
	s_delay_alu instid0(VALU_DEP_2) | instskip(NEXT) | instid1(VALU_DEP_2)
	v_mul_f64 v[9:10], v[17:18], v[11:12]
	v_mul_f64 v[11:12], v[15:16], v[11:12]
	s_cbranch_execnz .LBB213_150
	s_branch .LBB213_162
.LBB213_161:                            ;   in Loop: Header=BB213_151 Depth=1
                                        ; implicit-def: $vgpr9_vgpr10
.LBB213_162:                            ;   in Loop: Header=BB213_151 Depth=1
	v_div_scale_f64 v[9:10], null, v[5:6], v[5:6], v[7:8]
	v_div_scale_f64 v[17:18], vcc_lo, v[7:8], v[5:6], v[7:8]
	s_delay_alu instid0(VALU_DEP_2) | instskip(SKIP_2) | instid1(VALU_DEP_1)
	v_rcp_f64_e32 v[11:12], v[9:10]
	s_waitcnt_depctr 0xfff
	v_fma_f64 v[15:16], -v[9:10], v[11:12], 1.0
	v_fma_f64 v[11:12], v[11:12], v[15:16], v[11:12]
	s_delay_alu instid0(VALU_DEP_1) | instskip(NEXT) | instid1(VALU_DEP_1)
	v_fma_f64 v[15:16], -v[9:10], v[11:12], 1.0
	v_fma_f64 v[11:12], v[11:12], v[15:16], v[11:12]
	s_delay_alu instid0(VALU_DEP_1) | instskip(NEXT) | instid1(VALU_DEP_1)
	v_mul_f64 v[15:16], v[17:18], v[11:12]
	v_fma_f64 v[9:10], -v[9:10], v[15:16], v[17:18]
	s_delay_alu instid0(VALU_DEP_1) | instskip(NEXT) | instid1(VALU_DEP_1)
	v_div_fmas_f64 v[9:10], v[9:10], v[11:12], v[15:16]
	v_div_fixup_f64 v[9:10], v[9:10], v[5:6], v[7:8]
	s_delay_alu instid0(VALU_DEP_1) | instskip(NEXT) | instid1(VALU_DEP_1)
	v_fma_f64 v[5:6], v[7:8], v[9:10], v[5:6]
	v_div_scale_f64 v[7:8], null, v[5:6], v[5:6], 1.0
	v_div_scale_f64 v[17:18], vcc_lo, 1.0, v[5:6], 1.0
	s_delay_alu instid0(VALU_DEP_2) | instskip(SKIP_2) | instid1(VALU_DEP_1)
	v_rcp_f64_e32 v[11:12], v[7:8]
	s_waitcnt_depctr 0xfff
	v_fma_f64 v[15:16], -v[7:8], v[11:12], 1.0
	v_fma_f64 v[11:12], v[11:12], v[15:16], v[11:12]
	s_delay_alu instid0(VALU_DEP_1) | instskip(NEXT) | instid1(VALU_DEP_1)
	v_fma_f64 v[15:16], -v[7:8], v[11:12], 1.0
	v_fma_f64 v[11:12], v[11:12], v[15:16], v[11:12]
	s_delay_alu instid0(VALU_DEP_1) | instskip(NEXT) | instid1(VALU_DEP_1)
	v_mul_f64 v[15:16], v[17:18], v[11:12]
	v_fma_f64 v[7:8], -v[7:8], v[15:16], v[17:18]
	s_delay_alu instid0(VALU_DEP_1) | instskip(SKIP_2) | instid1(VALU_DEP_3)
	v_div_fmas_f64 v[7:8], v[7:8], v[11:12], v[15:16]
	v_fma_f64 v[11:12], v[3:4], v[9:10], v[1:2]
	v_fma_f64 v[1:2], -v[1:2], v[9:10], v[3:4]
	v_div_fixup_f64 v[5:6], v[7:8], v[5:6], 1.0
	s_delay_alu instid0(VALU_DEP_1) | instskip(NEXT) | instid1(VALU_DEP_3)
	v_mul_f64 v[9:10], v[11:12], v[5:6]
	v_mul_f64 v[11:12], v[1:2], v[5:6]
	s_branch .LBB213_150
.LBB213_163:
	s_and_saveexec_b32 s1, s21
	s_cbranch_execz .LBB213_170
; %bb.164:
	v_lshlrev_b32_e32 v3, 4, v0
	s_ashr_i32 s1, s0, 31
	s_cmp_lt_u32 s15, 4
	s_mov_b32 s10, 0
	s_cbranch_scc1 .LBB213_167
; %bb.165:
	v_add_co_u32 v1, s4, s19, v3
	s_delay_alu instid0(VALU_DEP_1)
	v_add_co_ci_u32_e64 v2, null, s20, 0, s4
	v_lshl_or_b32 v0, v0, 4, 0x900
	s_and_b32 s10, s15, 0x7ffffffc
	s_mul_hi_i32 s11, s0, 48
	s_mul_i32 s16, s0, 48
	s_lshl_b64 s[4:5], s[0:1], 6
	s_lshl_b64 s[6:7], s[0:1], 5
	;; [unrolled: 1-line block ×3, first 2 shown]
	s_mov_b32 s17, 0
	s_set_inst_prefetch_distance 0x1
	.p2align	6
.LBB213_166:                            ; =>This Inner Loop Header: Depth=1
	ds_load_2addr_b64 v[4:7], v0 offset1:1
	ds_load_2addr_b64 v[8:11], v0 offset0:24 offset1:25
	ds_load_2addr_b64 v[12:15], v0 offset0:48 offset1:49
	;; [unrolled: 1-line block ×3, first 2 shown]
	v_add_co_u32 v20, vcc_lo, v1, s8
	v_add_co_ci_u32_e32 v21, vcc_lo, s9, v2, vcc_lo
	v_add_co_u32 v22, vcc_lo, v1, s6
	v_add_co_ci_u32_e32 v23, vcc_lo, s7, v2, vcc_lo
	;; [unrolled: 2-line block ×3, first 2 shown]
	v_add_nc_u32_e32 v0, 0x300, v0
	s_add_i32 s17, s17, 4
	s_delay_alu instid0(SALU_CYCLE_1)
	s_cmp_lg_u32 s10, s17
	s_waitcnt lgkmcnt(3)
	global_store_b128 v[1:2], v[4:7], off
	v_add_co_u32 v1, vcc_lo, v1, s4
	v_add_co_ci_u32_e32 v2, vcc_lo, s5, v2, vcc_lo
	s_waitcnt lgkmcnt(2)
	global_store_b128 v[20:21], v[8:11], off
	s_waitcnt lgkmcnt(1)
	global_store_b128 v[22:23], v[12:15], off
	;; [unrolled: 2-line block ×3, first 2 shown]
	s_cbranch_scc1 .LBB213_166
.LBB213_167:
	s_set_inst_prefetch_distance 0x2
	s_and_b32 s4, s15, 3
	s_delay_alu instid0(SALU_CYCLE_1)
	s_cmp_eq_u32 s4, 0
	s_cbranch_scc1 .LBB213_170
; %bb.168:
	s_mul_hi_i32 s7, s0, s10
	s_mul_i32 s6, s0, s10
	s_mul_i32 s5, s10, 0xc0
	s_lshl_b64 s[6:7], s[6:7], 4
	v_add3_u32 v2, s5, v3, 0x900
	s_add_u32 s6, s6, s18
	s_addc_u32 s7, s7, s14
	s_add_u32 s2, s6, s2
	s_addc_u32 s3, s7, s3
	;; [unrolled: 2-line block ×3, first 2 shown]
	v_add_co_u32 v0, s2, s2, v3
	s_delay_alu instid0(VALU_DEP_1)
	v_add_co_ci_u32_e64 v1, null, s3, 0, s2
	s_lshl_b64 s[0:1], s[0:1], 4
.LBB213_169:                            ; =>This Inner Loop Header: Depth=1
	ds_load_2addr_b64 v[3:6], v2 offset1:1
	v_add_nc_u32_e32 v2, 0xc0, v2
	s_add_i32 s4, s4, -1
	s_delay_alu instid0(SALU_CYCLE_1)
	s_cmp_lg_u32 s4, 0
	s_waitcnt lgkmcnt(0)
	global_store_b128 v[0:1], v[3:6], off
	v_add_co_u32 v0, vcc_lo, v0, s0
	v_add_co_ci_u32_e32 v1, vcc_lo, s1, v1, vcc_lo
	s_cbranch_scc1 .LBB213_169
.LBB213_170:
	s_nop 0
	s_sendmsg sendmsg(MSG_DEALLOC_VGPRS)
	s_endpgm
	.section	.rodata,"a",@progbits
	.p2align	6, 0x0
	.amdhsa_kernel _ZL31rocblas_trsm_small_right_deviceI19rocblas_complex_numIdES1_PKPKS1_PKPS1_Li12EEv13rocblas_fill_18rocblas_operation_17rocblas_diagonal_iiT0_T1_lilT2_lili
		.amdhsa_group_segment_fixed_size 4608
		.amdhsa_private_segment_fixed_size 0
		.amdhsa_kernarg_size 368
		.amdhsa_user_sgpr_count 14
		.amdhsa_user_sgpr_dispatch_ptr 0
		.amdhsa_user_sgpr_queue_ptr 0
		.amdhsa_user_sgpr_kernarg_segment_ptr 1
		.amdhsa_user_sgpr_dispatch_id 0
		.amdhsa_user_sgpr_private_segment_size 0
		.amdhsa_wavefront_size32 1
		.amdhsa_uses_dynamic_stack 0
		.amdhsa_enable_private_segment 0
		.amdhsa_system_sgpr_workgroup_id_x 1
		.amdhsa_system_sgpr_workgroup_id_y 0
		.amdhsa_system_sgpr_workgroup_id_z 1
		.amdhsa_system_sgpr_workgroup_info 0
		.amdhsa_system_vgpr_workitem_id 0
		.amdhsa_next_free_vgpr 80
		.amdhsa_next_free_sgpr 32
		.amdhsa_reserve_vcc 1
		.amdhsa_float_round_mode_32 0
		.amdhsa_float_round_mode_16_64 0
		.amdhsa_float_denorm_mode_32 3
		.amdhsa_float_denorm_mode_16_64 3
		.amdhsa_dx10_clamp 1
		.amdhsa_ieee_mode 1
		.amdhsa_fp16_overflow 0
		.amdhsa_workgroup_processor_mode 1
		.amdhsa_memory_ordered 1
		.amdhsa_forward_progress 0
		.amdhsa_shared_vgpr_count 0
		.amdhsa_exception_fp_ieee_invalid_op 0
		.amdhsa_exception_fp_denorm_src 0
		.amdhsa_exception_fp_ieee_div_zero 0
		.amdhsa_exception_fp_ieee_overflow 0
		.amdhsa_exception_fp_ieee_underflow 0
		.amdhsa_exception_fp_ieee_inexact 0
		.amdhsa_exception_int_div_zero 0
	.end_amdhsa_kernel
	.section	.text._ZL31rocblas_trsm_small_right_deviceI19rocblas_complex_numIdES1_PKPKS1_PKPS1_Li12EEv13rocblas_fill_18rocblas_operation_17rocblas_diagonal_iiT0_T1_lilT2_lili,"axG",@progbits,_ZL31rocblas_trsm_small_right_deviceI19rocblas_complex_numIdES1_PKPKS1_PKPS1_Li12EEv13rocblas_fill_18rocblas_operation_17rocblas_diagonal_iiT0_T1_lilT2_lili,comdat
.Lfunc_end213:
	.size	_ZL31rocblas_trsm_small_right_deviceI19rocblas_complex_numIdES1_PKPKS1_PKPS1_Li12EEv13rocblas_fill_18rocblas_operation_17rocblas_diagonal_iiT0_T1_lilT2_lili, .Lfunc_end213-_ZL31rocblas_trsm_small_right_deviceI19rocblas_complex_numIdES1_PKPKS1_PKPS1_Li12EEv13rocblas_fill_18rocblas_operation_17rocblas_diagonal_iiT0_T1_lilT2_lili
                                        ; -- End function
	.section	.AMDGPU.csdata,"",@progbits
; Kernel info:
; codeLenInByte = 20376
; NumSgprs: 34
; NumVgprs: 80
; ScratchSize: 0
; MemoryBound: 0
; FloatMode: 240
; IeeeMode: 1
; LDSByteSize: 4608 bytes/workgroup (compile time only)
; SGPRBlocks: 4
; VGPRBlocks: 9
; NumSGPRsForWavesPerEU: 34
; NumVGPRsForWavesPerEU: 80
; Occupancy: 7
; WaveLimiterHint : 0
; COMPUTE_PGM_RSRC2:SCRATCH_EN: 0
; COMPUTE_PGM_RSRC2:USER_SGPR: 14
; COMPUTE_PGM_RSRC2:TRAP_HANDLER: 0
; COMPUTE_PGM_RSRC2:TGID_X_EN: 1
; COMPUTE_PGM_RSRC2:TGID_Y_EN: 0
; COMPUTE_PGM_RSRC2:TGID_Z_EN: 1
; COMPUTE_PGM_RSRC2:TIDIG_COMP_CNT: 0
	.section	.text._ZL38rocblas_trsm_small_left_device_sharedBILi16ELi16ELb0E19rocblas_complex_numIdES1_PKPKS1_PKPS1_Ev13rocblas_fill_18rocblas_operation_17rocblas_diagonal_iiT3_T4_lilT5_lili,"axG",@progbits,_ZL38rocblas_trsm_small_left_device_sharedBILi16ELi16ELb0E19rocblas_complex_numIdES1_PKPKS1_PKPS1_Ev13rocblas_fill_18rocblas_operation_17rocblas_diagonal_iiT3_T4_lilT5_lili,comdat
	.globl	_ZL38rocblas_trsm_small_left_device_sharedBILi16ELi16ELb0E19rocblas_complex_numIdES1_PKPKS1_PKPS1_Ev13rocblas_fill_18rocblas_operation_17rocblas_diagonal_iiT3_T4_lilT5_lili ; -- Begin function _ZL38rocblas_trsm_small_left_device_sharedBILi16ELi16ELb0E19rocblas_complex_numIdES1_PKPKS1_PKPS1_Ev13rocblas_fill_18rocblas_operation_17rocblas_diagonal_iiT3_T4_lilT5_lili
	.p2align	8
	.type	_ZL38rocblas_trsm_small_left_device_sharedBILi16ELi16ELb0E19rocblas_complex_numIdES1_PKPKS1_PKPS1_Ev13rocblas_fill_18rocblas_operation_17rocblas_diagonal_iiT3_T4_lilT5_lili,@function
_ZL38rocblas_trsm_small_left_device_sharedBILi16ELi16ELb0E19rocblas_complex_numIdES1_PKPKS1_PKPS1_Ev13rocblas_fill_18rocblas_operation_17rocblas_diagonal_iiT3_T4_lilT5_lili: ; @_ZL38rocblas_trsm_small_left_device_sharedBILi16ELi16ELb0E19rocblas_complex_numIdES1_PKPKS1_PKPS1_Ev13rocblas_fill_18rocblas_operation_17rocblas_diagonal_iiT3_T4_lilT5_lili
; %bb.0:
	s_clause 0x1
	s_load_b128 s[20:23], s[0:1], 0x48
	s_load_b128 s[16:19], s[0:1], 0x4
	s_mov_b32 s2, s15
	s_mov_b32 s3, 0
	s_load_b32 s29, s[0:1], 0x70
	s_lshl_b64 s[24:25], s[2:3], 3
	s_mov_b32 s30, exec_lo
	s_waitcnt lgkmcnt(0)
	s_add_u32 s12, s20, s24
	s_addc_u32 s13, s21, s25
	s_load_b256 s[4:11], s[0:1], 0x18
	s_load_b64 s[12:13], s[12:13], 0x0
	s_min_i32 s15, s18, 16
	s_delay_alu instid0(SALU_CYCLE_1)
	s_add_i32 s28, s15, -1
	v_cmpx_gt_i32_e64 s15, v0
	s_cbranch_execz .LBB214_15
; %bb.1:
	s_load_b32 s20, s[0:1], 0x38
	s_waitcnt lgkmcnt(0)
	s_ashr_i32 s21, s20, 31
	s_cmpk_eq_i32 s16, 0x71
	s_cselect_b32 vcc_lo, -1, 0
	s_add_u32 s8, s8, s24
	s_addc_u32 s9, s9, s25
	s_cmp_lt_u32 s28, 3
	s_load_b64 s[8:9], s[8:9], 0x0
	s_cbranch_scc1 .LBB214_4
; %bb.2:
	v_lshlrev_b32_e32 v1, 4, v0
	s_lshl_b64 s[24:25], s[10:11], 4
	s_and_b32 s3, s15, -4
	s_waitcnt lgkmcnt(0)
	s_add_u32 s2, s8, s24
	s_addc_u32 s24, s9, s25
	v_add_co_u32 v1, s2, s2, v1
	s_delay_alu instid0(VALU_DEP_1) | instskip(SKIP_1) | instid1(VALU_DEP_3)
	v_add_co_ci_u32_e64 v2, null, s24, 0, s2
	v_lshlrev_b32_e32 v3, 4, v0
	v_add_co_u32 v1, s2, v1, 8
	s_delay_alu instid0(VALU_DEP_1)
	v_add_co_ci_u32_e64 v2, s2, 0, v2, s2
	s_lshl_b64 s[24:25], s[20:21], 6
	s_lshl_b64 s[26:27], s[20:21], 4
	s_mov_b32 s31, 0
.LBB214_3:                              ; =>This Inner Loop Header: Depth=1
	v_add_co_u32 v8, s2, v1, s26
	s_delay_alu instid0(VALU_DEP_1) | instskip(SKIP_1) | instid1(VALU_DEP_2)
	v_add_co_ci_u32_e64 v9, s2, s27, v2, s2
	s_add_i32 s31, s31, 4
	v_add_co_u32 v12, s2, v8, s26
	s_delay_alu instid0(VALU_DEP_1) | instskip(SKIP_1) | instid1(VALU_DEP_2)
	v_add_co_ci_u32_e64 v13, s2, s27, v9, s2
	s_cmp_eq_u32 s3, s31
	v_add_co_u32 v16, s2, v12, s26
	s_delay_alu instid0(VALU_DEP_1)
	v_add_co_ci_u32_e64 v17, s2, s27, v13, s2
	s_clause 0x3
	global_load_b128 v[4:7], v[1:2], off offset:-8
	global_load_b128 v[8:11], v[8:9], off offset:-8
	;; [unrolled: 1-line block ×4, first 2 shown]
	v_add_co_u32 v1, s2, v1, s24
	s_delay_alu instid0(VALU_DEP_1)
	v_add_co_ci_u32_e64 v2, s2, s25, v2, s2
	s_waitcnt vmcnt(3)
	v_xor_b32_e32 v20, 0x80000000, v7
	s_waitcnt vmcnt(2)
	v_xor_b32_e32 v21, 0x80000000, v11
	s_waitcnt vmcnt(1)
	v_xor_b32_e32 v22, 0x80000000, v15
	s_waitcnt vmcnt(0)
	v_xor_b32_e32 v23, 0x80000000, v19
	v_cndmask_b32_e32 v7, v7, v20, vcc_lo
	v_cndmask_b32_e32 v11, v11, v21, vcc_lo
	;; [unrolled: 1-line block ×3, first 2 shown]
	s_delay_alu instid0(VALU_DEP_4)
	v_cndmask_b32_e32 v19, v19, v23, vcc_lo
	ds_store_b128 v3, v[4:7]
	ds_store_b128 v3, v[8:11] offset:256
	ds_store_b128 v3, v[12:15] offset:512
	;; [unrolled: 1-line block ×3, first 2 shown]
	v_add_nc_u32_e32 v3, 0x400, v3
	s_cbranch_scc0 .LBB214_3
.LBB214_4:
	s_and_b32 s24, s15, 3
	s_delay_alu instid0(SALU_CYCLE_1)
	s_cmp_eq_u32 s24, 0
	s_cbranch_scc1 .LBB214_7
; %bb.5:
	s_mul_i32 s2, s21, s3
	s_mul_hi_u32 s25, s20, s3
	s_mul_i32 s26, s20, s3
	s_add_i32 s27, s25, s2
	s_lshl_b64 s[10:11], s[10:11], 4
	s_lshl_b64 s[26:27], s[26:27], 4
	v_lshlrev_b32_e32 v1, 4, v0
	s_add_u32 s2, s26, s10
	s_addc_u32 s10, s27, s11
	s_waitcnt lgkmcnt(0)
	s_add_u32 s2, s8, s2
	s_addc_u32 s8, s9, s10
	v_add_co_u32 v2, s2, s2, v1
	s_delay_alu instid0(VALU_DEP_1) | instskip(SKIP_1) | instid1(VALU_DEP_3)
	v_add_co_ci_u32_e64 v4, null, s8, 0, s2
	v_lshl_or_b32 v3, s3, 8, v1
	v_add_co_u32 v1, s2, v2, 8
	s_delay_alu instid0(VALU_DEP_1)
	v_add_co_ci_u32_e64 v2, s2, 0, v4, s2
	s_lshl_b64 s[8:9], s[20:21], 4
.LBB214_6:                              ; =>This Inner Loop Header: Depth=1
	global_load_b128 v[4:7], v[1:2], off offset:-8
	v_add_co_u32 v1, s2, v1, s8
	s_delay_alu instid0(VALU_DEP_1) | instskip(SKIP_1) | instid1(SALU_CYCLE_1)
	v_add_co_ci_u32_e64 v2, s2, s9, v2, s2
	s_add_i32 s24, s24, -1
	s_cmp_lg_u32 s24, 0
	s_waitcnt vmcnt(0)
	v_xor_b32_e32 v8, 0x80000000, v7
	s_delay_alu instid0(VALU_DEP_1)
	v_cndmask_b32_e32 v7, v7, v8, vcc_lo
	ds_store_b128 v3, v[4:7]
	v_add_nc_u32_e32 v3, 0x100, v3
	s_cbranch_scc1 .LBB214_6
.LBB214_7:
	v_mul_u32_u24_e32 v1, 17, v0
	s_cmpk_lg_i32 s17, 0x84
	s_delay_alu instid0(VALU_DEP_1)
	v_lshlrev_b32_e32 v9, 4, v1
	s_cbranch_scc0 .LBB214_13
; %bb.8:
	ds_load_b128 v[1:4], v9
	s_waitcnt lgkmcnt(0)
	v_cmp_gt_f64_e32 vcc_lo, 0, v[1:2]
	v_xor_b32_e32 v6, 0x80000000, v2
	v_mov_b32_e32 v5, v1
	v_xor_b32_e32 v7, 0x80000000, v4
	s_delay_alu instid0(VALU_DEP_3) | instskip(SKIP_1) | instid1(VALU_DEP_3)
	v_cndmask_b32_e32 v6, v2, v6, vcc_lo
	v_cmp_gt_f64_e32 vcc_lo, 0, v[3:4]
	v_dual_cndmask_b32 v8, v4, v7 :: v_dual_mov_b32 v7, v3
	s_delay_alu instid0(VALU_DEP_1) | instskip(SKIP_1) | instid1(SALU_CYCLE_1)
	v_cmp_ngt_f64_e32 vcc_lo, v[5:6], v[7:8]
                                        ; implicit-def: $vgpr7_vgpr8
	s_and_saveexec_b32 s2, vcc_lo
	s_xor_b32 s2, exec_lo, s2
	s_cbranch_execz .LBB214_10
; %bb.9:
	v_div_scale_f64 v[5:6], null, v[3:4], v[3:4], v[1:2]
	v_div_scale_f64 v[12:13], vcc_lo, v[1:2], v[3:4], v[1:2]
	s_delay_alu instid0(VALU_DEP_2) | instskip(SKIP_2) | instid1(VALU_DEP_1)
	v_rcp_f64_e32 v[7:8], v[5:6]
	s_waitcnt_depctr 0xfff
	v_fma_f64 v[10:11], -v[5:6], v[7:8], 1.0
	v_fma_f64 v[7:8], v[7:8], v[10:11], v[7:8]
	s_delay_alu instid0(VALU_DEP_1) | instskip(NEXT) | instid1(VALU_DEP_1)
	v_fma_f64 v[10:11], -v[5:6], v[7:8], 1.0
	v_fma_f64 v[7:8], v[7:8], v[10:11], v[7:8]
	s_delay_alu instid0(VALU_DEP_1) | instskip(NEXT) | instid1(VALU_DEP_1)
	v_mul_f64 v[10:11], v[12:13], v[7:8]
	v_fma_f64 v[5:6], -v[5:6], v[10:11], v[12:13]
	s_delay_alu instid0(VALU_DEP_1) | instskip(NEXT) | instid1(VALU_DEP_1)
	v_div_fmas_f64 v[5:6], v[5:6], v[7:8], v[10:11]
	v_div_fixup_f64 v[5:6], v[5:6], v[3:4], v[1:2]
	s_delay_alu instid0(VALU_DEP_1) | instskip(NEXT) | instid1(VALU_DEP_1)
	v_fma_f64 v[1:2], v[1:2], v[5:6], v[3:4]
	v_div_scale_f64 v[3:4], null, v[1:2], v[1:2], 1.0
	v_div_scale_f64 v[12:13], vcc_lo, 1.0, v[1:2], 1.0
	s_delay_alu instid0(VALU_DEP_2) | instskip(SKIP_2) | instid1(VALU_DEP_1)
	v_rcp_f64_e32 v[7:8], v[3:4]
	s_waitcnt_depctr 0xfff
	v_fma_f64 v[10:11], -v[3:4], v[7:8], 1.0
	v_fma_f64 v[7:8], v[7:8], v[10:11], v[7:8]
	s_delay_alu instid0(VALU_DEP_1) | instskip(NEXT) | instid1(VALU_DEP_1)
	v_fma_f64 v[10:11], -v[3:4], v[7:8], 1.0
	v_fma_f64 v[7:8], v[7:8], v[10:11], v[7:8]
	s_delay_alu instid0(VALU_DEP_1) | instskip(NEXT) | instid1(VALU_DEP_1)
	v_mul_f64 v[10:11], v[12:13], v[7:8]
	v_fma_f64 v[3:4], -v[3:4], v[10:11], v[12:13]
	s_delay_alu instid0(VALU_DEP_1) | instskip(SKIP_1) | instid1(VALU_DEP_2)
	v_div_fmas_f64 v[3:4], v[3:4], v[7:8], v[10:11]
	v_add_f64 v[7:8], v[5:6], 0
	v_div_fixup_f64 v[1:2], v[3:4], v[1:2], 1.0
	v_fma_f64 v[3:4], v[5:6], 0, -1.0
	s_delay_alu instid0(VALU_DEP_2) | instskip(NEXT) | instid1(VALU_DEP_2)
	v_mul_f64 v[5:6], v[7:8], v[1:2]
	v_mul_f64 v[7:8], v[3:4], v[1:2]
                                        ; implicit-def: $vgpr1_vgpr2
.LBB214_10:
	s_and_not1_saveexec_b32 s2, s2
	s_cbranch_execz .LBB214_12
; %bb.11:
	v_div_scale_f64 v[5:6], null, v[1:2], v[1:2], v[3:4]
	v_div_scale_f64 v[12:13], vcc_lo, v[3:4], v[1:2], v[3:4]
	s_delay_alu instid0(VALU_DEP_2) | instskip(SKIP_2) | instid1(VALU_DEP_1)
	v_rcp_f64_e32 v[7:8], v[5:6]
	s_waitcnt_depctr 0xfff
	v_fma_f64 v[10:11], -v[5:6], v[7:8], 1.0
	v_fma_f64 v[7:8], v[7:8], v[10:11], v[7:8]
	s_delay_alu instid0(VALU_DEP_1) | instskip(NEXT) | instid1(VALU_DEP_1)
	v_fma_f64 v[10:11], -v[5:6], v[7:8], 1.0
	v_fma_f64 v[7:8], v[7:8], v[10:11], v[7:8]
	s_delay_alu instid0(VALU_DEP_1) | instskip(NEXT) | instid1(VALU_DEP_1)
	v_mul_f64 v[10:11], v[12:13], v[7:8]
	v_fma_f64 v[5:6], -v[5:6], v[10:11], v[12:13]
	s_delay_alu instid0(VALU_DEP_1) | instskip(NEXT) | instid1(VALU_DEP_1)
	v_div_fmas_f64 v[5:6], v[5:6], v[7:8], v[10:11]
	v_div_fixup_f64 v[5:6], v[5:6], v[1:2], v[3:4]
	s_delay_alu instid0(VALU_DEP_1) | instskip(NEXT) | instid1(VALU_DEP_1)
	v_fma_f64 v[1:2], v[3:4], v[5:6], v[1:2]
	v_div_scale_f64 v[3:4], null, v[1:2], v[1:2], 1.0
	v_div_scale_f64 v[12:13], vcc_lo, 1.0, v[1:2], 1.0
	s_delay_alu instid0(VALU_DEP_2) | instskip(SKIP_2) | instid1(VALU_DEP_1)
	v_rcp_f64_e32 v[7:8], v[3:4]
	s_waitcnt_depctr 0xfff
	v_fma_f64 v[10:11], -v[3:4], v[7:8], 1.0
	v_fma_f64 v[7:8], v[7:8], v[10:11], v[7:8]
	s_delay_alu instid0(VALU_DEP_1) | instskip(NEXT) | instid1(VALU_DEP_1)
	v_fma_f64 v[10:11], -v[3:4], v[7:8], 1.0
	v_fma_f64 v[7:8], v[7:8], v[10:11], v[7:8]
	s_delay_alu instid0(VALU_DEP_1) | instskip(NEXT) | instid1(VALU_DEP_1)
	v_mul_f64 v[10:11], v[12:13], v[7:8]
	v_fma_f64 v[3:4], -v[3:4], v[10:11], v[12:13]
	s_delay_alu instid0(VALU_DEP_1) | instskip(SKIP_1) | instid1(VALU_DEP_2)
	v_div_fmas_f64 v[3:4], v[3:4], v[7:8], v[10:11]
	v_fma_f64 v[7:8], v[5:6], 0, 1.0
	v_div_fixup_f64 v[1:2], v[3:4], v[1:2], 1.0
	v_add_f64 v[3:4], -v[5:6], 0
	s_delay_alu instid0(VALU_DEP_2) | instskip(NEXT) | instid1(VALU_DEP_2)
	v_mul_f64 v[5:6], v[7:8], v[1:2]
	v_mul_f64 v[7:8], v[3:4], v[1:2]
.LBB214_12:
	s_or_b32 exec_lo, exec_lo, s2
	s_branch .LBB214_14
.LBB214_13:
	v_mov_b32_e32 v5, 0
	v_dual_mov_b32 v6, 0x3ff00000 :: v_dual_mov_b32 v7, 0
	v_mov_b32_e32 v8, 0
.LBB214_14:
	ds_store_b128 v9, v[5:8]
.LBB214_15:
	s_or_b32 exec_lo, exec_lo, s30
	s_load_b32 s17, s[0:1], 0x58
	s_lshl_b64 s[0:1], s[22:23], 4
	s_waitcnt lgkmcnt(0)
	s_ashr_i32 s20, s17, 31
	s_add_u32 s10, s12, s0
	s_addc_u32 s11, s13, s1
	s_lshl_b32 s2, s14, 4
	s_add_i32 s29, s29, -1
	s_sub_i32 s3, s19, s2
	s_mul_hi_i32 s9, s17, s2
	s_cmp_ge_u32 s14, s29
	s_mul_i32 s8, s17, s2
	s_cselect_b32 s21, s3, 16
	s_lshl_b64 s[8:9], s[8:9], 4
	s_ashr_i32 s3, s2, 31
	s_add_u32 s14, s10, s8
	s_addc_u32 s19, s11, s9
	v_cmp_gt_i32_e32 vcc_lo, s21, v0
	s_cmp_gt_i32 s18, 0
	s_mov_b32 s8, 0
	s_cselect_b32 s9, -1, 0
	s_delay_alu instid0(SALU_CYCLE_1) | instskip(NEXT) | instid1(SALU_CYCLE_1)
	s_and_b32 s21, vcc_lo, s9
	s_and_saveexec_b32 s22, s21
	s_cbranch_execz .LBB214_22
; %bb.16:
	s_cmp_lt_i32 s18, 8
	s_cbranch_scc1 .LBB214_19
; %bb.17:
	v_mad_i64_i32 v[1:2], null, s17, v0, 0
	v_lshl_or_b32 v3, v0, 4, 0x1000
	s_lshl_b32 s8, s15, 4
	s_mov_b64 s[10:11], 0
	s_and_b32 s9, s8, 0x180
	s_mov_b32 s8, 0
	s_delay_alu instid0(VALU_DEP_2) | instskip(NEXT) | instid1(VALU_DEP_1)
	v_lshlrev_b64 v[1:2], 4, v[1:2]
	v_add_co_u32 v1, vcc_lo, s14, v1
	s_delay_alu instid0(VALU_DEP_2)
	v_add_co_ci_u32_e32 v2, vcc_lo, s19, v2, vcc_lo
.LBB214_18:                             ; =>This Inner Loop Header: Depth=1
	s_delay_alu instid0(VALU_DEP_2) | instskip(NEXT) | instid1(VALU_DEP_2)
	v_add_co_u32 v32, vcc_lo, v1, s10
	v_add_co_ci_u32_e32 v33, vcc_lo, s11, v2, vcc_lo
	s_add_i32 s8, s8, 8
	s_add_u32 s10, s10, 0x80
	s_addc_u32 s11, s11, 0
	s_clause 0x7
	global_load_b128 v[4:7], v[32:33], off
	global_load_b128 v[8:11], v[32:33], off offset:16
	global_load_b128 v[12:15], v[32:33], off offset:32
	global_load_b128 v[16:19], v[32:33], off offset:48
	global_load_b128 v[20:23], v[32:33], off offset:64
	global_load_b128 v[24:27], v[32:33], off offset:80
	global_load_b128 v[28:31], v[32:33], off offset:96
	global_load_b128 v[32:35], v[32:33], off offset:112
	s_cmp_lg_u32 s9, s10
	s_waitcnt vmcnt(7)
	v_mul_f64 v[36:37], s[6:7], v[6:7]
	v_mul_f64 v[6:7], s[4:5], v[6:7]
	s_waitcnt vmcnt(6)
	v_mul_f64 v[38:39], s[6:7], v[10:11]
	v_mul_f64 v[10:11], s[4:5], v[10:11]
	;; [unrolled: 3-line block ×8, first 2 shown]
	v_fma_f64 v[34:35], s[4:5], v[4:5], -v[36:37]
	v_fma_f64 v[36:37], s[6:7], v[4:5], v[6:7]
	v_fma_f64 v[4:5], s[4:5], v[8:9], -v[38:39]
	v_fma_f64 v[6:7], s[6:7], v[8:9], v[10:11]
	;; [unrolled: 2-line block ×8, first 2 shown]
	ds_store_b128 v3, v[34:37]
	ds_store_b128 v3, v[4:7] offset:256
	ds_store_b128 v3, v[8:11] offset:512
	;; [unrolled: 1-line block ×7, first 2 shown]
	v_add_nc_u32_e32 v3, 0x800, v3
	s_cbranch_scc1 .LBB214_18
.LBB214_19:
	s_and_b32 s10, s15, 7
	s_mov_b32 s9, 0
	s_cmp_eq_u32 s10, 0
	s_cbranch_scc1 .LBB214_22
; %bb.20:
	v_lshlrev_b32_e32 v3, 4, v0
	s_lshl_b64 s[24:25], s[2:3], 4
	s_lshl_b64 s[26:27], s[8:9], 4
	s_delay_alu instid0(VALU_DEP_1) | instskip(NEXT) | instid1(VALU_DEP_1)
	v_add_co_u32 v4, s9, s24, v3
	v_add_co_ci_u32_e64 v5, null, s25, 0, s9
	s_add_u32 s9, s12, s26
	s_addc_u32 s11, s13, s27
	s_add_u32 s24, s9, s0
	s_addc_u32 s25, s11, s1
	v_mul_lo_u32 v5, v5, s17
	v_mad_u64_u32 v[1:2], null, v4, s17, s[24:25]
	v_mul_lo_u32 v4, v4, s20
	v_lshl_or_b32 v3, s8, 8, v3
	s_delay_alu instid0(VALU_DEP_1) | instskip(NEXT) | instid1(VALU_DEP_4)
	v_add_nc_u32_e32 v3, 0x1000, v3
	v_add_co_u32 v1, vcc_lo, v1, 8
	s_delay_alu instid0(VALU_DEP_4) | instskip(NEXT) | instid1(VALU_DEP_1)
	v_add3_u32 v2, v5, v2, v4
	v_add_co_ci_u32_e32 v2, vcc_lo, 0, v2, vcc_lo
	.p2align	6
.LBB214_21:                             ; =>This Inner Loop Header: Depth=1
	global_load_b128 v[4:7], v[1:2], off offset:-8
	v_add_co_u32 v1, vcc_lo, v1, 16
	v_add_co_ci_u32_e32 v2, vcc_lo, 0, v2, vcc_lo
	s_add_i32 s10, s10, -1
	s_delay_alu instid0(SALU_CYCLE_1) | instskip(SKIP_3) | instid1(VALU_DEP_2)
	s_cmp_lg_u32 s10, 0
	s_waitcnt vmcnt(0)
	v_mul_f64 v[8:9], s[6:7], v[6:7]
	v_mul_f64 v[10:11], s[4:5], v[6:7]
	v_fma_f64 v[6:7], s[4:5], v[4:5], -v[8:9]
	s_delay_alu instid0(VALU_DEP_2)
	v_fma_f64 v[8:9], s[6:7], v[4:5], v[10:11]
	ds_store_b128 v3, v[6:9]
	v_add_nc_u32_e32 v3, 0x100, v3
	s_cbranch_scc1 .LBB214_21
.LBB214_22:
	s_or_b32 exec_lo, exec_lo, s22
	s_or_b32 s6, 0, 8
	s_cmpk_eq_i32 s16, 0x6f
	s_mov_b32 s4, -1
	s_waitcnt vmcnt(0) lgkmcnt(0)
	s_waitcnt_vscnt null, 0x0
	; wave barrier
	s_waitcnt lgkmcnt(0)
	buffer_gl0_inv
	s_cbranch_scc1 .LBB214_44
; %bb.23:
	v_lshl_or_b32 v5, v0, 4, 0x1000
	v_lshlrev_b32_e32 v6, 4, v0
	s_mov_b32 s5, 0
	s_delay_alu instid0(SALU_CYCLE_1)
	s_mov_b32 s4, s5
	s_mov_b32 s7, s5
	s_branch .LBB214_25
.LBB214_24:                             ;   in Loop: Header=BB214_25 Depth=1
	s_cmp_ge_i32 s7, s15
	s_cselect_b32 s8, -1, 0
	s_add_i32 s4, s4, 1
	s_delay_alu instid0(SALU_CYCLE_1) | instskip(SKIP_1) | instid1(SALU_CYCLE_1)
	s_cmp_eq_u32 s4, 3
	s_cselect_b32 s9, -1, 0
	s_or_b32 s8, s8, s9
	s_delay_alu instid0(SALU_CYCLE_1)
	s_and_not1_b32 vcc_lo, exec_lo, s8
	s_cbranch_vccz .LBB214_43
.LBB214_25:                             ; =>This Loop Header: Depth=1
                                        ;     Child Loop BB214_28 Depth 2
                                        ;       Child Loop BB214_29 Depth 3
                                        ;       Child Loop BB214_32 Depth 3
                                        ;         Child Loop BB214_33 Depth 4
                                        ;       Child Loop BB214_37 Depth 3
                                        ;         Child Loop BB214_39 Depth 4
	s_getpc_b64 s[8:9]
	s_add_u32 s8, s8, __const._ZL38rocblas_trsm_small_left_device_sharedBILi16ELi16ELb0E19rocblas_complex_numIdES1_PKPKS1_PKPS1_Ev13rocblas_fill_18rocblas_operation_17rocblas_diagonal_iiT3_T4_lilT5_lili.step_sizes@rel32@lo+4
	s_addc_u32 s9, s9, __const._ZL38rocblas_trsm_small_left_device_sharedBILi16ELi16ELb0E19rocblas_complex_numIdES1_PKPKS1_PKPS1_Ev13rocblas_fill_18rocblas_operation_17rocblas_diagonal_iiT3_T4_lilT5_lili.step_sizes@rel32@hi+12
	s_lshl_b64 s[10:11], s[4:5], 2
	s_delay_alu instid0(SALU_CYCLE_1) | instskip(SKIP_4) | instid1(SALU_CYCLE_1)
	s_add_u32 s8, s10, s8
	s_addc_u32 s9, s11, s9
	s_load_b32 s8, s[8:9], 0x0
	s_waitcnt lgkmcnt(0)
	s_add_i32 s9, s8, -1
	s_add_i32 s10, s9, s7
	s_delay_alu instid0(SALU_CYCLE_1)
	s_cmp_ge_i32 s10, s15
	s_cbranch_scc1 .LBB214_24
; %bb.26:                               ;   in Loop: Header=BB214_25 Depth=1
	s_lshl_b32 s10, s7, 8
	s_max_i32 s11, s8, 1
	v_add_nc_u32_e32 v7, s10, v5
	s_lshl_b32 s16, s8, 8
	s_mul_i32 s22, s7, 0x110
	s_mul_i32 s23, s8, 0x110
	s_branch .LBB214_28
.LBB214_27:                             ;   in Loop: Header=BB214_28 Depth=2
	s_add_i32 s7, s7, s8
	v_add_nc_u32_e32 v7, s16, v7
	s_add_i32 s24, s9, s7
	s_add_i32 s10, s10, s16
	;; [unrolled: 1-line block ×3, first 2 shown]
	s_cmp_ge_i32 s24, s15
	s_cbranch_scc1 .LBB214_24
.LBB214_28:                             ;   Parent Loop BB214_25 Depth=1
                                        ; =>  This Loop Header: Depth=2
                                        ;       Child Loop BB214_29 Depth 3
                                        ;       Child Loop BB214_32 Depth 3
                                        ;         Child Loop BB214_33 Depth 4
                                        ;       Child Loop BB214_37 Depth 3
                                        ;         Child Loop BB214_39 Depth 4
	v_dual_mov_b32 v1, 0 :: v_dual_mov_b32 v2, v7
	s_mov_b32 s24, s11
.LBB214_29:                             ;   Parent Loop BB214_25 Depth=1
                                        ;     Parent Loop BB214_28 Depth=2
                                        ; =>    This Inner Loop Header: Depth=3
	ds_load_b128 v[8:11], v2
	v_add_nc_u32_e32 v2, 0x100, v2
	s_add_i32 s24, s24, -1
	s_delay_alu instid0(SALU_CYCLE_1)
	s_cmp_eq_u32 s24, 0
	s_waitcnt lgkmcnt(0)
	scratch_store_b128 v1, v[8:11], off
	v_add_nc_u32_e32 v1, 16, v1
	s_cbranch_scc0 .LBB214_29
; %bb.30:                               ;   in Loop: Header=BB214_28 Depth=2
	s_cmp_lt_i32 s7, 1
	s_cbranch_scc1 .LBB214_35
; %bb.31:                               ;   in Loop: Header=BB214_28 Depth=2
	s_mov_b32 s24, 0
	s_mov_b32 s25, s10
	s_set_inst_prefetch_distance 0x1
	.p2align	6
.LBB214_32:                             ;   Parent Loop BB214_25 Depth=1
                                        ;     Parent Loop BB214_28 Depth=2
                                        ; =>    This Loop Header: Depth=3
                                        ;         Child Loop BB214_33 Depth 4
	v_lshl_or_b32 v1, s24, 8, v6
	s_mov_b32 s26, s6
	s_mov_b32 s27, s25
	;; [unrolled: 1-line block ×3, first 2 shown]
	ds_load_b128 v[1:4], v1 offset:4096
	.p2align	6
.LBB214_33:                             ;   Parent Loop BB214_25 Depth=1
                                        ;     Parent Loop BB214_28 Depth=2
                                        ;       Parent Loop BB214_32 Depth=3
                                        ; =>      This Inner Loop Header: Depth=4
	scratch_load_b128 v[8:11], off, s26 offset:-8
	v_mov_b32_e32 v12, s27
	s_add_i32 s29, s29, -1
	s_addk_i32 s27, 0x100
	ds_load_b128 v[12:15], v12
	s_waitcnt lgkmcnt(0)
	v_mul_f64 v[16:17], v[3:4], v[14:15]
	v_mul_f64 v[14:15], v[1:2], v[14:15]
	s_delay_alu instid0(VALU_DEP_2) | instskip(NEXT) | instid1(VALU_DEP_2)
	v_fma_f64 v[16:17], v[1:2], v[12:13], -v[16:17]
	v_fma_f64 v[12:13], v[3:4], v[12:13], v[14:15]
	s_waitcnt vmcnt(0)
	s_delay_alu instid0(VALU_DEP_2) | instskip(NEXT) | instid1(VALU_DEP_2)
	v_add_f64 v[8:9], v[8:9], -v[16:17]
	v_add_f64 v[10:11], v[10:11], -v[12:13]
	scratch_store_b128 off, v[8:11], s26 offset:-8
	s_add_i32 s26, s26, 16
	s_cmp_eq_u32 s29, 0
	s_cbranch_scc0 .LBB214_33
; %bb.34:                               ;   in Loop: Header=BB214_32 Depth=3
	s_add_i32 s24, s24, 1
	s_add_i32 s25, s25, 16
	s_cmp_ge_i32 s24, s7
	s_cbranch_scc0 .LBB214_32
.LBB214_35:                             ;   in Loop: Header=BB214_28 Depth=2
	s_set_inst_prefetch_distance 0x2
	s_lshl_b32 s24, s7, 4
	s_mov_b32 s25, 0
	s_mov_b32 s26, s22
	s_branch .LBB214_37
.LBB214_36:                             ;   in Loop: Header=BB214_37 Depth=3
	s_mulk_i32 s29, 0x110
	s_addk_i32 s26, 0x100
	v_mov_b32_e32 v8, s29
	s_lshl_b32 s29, s25, 4
	s_add_i32 s25, s25, 1
	ds_load_b128 v[8:11], v8
	s_waitcnt vmcnt(0) lgkmcnt(0)
	v_mul_f64 v[12:13], v[10:11], v[3:4]
	v_mul_f64 v[3:4], v[8:9], v[3:4]
	s_delay_alu instid0(VALU_DEP_2) | instskip(NEXT) | instid1(VALU_DEP_2)
	v_fma_f64 v[8:9], v[8:9], v[1:2], -v[12:13]
	v_fma_f64 v[10:11], v[10:11], v[1:2], v[3:4]
	v_add_lshl_u32 v1, s27, v0, 4
	s_add_i32 s27, s29, 0
	s_cmp_eq_u32 s25, s11
	scratch_store_b128 off, v[8:11], s27
	ds_store_b128 v1, v[8:11] offset:4096
	s_cbranch_scc1 .LBB214_27
.LBB214_37:                             ;   Parent Loop BB214_25 Depth=1
                                        ;     Parent Loop BB214_28 Depth=2
                                        ; =>    This Loop Header: Depth=3
                                        ;         Child Loop BB214_39 Depth 4
	s_cmp_lg_u32 s25, 0
	s_cbranch_scc0 .LBB214_41
; %bb.38:                               ;   in Loop: Header=BB214_37 Depth=3
	s_lshl_b32 s30, s25, 4
	s_add_i32 s29, s25, s7
	s_add_i32 s27, s30, 0
	v_add_nc_u32_e64 v8, s30, 0
	scratch_load_b128 v[1:4], off, s27
	s_lshl_b32 s27, s29, 4
	s_mov_b32 s30, 0
	s_mov_b32 s31, s26
	;; [unrolled: 1-line block ×3, first 2 shown]
	.p2align	6
.LBB214_39:                             ;   Parent Loop BB214_25 Depth=1
                                        ;     Parent Loop BB214_28 Depth=2
                                        ;       Parent Loop BB214_37 Depth=3
                                        ; =>      This Inner Loop Header: Depth=4
	scratch_load_b128 v[9:12], off, s33 offset:-8
	v_mov_b32_e32 v13, s31
	s_add_i32 s30, s30, 1
	s_add_i32 s33, s33, 16
	;; [unrolled: 1-line block ×3, first 2 shown]
	s_cmp_ge_u32 s30, s25
	ds_load_b128 v[13:16], v13
	s_waitcnt vmcnt(0) lgkmcnt(0)
	v_mul_f64 v[17:18], v[15:16], v[11:12]
	v_mul_f64 v[11:12], v[13:14], v[11:12]
	s_delay_alu instid0(VALU_DEP_2) | instskip(NEXT) | instid1(VALU_DEP_2)
	v_fma_f64 v[13:14], v[13:14], v[9:10], -v[17:18]
	v_fma_f64 v[9:10], v[15:16], v[9:10], v[11:12]
	s_delay_alu instid0(VALU_DEP_2) | instskip(NEXT) | instid1(VALU_DEP_2)
	v_add_f64 v[1:2], v[1:2], -v[13:14]
	v_add_f64 v[3:4], v[3:4], -v[9:10]
	scratch_store_b128 v8, v[1:4], off
	s_cbranch_scc0 .LBB214_39
; %bb.40:                               ;   in Loop: Header=BB214_37 Depth=3
	s_branch .LBB214_36
.LBB214_41:                             ;   in Loop: Header=BB214_37 Depth=3
                                        ; implicit-def: $vgpr1_vgpr2
                                        ; implicit-def: $sgpr29
                                        ; implicit-def: $sgpr27
	s_cbranch_execz .LBB214_36
; %bb.42:                               ;   in Loop: Header=BB214_37 Depth=3
	scratch_load_b128 v[1:4], off, off
	s_mov_b32 s27, s24
	s_mov_b32 s29, s7
	s_branch .LBB214_36
.LBB214_43:
	s_mov_b32 s4, 0
.LBB214_44:
	s_delay_alu instid0(SALU_CYCLE_1)
	s_and_b32 vcc_lo, exec_lo, s4
	s_cbranch_vccz .LBB214_64
; %bb.45:
	v_lshl_or_b32 v5, v0, 4, 0x1000
	v_lshlrev_b32_e32 v6, 4, v0
	s_lshl_b32 s7, s15, 8
	s_mov_b32 s5, 0
	s_addk_i32 s7, 0xff00
	s_mov_b32 s4, s5
	s_mov_b32 s8, s28
	s_branch .LBB214_47
.LBB214_46:                             ;   in Loop: Header=BB214_47 Depth=1
	s_cmp_lt_i32 s8, 0
	s_cselect_b32 s9, -1, 0
	s_add_i32 s4, s4, 1
	s_delay_alu instid0(SALU_CYCLE_1) | instskip(SKIP_1) | instid1(SALU_CYCLE_1)
	s_cmp_eq_u32 s4, 3
	s_cselect_b32 s10, -1, 0
	s_or_b32 s9, s9, s10
	s_delay_alu instid0(SALU_CYCLE_1)
	s_and_b32 vcc_lo, exec_lo, s9
	s_cbranch_vccnz .LBB214_64
.LBB214_47:                             ; =>This Loop Header: Depth=1
                                        ;     Child Loop BB214_50 Depth 2
                                        ;       Child Loop BB214_51 Depth 3
                                        ;       Child Loop BB214_53 Depth 3
                                        ;         Child Loop BB214_54 Depth 4
                                        ;       Child Loop BB214_58 Depth 3
                                        ;         Child Loop BB214_60 Depth 4
	s_getpc_b64 s[10:11]
	s_add_u32 s10, s10, __const._ZL38rocblas_trsm_small_left_device_sharedBILi16ELi16ELb0E19rocblas_complex_numIdES1_PKPKS1_PKPS1_Ev13rocblas_fill_18rocblas_operation_17rocblas_diagonal_iiT3_T4_lilT5_lili.step_sizes@rel32@lo+4
	s_addc_u32 s11, s11, __const._ZL38rocblas_trsm_small_left_device_sharedBILi16ELi16ELb0E19rocblas_complex_numIdES1_PKPKS1_PKPS1_Ev13rocblas_fill_18rocblas_operation_17rocblas_diagonal_iiT3_T4_lilT5_lili.step_sizes@rel32@hi+12
	s_lshl_b64 s[22:23], s[4:5], 2
	s_delay_alu instid0(SALU_CYCLE_1) | instskip(SKIP_4) | instid1(SALU_CYCLE_1)
	s_add_u32 s10, s22, s10
	s_addc_u32 s11, s23, s11
	s_load_b32 s9, s[10:11], 0x0
	s_waitcnt lgkmcnt(0)
	s_add_i32 s10, s9, -1
	s_cmp_lt_i32 s8, s10
	s_cbranch_scc1 .LBB214_46
; %bb.48:                               ;   in Loop: Header=BB214_47 Depth=1
	v_lshl_add_u32 v7, s8, 8, v5
	s_lshl_b32 s16, s9, 8
	s_lshl_b32 s22, s8, 4
	;; [unrolled: 1-line block ×3, first 2 shown]
	s_max_i32 s11, s9, 1
	s_sub_i32 s16, 0, s16
	s_add_i32 s22, s7, s22
	s_sub_i32 s23, 0, s23
	s_mul_i32 s24, s8, 0x110
	s_mul_i32 s25, s9, 0xfffffef0
	s_branch .LBB214_50
.LBB214_49:                             ;   in Loop: Header=BB214_50 Depth=2
	v_add_nc_u32_e32 v7, s16, v7
	s_sub_i32 s8, s8, s9
	s_add_i32 s22, s22, s23
	s_add_i32 s24, s24, s25
	s_cmp_lt_i32 s8, s10
	s_cbranch_scc1 .LBB214_46
.LBB214_50:                             ;   Parent Loop BB214_47 Depth=1
                                        ; =>  This Loop Header: Depth=2
                                        ;       Child Loop BB214_51 Depth 3
                                        ;       Child Loop BB214_53 Depth 3
                                        ;         Child Loop BB214_54 Depth 4
                                        ;       Child Loop BB214_58 Depth 3
                                        ;         Child Loop BB214_60 Depth 4
	v_dual_mov_b32 v1, 0 :: v_dual_mov_b32 v2, v7
	s_mov_b32 s26, s11
.LBB214_51:                             ;   Parent Loop BB214_47 Depth=1
                                        ;     Parent Loop BB214_50 Depth=2
                                        ; =>    This Inner Loop Header: Depth=3
	ds_load_b128 v[8:11], v2
	v_add_nc_u32_e32 v2, 0xffffff00, v2
	s_add_i32 s26, s26, -1
	s_delay_alu instid0(SALU_CYCLE_1)
	s_cmp_eq_u32 s26, 0
	s_waitcnt lgkmcnt(0)
	scratch_store_b128 v1, v[8:11], off
	v_add_nc_u32_e32 v1, 16, v1
	s_cbranch_scc0 .LBB214_51
; %bb.52:                               ;   in Loop: Header=BB214_50 Depth=2
	s_cmp_le_i32 s28, s8
	s_mov_b32 s26, s22
	s_mov_b32 s27, s28
	s_cbranch_scc1 .LBB214_56
	.p2align	6
.LBB214_53:                             ;   Parent Loop BB214_47 Depth=1
                                        ;     Parent Loop BB214_50 Depth=2
                                        ; =>    This Loop Header: Depth=3
                                        ;         Child Loop BB214_54 Depth 4
	v_lshl_or_b32 v1, s27, 8, v6
	s_mov_b32 s29, s6
	s_mov_b32 s30, s11
	;; [unrolled: 1-line block ×3, first 2 shown]
	ds_load_b128 v[1:4], v1 offset:4096
	.p2align	6
.LBB214_54:                             ;   Parent Loop BB214_47 Depth=1
                                        ;     Parent Loop BB214_50 Depth=2
                                        ;       Parent Loop BB214_53 Depth=3
                                        ; =>      This Inner Loop Header: Depth=4
	scratch_load_b128 v[8:11], off, s29 offset:-8
	v_mov_b32_e32 v12, s31
	s_add_i32 s30, s30, -1
	s_add_i32 s31, s31, -16
	ds_load_b128 v[12:15], v12
	s_waitcnt lgkmcnt(0)
	v_mul_f64 v[16:17], v[3:4], v[14:15]
	v_mul_f64 v[14:15], v[1:2], v[14:15]
	s_delay_alu instid0(VALU_DEP_2) | instskip(NEXT) | instid1(VALU_DEP_2)
	v_fma_f64 v[16:17], v[1:2], v[12:13], -v[16:17]
	v_fma_f64 v[12:13], v[3:4], v[12:13], v[14:15]
	s_waitcnt vmcnt(0)
	s_delay_alu instid0(VALU_DEP_2) | instskip(NEXT) | instid1(VALU_DEP_2)
	v_add_f64 v[8:9], v[8:9], -v[16:17]
	v_add_f64 v[10:11], v[10:11], -v[12:13]
	scratch_store_b128 off, v[8:11], s29 offset:-8
	s_add_i32 s29, s29, 16
	s_cmp_eq_u32 s30, 0
	s_cbranch_scc0 .LBB214_54
; %bb.55:                               ;   in Loop: Header=BB214_53 Depth=3
	s_add_i32 s27, s27, -1
	s_addk_i32 s26, 0xff00
	s_cmp_le_i32 s27, s8
	s_cbranch_scc0 .LBB214_53
.LBB214_56:                             ;   in Loop: Header=BB214_50 Depth=2
	s_mov_b32 s26, 0
	s_mov_b32 s27, s24
	s_branch .LBB214_58
.LBB214_57:                             ;   in Loop: Header=BB214_58 Depth=3
	s_mul_i32 s30, s29, 0x110
	s_add_i32 s27, s27, -16
	v_mov_b32_e32 v8, s30
	s_lshl_b32 s30, s26, 4
	s_add_i32 s26, s26, 1
	ds_load_b128 v[8:11], v8
	s_waitcnt vmcnt(0) lgkmcnt(0)
	v_mul_f64 v[12:13], v[10:11], v[3:4]
	v_mul_f64 v[3:4], v[8:9], v[3:4]
	s_delay_alu instid0(VALU_DEP_2) | instskip(NEXT) | instid1(VALU_DEP_2)
	v_fma_f64 v[8:9], v[8:9], v[1:2], -v[12:13]
	v_fma_f64 v[10:11], v[10:11], v[1:2], v[3:4]
	v_lshl_or_b32 v1, s29, 8, v6
	s_add_i32 s29, s30, 0
	s_cmp_eq_u32 s26, s11
	scratch_store_b128 off, v[8:11], s29
	ds_store_b128 v1, v[8:11] offset:4096
	s_cbranch_scc1 .LBB214_49
.LBB214_58:                             ;   Parent Loop BB214_47 Depth=1
                                        ;     Parent Loop BB214_50 Depth=2
                                        ; =>    This Loop Header: Depth=3
                                        ;         Child Loop BB214_60 Depth 4
	s_cmp_lg_u32 s26, 0
	s_cbranch_scc0 .LBB214_62
; %bb.59:                               ;   in Loop: Header=BB214_58 Depth=3
	s_lshl_b32 s30, s26, 4
	s_mov_b32 s31, s6
	s_add_i32 s29, s30, 0
	v_add_nc_u32_e64 v8, s30, 0
	scratch_load_b128 v[1:4], off, s29
	s_sub_i32 s29, s8, s26
	s_mov_b32 s30, 0
	s_mov_b32 s33, s27
	.p2align	6
.LBB214_60:                             ;   Parent Loop BB214_47 Depth=1
                                        ;     Parent Loop BB214_50 Depth=2
                                        ;       Parent Loop BB214_58 Depth=3
                                        ; =>      This Inner Loop Header: Depth=4
	scratch_load_b128 v[9:12], off, s31 offset:-8
	v_mov_b32_e32 v13, s33
	s_add_i32 s30, s30, 1
	s_addk_i32 s33, 0xff00
	s_add_i32 s31, s31, 16
	s_cmp_ge_u32 s30, s26
	ds_load_b128 v[13:16], v13
	s_waitcnt vmcnt(0) lgkmcnt(0)
	v_mul_f64 v[17:18], v[15:16], v[11:12]
	v_mul_f64 v[11:12], v[13:14], v[11:12]
	s_delay_alu instid0(VALU_DEP_2) | instskip(NEXT) | instid1(VALU_DEP_2)
	v_fma_f64 v[13:14], v[13:14], v[9:10], -v[17:18]
	v_fma_f64 v[9:10], v[15:16], v[9:10], v[11:12]
	s_delay_alu instid0(VALU_DEP_2) | instskip(NEXT) | instid1(VALU_DEP_2)
	v_add_f64 v[1:2], v[1:2], -v[13:14]
	v_add_f64 v[3:4], v[3:4], -v[9:10]
	scratch_store_b128 v8, v[1:4], off
	s_cbranch_scc0 .LBB214_60
; %bb.61:                               ;   in Loop: Header=BB214_58 Depth=3
	s_branch .LBB214_57
.LBB214_62:                             ;   in Loop: Header=BB214_58 Depth=3
                                        ; implicit-def: $vgpr1_vgpr2
                                        ; implicit-def: $sgpr29
	s_cbranch_execz .LBB214_57
; %bb.63:                               ;   in Loop: Header=BB214_58 Depth=3
	scratch_load_b128 v[1:4], off, off
	s_mov_b32 s29, s8
	s_branch .LBB214_57
.LBB214_64:
	s_waitcnt vmcnt(0) lgkmcnt(0)
	s_waitcnt_vscnt null, 0x0
	; wave barrier
	s_waitcnt lgkmcnt(0)
	s_waitcnt_vscnt null, 0x0
	buffer_gl0_inv
	s_and_saveexec_b32 s4, s21
	s_cbranch_execz .LBB214_71
; %bb.65:
	s_cmp_lt_i32 s18, 8
	s_mov_b32 s4, 0
	s_cbranch_scc1 .LBB214_68
; %bb.66:
	v_mad_i64_i32 v[1:2], null, s17, v0, 0
	v_lshl_or_b32 v3, v0, 4, 0x1000
	s_lshl_b32 s4, s15, 4
	s_mov_b64 s[6:7], 0
	s_and_b32 s5, s4, 0x180
	s_mov_b32 s4, 0
	s_delay_alu instid0(VALU_DEP_2) | instskip(NEXT) | instid1(VALU_DEP_1)
	v_lshlrev_b64 v[1:2], 4, v[1:2]
	v_add_co_u32 v1, vcc_lo, s14, v1
	s_delay_alu instid0(VALU_DEP_2)
	v_add_co_ci_u32_e32 v2, vcc_lo, s19, v2, vcc_lo
	s_set_inst_prefetch_distance 0x1
	.p2align	6
.LBB214_67:                             ; =>This Inner Loop Header: Depth=1
	ds_load_2addr_b64 v[4:7], v3 offset1:1
	ds_load_2addr_b64 v[8:11], v3 offset0:32 offset1:33
	ds_load_2addr_b64 v[12:15], v3 offset0:64 offset1:65
	;; [unrolled: 1-line block ×7, first 2 shown]
	v_add_co_u32 v36, vcc_lo, v1, s6
	v_add_co_ci_u32_e32 v37, vcc_lo, s7, v2, vcc_lo
	s_add_i32 s4, s4, 8
	v_add_nc_u32_e32 v3, 0x800, v3
	s_add_u32 s6, s6, 0x80
	s_addc_u32 s7, s7, 0
	s_cmp_lg_u32 s5, s6
	s_waitcnt lgkmcnt(7)
	global_store_b128 v[36:37], v[4:7], off
	s_waitcnt lgkmcnt(6)
	global_store_b128 v[36:37], v[8:11], off offset:16
	s_waitcnt lgkmcnt(5)
	global_store_b128 v[36:37], v[12:15], off offset:32
	;; [unrolled: 2-line block ×7, first 2 shown]
	s_cbranch_scc1 .LBB214_67
.LBB214_68:
	s_set_inst_prefetch_distance 0x2
	s_and_b32 s6, s15, 7
	s_mov_b32 s5, 0
	s_cmp_eq_u32 s6, 0
	s_cbranch_scc1 .LBB214_71
; %bb.69:
	v_lshlrev_b32_e32 v2, 4, v0
	s_lshl_b64 s[2:3], s[2:3], 4
	s_lshl_b64 s[8:9], s[4:5], 4
	s_delay_alu instid0(VALU_DEP_1) | instskip(NEXT) | instid1(VALU_DEP_1)
	v_add_co_u32 v3, s2, s2, v2
	v_add_co_ci_u32_e64 v4, null, s3, 0, s2
	s_add_u32 s2, s12, s8
	s_addc_u32 s3, s13, s9
	s_add_u32 s0, s2, s0
	s_addc_u32 s1, s3, s1
	v_mul_lo_u32 v4, v4, s17
	v_mad_u64_u32 v[0:1], null, v3, s17, s[0:1]
	v_mul_lo_u32 v3, v3, s20
	v_lshl_or_b32 v2, s4, 8, v2
	s_delay_alu instid0(VALU_DEP_1) | instskip(NEXT) | instid1(VALU_DEP_3)
	v_add_nc_u32_e32 v2, 0x1000, v2
	v_add3_u32 v1, v4, v1, v3
.LBB214_70:                             ; =>This Inner Loop Header: Depth=1
	ds_load_2addr_b64 v[3:6], v2 offset1:1
	v_add_nc_u32_e32 v2, 0x100, v2
	s_add_i32 s6, s6, -1
	s_delay_alu instid0(SALU_CYCLE_1)
	s_cmp_lg_u32 s6, 0
	s_waitcnt lgkmcnt(0)
	global_store_b128 v[0:1], v[3:6], off
	v_add_co_u32 v0, vcc_lo, v0, 16
	v_add_co_ci_u32_e32 v1, vcc_lo, 0, v1, vcc_lo
	s_cbranch_scc1 .LBB214_70
.LBB214_71:
	s_nop 0
	s_sendmsg sendmsg(MSG_DEALLOC_VGPRS)
	s_endpgm
	.section	.rodata,"a",@progbits
	.p2align	6, 0x0
	.amdhsa_kernel _ZL38rocblas_trsm_small_left_device_sharedBILi16ELi16ELb0E19rocblas_complex_numIdES1_PKPKS1_PKPS1_Ev13rocblas_fill_18rocblas_operation_17rocblas_diagonal_iiT3_T4_lilT5_lili
		.amdhsa_group_segment_fixed_size 8192
		.amdhsa_private_segment_fixed_size 272
		.amdhsa_kernarg_size 368
		.amdhsa_user_sgpr_count 14
		.amdhsa_user_sgpr_dispatch_ptr 0
		.amdhsa_user_sgpr_queue_ptr 0
		.amdhsa_user_sgpr_kernarg_segment_ptr 1
		.amdhsa_user_sgpr_dispatch_id 0
		.amdhsa_user_sgpr_private_segment_size 0
		.amdhsa_wavefront_size32 1
		.amdhsa_uses_dynamic_stack 0
		.amdhsa_enable_private_segment 1
		.amdhsa_system_sgpr_workgroup_id_x 1
		.amdhsa_system_sgpr_workgroup_id_y 0
		.amdhsa_system_sgpr_workgroup_id_z 1
		.amdhsa_system_sgpr_workgroup_info 0
		.amdhsa_system_vgpr_workitem_id 0
		.amdhsa_next_free_vgpr 54
		.amdhsa_next_free_sgpr 34
		.amdhsa_reserve_vcc 1
		.amdhsa_float_round_mode_32 0
		.amdhsa_float_round_mode_16_64 0
		.amdhsa_float_denorm_mode_32 3
		.amdhsa_float_denorm_mode_16_64 3
		.amdhsa_dx10_clamp 1
		.amdhsa_ieee_mode 1
		.amdhsa_fp16_overflow 0
		.amdhsa_workgroup_processor_mode 1
		.amdhsa_memory_ordered 1
		.amdhsa_forward_progress 0
		.amdhsa_shared_vgpr_count 0
		.amdhsa_exception_fp_ieee_invalid_op 0
		.amdhsa_exception_fp_denorm_src 0
		.amdhsa_exception_fp_ieee_div_zero 0
		.amdhsa_exception_fp_ieee_overflow 0
		.amdhsa_exception_fp_ieee_underflow 0
		.amdhsa_exception_fp_ieee_inexact 0
		.amdhsa_exception_int_div_zero 0
	.end_amdhsa_kernel
	.section	.text._ZL38rocblas_trsm_small_left_device_sharedBILi16ELi16ELb0E19rocblas_complex_numIdES1_PKPKS1_PKPS1_Ev13rocblas_fill_18rocblas_operation_17rocblas_diagonal_iiT3_T4_lilT5_lili,"axG",@progbits,_ZL38rocblas_trsm_small_left_device_sharedBILi16ELi16ELb0E19rocblas_complex_numIdES1_PKPKS1_PKPS1_Ev13rocblas_fill_18rocblas_operation_17rocblas_diagonal_iiT3_T4_lilT5_lili,comdat
.Lfunc_end214:
	.size	_ZL38rocblas_trsm_small_left_device_sharedBILi16ELi16ELb0E19rocblas_complex_numIdES1_PKPKS1_PKPS1_Ev13rocblas_fill_18rocblas_operation_17rocblas_diagonal_iiT3_T4_lilT5_lili, .Lfunc_end214-_ZL38rocblas_trsm_small_left_device_sharedBILi16ELi16ELb0E19rocblas_complex_numIdES1_PKPKS1_PKPS1_Ev13rocblas_fill_18rocblas_operation_17rocblas_diagonal_iiT3_T4_lilT5_lili
                                        ; -- End function
	.section	.AMDGPU.csdata,"",@progbits
; Kernel info:
; codeLenInByte = 4252
; NumSgprs: 36
; NumVgprs: 54
; ScratchSize: 272
; MemoryBound: 0
; FloatMode: 240
; IeeeMode: 1
; LDSByteSize: 8192 bytes/workgroup (compile time only)
; SGPRBlocks: 4
; VGPRBlocks: 6
; NumSGPRsForWavesPerEU: 36
; NumVGPRsForWavesPerEU: 54
; Occupancy: 4
; WaveLimiterHint : 1
; COMPUTE_PGM_RSRC2:SCRATCH_EN: 1
; COMPUTE_PGM_RSRC2:USER_SGPR: 14
; COMPUTE_PGM_RSRC2:TRAP_HANDLER: 0
; COMPUTE_PGM_RSRC2:TGID_X_EN: 1
; COMPUTE_PGM_RSRC2:TGID_Y_EN: 0
; COMPUTE_PGM_RSRC2:TGID_Z_EN: 1
; COMPUTE_PGM_RSRC2:TIDIG_COMP_CNT: 0
	.section	.text._ZL30rocblas_trsm_small_left_deviceILi16ELi16ELb0E19rocblas_complex_numIdES1_PKPKS1_PKPS1_Ev13rocblas_fill_18rocblas_operation_17rocblas_diagonal_iiT3_T4_lilT5_lili,"axG",@progbits,_ZL30rocblas_trsm_small_left_deviceILi16ELi16ELb0E19rocblas_complex_numIdES1_PKPKS1_PKPS1_Ev13rocblas_fill_18rocblas_operation_17rocblas_diagonal_iiT3_T4_lilT5_lili,comdat
	.globl	_ZL30rocblas_trsm_small_left_deviceILi16ELi16ELb0E19rocblas_complex_numIdES1_PKPKS1_PKPS1_Ev13rocblas_fill_18rocblas_operation_17rocblas_diagonal_iiT3_T4_lilT5_lili ; -- Begin function _ZL30rocblas_trsm_small_left_deviceILi16ELi16ELb0E19rocblas_complex_numIdES1_PKPKS1_PKPS1_Ev13rocblas_fill_18rocblas_operation_17rocblas_diagonal_iiT3_T4_lilT5_lili
	.p2align	8
	.type	_ZL30rocblas_trsm_small_left_deviceILi16ELi16ELb0E19rocblas_complex_numIdES1_PKPKS1_PKPS1_Ev13rocblas_fill_18rocblas_operation_17rocblas_diagonal_iiT3_T4_lilT5_lili,@function
_ZL30rocblas_trsm_small_left_deviceILi16ELi16ELb0E19rocblas_complex_numIdES1_PKPKS1_PKPS1_Ev13rocblas_fill_18rocblas_operation_17rocblas_diagonal_iiT3_T4_lilT5_lili: ; @_ZL30rocblas_trsm_small_left_deviceILi16ELi16ELb0E19rocblas_complex_numIdES1_PKPKS1_PKPS1_Ev13rocblas_fill_18rocblas_operation_17rocblas_diagonal_iiT3_T4_lilT5_lili
; %bb.0:
	s_clause 0x1
	s_load_b128 s[20:23], s[0:1], 0x48
	s_load_b128 s[16:19], s[0:1], 0x4
	s_mov_b32 s2, s15
	s_mov_b32 s3, 0
	s_load_b32 s15, s[0:1], 0x70
	s_lshl_b64 s[24:25], s[2:3], 3
	s_waitcnt lgkmcnt(0)
	s_add_u32 s12, s20, s24
	s_addc_u32 s13, s21, s25
	s_load_b256 s[4:11], s[0:1], 0x18
	s_load_b64 s[12:13], s[12:13], 0x0
	s_min_i32 s29, s18, 16
	s_mov_b32 s18, exec_lo
	s_add_i32 s28, s29, -1
	v_cmpx_gt_i32_e64 s29, v0
	s_cbranch_execz .LBB215_15
; %bb.1:
	s_load_b32 s20, s[0:1], 0x38
	v_lshlrev_b32_e32 v3, 4, v0
	s_waitcnt lgkmcnt(0)
	s_ashr_i32 s21, s20, 31
	s_cmpk_eq_i32 s16, 0x71
	s_cselect_b32 vcc_lo, -1, 0
	s_add_u32 s8, s8, s24
	s_addc_u32 s9, s9, s25
	s_cmp_lt_u32 s28, 3
	s_load_b64 s[8:9], s[8:9], 0x0
	s_cbranch_scc1 .LBB215_4
; %bb.2:
	v_dual_mov_b32 v4, v3 :: v_dual_lshlrev_b32 v1, 4, v0
	s_lshl_b64 s[24:25], s[10:11], 4
	s_and_b32 s3, s29, -4
	s_waitcnt lgkmcnt(0)
	s_add_u32 s2, s8, s24
	s_addc_u32 s24, s9, s25
	v_add_co_u32 v1, s2, s2, v1
	s_delay_alu instid0(VALU_DEP_1) | instskip(SKIP_1) | instid1(VALU_DEP_2)
	v_add_co_ci_u32_e64 v2, null, s24, 0, s2
	s_lshl_b64 s[24:25], s[20:21], 6
	v_add_co_u32 v1, s2, v1, 8
	s_delay_alu instid0(VALU_DEP_1)
	v_add_co_ci_u32_e64 v2, s2, 0, v2, s2
	s_lshl_b64 s[26:27], s[20:21], 4
	s_mov_b32 s30, 0
.LBB215_3:                              ; =>This Inner Loop Header: Depth=1
	s_delay_alu instid0(VALU_DEP_2) | instskip(NEXT) | instid1(VALU_DEP_1)
	v_add_co_u32 v9, s2, v1, s26
	v_add_co_ci_u32_e64 v10, s2, s27, v2, s2
	s_add_i32 s30, s30, 4
	s_delay_alu instid0(VALU_DEP_2) | instskip(NEXT) | instid1(VALU_DEP_1)
	v_add_co_u32 v13, s2, v9, s26
	v_add_co_ci_u32_e64 v14, s2, s27, v10, s2
	s_cmp_eq_u32 s3, s30
	s_delay_alu instid0(VALU_DEP_2) | instskip(NEXT) | instid1(VALU_DEP_1)
	v_add_co_u32 v17, s2, v13, s26
	v_add_co_ci_u32_e64 v18, s2, s27, v14, s2
	s_clause 0x3
	global_load_b128 v[5:8], v[1:2], off offset:-8
	global_load_b128 v[9:12], v[9:10], off offset:-8
	;; [unrolled: 1-line block ×4, first 2 shown]
	v_add_co_u32 v1, s2, v1, s24
	s_delay_alu instid0(VALU_DEP_1)
	v_add_co_ci_u32_e64 v2, s2, s25, v2, s2
	s_waitcnt vmcnt(3)
	v_xor_b32_e32 v21, 0x80000000, v8
	s_waitcnt vmcnt(2)
	v_xor_b32_e32 v22, 0x80000000, v12
	;; [unrolled: 2-line block ×4, first 2 shown]
	v_cndmask_b32_e32 v8, v8, v21, vcc_lo
	v_cndmask_b32_e32 v12, v12, v22, vcc_lo
	;; [unrolled: 1-line block ×3, first 2 shown]
	s_delay_alu instid0(VALU_DEP_4)
	v_cndmask_b32_e32 v20, v20, v24, vcc_lo
	ds_store_b128 v4, v[5:8]
	ds_store_b128 v4, v[9:12] offset:256
	ds_store_b128 v4, v[13:16] offset:512
	;; [unrolled: 1-line block ×3, first 2 shown]
	v_add_nc_u32_e32 v4, 0x400, v4
	s_cbranch_scc0 .LBB215_3
.LBB215_4:
	s_and_b32 s24, s29, 3
	s_delay_alu instid0(SALU_CYCLE_1)
	s_cmp_eq_u32 s24, 0
	s_cbranch_scc1 .LBB215_7
; %bb.5:
	s_mul_i32 s2, s21, s3
	s_mul_hi_u32 s25, s20, s3
	s_mul_i32 s26, s20, s3
	s_add_i32 s27, s25, s2
	s_lshl_b64 s[10:11], s[10:11], 4
	s_lshl_b64 s[26:27], s[26:27], 4
	s_delay_alu instid0(SALU_CYCLE_1)
	s_add_u32 s2, s26, s10
	s_addc_u32 s10, s27, s11
	s_waitcnt lgkmcnt(0)
	s_add_u32 s2, s8, s2
	s_addc_u32 s8, s9, s10
	v_add_co_u32 v1, s2, s2, v3
	s_delay_alu instid0(VALU_DEP_1) | instskip(SKIP_1) | instid1(VALU_DEP_3)
	v_add_co_ci_u32_e64 v2, null, s8, 0, s2
	v_lshl_or_b32 v3, s3, 8, v3
	v_add_co_u32 v1, s2, v1, 8
	s_delay_alu instid0(VALU_DEP_1)
	v_add_co_ci_u32_e64 v2, s2, 0, v2, s2
	s_lshl_b64 s[8:9], s[20:21], 4
.LBB215_6:                              ; =>This Inner Loop Header: Depth=1
	global_load_b128 v[4:7], v[1:2], off offset:-8
	v_add_co_u32 v1, s2, v1, s8
	s_delay_alu instid0(VALU_DEP_1) | instskip(SKIP_1) | instid1(SALU_CYCLE_1)
	v_add_co_ci_u32_e64 v2, s2, s9, v2, s2
	s_add_i32 s24, s24, -1
	s_cmp_lg_u32 s24, 0
	s_waitcnt vmcnt(0)
	v_xor_b32_e32 v8, 0x80000000, v7
	s_delay_alu instid0(VALU_DEP_1)
	v_cndmask_b32_e32 v7, v7, v8, vcc_lo
	ds_store_b128 v3, v[4:7]
	v_add_nc_u32_e32 v3, 0x100, v3
	s_cbranch_scc1 .LBB215_6
.LBB215_7:
	v_mul_u32_u24_e32 v1, 17, v0
	s_cmpk_lg_i32 s17, 0x84
	s_delay_alu instid0(VALU_DEP_1)
	v_lshlrev_b32_e32 v9, 4, v1
	s_cbranch_scc0 .LBB215_13
; %bb.8:
	ds_load_b128 v[1:4], v9
	s_waitcnt lgkmcnt(0)
	v_cmp_gt_f64_e32 vcc_lo, 0, v[1:2]
	v_xor_b32_e32 v6, 0x80000000, v2
	v_mov_b32_e32 v5, v1
	v_xor_b32_e32 v7, 0x80000000, v4
	s_delay_alu instid0(VALU_DEP_3) | instskip(SKIP_1) | instid1(VALU_DEP_3)
	v_cndmask_b32_e32 v6, v2, v6, vcc_lo
	v_cmp_gt_f64_e32 vcc_lo, 0, v[3:4]
	v_dual_cndmask_b32 v8, v4, v7 :: v_dual_mov_b32 v7, v3
	s_delay_alu instid0(VALU_DEP_1) | instskip(SKIP_1) | instid1(SALU_CYCLE_1)
	v_cmp_ngt_f64_e32 vcc_lo, v[5:6], v[7:8]
                                        ; implicit-def: $vgpr7_vgpr8
	s_and_saveexec_b32 s2, vcc_lo
	s_xor_b32 s2, exec_lo, s2
	s_cbranch_execz .LBB215_10
; %bb.9:
	v_div_scale_f64 v[5:6], null, v[3:4], v[3:4], v[1:2]
	v_div_scale_f64 v[12:13], vcc_lo, v[1:2], v[3:4], v[1:2]
	s_delay_alu instid0(VALU_DEP_2) | instskip(SKIP_2) | instid1(VALU_DEP_1)
	v_rcp_f64_e32 v[7:8], v[5:6]
	s_waitcnt_depctr 0xfff
	v_fma_f64 v[10:11], -v[5:6], v[7:8], 1.0
	v_fma_f64 v[7:8], v[7:8], v[10:11], v[7:8]
	s_delay_alu instid0(VALU_DEP_1) | instskip(NEXT) | instid1(VALU_DEP_1)
	v_fma_f64 v[10:11], -v[5:6], v[7:8], 1.0
	v_fma_f64 v[7:8], v[7:8], v[10:11], v[7:8]
	s_delay_alu instid0(VALU_DEP_1) | instskip(NEXT) | instid1(VALU_DEP_1)
	v_mul_f64 v[10:11], v[12:13], v[7:8]
	v_fma_f64 v[5:6], -v[5:6], v[10:11], v[12:13]
	s_delay_alu instid0(VALU_DEP_1) | instskip(NEXT) | instid1(VALU_DEP_1)
	v_div_fmas_f64 v[5:6], v[5:6], v[7:8], v[10:11]
	v_div_fixup_f64 v[5:6], v[5:6], v[3:4], v[1:2]
	s_delay_alu instid0(VALU_DEP_1) | instskip(NEXT) | instid1(VALU_DEP_1)
	v_fma_f64 v[1:2], v[1:2], v[5:6], v[3:4]
	v_div_scale_f64 v[3:4], null, v[1:2], v[1:2], 1.0
	v_div_scale_f64 v[12:13], vcc_lo, 1.0, v[1:2], 1.0
	s_delay_alu instid0(VALU_DEP_2) | instskip(SKIP_2) | instid1(VALU_DEP_1)
	v_rcp_f64_e32 v[7:8], v[3:4]
	s_waitcnt_depctr 0xfff
	v_fma_f64 v[10:11], -v[3:4], v[7:8], 1.0
	v_fma_f64 v[7:8], v[7:8], v[10:11], v[7:8]
	s_delay_alu instid0(VALU_DEP_1) | instskip(NEXT) | instid1(VALU_DEP_1)
	v_fma_f64 v[10:11], -v[3:4], v[7:8], 1.0
	v_fma_f64 v[7:8], v[7:8], v[10:11], v[7:8]
	s_delay_alu instid0(VALU_DEP_1) | instskip(NEXT) | instid1(VALU_DEP_1)
	v_mul_f64 v[10:11], v[12:13], v[7:8]
	v_fma_f64 v[3:4], -v[3:4], v[10:11], v[12:13]
	s_delay_alu instid0(VALU_DEP_1) | instskip(SKIP_1) | instid1(VALU_DEP_2)
	v_div_fmas_f64 v[3:4], v[3:4], v[7:8], v[10:11]
	v_add_f64 v[7:8], v[5:6], 0
	v_div_fixup_f64 v[1:2], v[3:4], v[1:2], 1.0
	v_fma_f64 v[3:4], v[5:6], 0, -1.0
	s_delay_alu instid0(VALU_DEP_2) | instskip(NEXT) | instid1(VALU_DEP_2)
	v_mul_f64 v[5:6], v[7:8], v[1:2]
	v_mul_f64 v[7:8], v[3:4], v[1:2]
                                        ; implicit-def: $vgpr1_vgpr2
.LBB215_10:
	s_and_not1_saveexec_b32 s2, s2
	s_cbranch_execz .LBB215_12
; %bb.11:
	v_div_scale_f64 v[5:6], null, v[1:2], v[1:2], v[3:4]
	v_div_scale_f64 v[12:13], vcc_lo, v[3:4], v[1:2], v[3:4]
	s_delay_alu instid0(VALU_DEP_2) | instskip(SKIP_2) | instid1(VALU_DEP_1)
	v_rcp_f64_e32 v[7:8], v[5:6]
	s_waitcnt_depctr 0xfff
	v_fma_f64 v[10:11], -v[5:6], v[7:8], 1.0
	v_fma_f64 v[7:8], v[7:8], v[10:11], v[7:8]
	s_delay_alu instid0(VALU_DEP_1) | instskip(NEXT) | instid1(VALU_DEP_1)
	v_fma_f64 v[10:11], -v[5:6], v[7:8], 1.0
	v_fma_f64 v[7:8], v[7:8], v[10:11], v[7:8]
	s_delay_alu instid0(VALU_DEP_1) | instskip(NEXT) | instid1(VALU_DEP_1)
	v_mul_f64 v[10:11], v[12:13], v[7:8]
	v_fma_f64 v[5:6], -v[5:6], v[10:11], v[12:13]
	s_delay_alu instid0(VALU_DEP_1) | instskip(NEXT) | instid1(VALU_DEP_1)
	v_div_fmas_f64 v[5:6], v[5:6], v[7:8], v[10:11]
	v_div_fixup_f64 v[5:6], v[5:6], v[1:2], v[3:4]
	s_delay_alu instid0(VALU_DEP_1) | instskip(NEXT) | instid1(VALU_DEP_1)
	v_fma_f64 v[1:2], v[3:4], v[5:6], v[1:2]
	v_div_scale_f64 v[3:4], null, v[1:2], v[1:2], 1.0
	v_div_scale_f64 v[12:13], vcc_lo, 1.0, v[1:2], 1.0
	s_delay_alu instid0(VALU_DEP_2) | instskip(SKIP_2) | instid1(VALU_DEP_1)
	v_rcp_f64_e32 v[7:8], v[3:4]
	s_waitcnt_depctr 0xfff
	v_fma_f64 v[10:11], -v[3:4], v[7:8], 1.0
	v_fma_f64 v[7:8], v[7:8], v[10:11], v[7:8]
	s_delay_alu instid0(VALU_DEP_1) | instskip(NEXT) | instid1(VALU_DEP_1)
	v_fma_f64 v[10:11], -v[3:4], v[7:8], 1.0
	v_fma_f64 v[7:8], v[7:8], v[10:11], v[7:8]
	s_delay_alu instid0(VALU_DEP_1) | instskip(NEXT) | instid1(VALU_DEP_1)
	v_mul_f64 v[10:11], v[12:13], v[7:8]
	v_fma_f64 v[3:4], -v[3:4], v[10:11], v[12:13]
	s_delay_alu instid0(VALU_DEP_1) | instskip(SKIP_1) | instid1(VALU_DEP_2)
	v_div_fmas_f64 v[3:4], v[3:4], v[7:8], v[10:11]
	v_fma_f64 v[7:8], v[5:6], 0, 1.0
	v_div_fixup_f64 v[1:2], v[3:4], v[1:2], 1.0
	v_add_f64 v[3:4], -v[5:6], 0
	s_delay_alu instid0(VALU_DEP_2) | instskip(NEXT) | instid1(VALU_DEP_2)
	v_mul_f64 v[5:6], v[7:8], v[1:2]
	v_mul_f64 v[7:8], v[3:4], v[1:2]
.LBB215_12:
	s_or_b32 exec_lo, exec_lo, s2
	s_branch .LBB215_14
.LBB215_13:
	v_mov_b32_e32 v5, 0
	v_dual_mov_b32 v6, 0x3ff00000 :: v_dual_mov_b32 v7, 0
	v_mov_b32_e32 v8, 0
.LBB215_14:
	ds_store_b128 v9, v[5:8]
.LBB215_15:
	s_or_b32 exec_lo, exec_lo, s18
	s_lshl_b32 s3, s14, 4
	s_add_i32 s15, s15, -1
	s_sub_i32 s2, s19, s3
	s_cmp_ge_u32 s14, s15
	s_waitcnt lgkmcnt(0)
	s_cselect_b32 s2, s2, 16
	; wave barrier
	buffer_gl0_inv
	v_cmp_gt_i32_e32 vcc_lo, s2, v0
	s_mov_b32 s2, -1
	s_and_saveexec_b32 s8, vcc_lo
	s_cbranch_execz .LBB215_58
; %bb.16:
	s_load_b32 s0, s[0:1], 0x58
	v_add_nc_u32_e32 v2, s3, v0
	s_waitcnt lgkmcnt(0)
	s_delay_alu instid0(VALU_DEP_1) | instskip(SKIP_1) | instid1(SALU_CYCLE_1)
	v_mad_i64_i32 v[0:1], null, s0, v2, 0
	s_lshl_b64 s[0:1], s[22:23], 4
	s_add_u32 s3, s12, s0
	s_addc_u32 s8, s13, s1
	s_or_b32 s20, 0, 8
	s_cmpk_eq_i32 s16, 0x6f
	s_delay_alu instid0(VALU_DEP_1) | instskip(NEXT) | instid1(VALU_DEP_1)
	v_lshlrev_b64 v[4:5], 4, v[0:1]
	v_add_co_u32 v8, vcc_lo, s3, v4
	s_delay_alu instid0(VALU_DEP_2)
	v_add_co_ci_u32_e32 v9, vcc_lo, s8, v5, vcc_lo
	s_cbranch_scc1 .LBB215_38
; %bb.17:
	s_add_u32 s2, s12, s0
	s_addc_u32 s3, s13, s1
	v_add_co_u32 v0, vcc_lo, s2, v4
	v_add_co_ci_u32_e32 v1, vcc_lo, s3, v5, vcc_lo
	s_mov_b32 s3, 0
	s_delay_alu instid0(VALU_DEP_2) | instskip(NEXT) | instid1(VALU_DEP_2)
	v_add_co_u32 v10, vcc_lo, v0, 8
	v_add_co_ci_u32_e32 v11, vcc_lo, 0, v1, vcc_lo
	s_mov_b32 s8, s3
	s_mov_b32 s10, s3
	s_branch .LBB215_19
.LBB215_18:                             ;   in Loop: Header=BB215_19 Depth=1
	s_cmp_ge_i32 s10, s29
	s_cselect_b32 s2, -1, 0
	s_add_i32 s8, s8, 1
	s_delay_alu instid0(SALU_CYCLE_1) | instskip(SKIP_1) | instid1(SALU_CYCLE_1)
	s_cmp_eq_u32 s8, 3
	s_cselect_b32 s9, -1, 0
	s_or_b32 s2, s2, s9
	s_delay_alu instid0(SALU_CYCLE_1)
	s_and_not1_b32 vcc_lo, exec_lo, s2
	s_cbranch_vccz .LBB215_37
.LBB215_19:                             ; =>This Loop Header: Depth=1
                                        ;     Child Loop BB215_22 Depth 2
                                        ;       Child Loop BB215_23 Depth 3
                                        ;       Child Loop BB215_26 Depth 3
                                        ;         Child Loop BB215_27 Depth 4
                                        ;       Child Loop BB215_31 Depth 3
                                        ;         Child Loop BB215_33 Depth 4
	s_mov_b32 s9, s3
	s_getpc_b64 s[14:15]
	s_add_u32 s14, s14, __const._ZL30rocblas_trsm_small_left_deviceILi16ELi16ELb0E19rocblas_complex_numIdES1_PKPKS1_PKPS1_Ev13rocblas_fill_18rocblas_operation_17rocblas_diagonal_iiT3_T4_lilT5_lili.step_sizes@rel32@lo+4
	s_addc_u32 s15, s15, __const._ZL30rocblas_trsm_small_left_deviceILi16ELi16ELb0E19rocblas_complex_numIdES1_PKPKS1_PKPS1_Ev13rocblas_fill_18rocblas_operation_17rocblas_diagonal_iiT3_T4_lilT5_lili.step_sizes@rel32@hi+12
	s_lshl_b64 s[16:17], s[8:9], 2
	s_delay_alu instid0(SALU_CYCLE_1) | instskip(SKIP_4) | instid1(SALU_CYCLE_1)
	s_add_u32 s14, s16, s14
	s_addc_u32 s15, s17, s15
	s_load_b32 s14, s[14:15], 0x0
	s_waitcnt lgkmcnt(0)
	s_add_i32 s9, s14, -1
	s_add_i32 s2, s9, s10
	s_delay_alu instid0(SALU_CYCLE_1)
	s_cmp_ge_i32 s2, s29
	s_cbranch_scc1 .LBB215_18
; %bb.20:                               ;   in Loop: Header=BB215_19 Depth=1
	s_ashr_i32 s11, s10, 31
	s_ashr_i32 s15, s14, 31
	s_lshl_b64 s[16:17], s[10:11], 4
	s_max_i32 s21, s14, 1
	v_add_co_u32 v6, vcc_lo, v10, s16
	v_add_co_ci_u32_e32 v7, vcc_lo, s17, v11, vcc_lo
	s_lshl_b64 s[16:17], s[14:15], 4
	s_lshl_b32 s11, s10, 8
	s_lshl_b32 s15, s14, 8
	s_mul_i32 s22, s10, 0x110
	s_mul_i32 s23, s14, 0x110
	s_branch .LBB215_22
.LBB215_21:                             ;   in Loop: Header=BB215_22 Depth=2
	v_add_co_u32 v6, vcc_lo, v6, s16
	s_add_i32 s10, s10, s14
	v_add_co_ci_u32_e32 v7, vcc_lo, s17, v7, vcc_lo
	s_add_i32 s2, s9, s10
	s_add_i32 s11, s11, s15
	s_add_i32 s22, s22, s23
	s_cmp_ge_i32 s2, s29
	s_cbranch_scc1 .LBB215_18
.LBB215_22:                             ;   Parent Loop BB215_19 Depth=1
                                        ; =>  This Loop Header: Depth=2
                                        ;       Child Loop BB215_23 Depth 3
                                        ;       Child Loop BB215_26 Depth 3
                                        ;         Child Loop BB215_27 Depth 4
                                        ;       Child Loop BB215_31 Depth 3
                                        ;         Child Loop BB215_33 Depth 4
	v_dual_mov_b32 v0, v6 :: v_dual_mov_b32 v1, v7
	s_mov_b32 s2, 8
	s_mov_b32 s18, s21
	.p2align	6
.LBB215_23:                             ;   Parent Loop BB215_19 Depth=1
                                        ;     Parent Loop BB215_22 Depth=2
                                        ; =>    This Inner Loop Header: Depth=3
	global_load_b128 v[12:15], v[0:1], off offset:-8
	v_add_co_u32 v0, vcc_lo, v0, 16
	v_add_co_ci_u32_e32 v1, vcc_lo, 0, v1, vcc_lo
	s_add_i32 s18, s18, -1
	s_add_i32 s19, s2, 0
	s_add_i32 s2, s2, 16
	s_cmp_eq_u32 s18, 0
	s_waitcnt vmcnt(0)
	v_mul_f64 v[2:3], s[6:7], v[14:15]
	v_mul_f64 v[16:17], s[4:5], v[14:15]
	s_delay_alu instid0(VALU_DEP_2) | instskip(NEXT) | instid1(VALU_DEP_2)
	v_fma_f64 v[14:15], s[4:5], v[12:13], -v[2:3]
	v_fma_f64 v[16:17], s[6:7], v[12:13], v[16:17]
	scratch_store_b128 off, v[14:17], s19 offset:-8
	s_cbranch_scc0 .LBB215_23
; %bb.24:                               ;   in Loop: Header=BB215_22 Depth=2
	s_cmp_lt_i32 s10, 1
	s_cbranch_scc1 .LBB215_29
; %bb.25:                               ;   in Loop: Header=BB215_22 Depth=2
	s_mov_b32 s2, 0
	s_mov_b32 s18, s11
	s_set_inst_prefetch_distance 0x1
	.p2align	6
.LBB215_26:                             ;   Parent Loop BB215_19 Depth=1
                                        ;     Parent Loop BB215_22 Depth=2
                                        ; =>    This Loop Header: Depth=3
                                        ;         Child Loop BB215_27 Depth 4
	s_lshl_b64 s[24:25], s[2:3], 4
	s_mov_b32 s19, s20
	v_add_co_u32 v0, vcc_lo, v8, s24
	v_add_co_ci_u32_e32 v1, vcc_lo, s25, v9, vcc_lo
	s_mov_b32 s24, s18
	s_mov_b32 s25, s21
	global_load_b128 v[0:3], v[0:1], off
	.p2align	6
.LBB215_27:                             ;   Parent Loop BB215_19 Depth=1
                                        ;     Parent Loop BB215_22 Depth=2
                                        ;       Parent Loop BB215_26 Depth=3
                                        ; =>      This Inner Loop Header: Depth=4
	scratch_load_b128 v[12:15], off, s19 offset:-8
	v_mov_b32_e32 v16, s24
	s_add_i32 s25, s25, -1
	s_addk_i32 s24, 0x100
	ds_load_b128 v[16:19], v16
	s_waitcnt vmcnt(1) lgkmcnt(0)
	v_mul_f64 v[20:21], v[2:3], v[18:19]
	v_mul_f64 v[18:19], v[0:1], v[18:19]
	s_delay_alu instid0(VALU_DEP_2) | instskip(NEXT) | instid1(VALU_DEP_2)
	v_fma_f64 v[20:21], v[0:1], v[16:17], -v[20:21]
	v_fma_f64 v[16:17], v[2:3], v[16:17], v[18:19]
	s_waitcnt vmcnt(0)
	s_delay_alu instid0(VALU_DEP_2) | instskip(NEXT) | instid1(VALU_DEP_2)
	v_add_f64 v[12:13], v[12:13], -v[20:21]
	v_add_f64 v[14:15], v[14:15], -v[16:17]
	scratch_store_b128 off, v[12:15], s19 offset:-8
	s_add_i32 s19, s19, 16
	s_cmp_eq_u32 s25, 0
	s_cbranch_scc0 .LBB215_27
; %bb.28:                               ;   in Loop: Header=BB215_26 Depth=3
	s_add_i32 s2, s2, 1
	s_add_i32 s18, s18, 16
	s_cmp_ge_i32 s2, s10
	s_cbranch_scc0 .LBB215_26
.LBB215_29:                             ;   in Loop: Header=BB215_22 Depth=2
	s_set_inst_prefetch_distance 0x2
	s_mov_b32 s2, 0
	s_mov_b32 s24, s22
	s_branch .LBB215_31
.LBB215_30:                             ;   in Loop: Header=BB215_31 Depth=3
	s_mul_i32 s19, s18, 0x110
	s_lshl_b32 s25, s2, 4
	v_mov_b32_e32 v12, s19
	s_ashr_i32 s19, s18, 31
	s_add_i32 s2, s2, 1
	s_lshl_b64 s[18:19], s[18:19], 4
	s_addk_i32 s24, 0x100
	ds_load_b128 v[12:15], v12
	s_waitcnt vmcnt(0) lgkmcnt(0)
	v_mul_f64 v[16:17], v[14:15], v[2:3]
	v_mul_f64 v[2:3], v[12:13], v[2:3]
	s_delay_alu instid0(VALU_DEP_2) | instskip(NEXT) | instid1(VALU_DEP_2)
	v_fma_f64 v[12:13], v[12:13], v[0:1], -v[16:17]
	v_fma_f64 v[14:15], v[14:15], v[0:1], v[2:3]
	v_add_co_u32 v0, vcc_lo, v8, s18
	v_add_co_ci_u32_e32 v1, vcc_lo, s19, v9, vcc_lo
	s_add_i32 s18, s25, 0
	s_cmp_eq_u32 s2, s21
	scratch_store_b128 off, v[12:15], s18
	global_store_b128 v[0:1], v[12:15], off
	s_cbranch_scc1 .LBB215_21
.LBB215_31:                             ;   Parent Loop BB215_19 Depth=1
                                        ;     Parent Loop BB215_22 Depth=2
                                        ; =>    This Loop Header: Depth=3
                                        ;         Child Loop BB215_33 Depth 4
	s_cmp_lg_u32 s2, 0
	s_cbranch_scc0 .LBB215_35
; %bb.32:                               ;   in Loop: Header=BB215_31 Depth=3
	s_lshl_b32 s19, s2, 4
	s_mov_b32 s25, s24
	s_add_i32 s18, s19, 0
	v_add_nc_u32_e64 v12, s19, 0
	scratch_load_b128 v[0:3], off, s18
	s_add_i32 s18, s2, s10
	s_mov_b32 s19, 0
	s_mov_b32 s26, s20
	.p2align	6
.LBB215_33:                             ;   Parent Loop BB215_19 Depth=1
                                        ;     Parent Loop BB215_22 Depth=2
                                        ;       Parent Loop BB215_31 Depth=3
                                        ; =>      This Inner Loop Header: Depth=4
	scratch_load_b128 v[13:16], off, s26 offset:-8
	v_mov_b32_e32 v17, s25
	s_add_i32 s19, s19, 1
	s_add_i32 s26, s26, 16
	;; [unrolled: 1-line block ×3, first 2 shown]
	s_cmp_ge_u32 s19, s2
	ds_load_b128 v[17:20], v17
	s_waitcnt vmcnt(0) lgkmcnt(0)
	v_mul_f64 v[21:22], v[19:20], v[15:16]
	v_mul_f64 v[15:16], v[17:18], v[15:16]
	s_delay_alu instid0(VALU_DEP_2) | instskip(NEXT) | instid1(VALU_DEP_2)
	v_fma_f64 v[17:18], v[17:18], v[13:14], -v[21:22]
	v_fma_f64 v[13:14], v[19:20], v[13:14], v[15:16]
	s_delay_alu instid0(VALU_DEP_2) | instskip(NEXT) | instid1(VALU_DEP_2)
	v_add_f64 v[0:1], v[0:1], -v[17:18]
	v_add_f64 v[2:3], v[2:3], -v[13:14]
	scratch_store_b128 v12, v[0:3], off
	s_cbranch_scc0 .LBB215_33
; %bb.34:                               ;   in Loop: Header=BB215_31 Depth=3
	s_branch .LBB215_30
.LBB215_35:                             ;   in Loop: Header=BB215_31 Depth=3
                                        ; implicit-def: $vgpr0_vgpr1
                                        ; implicit-def: $sgpr18
	s_cbranch_execz .LBB215_30
; %bb.36:                               ;   in Loop: Header=BB215_31 Depth=3
	scratch_load_b128 v[0:3], off, off
	s_mov_b32 s18, s10
	s_branch .LBB215_30
.LBB215_37:
	s_mov_b32 s2, 0
.LBB215_38:
	s_delay_alu instid0(SALU_CYCLE_1)
	s_and_b32 vcc_lo, exec_lo, s2
	s_cbranch_vccz .LBB215_58
; %bb.39:
	s_add_u32 s0, s12, s0
	s_addc_u32 s1, s13, s1
	v_add_co_u32 v0, vcc_lo, s0, v4
	v_add_co_ci_u32_e32 v1, vcc_lo, s1, v5, vcc_lo
	s_lshl_b32 s12, s29, 8
	s_delay_alu instid0(VALU_DEP_2) | instskip(NEXT) | instid1(VALU_DEP_2)
	v_add_co_u32 v4, vcc_lo, v0, 8
	v_add_co_ci_u32_e32 v5, vcc_lo, 0, v1, vcc_lo
	s_mov_b32 s1, 0
	s_addk_i32 s12, 0xff00
	s_mov_b32 s2, s28
	s_mov_b32 s0, s1
	s_branch .LBB215_41
.LBB215_40:                             ;   in Loop: Header=BB215_41 Depth=1
	s_cmp_lt_i32 s2, 0
	s_cselect_b32 s3, -1, 0
	s_add_i32 s0, s0, 1
	s_delay_alu instid0(SALU_CYCLE_1) | instskip(SKIP_1) | instid1(SALU_CYCLE_1)
	s_cmp_eq_u32 s0, 3
	s_cselect_b32 s8, -1, 0
	s_or_b32 s3, s3, s8
	s_delay_alu instid0(SALU_CYCLE_1)
	s_and_b32 vcc_lo, exec_lo, s3
	s_cbranch_vccnz .LBB215_58
.LBB215_41:                             ; =>This Loop Header: Depth=1
                                        ;     Child Loop BB215_44 Depth 2
                                        ;       Child Loop BB215_45 Depth 3
                                        ;       Child Loop BB215_47 Depth 3
                                        ;         Child Loop BB215_48 Depth 4
                                        ;       Child Loop BB215_52 Depth 3
                                        ;         Child Loop BB215_54 Depth 4
	s_getpc_b64 s[8:9]
	s_add_u32 s8, s8, __const._ZL30rocblas_trsm_small_left_deviceILi16ELi16ELb0E19rocblas_complex_numIdES1_PKPKS1_PKPS1_Ev13rocblas_fill_18rocblas_operation_17rocblas_diagonal_iiT3_T4_lilT5_lili.step_sizes@rel32@lo+4
	s_addc_u32 s9, s9, __const._ZL30rocblas_trsm_small_left_deviceILi16ELi16ELb0E19rocblas_complex_numIdES1_PKPKS1_PKPS1_Ev13rocblas_fill_18rocblas_operation_17rocblas_diagonal_iiT3_T4_lilT5_lili.step_sizes@rel32@hi+12
	s_lshl_b64 s[10:11], s[0:1], 2
	s_delay_alu instid0(SALU_CYCLE_1) | instskip(SKIP_4) | instid1(SALU_CYCLE_1)
	s_add_u32 s8, s10, s8
	s_addc_u32 s9, s11, s9
	s_load_b32 s13, s[8:9], 0x0
	s_waitcnt lgkmcnt(0)
	s_add_i32 s14, s13, -1
	s_cmp_lt_i32 s2, s14
	s_cbranch_scc1 .LBB215_40
; %bb.42:                               ;   in Loop: Header=BB215_41 Depth=1
	s_lshl_b32 s3, s2, 4
	s_lshl_b32 s8, s13, 4
	s_max_i32 s15, s13, 1
	s_add_i32 s16, s12, s3
	s_sub_i32 s17, 0, s8
	s_mul_i32 s18, s2, 0x110
	s_mul_i32 s19, s13, 0xfffffef0
	s_branch .LBB215_44
.LBB215_43:                             ;   in Loop: Header=BB215_44 Depth=2
	s_sub_i32 s2, s2, s13
	s_add_i32 s16, s16, s17
	s_add_i32 s18, s18, s19
	s_cmp_lt_i32 s2, s14
	s_cbranch_scc1 .LBB215_40
.LBB215_44:                             ;   Parent Loop BB215_41 Depth=1
                                        ; =>  This Loop Header: Depth=2
                                        ;       Child Loop BB215_45 Depth 3
                                        ;       Child Loop BB215_47 Depth 3
                                        ;         Child Loop BB215_48 Depth 4
                                        ;       Child Loop BB215_52 Depth 3
                                        ;         Child Loop BB215_54 Depth 4
	s_ashr_i32 s3, s2, 31
	s_delay_alu instid0(SALU_CYCLE_1) | instskip(NEXT) | instid1(SALU_CYCLE_1)
	s_lshl_b64 s[8:9], s[2:3], 4
	v_add_co_u32 v0, vcc_lo, v4, s8
	v_add_co_ci_u32_e32 v1, vcc_lo, s9, v5, vcc_lo
	s_mov_b32 s8, 8
	s_mov_b32 s9, s15
	.p2align	6
.LBB215_45:                             ;   Parent Loop BB215_41 Depth=1
                                        ;     Parent Loop BB215_44 Depth=2
                                        ; =>    This Inner Loop Header: Depth=3
	global_load_b128 v[10:13], v[0:1], off offset:-8
	v_add_co_u32 v0, vcc_lo, v0, -16
	v_add_co_ci_u32_e32 v1, vcc_lo, -1, v1, vcc_lo
	s_add_i32 s9, s9, -1
	s_add_i32 s10, s8, 0
	s_add_i32 s8, s8, 16
	s_cmp_eq_u32 s9, 0
	s_waitcnt vmcnt(0)
	v_mul_f64 v[2:3], s[6:7], v[12:13]
	v_mul_f64 v[6:7], s[4:5], v[12:13]
	s_delay_alu instid0(VALU_DEP_2) | instskip(NEXT) | instid1(VALU_DEP_2)
	v_fma_f64 v[12:13], s[4:5], v[10:11], -v[2:3]
	v_fma_f64 v[14:15], s[6:7], v[10:11], v[6:7]
	scratch_store_b128 off, v[12:15], s10 offset:-8
	s_cbranch_scc0 .LBB215_45
; %bb.46:                               ;   in Loop: Header=BB215_44 Depth=2
	s_cmp_le_i32 s28, s2
	s_mov_b32 s10, s16
	s_mov_b32 s8, s28
	s_cbranch_scc1 .LBB215_50
	.p2align	6
.LBB215_47:                             ;   Parent Loop BB215_41 Depth=1
                                        ;     Parent Loop BB215_44 Depth=2
                                        ; =>    This Loop Header: Depth=3
                                        ;         Child Loop BB215_48 Depth 4
	s_ashr_i32 s9, s8, 31
	s_mov_b32 s11, s15
	s_lshl_b64 s[22:23], s[8:9], 4
	s_mov_b32 s9, s20
	v_add_co_u32 v0, vcc_lo, v8, s22
	v_add_co_ci_u32_e32 v1, vcc_lo, s23, v9, vcc_lo
	s_mov_b32 s21, s10
	global_load_b128 v[0:3], v[0:1], off
	.p2align	6
.LBB215_48:                             ;   Parent Loop BB215_41 Depth=1
                                        ;     Parent Loop BB215_44 Depth=2
                                        ;       Parent Loop BB215_47 Depth=3
                                        ; =>      This Inner Loop Header: Depth=4
	scratch_load_b128 v[10:13], off, s9 offset:-8
	v_mov_b32_e32 v6, s21
	s_add_i32 s11, s11, -1
	s_add_i32 s21, s21, -16
	ds_load_b128 v[14:17], v6
	s_waitcnt vmcnt(1) lgkmcnt(0)
	v_mul_f64 v[6:7], v[2:3], v[16:17]
	v_mul_f64 v[16:17], v[0:1], v[16:17]
	s_delay_alu instid0(VALU_DEP_2) | instskip(NEXT) | instid1(VALU_DEP_2)
	v_fma_f64 v[6:7], v[0:1], v[14:15], -v[6:7]
	v_fma_f64 v[14:15], v[2:3], v[14:15], v[16:17]
	s_waitcnt vmcnt(0)
	s_delay_alu instid0(VALU_DEP_2) | instskip(NEXT) | instid1(VALU_DEP_2)
	v_add_f64 v[10:11], v[10:11], -v[6:7]
	v_add_f64 v[12:13], v[12:13], -v[14:15]
	scratch_store_b128 off, v[10:13], s9 offset:-8
	s_add_i32 s9, s9, 16
	s_cmp_eq_u32 s11, 0
	s_cbranch_scc0 .LBB215_48
; %bb.49:                               ;   in Loop: Header=BB215_47 Depth=3
	s_add_i32 s8, s8, -1
	s_addk_i32 s10, 0xff00
	s_cmp_le_i32 s8, s2
	s_cbranch_scc0 .LBB215_47
.LBB215_50:                             ;   in Loop: Header=BB215_44 Depth=2
	s_mov_b32 s21, 0
	s_mov_b32 s22, s18
	s_branch .LBB215_52
.LBB215_51:                             ;   in Loop: Header=BB215_52 Depth=3
	s_mulk_i32 s10, 0x110
	s_lshl_b64 s[8:9], s[8:9], 4
	v_mov_b32_e32 v6, s10
	s_lshl_b32 s10, s21, 4
	s_add_i32 s21, s21, 1
	s_add_i32 s22, s22, -16
	ds_load_b128 v[10:13], v6
	s_waitcnt vmcnt(0) lgkmcnt(0)
	v_mul_f64 v[6:7], v[12:13], v[2:3]
	v_mul_f64 v[2:3], v[10:11], v[2:3]
	s_delay_alu instid0(VALU_DEP_2) | instskip(NEXT) | instid1(VALU_DEP_2)
	v_fma_f64 v[10:11], v[10:11], v[0:1], -v[6:7]
	v_fma_f64 v[12:13], v[12:13], v[0:1], v[2:3]
	v_add_co_u32 v0, vcc_lo, v8, s8
	v_add_co_ci_u32_e32 v1, vcc_lo, s9, v9, vcc_lo
	s_add_i32 s8, s10, 0
	s_cmp_eq_u32 s21, s15
	scratch_store_b128 off, v[10:13], s8
	global_store_b128 v[0:1], v[10:13], off
	s_cbranch_scc1 .LBB215_43
.LBB215_52:                             ;   Parent Loop BB215_41 Depth=1
                                        ;     Parent Loop BB215_44 Depth=2
                                        ; =>    This Loop Header: Depth=3
                                        ;         Child Loop BB215_54 Depth 4
	s_cmp_lg_u32 s21, 0
	s_cbranch_scc0 .LBB215_56
; %bb.53:                               ;   in Loop: Header=BB215_52 Depth=3
	s_lshl_b32 s8, s21, 4
	s_mov_b32 s10, s22
	s_add_i32 s9, s8, 0
	v_add_nc_u32_e64 v6, s8, 0
	scratch_load_b128 v[0:3], off, s9
	s_mov_b32 s8, 0
	s_mov_b32 s9, s20
	.p2align	6
.LBB215_54:                             ;   Parent Loop BB215_41 Depth=1
                                        ;     Parent Loop BB215_44 Depth=2
                                        ;       Parent Loop BB215_52 Depth=3
                                        ; =>      This Inner Loop Header: Depth=4
	scratch_load_b128 v[10:13], off, s9 offset:-8
	v_mov_b32_e32 v7, s10
	s_add_i32 s8, s8, 1
	s_addk_i32 s10, 0xff00
	s_add_i32 s9, s9, 16
	s_cmp_ge_u32 s8, s21
	ds_load_b128 v[14:17], v7
	s_waitcnt vmcnt(0) lgkmcnt(0)
	v_mul_f64 v[18:19], v[16:17], v[12:13]
	v_mul_f64 v[12:13], v[14:15], v[12:13]
	s_delay_alu instid0(VALU_DEP_2) | instskip(NEXT) | instid1(VALU_DEP_2)
	v_fma_f64 v[14:15], v[14:15], v[10:11], -v[18:19]
	v_fma_f64 v[10:11], v[16:17], v[10:11], v[12:13]
	s_delay_alu instid0(VALU_DEP_2) | instskip(NEXT) | instid1(VALU_DEP_2)
	v_add_f64 v[0:1], v[0:1], -v[14:15]
	v_add_f64 v[2:3], v[2:3], -v[10:11]
	scratch_store_b128 v6, v[0:3], off
	s_cbranch_scc0 .LBB215_54
; %bb.55:                               ;   in Loop: Header=BB215_52 Depth=3
	s_sub_i32 s10, s2, s21
	s_delay_alu instid0(SALU_CYCLE_1) | instskip(NEXT) | instid1(SALU_CYCLE_1)
	s_ashr_i32 s11, s10, 31
	s_mov_b64 s[8:9], s[10:11]
	s_branch .LBB215_51
.LBB215_56:                             ;   in Loop: Header=BB215_52 Depth=3
                                        ; implicit-def: $vgpr0_vgpr1
                                        ; implicit-def: $sgpr10
                                        ; implicit-def: $sgpr8_sgpr9
	s_cbranch_execz .LBB215_51
; %bb.57:                               ;   in Loop: Header=BB215_52 Depth=3
	scratch_load_b128 v[0:3], off, off
	s_mov_b64 s[8:9], s[2:3]
	s_mov_b32 s10, s2
	s_branch .LBB215_51
.LBB215_58:
	s_endpgm
	.section	.rodata,"a",@progbits
	.p2align	6, 0x0
	.amdhsa_kernel _ZL30rocblas_trsm_small_left_deviceILi16ELi16ELb0E19rocblas_complex_numIdES1_PKPKS1_PKPS1_Ev13rocblas_fill_18rocblas_operation_17rocblas_diagonal_iiT3_T4_lilT5_lili
		.amdhsa_group_segment_fixed_size 4096
		.amdhsa_private_segment_fixed_size 272
		.amdhsa_kernarg_size 368
		.amdhsa_user_sgpr_count 14
		.amdhsa_user_sgpr_dispatch_ptr 0
		.amdhsa_user_sgpr_queue_ptr 0
		.amdhsa_user_sgpr_kernarg_segment_ptr 1
		.amdhsa_user_sgpr_dispatch_id 0
		.amdhsa_user_sgpr_private_segment_size 0
		.amdhsa_wavefront_size32 1
		.amdhsa_uses_dynamic_stack 0
		.amdhsa_enable_private_segment 1
		.amdhsa_system_sgpr_workgroup_id_x 1
		.amdhsa_system_sgpr_workgroup_id_y 0
		.amdhsa_system_sgpr_workgroup_id_z 1
		.amdhsa_system_sgpr_workgroup_info 0
		.amdhsa_system_vgpr_workitem_id 0
		.amdhsa_next_free_vgpr 25
		.amdhsa_next_free_sgpr 31
		.amdhsa_reserve_vcc 1
		.amdhsa_float_round_mode_32 0
		.amdhsa_float_round_mode_16_64 0
		.amdhsa_float_denorm_mode_32 3
		.amdhsa_float_denorm_mode_16_64 3
		.amdhsa_dx10_clamp 1
		.amdhsa_ieee_mode 1
		.amdhsa_fp16_overflow 0
		.amdhsa_workgroup_processor_mode 1
		.amdhsa_memory_ordered 1
		.amdhsa_forward_progress 0
		.amdhsa_shared_vgpr_count 0
		.amdhsa_exception_fp_ieee_invalid_op 0
		.amdhsa_exception_fp_denorm_src 0
		.amdhsa_exception_fp_ieee_div_zero 0
		.amdhsa_exception_fp_ieee_overflow 0
		.amdhsa_exception_fp_ieee_underflow 0
		.amdhsa_exception_fp_ieee_inexact 0
		.amdhsa_exception_int_div_zero 0
	.end_amdhsa_kernel
	.section	.text._ZL30rocblas_trsm_small_left_deviceILi16ELi16ELb0E19rocblas_complex_numIdES1_PKPKS1_PKPS1_Ev13rocblas_fill_18rocblas_operation_17rocblas_diagonal_iiT3_T4_lilT5_lili,"axG",@progbits,_ZL30rocblas_trsm_small_left_deviceILi16ELi16ELb0E19rocblas_complex_numIdES1_PKPKS1_PKPS1_Ev13rocblas_fill_18rocblas_operation_17rocblas_diagonal_iiT3_T4_lilT5_lili,comdat
.Lfunc_end215:
	.size	_ZL30rocblas_trsm_small_left_deviceILi16ELi16ELb0E19rocblas_complex_numIdES1_PKPKS1_PKPS1_Ev13rocblas_fill_18rocblas_operation_17rocblas_diagonal_iiT3_T4_lilT5_lili, .Lfunc_end215-_ZL30rocblas_trsm_small_left_deviceILi16ELi16ELb0E19rocblas_complex_numIdES1_PKPKS1_PKPS1_Ev13rocblas_fill_18rocblas_operation_17rocblas_diagonal_iiT3_T4_lilT5_lili
                                        ; -- End function
	.section	.AMDGPU.csdata,"",@progbits
; Kernel info:
; codeLenInByte = 3164
; NumSgprs: 33
; NumVgprs: 25
; ScratchSize: 272
; MemoryBound: 0
; FloatMode: 240
; IeeeMode: 1
; LDSByteSize: 4096 bytes/workgroup (compile time only)
; SGPRBlocks: 4
; VGPRBlocks: 3
; NumSGPRsForWavesPerEU: 33
; NumVGPRsForWavesPerEU: 25
; Occupancy: 8
; WaveLimiterHint : 1
; COMPUTE_PGM_RSRC2:SCRATCH_EN: 1
; COMPUTE_PGM_RSRC2:USER_SGPR: 14
; COMPUTE_PGM_RSRC2:TRAP_HANDLER: 0
; COMPUTE_PGM_RSRC2:TGID_X_EN: 1
; COMPUTE_PGM_RSRC2:TGID_Y_EN: 0
; COMPUTE_PGM_RSRC2:TGID_Z_EN: 1
; COMPUTE_PGM_RSRC2:TIDIG_COMP_CNT: 0
	.section	.text._ZL38rocblas_trsm_small_left_device_sharedBILi16ELi16ELb1E19rocblas_complex_numIdES1_PKPKS1_PKPS1_Ev13rocblas_fill_18rocblas_operation_17rocblas_diagonal_iiT3_T4_lilT5_lili,"axG",@progbits,_ZL38rocblas_trsm_small_left_device_sharedBILi16ELi16ELb1E19rocblas_complex_numIdES1_PKPKS1_PKPS1_Ev13rocblas_fill_18rocblas_operation_17rocblas_diagonal_iiT3_T4_lilT5_lili,comdat
	.globl	_ZL38rocblas_trsm_small_left_device_sharedBILi16ELi16ELb1E19rocblas_complex_numIdES1_PKPKS1_PKPS1_Ev13rocblas_fill_18rocblas_operation_17rocblas_diagonal_iiT3_T4_lilT5_lili ; -- Begin function _ZL38rocblas_trsm_small_left_device_sharedBILi16ELi16ELb1E19rocblas_complex_numIdES1_PKPKS1_PKPS1_Ev13rocblas_fill_18rocblas_operation_17rocblas_diagonal_iiT3_T4_lilT5_lili
	.p2align	8
	.type	_ZL38rocblas_trsm_small_left_device_sharedBILi16ELi16ELb1E19rocblas_complex_numIdES1_PKPKS1_PKPS1_Ev13rocblas_fill_18rocblas_operation_17rocblas_diagonal_iiT3_T4_lilT5_lili,@function
_ZL38rocblas_trsm_small_left_device_sharedBILi16ELi16ELb1E19rocblas_complex_numIdES1_PKPKS1_PKPS1_Ev13rocblas_fill_18rocblas_operation_17rocblas_diagonal_iiT3_T4_lilT5_lili: ; @_ZL38rocblas_trsm_small_left_device_sharedBILi16ELi16ELb1E19rocblas_complex_numIdES1_PKPKS1_PKPS1_Ev13rocblas_fill_18rocblas_operation_17rocblas_diagonal_iiT3_T4_lilT5_lili
; %bb.0:
	s_clause 0x1
	s_load_b128 s[20:23], s[0:1], 0x48
	s_load_b128 s[16:19], s[0:1], 0x4
	s_mov_b32 s2, s15
	s_mov_b32 s3, 0
	s_load_b32 s29, s[0:1], 0x70
	s_lshl_b64 s[24:25], s[2:3], 3
	s_mov_b32 s30, exec_lo
	s_waitcnt lgkmcnt(0)
	s_add_u32 s12, s20, s24
	s_addc_u32 s13, s21, s25
	s_load_b256 s[4:11], s[0:1], 0x18
	s_load_b64 s[12:13], s[12:13], 0x0
	s_min_i32 s15, s18, 16
	s_delay_alu instid0(SALU_CYCLE_1)
	s_add_i32 s28, s15, -1
	v_cmpx_gt_i32_e64 s15, v0
	s_cbranch_execz .LBB216_15
; %bb.1:
	s_load_b32 s20, s[0:1], 0x38
	s_waitcnt lgkmcnt(0)
	s_ashr_i32 s21, s20, 31
	s_cmpk_eq_i32 s16, 0x71
	s_cselect_b32 vcc_lo, -1, 0
	s_add_u32 s8, s8, s24
	s_addc_u32 s9, s9, s25
	s_cmp_lt_u32 s28, 3
	s_load_b64 s[8:9], s[8:9], 0x0
	s_cbranch_scc1 .LBB216_4
; %bb.2:
	v_lshlrev_b32_e32 v1, 4, v0
	s_lshl_b64 s[24:25], s[10:11], 4
	s_and_b32 s3, s15, -4
	s_waitcnt lgkmcnt(0)
	s_add_u32 s2, s8, s24
	s_addc_u32 s24, s9, s25
	v_add_co_u32 v1, s2, s2, v1
	s_delay_alu instid0(VALU_DEP_1) | instskip(SKIP_1) | instid1(VALU_DEP_3)
	v_add_co_ci_u32_e64 v2, null, s24, 0, s2
	v_lshlrev_b32_e32 v3, 4, v0
	v_add_co_u32 v1, s2, v1, 8
	s_delay_alu instid0(VALU_DEP_1)
	v_add_co_ci_u32_e64 v2, s2, 0, v2, s2
	s_lshl_b64 s[24:25], s[20:21], 6
	s_lshl_b64 s[26:27], s[20:21], 4
	s_mov_b32 s31, 0
.LBB216_3:                              ; =>This Inner Loop Header: Depth=1
	v_add_co_u32 v8, s2, v1, s26
	s_delay_alu instid0(VALU_DEP_1) | instskip(SKIP_1) | instid1(VALU_DEP_2)
	v_add_co_ci_u32_e64 v9, s2, s27, v2, s2
	s_add_i32 s31, s31, 4
	v_add_co_u32 v12, s2, v8, s26
	s_delay_alu instid0(VALU_DEP_1) | instskip(SKIP_1) | instid1(VALU_DEP_2)
	v_add_co_ci_u32_e64 v13, s2, s27, v9, s2
	s_cmp_eq_u32 s3, s31
	v_add_co_u32 v16, s2, v12, s26
	s_delay_alu instid0(VALU_DEP_1)
	v_add_co_ci_u32_e64 v17, s2, s27, v13, s2
	s_clause 0x3
	global_load_b128 v[4:7], v[1:2], off offset:-8
	global_load_b128 v[8:11], v[8:9], off offset:-8
	global_load_b128 v[12:15], v[12:13], off offset:-8
	global_load_b128 v[16:19], v[16:17], off offset:-8
	v_add_co_u32 v1, s2, v1, s24
	s_delay_alu instid0(VALU_DEP_1)
	v_add_co_ci_u32_e64 v2, s2, s25, v2, s2
	s_waitcnt vmcnt(3)
	v_xor_b32_e32 v20, 0x80000000, v7
	s_waitcnt vmcnt(2)
	v_xor_b32_e32 v21, 0x80000000, v11
	;; [unrolled: 2-line block ×4, first 2 shown]
	v_cndmask_b32_e32 v7, v7, v20, vcc_lo
	v_cndmask_b32_e32 v11, v11, v21, vcc_lo
	;; [unrolled: 1-line block ×3, first 2 shown]
	s_delay_alu instid0(VALU_DEP_4)
	v_cndmask_b32_e32 v19, v19, v23, vcc_lo
	ds_store_b128 v3, v[4:7]
	ds_store_b128 v3, v[8:11] offset:256
	ds_store_b128 v3, v[12:15] offset:512
	;; [unrolled: 1-line block ×3, first 2 shown]
	v_add_nc_u32_e32 v3, 0x400, v3
	s_cbranch_scc0 .LBB216_3
.LBB216_4:
	s_and_b32 s24, s15, 3
	s_delay_alu instid0(SALU_CYCLE_1)
	s_cmp_eq_u32 s24, 0
	s_cbranch_scc1 .LBB216_7
; %bb.5:
	s_mul_i32 s2, s21, s3
	s_mul_hi_u32 s25, s20, s3
	s_mul_i32 s26, s20, s3
	s_add_i32 s27, s25, s2
	s_lshl_b64 s[10:11], s[10:11], 4
	s_lshl_b64 s[26:27], s[26:27], 4
	v_lshlrev_b32_e32 v1, 4, v0
	s_add_u32 s2, s26, s10
	s_addc_u32 s10, s27, s11
	s_waitcnt lgkmcnt(0)
	s_add_u32 s2, s8, s2
	s_addc_u32 s8, s9, s10
	v_add_co_u32 v2, s2, s2, v1
	s_delay_alu instid0(VALU_DEP_1) | instskip(SKIP_1) | instid1(VALU_DEP_3)
	v_add_co_ci_u32_e64 v4, null, s8, 0, s2
	v_lshl_or_b32 v3, s3, 8, v1
	v_add_co_u32 v1, s2, v2, 8
	s_delay_alu instid0(VALU_DEP_1)
	v_add_co_ci_u32_e64 v2, s2, 0, v4, s2
	s_lshl_b64 s[8:9], s[20:21], 4
.LBB216_6:                              ; =>This Inner Loop Header: Depth=1
	global_load_b128 v[4:7], v[1:2], off offset:-8
	v_add_co_u32 v1, s2, v1, s8
	s_delay_alu instid0(VALU_DEP_1) | instskip(SKIP_1) | instid1(SALU_CYCLE_1)
	v_add_co_ci_u32_e64 v2, s2, s9, v2, s2
	s_add_i32 s24, s24, -1
	s_cmp_lg_u32 s24, 0
	s_waitcnt vmcnt(0)
	v_xor_b32_e32 v8, 0x80000000, v7
	s_delay_alu instid0(VALU_DEP_1)
	v_cndmask_b32_e32 v7, v7, v8, vcc_lo
	ds_store_b128 v3, v[4:7]
	v_add_nc_u32_e32 v3, 0x100, v3
	s_cbranch_scc1 .LBB216_6
.LBB216_7:
	v_mul_u32_u24_e32 v1, 17, v0
	s_cmpk_lg_i32 s17, 0x84
	s_delay_alu instid0(VALU_DEP_1)
	v_lshlrev_b32_e32 v9, 4, v1
	s_cbranch_scc0 .LBB216_13
; %bb.8:
	ds_load_b128 v[1:4], v9
	s_waitcnt lgkmcnt(0)
	v_cmp_gt_f64_e32 vcc_lo, 0, v[1:2]
	v_xor_b32_e32 v6, 0x80000000, v2
	v_mov_b32_e32 v5, v1
	v_xor_b32_e32 v7, 0x80000000, v4
	s_delay_alu instid0(VALU_DEP_3) | instskip(SKIP_1) | instid1(VALU_DEP_3)
	v_cndmask_b32_e32 v6, v2, v6, vcc_lo
	v_cmp_gt_f64_e32 vcc_lo, 0, v[3:4]
	v_dual_cndmask_b32 v8, v4, v7 :: v_dual_mov_b32 v7, v3
	s_delay_alu instid0(VALU_DEP_1) | instskip(SKIP_1) | instid1(SALU_CYCLE_1)
	v_cmp_ngt_f64_e32 vcc_lo, v[5:6], v[7:8]
                                        ; implicit-def: $vgpr7_vgpr8
	s_and_saveexec_b32 s2, vcc_lo
	s_xor_b32 s2, exec_lo, s2
	s_cbranch_execz .LBB216_10
; %bb.9:
	v_div_scale_f64 v[5:6], null, v[3:4], v[3:4], v[1:2]
	v_div_scale_f64 v[12:13], vcc_lo, v[1:2], v[3:4], v[1:2]
	s_delay_alu instid0(VALU_DEP_2) | instskip(SKIP_2) | instid1(VALU_DEP_1)
	v_rcp_f64_e32 v[7:8], v[5:6]
	s_waitcnt_depctr 0xfff
	v_fma_f64 v[10:11], -v[5:6], v[7:8], 1.0
	v_fma_f64 v[7:8], v[7:8], v[10:11], v[7:8]
	s_delay_alu instid0(VALU_DEP_1) | instskip(NEXT) | instid1(VALU_DEP_1)
	v_fma_f64 v[10:11], -v[5:6], v[7:8], 1.0
	v_fma_f64 v[7:8], v[7:8], v[10:11], v[7:8]
	s_delay_alu instid0(VALU_DEP_1) | instskip(NEXT) | instid1(VALU_DEP_1)
	v_mul_f64 v[10:11], v[12:13], v[7:8]
	v_fma_f64 v[5:6], -v[5:6], v[10:11], v[12:13]
	s_delay_alu instid0(VALU_DEP_1) | instskip(NEXT) | instid1(VALU_DEP_1)
	v_div_fmas_f64 v[5:6], v[5:6], v[7:8], v[10:11]
	v_div_fixup_f64 v[5:6], v[5:6], v[3:4], v[1:2]
	s_delay_alu instid0(VALU_DEP_1) | instskip(NEXT) | instid1(VALU_DEP_1)
	v_fma_f64 v[1:2], v[1:2], v[5:6], v[3:4]
	v_div_scale_f64 v[3:4], null, v[1:2], v[1:2], 1.0
	v_div_scale_f64 v[12:13], vcc_lo, 1.0, v[1:2], 1.0
	s_delay_alu instid0(VALU_DEP_2) | instskip(SKIP_2) | instid1(VALU_DEP_1)
	v_rcp_f64_e32 v[7:8], v[3:4]
	s_waitcnt_depctr 0xfff
	v_fma_f64 v[10:11], -v[3:4], v[7:8], 1.0
	v_fma_f64 v[7:8], v[7:8], v[10:11], v[7:8]
	s_delay_alu instid0(VALU_DEP_1) | instskip(NEXT) | instid1(VALU_DEP_1)
	v_fma_f64 v[10:11], -v[3:4], v[7:8], 1.0
	v_fma_f64 v[7:8], v[7:8], v[10:11], v[7:8]
	s_delay_alu instid0(VALU_DEP_1) | instskip(NEXT) | instid1(VALU_DEP_1)
	v_mul_f64 v[10:11], v[12:13], v[7:8]
	v_fma_f64 v[3:4], -v[3:4], v[10:11], v[12:13]
	s_delay_alu instid0(VALU_DEP_1) | instskip(SKIP_1) | instid1(VALU_DEP_2)
	v_div_fmas_f64 v[3:4], v[3:4], v[7:8], v[10:11]
	v_add_f64 v[7:8], v[5:6], 0
	v_div_fixup_f64 v[1:2], v[3:4], v[1:2], 1.0
	v_fma_f64 v[3:4], v[5:6], 0, -1.0
	s_delay_alu instid0(VALU_DEP_2) | instskip(NEXT) | instid1(VALU_DEP_2)
	v_mul_f64 v[5:6], v[7:8], v[1:2]
	v_mul_f64 v[7:8], v[3:4], v[1:2]
                                        ; implicit-def: $vgpr1_vgpr2
.LBB216_10:
	s_and_not1_saveexec_b32 s2, s2
	s_cbranch_execz .LBB216_12
; %bb.11:
	v_div_scale_f64 v[5:6], null, v[1:2], v[1:2], v[3:4]
	v_div_scale_f64 v[12:13], vcc_lo, v[3:4], v[1:2], v[3:4]
	s_delay_alu instid0(VALU_DEP_2) | instskip(SKIP_2) | instid1(VALU_DEP_1)
	v_rcp_f64_e32 v[7:8], v[5:6]
	s_waitcnt_depctr 0xfff
	v_fma_f64 v[10:11], -v[5:6], v[7:8], 1.0
	v_fma_f64 v[7:8], v[7:8], v[10:11], v[7:8]
	s_delay_alu instid0(VALU_DEP_1) | instskip(NEXT) | instid1(VALU_DEP_1)
	v_fma_f64 v[10:11], -v[5:6], v[7:8], 1.0
	v_fma_f64 v[7:8], v[7:8], v[10:11], v[7:8]
	s_delay_alu instid0(VALU_DEP_1) | instskip(NEXT) | instid1(VALU_DEP_1)
	v_mul_f64 v[10:11], v[12:13], v[7:8]
	v_fma_f64 v[5:6], -v[5:6], v[10:11], v[12:13]
	s_delay_alu instid0(VALU_DEP_1) | instskip(NEXT) | instid1(VALU_DEP_1)
	v_div_fmas_f64 v[5:6], v[5:6], v[7:8], v[10:11]
	v_div_fixup_f64 v[5:6], v[5:6], v[1:2], v[3:4]
	s_delay_alu instid0(VALU_DEP_1) | instskip(NEXT) | instid1(VALU_DEP_1)
	v_fma_f64 v[1:2], v[3:4], v[5:6], v[1:2]
	v_div_scale_f64 v[3:4], null, v[1:2], v[1:2], 1.0
	v_div_scale_f64 v[12:13], vcc_lo, 1.0, v[1:2], 1.0
	s_delay_alu instid0(VALU_DEP_2) | instskip(SKIP_2) | instid1(VALU_DEP_1)
	v_rcp_f64_e32 v[7:8], v[3:4]
	s_waitcnt_depctr 0xfff
	v_fma_f64 v[10:11], -v[3:4], v[7:8], 1.0
	v_fma_f64 v[7:8], v[7:8], v[10:11], v[7:8]
	s_delay_alu instid0(VALU_DEP_1) | instskip(NEXT) | instid1(VALU_DEP_1)
	v_fma_f64 v[10:11], -v[3:4], v[7:8], 1.0
	v_fma_f64 v[7:8], v[7:8], v[10:11], v[7:8]
	s_delay_alu instid0(VALU_DEP_1) | instskip(NEXT) | instid1(VALU_DEP_1)
	v_mul_f64 v[10:11], v[12:13], v[7:8]
	v_fma_f64 v[3:4], -v[3:4], v[10:11], v[12:13]
	s_delay_alu instid0(VALU_DEP_1) | instskip(SKIP_1) | instid1(VALU_DEP_2)
	v_div_fmas_f64 v[3:4], v[3:4], v[7:8], v[10:11]
	v_fma_f64 v[7:8], v[5:6], 0, 1.0
	v_div_fixup_f64 v[1:2], v[3:4], v[1:2], 1.0
	v_add_f64 v[3:4], -v[5:6], 0
	s_delay_alu instid0(VALU_DEP_2) | instskip(NEXT) | instid1(VALU_DEP_2)
	v_mul_f64 v[5:6], v[7:8], v[1:2]
	v_mul_f64 v[7:8], v[3:4], v[1:2]
.LBB216_12:
	s_or_b32 exec_lo, exec_lo, s2
	s_branch .LBB216_14
.LBB216_13:
	v_mov_b32_e32 v5, 0
	v_dual_mov_b32 v6, 0x3ff00000 :: v_dual_mov_b32 v7, 0
	v_mov_b32_e32 v8, 0
.LBB216_14:
	ds_store_b128 v9, v[5:8]
.LBB216_15:
	s_or_b32 exec_lo, exec_lo, s30
	s_load_b32 s17, s[0:1], 0x58
	s_lshl_b64 s[0:1], s[22:23], 4
	s_waitcnt lgkmcnt(0)
	s_ashr_i32 s20, s17, 31
	s_add_u32 s10, s12, s0
	s_addc_u32 s11, s13, s1
	s_lshl_b32 s2, s14, 4
	s_add_i32 s29, s29, -1
	s_sub_i32 s3, s19, s2
	s_mul_hi_i32 s9, s17, s2
	s_cmp_ge_u32 s14, s29
	s_mul_i32 s8, s17, s2
	s_cselect_b32 s21, s3, 16
	s_lshl_b64 s[8:9], s[8:9], 4
	s_ashr_i32 s3, s2, 31
	s_add_u32 s14, s10, s8
	s_addc_u32 s19, s11, s9
	v_cmp_gt_i32_e32 vcc_lo, s21, v0
	s_cmp_gt_i32 s18, 0
	s_mov_b32 s8, 0
	s_cselect_b32 s9, -1, 0
	s_delay_alu instid0(SALU_CYCLE_1) | instskip(NEXT) | instid1(SALU_CYCLE_1)
	s_and_b32 s21, vcc_lo, s9
	s_and_saveexec_b32 s22, s21
	s_cbranch_execz .LBB216_22
; %bb.16:
	s_cmp_lt_i32 s18, 8
	s_cbranch_scc1 .LBB216_19
; %bb.17:
	v_mad_i64_i32 v[1:2], null, s17, v0, 0
	v_lshl_or_b32 v3, v0, 4, 0x1000
	s_lshl_b32 s8, s15, 4
	s_mov_b64 s[10:11], 0
	s_and_b32 s9, s8, 0x180
	s_mov_b32 s8, 0
	s_delay_alu instid0(VALU_DEP_2) | instskip(NEXT) | instid1(VALU_DEP_1)
	v_lshlrev_b64 v[1:2], 4, v[1:2]
	v_add_co_u32 v1, vcc_lo, s14, v1
	s_delay_alu instid0(VALU_DEP_2)
	v_add_co_ci_u32_e32 v2, vcc_lo, s19, v2, vcc_lo
.LBB216_18:                             ; =>This Inner Loop Header: Depth=1
	s_delay_alu instid0(VALU_DEP_2) | instskip(NEXT) | instid1(VALU_DEP_2)
	v_add_co_u32 v32, vcc_lo, v1, s10
	v_add_co_ci_u32_e32 v33, vcc_lo, s11, v2, vcc_lo
	s_add_i32 s8, s8, 8
	s_add_u32 s10, s10, 0x80
	s_addc_u32 s11, s11, 0
	s_clause 0x7
	global_load_b128 v[4:7], v[32:33], off
	global_load_b128 v[8:11], v[32:33], off offset:16
	global_load_b128 v[12:15], v[32:33], off offset:32
	;; [unrolled: 1-line block ×7, first 2 shown]
	s_cmp_lg_u32 s9, s10
	s_waitcnt vmcnt(7)
	v_mul_f64 v[36:37], s[6:7], v[6:7]
	v_mul_f64 v[6:7], s[4:5], v[6:7]
	s_waitcnt vmcnt(6)
	v_mul_f64 v[38:39], s[6:7], v[10:11]
	v_mul_f64 v[10:11], s[4:5], v[10:11]
	;; [unrolled: 3-line block ×8, first 2 shown]
	v_fma_f64 v[34:35], s[4:5], v[4:5], -v[36:37]
	v_fma_f64 v[36:37], s[6:7], v[4:5], v[6:7]
	v_fma_f64 v[4:5], s[4:5], v[8:9], -v[38:39]
	v_fma_f64 v[6:7], s[6:7], v[8:9], v[10:11]
	;; [unrolled: 2-line block ×8, first 2 shown]
	ds_store_b128 v3, v[34:37]
	ds_store_b128 v3, v[4:7] offset:256
	ds_store_b128 v3, v[8:11] offset:512
	;; [unrolled: 1-line block ×7, first 2 shown]
	v_add_nc_u32_e32 v3, 0x800, v3
	s_cbranch_scc1 .LBB216_18
.LBB216_19:
	s_and_b32 s10, s15, 7
	s_mov_b32 s9, 0
	s_cmp_eq_u32 s10, 0
	s_cbranch_scc1 .LBB216_22
; %bb.20:
	v_lshlrev_b32_e32 v3, 4, v0
	s_lshl_b64 s[24:25], s[2:3], 4
	s_lshl_b64 s[26:27], s[8:9], 4
	s_delay_alu instid0(VALU_DEP_1) | instskip(NEXT) | instid1(VALU_DEP_1)
	v_add_co_u32 v4, s9, s24, v3
	v_add_co_ci_u32_e64 v5, null, s25, 0, s9
	s_add_u32 s9, s12, s26
	s_addc_u32 s11, s13, s27
	s_add_u32 s24, s9, s0
	s_addc_u32 s25, s11, s1
	v_mul_lo_u32 v5, v5, s17
	v_mad_u64_u32 v[1:2], null, v4, s17, s[24:25]
	v_mul_lo_u32 v4, v4, s20
	v_lshl_or_b32 v3, s8, 8, v3
	s_delay_alu instid0(VALU_DEP_1) | instskip(NEXT) | instid1(VALU_DEP_4)
	v_add_nc_u32_e32 v3, 0x1000, v3
	v_add_co_u32 v1, vcc_lo, v1, 8
	s_delay_alu instid0(VALU_DEP_4) | instskip(NEXT) | instid1(VALU_DEP_1)
	v_add3_u32 v2, v5, v2, v4
	v_add_co_ci_u32_e32 v2, vcc_lo, 0, v2, vcc_lo
	.p2align	6
.LBB216_21:                             ; =>This Inner Loop Header: Depth=1
	global_load_b128 v[4:7], v[1:2], off offset:-8
	v_add_co_u32 v1, vcc_lo, v1, 16
	v_add_co_ci_u32_e32 v2, vcc_lo, 0, v2, vcc_lo
	s_add_i32 s10, s10, -1
	s_delay_alu instid0(SALU_CYCLE_1) | instskip(SKIP_3) | instid1(VALU_DEP_2)
	s_cmp_lg_u32 s10, 0
	s_waitcnt vmcnt(0)
	v_mul_f64 v[8:9], s[6:7], v[6:7]
	v_mul_f64 v[10:11], s[4:5], v[6:7]
	v_fma_f64 v[6:7], s[4:5], v[4:5], -v[8:9]
	s_delay_alu instid0(VALU_DEP_2)
	v_fma_f64 v[8:9], s[6:7], v[4:5], v[10:11]
	ds_store_b128 v3, v[6:9]
	v_add_nc_u32_e32 v3, 0x100, v3
	s_cbranch_scc1 .LBB216_21
.LBB216_22:
	s_or_b32 exec_lo, exec_lo, s22
	s_or_b32 s6, 0, 8
	s_cmpk_eq_i32 s16, 0x6f
	s_mov_b32 s4, -1
	s_waitcnt vmcnt(0) lgkmcnt(0)
	s_waitcnt_vscnt null, 0x0
	; wave barrier
	s_waitcnt lgkmcnt(0)
	buffer_gl0_inv
	s_cbranch_scc1 .LBB216_43
; %bb.23:
	v_lshl_or_b32 v5, v0, 4, 0x1000
	v_lshlrev_b32_e32 v6, 4, v0
	s_lshl_b32 s7, s15, 4
	s_mov_b32 s5, 0
	s_add_i32 s7, s7, -16
	s_mov_b32 s4, s5
	s_mov_b32 s8, s28
	s_branch .LBB216_25
.LBB216_24:                             ;   in Loop: Header=BB216_25 Depth=1
	s_cmp_lt_i32 s8, 0
	s_cselect_b32 s9, -1, 0
	s_add_i32 s4, s4, 1
	s_delay_alu instid0(SALU_CYCLE_1) | instskip(SKIP_1) | instid1(SALU_CYCLE_1)
	s_cmp_eq_u32 s4, 3
	s_cselect_b32 s10, -1, 0
	s_or_b32 s9, s9, s10
	s_delay_alu instid0(SALU_CYCLE_1)
	s_and_not1_b32 vcc_lo, exec_lo, s9
	s_cbranch_vccz .LBB216_42
.LBB216_25:                             ; =>This Loop Header: Depth=1
                                        ;     Child Loop BB216_28 Depth 2
                                        ;       Child Loop BB216_29 Depth 3
                                        ;       Child Loop BB216_31 Depth 3
                                        ;         Child Loop BB216_32 Depth 4
                                        ;       Child Loop BB216_36 Depth 3
                                        ;         Child Loop BB216_38 Depth 4
	s_getpc_b64 s[10:11]
	s_add_u32 s10, s10, __const._ZL38rocblas_trsm_small_left_device_sharedBILi16ELi16ELb1E19rocblas_complex_numIdES1_PKPKS1_PKPS1_Ev13rocblas_fill_18rocblas_operation_17rocblas_diagonal_iiT3_T4_lilT5_lili.step_sizes@rel32@lo+4
	s_addc_u32 s11, s11, __const._ZL38rocblas_trsm_small_left_device_sharedBILi16ELi16ELb1E19rocblas_complex_numIdES1_PKPKS1_PKPS1_Ev13rocblas_fill_18rocblas_operation_17rocblas_diagonal_iiT3_T4_lilT5_lili.step_sizes@rel32@hi+12
	s_lshl_b64 s[22:23], s[4:5], 2
	s_delay_alu instid0(SALU_CYCLE_1) | instskip(SKIP_4) | instid1(SALU_CYCLE_1)
	s_add_u32 s10, s22, s10
	s_addc_u32 s11, s23, s11
	s_load_b32 s9, s[10:11], 0x0
	s_waitcnt lgkmcnt(0)
	s_add_i32 s10, s9, -1
	s_cmp_lt_i32 s8, s10
	s_cbranch_scc1 .LBB216_24
; %bb.26:                               ;   in Loop: Header=BB216_25 Depth=1
	s_lshl_b32 s22, s8, 8
	s_lshl_b32 s16, s9, 8
	v_add_nc_u32_e32 v7, s22, v5
	s_max_i32 s11, s9, 1
	s_sub_i32 s16, 0, s16
	s_add_i32 s22, s7, s22
	s_mul_i32 s23, s8, 0x110
	s_mul_i32 s24, s9, 0xfffffef0
	s_branch .LBB216_28
.LBB216_27:                             ;   in Loop: Header=BB216_28 Depth=2
	v_add_nc_u32_e32 v7, s16, v7
	s_sub_i32 s8, s8, s9
	s_add_i32 s22, s22, s16
	s_add_i32 s23, s23, s24
	s_cmp_lt_i32 s8, s10
	s_cbranch_scc1 .LBB216_24
.LBB216_28:                             ;   Parent Loop BB216_25 Depth=1
                                        ; =>  This Loop Header: Depth=2
                                        ;       Child Loop BB216_29 Depth 3
                                        ;       Child Loop BB216_31 Depth 3
                                        ;         Child Loop BB216_32 Depth 4
                                        ;       Child Loop BB216_36 Depth 3
                                        ;         Child Loop BB216_38 Depth 4
	v_dual_mov_b32 v1, 0 :: v_dual_mov_b32 v2, v7
	s_mov_b32 s25, s11
.LBB216_29:                             ;   Parent Loop BB216_25 Depth=1
                                        ;     Parent Loop BB216_28 Depth=2
                                        ; =>    This Inner Loop Header: Depth=3
	ds_load_b128 v[8:11], v2
	v_add_nc_u32_e32 v2, 0xffffff00, v2
	s_add_i32 s25, s25, -1
	s_delay_alu instid0(SALU_CYCLE_1)
	s_cmp_eq_u32 s25, 0
	s_waitcnt lgkmcnt(0)
	scratch_store_b128 v1, v[8:11], off
	v_add_nc_u32_e32 v1, 16, v1
	s_cbranch_scc0 .LBB216_29
; %bb.30:                               ;   in Loop: Header=BB216_28 Depth=2
	s_cmp_le_i32 s28, s8
	s_mov_b32 s25, s22
	s_mov_b32 s26, s28
	s_cbranch_scc1 .LBB216_34
	.p2align	6
.LBB216_31:                             ;   Parent Loop BB216_25 Depth=1
                                        ;     Parent Loop BB216_28 Depth=2
                                        ; =>    This Loop Header: Depth=3
                                        ;         Child Loop BB216_32 Depth 4
	v_lshl_or_b32 v1, s26, 8, v6
	s_mov_b32 s27, s6
	s_mov_b32 s29, s25
	;; [unrolled: 1-line block ×3, first 2 shown]
	ds_load_b128 v[1:4], v1 offset:4096
	.p2align	6
.LBB216_32:                             ;   Parent Loop BB216_25 Depth=1
                                        ;     Parent Loop BB216_28 Depth=2
                                        ;       Parent Loop BB216_31 Depth=3
                                        ; =>      This Inner Loop Header: Depth=4
	scratch_load_b128 v[8:11], off, s27 offset:-8
	v_mov_b32_e32 v12, s29
	s_add_i32 s30, s30, -1
	s_addk_i32 s29, 0xff00
	ds_load_b128 v[12:15], v12
	s_waitcnt lgkmcnt(0)
	v_mul_f64 v[16:17], v[3:4], v[14:15]
	v_mul_f64 v[14:15], v[1:2], v[14:15]
	s_delay_alu instid0(VALU_DEP_2) | instskip(NEXT) | instid1(VALU_DEP_2)
	v_fma_f64 v[16:17], v[1:2], v[12:13], -v[16:17]
	v_fma_f64 v[12:13], v[3:4], v[12:13], v[14:15]
	s_waitcnt vmcnt(0)
	s_delay_alu instid0(VALU_DEP_2) | instskip(NEXT) | instid1(VALU_DEP_2)
	v_add_f64 v[8:9], v[8:9], -v[16:17]
	v_add_f64 v[10:11], v[10:11], -v[12:13]
	scratch_store_b128 off, v[8:11], s27 offset:-8
	s_add_i32 s27, s27, 16
	s_cmp_eq_u32 s30, 0
	s_cbranch_scc0 .LBB216_32
; %bb.33:                               ;   in Loop: Header=BB216_31 Depth=3
	s_add_i32 s26, s26, -1
	s_add_i32 s25, s25, -16
	s_cmp_le_i32 s26, s8
	s_cbranch_scc0 .LBB216_31
.LBB216_34:                             ;   in Loop: Header=BB216_28 Depth=2
	s_lshl_b32 s25, s8, 4
	s_mov_b32 s26, 0
	s_mov_b32 s27, s23
	s_branch .LBB216_36
.LBB216_35:                             ;   in Loop: Header=BB216_36 Depth=3
	s_mulk_i32 s30, 0x110
	s_addk_i32 s27, 0xff00
	v_mov_b32_e32 v8, s30
	s_lshl_b32 s30, s26, 4
	s_add_i32 s26, s26, 1
	ds_load_b128 v[8:11], v8
	s_waitcnt vmcnt(0) lgkmcnt(0)
	v_mul_f64 v[12:13], v[10:11], v[3:4]
	v_mul_f64 v[3:4], v[8:9], v[3:4]
	s_delay_alu instid0(VALU_DEP_2) | instskip(NEXT) | instid1(VALU_DEP_2)
	v_fma_f64 v[8:9], v[8:9], v[1:2], -v[12:13]
	v_fma_f64 v[10:11], v[10:11], v[1:2], v[3:4]
	v_add_lshl_u32 v1, s29, v0, 4
	s_add_i32 s29, s30, 0
	s_cmp_eq_u32 s26, s11
	scratch_store_b128 off, v[8:11], s29
	ds_store_b128 v1, v[8:11] offset:4096
	s_cbranch_scc1 .LBB216_27
.LBB216_36:                             ;   Parent Loop BB216_25 Depth=1
                                        ;     Parent Loop BB216_28 Depth=2
                                        ; =>    This Loop Header: Depth=3
                                        ;         Child Loop BB216_38 Depth 4
	s_cmp_lg_u32 s26, 0
	s_cbranch_scc0 .LBB216_40
; %bb.37:                               ;   in Loop: Header=BB216_36 Depth=3
	s_lshl_b32 s31, s26, 4
	s_sub_i32 s30, s8, s26
	s_add_i32 s29, s31, 0
	v_add_nc_u32_e64 v8, s31, 0
	scratch_load_b128 v[1:4], off, s29
	s_lshl_b32 s29, s30, 4
	s_mov_b32 s31, 0
	s_mov_b32 s33, s6
	;; [unrolled: 1-line block ×3, first 2 shown]
	.p2align	6
.LBB216_38:                             ;   Parent Loop BB216_25 Depth=1
                                        ;     Parent Loop BB216_28 Depth=2
                                        ;       Parent Loop BB216_36 Depth=3
                                        ; =>      This Inner Loop Header: Depth=4
	scratch_load_b128 v[9:12], off, s33 offset:-8
	v_mov_b32_e32 v13, s34
	s_add_i32 s31, s31, 1
	s_add_i32 s34, s34, -16
	s_add_i32 s33, s33, 16
	s_cmp_ge_u32 s31, s26
	ds_load_b128 v[13:16], v13
	s_waitcnt vmcnt(0) lgkmcnt(0)
	v_mul_f64 v[17:18], v[15:16], v[11:12]
	v_mul_f64 v[11:12], v[13:14], v[11:12]
	s_delay_alu instid0(VALU_DEP_2) | instskip(NEXT) | instid1(VALU_DEP_2)
	v_fma_f64 v[13:14], v[13:14], v[9:10], -v[17:18]
	v_fma_f64 v[9:10], v[15:16], v[9:10], v[11:12]
	s_delay_alu instid0(VALU_DEP_2) | instskip(NEXT) | instid1(VALU_DEP_2)
	v_add_f64 v[1:2], v[1:2], -v[13:14]
	v_add_f64 v[3:4], v[3:4], -v[9:10]
	scratch_store_b128 v8, v[1:4], off
	s_cbranch_scc0 .LBB216_38
; %bb.39:                               ;   in Loop: Header=BB216_36 Depth=3
	s_branch .LBB216_35
.LBB216_40:                             ;   in Loop: Header=BB216_36 Depth=3
                                        ; implicit-def: $vgpr1_vgpr2
                                        ; implicit-def: $sgpr30
                                        ; implicit-def: $sgpr29
	s_cbranch_execz .LBB216_35
; %bb.41:                               ;   in Loop: Header=BB216_36 Depth=3
	scratch_load_b128 v[1:4], off, off
	s_mov_b32 s29, s25
	s_mov_b32 s30, s8
	s_branch .LBB216_35
.LBB216_42:
	s_mov_b32 s4, 0
.LBB216_43:
	s_delay_alu instid0(SALU_CYCLE_1)
	s_and_b32 vcc_lo, exec_lo, s4
	s_cbranch_vccz .LBB216_64
; %bb.44:
	v_lshl_or_b32 v5, v0, 4, 0x1000
	v_lshlrev_b32_e32 v6, 4, v0
	s_mov_b32 s5, 0
	s_delay_alu instid0(SALU_CYCLE_1)
	s_mov_b32 s4, s5
	s_mov_b32 s7, s5
	s_branch .LBB216_46
.LBB216_45:                             ;   in Loop: Header=BB216_46 Depth=1
	s_cmp_ge_i32 s7, s15
	s_cselect_b32 s8, -1, 0
	s_add_i32 s4, s4, 1
	s_delay_alu instid0(SALU_CYCLE_1) | instskip(SKIP_1) | instid1(SALU_CYCLE_1)
	s_cmp_eq_u32 s4, 3
	s_cselect_b32 s9, -1, 0
	s_or_b32 s8, s8, s9
	s_delay_alu instid0(SALU_CYCLE_1)
	s_and_b32 vcc_lo, exec_lo, s8
	s_cbranch_vccnz .LBB216_64
.LBB216_46:                             ; =>This Loop Header: Depth=1
                                        ;     Child Loop BB216_49 Depth 2
                                        ;       Child Loop BB216_50 Depth 3
                                        ;       Child Loop BB216_53 Depth 3
                                        ;         Child Loop BB216_54 Depth 4
                                        ;       Child Loop BB216_58 Depth 3
                                        ;         Child Loop BB216_60 Depth 4
	s_getpc_b64 s[8:9]
	s_add_u32 s8, s8, __const._ZL38rocblas_trsm_small_left_device_sharedBILi16ELi16ELb1E19rocblas_complex_numIdES1_PKPKS1_PKPS1_Ev13rocblas_fill_18rocblas_operation_17rocblas_diagonal_iiT3_T4_lilT5_lili.step_sizes@rel32@lo+4
	s_addc_u32 s9, s9, __const._ZL38rocblas_trsm_small_left_device_sharedBILi16ELi16ELb1E19rocblas_complex_numIdES1_PKPKS1_PKPS1_Ev13rocblas_fill_18rocblas_operation_17rocblas_diagonal_iiT3_T4_lilT5_lili.step_sizes@rel32@hi+12
	s_lshl_b64 s[10:11], s[4:5], 2
	s_delay_alu instid0(SALU_CYCLE_1) | instskip(SKIP_4) | instid1(SALU_CYCLE_1)
	s_add_u32 s8, s10, s8
	s_addc_u32 s9, s11, s9
	s_load_b32 s8, s[8:9], 0x0
	s_waitcnt lgkmcnt(0)
	s_add_i32 s9, s8, -1
	s_add_i32 s10, s9, s7
	s_delay_alu instid0(SALU_CYCLE_1)
	s_cmp_ge_i32 s10, s15
	s_cbranch_scc1 .LBB216_45
; %bb.47:                               ;   in Loop: Header=BB216_46 Depth=1
	v_lshl_add_u32 v7, s7, 8, v5
	s_max_i32 s10, s8, 1
	s_lshl_b32 s11, s8, 8
	s_lshl_b32 s16, s7, 4
	;; [unrolled: 1-line block ×3, first 2 shown]
	s_mul_i32 s23, s7, 0x110
	s_mul_i32 s24, s8, 0x110
	s_branch .LBB216_49
.LBB216_48:                             ;   in Loop: Header=BB216_49 Depth=2
	s_add_i32 s7, s7, s8
	v_add_nc_u32_e32 v7, s11, v7
	s_add_i32 s25, s9, s7
	s_add_i32 s16, s16, s22
	;; [unrolled: 1-line block ×3, first 2 shown]
	s_cmp_ge_i32 s25, s15
	s_cbranch_scc1 .LBB216_45
.LBB216_49:                             ;   Parent Loop BB216_46 Depth=1
                                        ; =>  This Loop Header: Depth=2
                                        ;       Child Loop BB216_50 Depth 3
                                        ;       Child Loop BB216_53 Depth 3
                                        ;         Child Loop BB216_54 Depth 4
                                        ;       Child Loop BB216_58 Depth 3
                                        ;         Child Loop BB216_60 Depth 4
	v_dual_mov_b32 v1, 0 :: v_dual_mov_b32 v2, v7
	s_mov_b32 s25, s10
.LBB216_50:                             ;   Parent Loop BB216_46 Depth=1
                                        ;     Parent Loop BB216_49 Depth=2
                                        ; =>    This Inner Loop Header: Depth=3
	ds_load_b128 v[8:11], v2
	v_add_nc_u32_e32 v2, 0x100, v2
	s_add_i32 s25, s25, -1
	s_delay_alu instid0(SALU_CYCLE_1)
	s_cmp_eq_u32 s25, 0
	s_waitcnt lgkmcnt(0)
	scratch_store_b128 v1, v[8:11], off
	v_add_nc_u32_e32 v1, 16, v1
	s_cbranch_scc0 .LBB216_50
; %bb.51:                               ;   in Loop: Header=BB216_49 Depth=2
	s_cmp_lt_i32 s7, 1
	s_cbranch_scc1 .LBB216_56
; %bb.52:                               ;   in Loop: Header=BB216_49 Depth=2
	s_mov_b32 s25, 0
	s_mov_b32 s26, s16
	s_set_inst_prefetch_distance 0x1
	.p2align	6
.LBB216_53:                             ;   Parent Loop BB216_46 Depth=1
                                        ;     Parent Loop BB216_49 Depth=2
                                        ; =>    This Loop Header: Depth=3
                                        ;         Child Loop BB216_54 Depth 4
	v_lshl_or_b32 v1, s25, 8, v6
	s_mov_b32 s27, s6
	s_mov_b32 s28, s26
	s_mov_b32 s29, s10
	ds_load_b128 v[1:4], v1 offset:4096
	.p2align	6
.LBB216_54:                             ;   Parent Loop BB216_46 Depth=1
                                        ;     Parent Loop BB216_49 Depth=2
                                        ;       Parent Loop BB216_53 Depth=3
                                        ; =>      This Inner Loop Header: Depth=4
	scratch_load_b128 v[8:11], off, s27 offset:-8
	v_mov_b32_e32 v12, s28
	s_add_i32 s29, s29, -1
	s_add_i32 s28, s28, 16
	ds_load_b128 v[12:15], v12
	s_waitcnt lgkmcnt(0)
	v_mul_f64 v[16:17], v[3:4], v[14:15]
	v_mul_f64 v[14:15], v[1:2], v[14:15]
	s_delay_alu instid0(VALU_DEP_2) | instskip(NEXT) | instid1(VALU_DEP_2)
	v_fma_f64 v[16:17], v[1:2], v[12:13], -v[16:17]
	v_fma_f64 v[12:13], v[3:4], v[12:13], v[14:15]
	s_waitcnt vmcnt(0)
	s_delay_alu instid0(VALU_DEP_2) | instskip(NEXT) | instid1(VALU_DEP_2)
	v_add_f64 v[8:9], v[8:9], -v[16:17]
	v_add_f64 v[10:11], v[10:11], -v[12:13]
	scratch_store_b128 off, v[8:11], s27 offset:-8
	s_add_i32 s27, s27, 16
	s_cmp_eq_u32 s29, 0
	s_cbranch_scc0 .LBB216_54
; %bb.55:                               ;   in Loop: Header=BB216_53 Depth=3
	s_add_i32 s25, s25, 1
	s_addk_i32 s26, 0x100
	s_cmp_ge_i32 s25, s7
	s_cbranch_scc0 .LBB216_53
.LBB216_56:                             ;   in Loop: Header=BB216_49 Depth=2
	s_set_inst_prefetch_distance 0x2
	s_mov_b32 s25, 0
	s_mov_b32 s26, s23
	s_branch .LBB216_58
.LBB216_57:                             ;   in Loop: Header=BB216_58 Depth=3
	s_mul_i32 s28, s27, 0x110
	s_add_i32 s26, s26, 16
	v_mov_b32_e32 v8, s28
	s_lshl_b32 s28, s25, 4
	s_add_i32 s25, s25, 1
	ds_load_b128 v[8:11], v8
	s_waitcnt vmcnt(0) lgkmcnt(0)
	v_mul_f64 v[12:13], v[10:11], v[3:4]
	v_mul_f64 v[3:4], v[8:9], v[3:4]
	s_delay_alu instid0(VALU_DEP_2) | instskip(NEXT) | instid1(VALU_DEP_2)
	v_fma_f64 v[8:9], v[8:9], v[1:2], -v[12:13]
	v_fma_f64 v[10:11], v[10:11], v[1:2], v[3:4]
	v_lshl_or_b32 v1, s27, 8, v6
	s_add_i32 s27, s28, 0
	s_cmp_eq_u32 s25, s10
	scratch_store_b128 off, v[8:11], s27
	ds_store_b128 v1, v[8:11] offset:4096
	s_cbranch_scc1 .LBB216_48
.LBB216_58:                             ;   Parent Loop BB216_46 Depth=1
                                        ;     Parent Loop BB216_49 Depth=2
                                        ; =>    This Loop Header: Depth=3
                                        ;         Child Loop BB216_60 Depth 4
	s_cmp_lg_u32 s25, 0
	s_cbranch_scc0 .LBB216_62
; %bb.59:                               ;   in Loop: Header=BB216_58 Depth=3
	s_lshl_b32 s28, s25, 4
	s_mov_b32 s29, s6
	s_add_i32 s27, s28, 0
	v_add_nc_u32_e64 v8, s28, 0
	scratch_load_b128 v[1:4], off, s27
	s_add_i32 s27, s25, s7
	s_mov_b32 s28, 0
	s_mov_b32 s30, s26
	.p2align	6
.LBB216_60:                             ;   Parent Loop BB216_46 Depth=1
                                        ;     Parent Loop BB216_49 Depth=2
                                        ;       Parent Loop BB216_58 Depth=3
                                        ; =>      This Inner Loop Header: Depth=4
	scratch_load_b128 v[9:12], off, s29 offset:-8
	v_mov_b32_e32 v13, s30
	s_add_i32 s28, s28, 1
	s_addk_i32 s30, 0x100
	s_add_i32 s29, s29, 16
	s_cmp_ge_u32 s28, s25
	ds_load_b128 v[13:16], v13
	s_waitcnt vmcnt(0) lgkmcnt(0)
	v_mul_f64 v[17:18], v[15:16], v[11:12]
	v_mul_f64 v[11:12], v[13:14], v[11:12]
	s_delay_alu instid0(VALU_DEP_2) | instskip(NEXT) | instid1(VALU_DEP_2)
	v_fma_f64 v[13:14], v[13:14], v[9:10], -v[17:18]
	v_fma_f64 v[9:10], v[15:16], v[9:10], v[11:12]
	s_delay_alu instid0(VALU_DEP_2) | instskip(NEXT) | instid1(VALU_DEP_2)
	v_add_f64 v[1:2], v[1:2], -v[13:14]
	v_add_f64 v[3:4], v[3:4], -v[9:10]
	scratch_store_b128 v8, v[1:4], off
	s_cbranch_scc0 .LBB216_60
; %bb.61:                               ;   in Loop: Header=BB216_58 Depth=3
	s_branch .LBB216_57
.LBB216_62:                             ;   in Loop: Header=BB216_58 Depth=3
                                        ; implicit-def: $vgpr1_vgpr2
                                        ; implicit-def: $sgpr27
	s_cbranch_execz .LBB216_57
; %bb.63:                               ;   in Loop: Header=BB216_58 Depth=3
	scratch_load_b128 v[1:4], off, off
	s_mov_b32 s27, s7
	s_branch .LBB216_57
.LBB216_64:
	s_waitcnt vmcnt(0) lgkmcnt(0)
	s_waitcnt_vscnt null, 0x0
	; wave barrier
	s_waitcnt lgkmcnt(0)
	s_waitcnt_vscnt null, 0x0
	buffer_gl0_inv
	s_and_saveexec_b32 s4, s21
	s_cbranch_execz .LBB216_71
; %bb.65:
	s_cmp_lt_i32 s18, 8
	s_mov_b32 s4, 0
	s_cbranch_scc1 .LBB216_68
; %bb.66:
	v_mad_i64_i32 v[1:2], null, s17, v0, 0
	v_lshl_or_b32 v3, v0, 4, 0x1000
	s_lshl_b32 s4, s15, 4
	s_mov_b64 s[6:7], 0
	s_and_b32 s5, s4, 0x180
	s_mov_b32 s4, 0
	s_delay_alu instid0(VALU_DEP_2) | instskip(NEXT) | instid1(VALU_DEP_1)
	v_lshlrev_b64 v[1:2], 4, v[1:2]
	v_add_co_u32 v1, vcc_lo, s14, v1
	s_delay_alu instid0(VALU_DEP_2)
	v_add_co_ci_u32_e32 v2, vcc_lo, s19, v2, vcc_lo
	s_set_inst_prefetch_distance 0x1
	.p2align	6
.LBB216_67:                             ; =>This Inner Loop Header: Depth=1
	ds_load_2addr_b64 v[4:7], v3 offset1:1
	ds_load_2addr_b64 v[8:11], v3 offset0:32 offset1:33
	ds_load_2addr_b64 v[12:15], v3 offset0:64 offset1:65
	;; [unrolled: 1-line block ×7, first 2 shown]
	v_add_co_u32 v36, vcc_lo, v1, s6
	v_add_co_ci_u32_e32 v37, vcc_lo, s7, v2, vcc_lo
	s_add_i32 s4, s4, 8
	v_add_nc_u32_e32 v3, 0x800, v3
	s_add_u32 s6, s6, 0x80
	s_addc_u32 s7, s7, 0
	s_cmp_lg_u32 s5, s6
	s_waitcnt lgkmcnt(7)
	global_store_b128 v[36:37], v[4:7], off
	s_waitcnt lgkmcnt(6)
	global_store_b128 v[36:37], v[8:11], off offset:16
	s_waitcnt lgkmcnt(5)
	global_store_b128 v[36:37], v[12:15], off offset:32
	;; [unrolled: 2-line block ×7, first 2 shown]
	s_cbranch_scc1 .LBB216_67
.LBB216_68:
	s_set_inst_prefetch_distance 0x2
	s_and_b32 s6, s15, 7
	s_mov_b32 s5, 0
	s_cmp_eq_u32 s6, 0
	s_cbranch_scc1 .LBB216_71
; %bb.69:
	v_lshlrev_b32_e32 v2, 4, v0
	s_lshl_b64 s[2:3], s[2:3], 4
	s_lshl_b64 s[8:9], s[4:5], 4
	s_delay_alu instid0(VALU_DEP_1) | instskip(NEXT) | instid1(VALU_DEP_1)
	v_add_co_u32 v3, s2, s2, v2
	v_add_co_ci_u32_e64 v4, null, s3, 0, s2
	s_add_u32 s2, s12, s8
	s_addc_u32 s3, s13, s9
	s_add_u32 s0, s2, s0
	s_addc_u32 s1, s3, s1
	v_mul_lo_u32 v4, v4, s17
	v_mad_u64_u32 v[0:1], null, v3, s17, s[0:1]
	v_mul_lo_u32 v3, v3, s20
	v_lshl_or_b32 v2, s4, 8, v2
	s_delay_alu instid0(VALU_DEP_1) | instskip(NEXT) | instid1(VALU_DEP_3)
	v_add_nc_u32_e32 v2, 0x1000, v2
	v_add3_u32 v1, v4, v1, v3
.LBB216_70:                             ; =>This Inner Loop Header: Depth=1
	ds_load_2addr_b64 v[3:6], v2 offset1:1
	v_add_nc_u32_e32 v2, 0x100, v2
	s_add_i32 s6, s6, -1
	s_delay_alu instid0(SALU_CYCLE_1)
	s_cmp_lg_u32 s6, 0
	s_waitcnt lgkmcnt(0)
	global_store_b128 v[0:1], v[3:6], off
	v_add_co_u32 v0, vcc_lo, v0, 16
	v_add_co_ci_u32_e32 v1, vcc_lo, 0, v1, vcc_lo
	s_cbranch_scc1 .LBB216_70
.LBB216_71:
	s_nop 0
	s_sendmsg sendmsg(MSG_DEALLOC_VGPRS)
	s_endpgm
	.section	.rodata,"a",@progbits
	.p2align	6, 0x0
	.amdhsa_kernel _ZL38rocblas_trsm_small_left_device_sharedBILi16ELi16ELb1E19rocblas_complex_numIdES1_PKPKS1_PKPS1_Ev13rocblas_fill_18rocblas_operation_17rocblas_diagonal_iiT3_T4_lilT5_lili
		.amdhsa_group_segment_fixed_size 8192
		.amdhsa_private_segment_fixed_size 272
		.amdhsa_kernarg_size 368
		.amdhsa_user_sgpr_count 14
		.amdhsa_user_sgpr_dispatch_ptr 0
		.amdhsa_user_sgpr_queue_ptr 0
		.amdhsa_user_sgpr_kernarg_segment_ptr 1
		.amdhsa_user_sgpr_dispatch_id 0
		.amdhsa_user_sgpr_private_segment_size 0
		.amdhsa_wavefront_size32 1
		.amdhsa_uses_dynamic_stack 0
		.amdhsa_enable_private_segment 1
		.amdhsa_system_sgpr_workgroup_id_x 1
		.amdhsa_system_sgpr_workgroup_id_y 0
		.amdhsa_system_sgpr_workgroup_id_z 1
		.amdhsa_system_sgpr_workgroup_info 0
		.amdhsa_system_vgpr_workitem_id 0
		.amdhsa_next_free_vgpr 54
		.amdhsa_next_free_sgpr 35
		.amdhsa_reserve_vcc 1
		.amdhsa_float_round_mode_32 0
		.amdhsa_float_round_mode_16_64 0
		.amdhsa_float_denorm_mode_32 3
		.amdhsa_float_denorm_mode_16_64 3
		.amdhsa_dx10_clamp 1
		.amdhsa_ieee_mode 1
		.amdhsa_fp16_overflow 0
		.amdhsa_workgroup_processor_mode 1
		.amdhsa_memory_ordered 1
		.amdhsa_forward_progress 0
		.amdhsa_shared_vgpr_count 0
		.amdhsa_exception_fp_ieee_invalid_op 0
		.amdhsa_exception_fp_denorm_src 0
		.amdhsa_exception_fp_ieee_div_zero 0
		.amdhsa_exception_fp_ieee_overflow 0
		.amdhsa_exception_fp_ieee_underflow 0
		.amdhsa_exception_fp_ieee_inexact 0
		.amdhsa_exception_int_div_zero 0
	.end_amdhsa_kernel
	.section	.text._ZL38rocblas_trsm_small_left_device_sharedBILi16ELi16ELb1E19rocblas_complex_numIdES1_PKPKS1_PKPS1_Ev13rocblas_fill_18rocblas_operation_17rocblas_diagonal_iiT3_T4_lilT5_lili,"axG",@progbits,_ZL38rocblas_trsm_small_left_device_sharedBILi16ELi16ELb1E19rocblas_complex_numIdES1_PKPKS1_PKPS1_Ev13rocblas_fill_18rocblas_operation_17rocblas_diagonal_iiT3_T4_lilT5_lili,comdat
.Lfunc_end216:
	.size	_ZL38rocblas_trsm_small_left_device_sharedBILi16ELi16ELb1E19rocblas_complex_numIdES1_PKPKS1_PKPS1_Ev13rocblas_fill_18rocblas_operation_17rocblas_diagonal_iiT3_T4_lilT5_lili, .Lfunc_end216-_ZL38rocblas_trsm_small_left_device_sharedBILi16ELi16ELb1E19rocblas_complex_numIdES1_PKPKS1_PKPS1_Ev13rocblas_fill_18rocblas_operation_17rocblas_diagonal_iiT3_T4_lilT5_lili
                                        ; -- End function
	.section	.AMDGPU.csdata,"",@progbits
; Kernel info:
; codeLenInByte = 4248
; NumSgprs: 37
; NumVgprs: 54
; ScratchSize: 272
; MemoryBound: 0
; FloatMode: 240
; IeeeMode: 1
; LDSByteSize: 8192 bytes/workgroup (compile time only)
; SGPRBlocks: 4
; VGPRBlocks: 6
; NumSGPRsForWavesPerEU: 37
; NumVGPRsForWavesPerEU: 54
; Occupancy: 4
; WaveLimiterHint : 1
; COMPUTE_PGM_RSRC2:SCRATCH_EN: 1
; COMPUTE_PGM_RSRC2:USER_SGPR: 14
; COMPUTE_PGM_RSRC2:TRAP_HANDLER: 0
; COMPUTE_PGM_RSRC2:TGID_X_EN: 1
; COMPUTE_PGM_RSRC2:TGID_Y_EN: 0
; COMPUTE_PGM_RSRC2:TGID_Z_EN: 1
; COMPUTE_PGM_RSRC2:TIDIG_COMP_CNT: 0
	.section	.text._ZL30rocblas_trsm_small_left_deviceILi16ELi16ELb1E19rocblas_complex_numIdES1_PKPKS1_PKPS1_Ev13rocblas_fill_18rocblas_operation_17rocblas_diagonal_iiT3_T4_lilT5_lili,"axG",@progbits,_ZL30rocblas_trsm_small_left_deviceILi16ELi16ELb1E19rocblas_complex_numIdES1_PKPKS1_PKPS1_Ev13rocblas_fill_18rocblas_operation_17rocblas_diagonal_iiT3_T4_lilT5_lili,comdat
	.globl	_ZL30rocblas_trsm_small_left_deviceILi16ELi16ELb1E19rocblas_complex_numIdES1_PKPKS1_PKPS1_Ev13rocblas_fill_18rocblas_operation_17rocblas_diagonal_iiT3_T4_lilT5_lili ; -- Begin function _ZL30rocblas_trsm_small_left_deviceILi16ELi16ELb1E19rocblas_complex_numIdES1_PKPKS1_PKPS1_Ev13rocblas_fill_18rocblas_operation_17rocblas_diagonal_iiT3_T4_lilT5_lili
	.p2align	8
	.type	_ZL30rocblas_trsm_small_left_deviceILi16ELi16ELb1E19rocblas_complex_numIdES1_PKPKS1_PKPS1_Ev13rocblas_fill_18rocblas_operation_17rocblas_diagonal_iiT3_T4_lilT5_lili,@function
_ZL30rocblas_trsm_small_left_deviceILi16ELi16ELb1E19rocblas_complex_numIdES1_PKPKS1_PKPS1_Ev13rocblas_fill_18rocblas_operation_17rocblas_diagonal_iiT3_T4_lilT5_lili: ; @_ZL30rocblas_trsm_small_left_deviceILi16ELi16ELb1E19rocblas_complex_numIdES1_PKPKS1_PKPS1_Ev13rocblas_fill_18rocblas_operation_17rocblas_diagonal_iiT3_T4_lilT5_lili
; %bb.0:
	s_clause 0x1
	s_load_b128 s[20:23], s[0:1], 0x48
	s_load_b128 s[16:19], s[0:1], 0x4
	s_mov_b32 s2, s15
	s_mov_b32 s3, 0
	s_load_b32 s15, s[0:1], 0x70
	s_lshl_b64 s[24:25], s[2:3], 3
	s_mov_b32 s29, exec_lo
	s_waitcnt lgkmcnt(0)
	s_add_u32 s12, s20, s24
	s_addc_u32 s13, s21, s25
	s_load_b256 s[4:11], s[0:1], 0x18
	s_load_b64 s[12:13], s[12:13], 0x0
	s_min_i32 s18, s18, 16
	s_delay_alu instid0(SALU_CYCLE_1)
	s_add_i32 s28, s18, -1
	v_cmpx_gt_i32_e64 s18, v0
	s_cbranch_execz .LBB217_15
; %bb.1:
	s_load_b32 s20, s[0:1], 0x38
	v_lshlrev_b32_e32 v3, 4, v0
	s_waitcnt lgkmcnt(0)
	s_ashr_i32 s21, s20, 31
	s_cmpk_eq_i32 s16, 0x71
	s_cselect_b32 vcc_lo, -1, 0
	s_add_u32 s8, s8, s24
	s_addc_u32 s9, s9, s25
	s_cmp_lt_u32 s28, 3
	s_load_b64 s[8:9], s[8:9], 0x0
	s_cbranch_scc1 .LBB217_4
; %bb.2:
	v_dual_mov_b32 v4, v3 :: v_dual_lshlrev_b32 v1, 4, v0
	s_lshl_b64 s[24:25], s[10:11], 4
	s_and_b32 s3, s18, -4
	s_waitcnt lgkmcnt(0)
	s_add_u32 s2, s8, s24
	s_addc_u32 s24, s9, s25
	v_add_co_u32 v1, s2, s2, v1
	s_delay_alu instid0(VALU_DEP_1) | instskip(SKIP_1) | instid1(VALU_DEP_2)
	v_add_co_ci_u32_e64 v2, null, s24, 0, s2
	s_lshl_b64 s[24:25], s[20:21], 6
	v_add_co_u32 v1, s2, v1, 8
	s_delay_alu instid0(VALU_DEP_1)
	v_add_co_ci_u32_e64 v2, s2, 0, v2, s2
	s_lshl_b64 s[26:27], s[20:21], 4
	s_mov_b32 s30, 0
.LBB217_3:                              ; =>This Inner Loop Header: Depth=1
	s_delay_alu instid0(VALU_DEP_2) | instskip(NEXT) | instid1(VALU_DEP_1)
	v_add_co_u32 v9, s2, v1, s26
	v_add_co_ci_u32_e64 v10, s2, s27, v2, s2
	s_add_i32 s30, s30, 4
	s_delay_alu instid0(VALU_DEP_2) | instskip(NEXT) | instid1(VALU_DEP_1)
	v_add_co_u32 v13, s2, v9, s26
	v_add_co_ci_u32_e64 v14, s2, s27, v10, s2
	s_cmp_eq_u32 s3, s30
	s_delay_alu instid0(VALU_DEP_2) | instskip(NEXT) | instid1(VALU_DEP_1)
	v_add_co_u32 v17, s2, v13, s26
	v_add_co_ci_u32_e64 v18, s2, s27, v14, s2
	s_clause 0x3
	global_load_b128 v[5:8], v[1:2], off offset:-8
	global_load_b128 v[9:12], v[9:10], off offset:-8
	;; [unrolled: 1-line block ×4, first 2 shown]
	v_add_co_u32 v1, s2, v1, s24
	s_delay_alu instid0(VALU_DEP_1)
	v_add_co_ci_u32_e64 v2, s2, s25, v2, s2
	s_waitcnt vmcnt(3)
	v_xor_b32_e32 v21, 0x80000000, v8
	s_waitcnt vmcnt(2)
	v_xor_b32_e32 v22, 0x80000000, v12
	;; [unrolled: 2-line block ×4, first 2 shown]
	v_cndmask_b32_e32 v8, v8, v21, vcc_lo
	v_cndmask_b32_e32 v12, v12, v22, vcc_lo
	;; [unrolled: 1-line block ×3, first 2 shown]
	s_delay_alu instid0(VALU_DEP_4)
	v_cndmask_b32_e32 v20, v20, v24, vcc_lo
	ds_store_b128 v4, v[5:8]
	ds_store_b128 v4, v[9:12] offset:256
	ds_store_b128 v4, v[13:16] offset:512
	ds_store_b128 v4, v[17:20] offset:768
	v_add_nc_u32_e32 v4, 0x400, v4
	s_cbranch_scc0 .LBB217_3
.LBB217_4:
	s_and_b32 s24, s18, 3
	s_delay_alu instid0(SALU_CYCLE_1)
	s_cmp_eq_u32 s24, 0
	s_cbranch_scc1 .LBB217_7
; %bb.5:
	s_mul_i32 s2, s21, s3
	s_mul_hi_u32 s25, s20, s3
	s_mul_i32 s26, s20, s3
	s_add_i32 s27, s25, s2
	s_lshl_b64 s[10:11], s[10:11], 4
	s_lshl_b64 s[26:27], s[26:27], 4
	s_delay_alu instid0(SALU_CYCLE_1)
	s_add_u32 s2, s26, s10
	s_addc_u32 s10, s27, s11
	s_waitcnt lgkmcnt(0)
	s_add_u32 s2, s8, s2
	s_addc_u32 s8, s9, s10
	v_add_co_u32 v1, s2, s2, v3
	s_delay_alu instid0(VALU_DEP_1) | instskip(SKIP_1) | instid1(VALU_DEP_3)
	v_add_co_ci_u32_e64 v2, null, s8, 0, s2
	v_lshl_or_b32 v3, s3, 8, v3
	v_add_co_u32 v1, s2, v1, 8
	s_delay_alu instid0(VALU_DEP_1)
	v_add_co_ci_u32_e64 v2, s2, 0, v2, s2
	s_lshl_b64 s[8:9], s[20:21], 4
.LBB217_6:                              ; =>This Inner Loop Header: Depth=1
	global_load_b128 v[4:7], v[1:2], off offset:-8
	v_add_co_u32 v1, s2, v1, s8
	s_delay_alu instid0(VALU_DEP_1) | instskip(SKIP_1) | instid1(SALU_CYCLE_1)
	v_add_co_ci_u32_e64 v2, s2, s9, v2, s2
	s_add_i32 s24, s24, -1
	s_cmp_lg_u32 s24, 0
	s_waitcnt vmcnt(0)
	v_xor_b32_e32 v8, 0x80000000, v7
	s_delay_alu instid0(VALU_DEP_1)
	v_cndmask_b32_e32 v7, v7, v8, vcc_lo
	ds_store_b128 v3, v[4:7]
	v_add_nc_u32_e32 v3, 0x100, v3
	s_cbranch_scc1 .LBB217_6
.LBB217_7:
	v_mul_u32_u24_e32 v1, 17, v0
	s_cmpk_lg_i32 s17, 0x84
	s_delay_alu instid0(VALU_DEP_1)
	v_lshlrev_b32_e32 v9, 4, v1
	s_cbranch_scc0 .LBB217_13
; %bb.8:
	ds_load_b128 v[1:4], v9
	s_waitcnt lgkmcnt(0)
	v_cmp_gt_f64_e32 vcc_lo, 0, v[1:2]
	v_xor_b32_e32 v6, 0x80000000, v2
	v_mov_b32_e32 v5, v1
	v_xor_b32_e32 v7, 0x80000000, v4
	s_delay_alu instid0(VALU_DEP_3) | instskip(SKIP_1) | instid1(VALU_DEP_3)
	v_cndmask_b32_e32 v6, v2, v6, vcc_lo
	v_cmp_gt_f64_e32 vcc_lo, 0, v[3:4]
	v_dual_cndmask_b32 v8, v4, v7 :: v_dual_mov_b32 v7, v3
	s_delay_alu instid0(VALU_DEP_1) | instskip(SKIP_1) | instid1(SALU_CYCLE_1)
	v_cmp_ngt_f64_e32 vcc_lo, v[5:6], v[7:8]
                                        ; implicit-def: $vgpr7_vgpr8
	s_and_saveexec_b32 s2, vcc_lo
	s_xor_b32 s2, exec_lo, s2
	s_cbranch_execz .LBB217_10
; %bb.9:
	v_div_scale_f64 v[5:6], null, v[3:4], v[3:4], v[1:2]
	v_div_scale_f64 v[12:13], vcc_lo, v[1:2], v[3:4], v[1:2]
	s_delay_alu instid0(VALU_DEP_2) | instskip(SKIP_2) | instid1(VALU_DEP_1)
	v_rcp_f64_e32 v[7:8], v[5:6]
	s_waitcnt_depctr 0xfff
	v_fma_f64 v[10:11], -v[5:6], v[7:8], 1.0
	v_fma_f64 v[7:8], v[7:8], v[10:11], v[7:8]
	s_delay_alu instid0(VALU_DEP_1) | instskip(NEXT) | instid1(VALU_DEP_1)
	v_fma_f64 v[10:11], -v[5:6], v[7:8], 1.0
	v_fma_f64 v[7:8], v[7:8], v[10:11], v[7:8]
	s_delay_alu instid0(VALU_DEP_1) | instskip(NEXT) | instid1(VALU_DEP_1)
	v_mul_f64 v[10:11], v[12:13], v[7:8]
	v_fma_f64 v[5:6], -v[5:6], v[10:11], v[12:13]
	s_delay_alu instid0(VALU_DEP_1) | instskip(NEXT) | instid1(VALU_DEP_1)
	v_div_fmas_f64 v[5:6], v[5:6], v[7:8], v[10:11]
	v_div_fixup_f64 v[5:6], v[5:6], v[3:4], v[1:2]
	s_delay_alu instid0(VALU_DEP_1) | instskip(NEXT) | instid1(VALU_DEP_1)
	v_fma_f64 v[1:2], v[1:2], v[5:6], v[3:4]
	v_div_scale_f64 v[3:4], null, v[1:2], v[1:2], 1.0
	v_div_scale_f64 v[12:13], vcc_lo, 1.0, v[1:2], 1.0
	s_delay_alu instid0(VALU_DEP_2) | instskip(SKIP_2) | instid1(VALU_DEP_1)
	v_rcp_f64_e32 v[7:8], v[3:4]
	s_waitcnt_depctr 0xfff
	v_fma_f64 v[10:11], -v[3:4], v[7:8], 1.0
	v_fma_f64 v[7:8], v[7:8], v[10:11], v[7:8]
	s_delay_alu instid0(VALU_DEP_1) | instskip(NEXT) | instid1(VALU_DEP_1)
	v_fma_f64 v[10:11], -v[3:4], v[7:8], 1.0
	v_fma_f64 v[7:8], v[7:8], v[10:11], v[7:8]
	s_delay_alu instid0(VALU_DEP_1) | instskip(NEXT) | instid1(VALU_DEP_1)
	v_mul_f64 v[10:11], v[12:13], v[7:8]
	v_fma_f64 v[3:4], -v[3:4], v[10:11], v[12:13]
	s_delay_alu instid0(VALU_DEP_1) | instskip(SKIP_1) | instid1(VALU_DEP_2)
	v_div_fmas_f64 v[3:4], v[3:4], v[7:8], v[10:11]
	v_add_f64 v[7:8], v[5:6], 0
	v_div_fixup_f64 v[1:2], v[3:4], v[1:2], 1.0
	v_fma_f64 v[3:4], v[5:6], 0, -1.0
	s_delay_alu instid0(VALU_DEP_2) | instskip(NEXT) | instid1(VALU_DEP_2)
	v_mul_f64 v[5:6], v[7:8], v[1:2]
	v_mul_f64 v[7:8], v[3:4], v[1:2]
                                        ; implicit-def: $vgpr1_vgpr2
.LBB217_10:
	s_and_not1_saveexec_b32 s2, s2
	s_cbranch_execz .LBB217_12
; %bb.11:
	v_div_scale_f64 v[5:6], null, v[1:2], v[1:2], v[3:4]
	v_div_scale_f64 v[12:13], vcc_lo, v[3:4], v[1:2], v[3:4]
	s_delay_alu instid0(VALU_DEP_2) | instskip(SKIP_2) | instid1(VALU_DEP_1)
	v_rcp_f64_e32 v[7:8], v[5:6]
	s_waitcnt_depctr 0xfff
	v_fma_f64 v[10:11], -v[5:6], v[7:8], 1.0
	v_fma_f64 v[7:8], v[7:8], v[10:11], v[7:8]
	s_delay_alu instid0(VALU_DEP_1) | instskip(NEXT) | instid1(VALU_DEP_1)
	v_fma_f64 v[10:11], -v[5:6], v[7:8], 1.0
	v_fma_f64 v[7:8], v[7:8], v[10:11], v[7:8]
	s_delay_alu instid0(VALU_DEP_1) | instskip(NEXT) | instid1(VALU_DEP_1)
	v_mul_f64 v[10:11], v[12:13], v[7:8]
	v_fma_f64 v[5:6], -v[5:6], v[10:11], v[12:13]
	s_delay_alu instid0(VALU_DEP_1) | instskip(NEXT) | instid1(VALU_DEP_1)
	v_div_fmas_f64 v[5:6], v[5:6], v[7:8], v[10:11]
	v_div_fixup_f64 v[5:6], v[5:6], v[1:2], v[3:4]
	s_delay_alu instid0(VALU_DEP_1) | instskip(NEXT) | instid1(VALU_DEP_1)
	v_fma_f64 v[1:2], v[3:4], v[5:6], v[1:2]
	v_div_scale_f64 v[3:4], null, v[1:2], v[1:2], 1.0
	v_div_scale_f64 v[12:13], vcc_lo, 1.0, v[1:2], 1.0
	s_delay_alu instid0(VALU_DEP_2) | instskip(SKIP_2) | instid1(VALU_DEP_1)
	v_rcp_f64_e32 v[7:8], v[3:4]
	s_waitcnt_depctr 0xfff
	v_fma_f64 v[10:11], -v[3:4], v[7:8], 1.0
	v_fma_f64 v[7:8], v[7:8], v[10:11], v[7:8]
	s_delay_alu instid0(VALU_DEP_1) | instskip(NEXT) | instid1(VALU_DEP_1)
	v_fma_f64 v[10:11], -v[3:4], v[7:8], 1.0
	v_fma_f64 v[7:8], v[7:8], v[10:11], v[7:8]
	s_delay_alu instid0(VALU_DEP_1) | instskip(NEXT) | instid1(VALU_DEP_1)
	v_mul_f64 v[10:11], v[12:13], v[7:8]
	v_fma_f64 v[3:4], -v[3:4], v[10:11], v[12:13]
	s_delay_alu instid0(VALU_DEP_1) | instskip(SKIP_1) | instid1(VALU_DEP_2)
	v_div_fmas_f64 v[3:4], v[3:4], v[7:8], v[10:11]
	v_fma_f64 v[7:8], v[5:6], 0, 1.0
	v_div_fixup_f64 v[1:2], v[3:4], v[1:2], 1.0
	v_add_f64 v[3:4], -v[5:6], 0
	s_delay_alu instid0(VALU_DEP_2) | instskip(NEXT) | instid1(VALU_DEP_2)
	v_mul_f64 v[5:6], v[7:8], v[1:2]
	v_mul_f64 v[7:8], v[3:4], v[1:2]
.LBB217_12:
	s_or_b32 exec_lo, exec_lo, s2
	s_branch .LBB217_14
.LBB217_13:
	v_mov_b32_e32 v5, 0
	v_dual_mov_b32 v6, 0x3ff00000 :: v_dual_mov_b32 v7, 0
	v_mov_b32_e32 v8, 0
.LBB217_14:
	ds_store_b128 v9, v[5:8]
.LBB217_15:
	s_or_b32 exec_lo, exec_lo, s29
	s_lshl_b32 s3, s14, 4
	s_add_i32 s15, s15, -1
	s_sub_i32 s2, s19, s3
	s_cmp_ge_u32 s14, s15
	s_waitcnt lgkmcnt(0)
	s_cselect_b32 s2, s2, 16
	; wave barrier
	buffer_gl0_inv
	v_cmp_gt_i32_e32 vcc_lo, s2, v0
	s_mov_b32 s2, -1
	s_and_saveexec_b32 s8, vcc_lo
	s_cbranch_execz .LBB217_58
; %bb.16:
	s_load_b32 s0, s[0:1], 0x58
	v_add_nc_u32_e32 v2, s3, v0
	s_waitcnt lgkmcnt(0)
	s_delay_alu instid0(VALU_DEP_1) | instskip(SKIP_1) | instid1(SALU_CYCLE_1)
	v_mad_i64_i32 v[0:1], null, s0, v2, 0
	s_lshl_b64 s[0:1], s[22:23], 4
	s_add_u32 s3, s12, s0
	s_addc_u32 s8, s13, s1
	s_or_b32 s17, 0, 8
	s_cmpk_eq_i32 s16, 0x6f
	s_delay_alu instid0(VALU_DEP_1) | instskip(NEXT) | instid1(VALU_DEP_1)
	v_lshlrev_b64 v[4:5], 4, v[0:1]
	v_add_co_u32 v6, vcc_lo, s3, v4
	s_delay_alu instid0(VALU_DEP_2)
	v_add_co_ci_u32_e32 v7, vcc_lo, s8, v5, vcc_lo
	s_cbranch_scc1 .LBB217_37
; %bb.17:
	s_add_u32 s2, s12, s0
	s_addc_u32 s3, s13, s1
	v_add_co_u32 v0, vcc_lo, s2, v4
	v_add_co_ci_u32_e32 v1, vcc_lo, s3, v5, vcc_lo
	s_lshl_b32 s16, s18, 4
	s_delay_alu instid0(VALU_DEP_2) | instskip(NEXT) | instid1(VALU_DEP_2)
	v_add_co_u32 v8, vcc_lo, v0, 8
	v_add_co_ci_u32_e32 v9, vcc_lo, 0, v1, vcc_lo
	s_mov_b32 s3, 0
	s_add_i32 s16, s16, -16
	s_mov_b32 s2, s3
	s_mov_b32 s8, s28
	s_branch .LBB217_19
.LBB217_18:                             ;   in Loop: Header=BB217_19 Depth=1
	s_cmp_lt_i32 s8, 0
	s_cselect_b32 s9, -1, 0
	s_add_i32 s2, s2, 1
	s_delay_alu instid0(SALU_CYCLE_1) | instskip(SKIP_1) | instid1(SALU_CYCLE_1)
	s_cmp_eq_u32 s2, 3
	s_cselect_b32 s10, -1, 0
	s_or_b32 s9, s9, s10
	s_delay_alu instid0(SALU_CYCLE_1)
	s_and_not1_b32 vcc_lo, exec_lo, s9
	s_cbranch_vccz .LBB217_36
.LBB217_19:                             ; =>This Loop Header: Depth=1
                                        ;     Child Loop BB217_22 Depth 2
                                        ;       Child Loop BB217_23 Depth 3
                                        ;       Child Loop BB217_25 Depth 3
                                        ;         Child Loop BB217_26 Depth 4
                                        ;       Child Loop BB217_30 Depth 3
                                        ;         Child Loop BB217_32 Depth 4
	s_getpc_b64 s[10:11]
	s_add_u32 s10, s10, __const._ZL30rocblas_trsm_small_left_deviceILi16ELi16ELb1E19rocblas_complex_numIdES1_PKPKS1_PKPS1_Ev13rocblas_fill_18rocblas_operation_17rocblas_diagonal_iiT3_T4_lilT5_lili.step_sizes@rel32@lo+4
	s_addc_u32 s11, s11, __const._ZL30rocblas_trsm_small_left_deviceILi16ELi16ELb1E19rocblas_complex_numIdES1_PKPKS1_PKPS1_Ev13rocblas_fill_18rocblas_operation_17rocblas_diagonal_iiT3_T4_lilT5_lili.step_sizes@rel32@hi+12
	s_lshl_b64 s[14:15], s[2:3], 2
	s_delay_alu instid0(SALU_CYCLE_1) | instskip(SKIP_4) | instid1(SALU_CYCLE_1)
	s_add_u32 s10, s14, s10
	s_addc_u32 s11, s15, s11
	s_load_b32 s19, s[10:11], 0x0
	s_waitcnt lgkmcnt(0)
	s_add_i32 s20, s19, -1
	s_cmp_lt_i32 s8, s20
	s_cbranch_scc1 .LBB217_18
; %bb.20:                               ;   in Loop: Header=BB217_19 Depth=1
	s_lshl_b32 s9, s8, 8
	s_lshl_b32 s10, s19, 8
	s_max_i32 s21, s19, 1
	s_add_i32 s22, s16, s9
	s_sub_i32 s23, 0, s10
	s_mul_i32 s24, s8, 0x110
	s_mul_i32 s25, s19, 0xfffffef0
	s_branch .LBB217_22
.LBB217_21:                             ;   in Loop: Header=BB217_22 Depth=2
	s_sub_i32 s8, s8, s19
	s_add_i32 s22, s22, s23
	s_add_i32 s24, s24, s25
	s_cmp_lt_i32 s8, s20
	s_cbranch_scc1 .LBB217_18
.LBB217_22:                             ;   Parent Loop BB217_19 Depth=1
                                        ; =>  This Loop Header: Depth=2
                                        ;       Child Loop BB217_23 Depth 3
                                        ;       Child Loop BB217_25 Depth 3
                                        ;         Child Loop BB217_26 Depth 4
                                        ;       Child Loop BB217_30 Depth 3
                                        ;         Child Loop BB217_32 Depth 4
	s_ashr_i32 s9, s8, 31
	s_delay_alu instid0(SALU_CYCLE_1) | instskip(NEXT) | instid1(SALU_CYCLE_1)
	s_lshl_b64 s[10:11], s[8:9], 4
	v_add_co_u32 v0, vcc_lo, v8, s10
	v_add_co_ci_u32_e32 v1, vcc_lo, s11, v9, vcc_lo
	s_mov_b32 s10, 8
	s_mov_b32 s11, s21
	.p2align	6
.LBB217_23:                             ;   Parent Loop BB217_19 Depth=1
                                        ;     Parent Loop BB217_22 Depth=2
                                        ; =>    This Inner Loop Header: Depth=3
	global_load_b128 v[10:13], v[0:1], off offset:-8
	v_add_co_u32 v0, vcc_lo, v0, -16
	v_add_co_ci_u32_e32 v1, vcc_lo, -1, v1, vcc_lo
	s_add_i32 s11, s11, -1
	s_add_i32 s14, s10, 0
	s_add_i32 s10, s10, 16
	s_cmp_eq_u32 s11, 0
	s_waitcnt vmcnt(0)
	v_mul_f64 v[2:3], s[6:7], v[12:13]
	v_mul_f64 v[14:15], s[4:5], v[12:13]
	s_delay_alu instid0(VALU_DEP_2) | instskip(NEXT) | instid1(VALU_DEP_2)
	v_fma_f64 v[12:13], s[4:5], v[10:11], -v[2:3]
	v_fma_f64 v[14:15], s[6:7], v[10:11], v[14:15]
	scratch_store_b128 off, v[12:15], s14 offset:-8
	s_cbranch_scc0 .LBB217_23
; %bb.24:                               ;   in Loop: Header=BB217_22 Depth=2
	s_cmp_le_i32 s28, s8
	s_mov_b32 s14, s22
	s_mov_b32 s10, s28
	s_cbranch_scc1 .LBB217_28
	.p2align	6
.LBB217_25:                             ;   Parent Loop BB217_19 Depth=1
                                        ;     Parent Loop BB217_22 Depth=2
                                        ; =>    This Loop Header: Depth=3
                                        ;         Child Loop BB217_26 Depth 4
	s_ashr_i32 s11, s10, 31
	s_mov_b32 s15, s14
	s_lshl_b64 s[26:27], s[10:11], 4
	s_mov_b32 s11, s17
	v_add_co_u32 v0, vcc_lo, v6, s26
	v_add_co_ci_u32_e32 v1, vcc_lo, s27, v7, vcc_lo
	s_mov_b32 s26, s21
	global_load_b128 v[0:3], v[0:1], off
	.p2align	6
.LBB217_26:                             ;   Parent Loop BB217_19 Depth=1
                                        ;     Parent Loop BB217_22 Depth=2
                                        ;       Parent Loop BB217_25 Depth=3
                                        ; =>      This Inner Loop Header: Depth=4
	scratch_load_b128 v[10:13], off, s11 offset:-8
	v_mov_b32_e32 v14, s15
	s_add_i32 s26, s26, -1
	s_addk_i32 s15, 0xff00
	ds_load_b128 v[14:17], v14
	s_waitcnt vmcnt(1) lgkmcnt(0)
	v_mul_f64 v[18:19], v[2:3], v[16:17]
	v_mul_f64 v[16:17], v[0:1], v[16:17]
	s_delay_alu instid0(VALU_DEP_2) | instskip(NEXT) | instid1(VALU_DEP_2)
	v_fma_f64 v[18:19], v[0:1], v[14:15], -v[18:19]
	v_fma_f64 v[14:15], v[2:3], v[14:15], v[16:17]
	s_waitcnt vmcnt(0)
	s_delay_alu instid0(VALU_DEP_2) | instskip(NEXT) | instid1(VALU_DEP_2)
	v_add_f64 v[10:11], v[10:11], -v[18:19]
	v_add_f64 v[12:13], v[12:13], -v[14:15]
	scratch_store_b128 off, v[10:13], s11 offset:-8
	s_add_i32 s11, s11, 16
	s_cmp_eq_u32 s26, 0
	s_cbranch_scc0 .LBB217_26
; %bb.27:                               ;   in Loop: Header=BB217_25 Depth=3
	s_add_i32 s10, s10, -1
	s_add_i32 s14, s14, -16
	s_cmp_le_i32 s10, s8
	s_cbranch_scc0 .LBB217_25
.LBB217_28:                             ;   in Loop: Header=BB217_22 Depth=2
	s_mov_b32 s26, 0
	s_mov_b32 s27, s24
	s_branch .LBB217_30
.LBB217_29:                             ;   in Loop: Header=BB217_30 Depth=3
	s_mulk_i32 s14, 0x110
	s_lshl_b64 s[10:11], s[10:11], 4
	v_mov_b32_e32 v10, s14
	s_lshl_b32 s14, s26, 4
	s_add_i32 s26, s26, 1
	s_addk_i32 s27, 0xff00
	ds_load_b128 v[10:13], v10
	s_waitcnt vmcnt(0) lgkmcnt(0)
	v_mul_f64 v[14:15], v[12:13], v[2:3]
	v_mul_f64 v[2:3], v[10:11], v[2:3]
	s_delay_alu instid0(VALU_DEP_2) | instskip(NEXT) | instid1(VALU_DEP_2)
	v_fma_f64 v[10:11], v[10:11], v[0:1], -v[14:15]
	v_fma_f64 v[12:13], v[12:13], v[0:1], v[2:3]
	v_add_co_u32 v0, vcc_lo, v6, s10
	v_add_co_ci_u32_e32 v1, vcc_lo, s11, v7, vcc_lo
	s_add_i32 s10, s14, 0
	s_cmp_eq_u32 s26, s21
	scratch_store_b128 off, v[10:13], s10
	global_store_b128 v[0:1], v[10:13], off
	s_cbranch_scc1 .LBB217_21
.LBB217_30:                             ;   Parent Loop BB217_19 Depth=1
                                        ;     Parent Loop BB217_22 Depth=2
                                        ; =>    This Loop Header: Depth=3
                                        ;         Child Loop BB217_32 Depth 4
	s_cmp_lg_u32 s26, 0
	s_cbranch_scc0 .LBB217_34
; %bb.31:                               ;   in Loop: Header=BB217_30 Depth=3
	s_lshl_b32 s10, s26, 4
	s_mov_b32 s14, s27
	s_add_i32 s11, s10, 0
	v_add_nc_u32_e64 v10, s10, 0
	scratch_load_b128 v[0:3], off, s11
	s_mov_b32 s10, 0
	s_mov_b32 s11, s17
	.p2align	6
.LBB217_32:                             ;   Parent Loop BB217_19 Depth=1
                                        ;     Parent Loop BB217_22 Depth=2
                                        ;       Parent Loop BB217_30 Depth=3
                                        ; =>      This Inner Loop Header: Depth=4
	scratch_load_b128 v[11:14], off, s11 offset:-8
	v_mov_b32_e32 v15, s14
	s_add_i32 s10, s10, 1
	s_add_i32 s14, s14, -16
	s_add_i32 s11, s11, 16
	s_cmp_ge_u32 s10, s26
	ds_load_b128 v[15:18], v15
	s_waitcnt vmcnt(0) lgkmcnt(0)
	v_mul_f64 v[19:20], v[17:18], v[13:14]
	v_mul_f64 v[13:14], v[15:16], v[13:14]
	s_delay_alu instid0(VALU_DEP_2) | instskip(NEXT) | instid1(VALU_DEP_2)
	v_fma_f64 v[15:16], v[15:16], v[11:12], -v[19:20]
	v_fma_f64 v[11:12], v[17:18], v[11:12], v[13:14]
	s_delay_alu instid0(VALU_DEP_2) | instskip(NEXT) | instid1(VALU_DEP_2)
	v_add_f64 v[0:1], v[0:1], -v[15:16]
	v_add_f64 v[2:3], v[2:3], -v[11:12]
	scratch_store_b128 v10, v[0:3], off
	s_cbranch_scc0 .LBB217_32
; %bb.33:                               ;   in Loop: Header=BB217_30 Depth=3
	s_sub_i32 s14, s8, s26
	s_delay_alu instid0(SALU_CYCLE_1) | instskip(NEXT) | instid1(SALU_CYCLE_1)
	s_ashr_i32 s15, s14, 31
	s_mov_b64 s[10:11], s[14:15]
	s_branch .LBB217_29
.LBB217_34:                             ;   in Loop: Header=BB217_30 Depth=3
                                        ; implicit-def: $vgpr0_vgpr1
                                        ; implicit-def: $sgpr14
                                        ; implicit-def: $sgpr10_sgpr11
	s_cbranch_execz .LBB217_29
; %bb.35:                               ;   in Loop: Header=BB217_30 Depth=3
	scratch_load_b128 v[0:3], off, off
	s_mov_b64 s[10:11], s[8:9]
	s_mov_b32 s14, s8
	s_branch .LBB217_29
.LBB217_36:
	s_mov_b32 s2, 0
.LBB217_37:
	s_delay_alu instid0(SALU_CYCLE_1)
	s_and_b32 vcc_lo, exec_lo, s2
	s_cbranch_vccz .LBB217_58
; %bb.38:
	s_add_u32 s0, s12, s0
	s_addc_u32 s1, s13, s1
	v_add_co_u32 v0, vcc_lo, s0, v4
	v_add_co_ci_u32_e32 v1, vcc_lo, s1, v5, vcc_lo
	s_mov_b32 s1, 0
	s_delay_alu instid0(VALU_DEP_2) | instskip(NEXT) | instid1(VALU_DEP_2)
	v_add_co_u32 v8, vcc_lo, v0, 8
	v_add_co_ci_u32_e32 v9, vcc_lo, 0, v1, vcc_lo
	s_mov_b32 s2, s1
	s_mov_b32 s8, s1
	s_branch .LBB217_40
.LBB217_39:                             ;   in Loop: Header=BB217_40 Depth=1
	s_cmp_ge_i32 s2, s18
	s_cselect_b32 s0, -1, 0
	s_add_i32 s8, s8, 1
	s_delay_alu instid0(SALU_CYCLE_1) | instskip(SKIP_1) | instid1(SALU_CYCLE_1)
	s_cmp_eq_u32 s8, 3
	s_cselect_b32 s3, -1, 0
	s_or_b32 s0, s0, s3
	s_delay_alu instid0(SALU_CYCLE_1)
	s_and_b32 vcc_lo, exec_lo, s0
	s_cbranch_vccnz .LBB217_58
.LBB217_40:                             ; =>This Loop Header: Depth=1
                                        ;     Child Loop BB217_43 Depth 2
                                        ;       Child Loop BB217_44 Depth 3
                                        ;       Child Loop BB217_47 Depth 3
                                        ;         Child Loop BB217_48 Depth 4
                                        ;       Child Loop BB217_52 Depth 3
                                        ;         Child Loop BB217_54 Depth 4
	s_mov_b32 s9, s1
	s_getpc_b64 s[10:11]
	s_add_u32 s10, s10, __const._ZL30rocblas_trsm_small_left_deviceILi16ELi16ELb1E19rocblas_complex_numIdES1_PKPKS1_PKPS1_Ev13rocblas_fill_18rocblas_operation_17rocblas_diagonal_iiT3_T4_lilT5_lili.step_sizes@rel32@lo+4
	s_addc_u32 s11, s11, __const._ZL30rocblas_trsm_small_left_deviceILi16ELi16ELb1E19rocblas_complex_numIdES1_PKPKS1_PKPS1_Ev13rocblas_fill_18rocblas_operation_17rocblas_diagonal_iiT3_T4_lilT5_lili.step_sizes@rel32@hi+12
	s_lshl_b64 s[12:13], s[8:9], 2
	s_delay_alu instid0(SALU_CYCLE_1) | instskip(SKIP_4) | instid1(SALU_CYCLE_1)
	s_add_u32 s10, s12, s10
	s_addc_u32 s11, s13, s11
	s_load_b32 s10, s[10:11], 0x0
	s_waitcnt lgkmcnt(0)
	s_add_i32 s9, s10, -1
	s_add_i32 s0, s9, s2
	s_delay_alu instid0(SALU_CYCLE_1)
	s_cmp_ge_i32 s0, s18
	s_cbranch_scc1 .LBB217_39
; %bb.41:                               ;   in Loop: Header=BB217_40 Depth=1
	s_ashr_i32 s3, s2, 31
	s_ashr_i32 s11, s10, 31
	s_lshl_b64 s[12:13], s[2:3], 4
	s_max_i32 s16, s10, 1
	v_add_co_u32 v4, vcc_lo, v8, s12
	v_add_co_ci_u32_e32 v5, vcc_lo, s13, v9, vcc_lo
	s_lshl_b64 s[12:13], s[10:11], 4
	s_lshl_b32 s3, s2, 4
	s_lshl_b32 s11, s10, 4
	s_mul_i32 s19, s2, 0x110
	s_mul_i32 s20, s10, 0x110
	s_branch .LBB217_43
.LBB217_42:                             ;   in Loop: Header=BB217_43 Depth=2
	v_add_co_u32 v4, vcc_lo, v4, s12
	s_add_i32 s2, s2, s10
	v_add_co_ci_u32_e32 v5, vcc_lo, s13, v5, vcc_lo
	s_add_i32 s0, s9, s2
	s_add_i32 s3, s3, s11
	;; [unrolled: 1-line block ×3, first 2 shown]
	s_cmp_ge_i32 s0, s18
	s_cbranch_scc1 .LBB217_39
.LBB217_43:                             ;   Parent Loop BB217_40 Depth=1
                                        ; =>  This Loop Header: Depth=2
                                        ;       Child Loop BB217_44 Depth 3
                                        ;       Child Loop BB217_47 Depth 3
                                        ;         Child Loop BB217_48 Depth 4
                                        ;       Child Loop BB217_52 Depth 3
                                        ;         Child Loop BB217_54 Depth 4
	v_dual_mov_b32 v0, v4 :: v_dual_mov_b32 v1, v5
	s_mov_b32 s0, 8
	s_mov_b32 s14, s16
	.p2align	6
.LBB217_44:                             ;   Parent Loop BB217_40 Depth=1
                                        ;     Parent Loop BB217_43 Depth=2
                                        ; =>    This Inner Loop Header: Depth=3
	global_load_b128 v[10:13], v[0:1], off offset:-8
	v_add_co_u32 v0, vcc_lo, v0, 16
	v_add_co_ci_u32_e32 v1, vcc_lo, 0, v1, vcc_lo
	s_add_i32 s14, s14, -1
	s_add_i32 s15, s0, 0
	s_add_i32 s0, s0, 16
	s_cmp_eq_u32 s14, 0
	s_waitcnt vmcnt(0)
	v_mul_f64 v[2:3], s[6:7], v[12:13]
	v_mul_f64 v[14:15], s[4:5], v[12:13]
	s_delay_alu instid0(VALU_DEP_2) | instskip(NEXT) | instid1(VALU_DEP_2)
	v_fma_f64 v[12:13], s[4:5], v[10:11], -v[2:3]
	v_fma_f64 v[14:15], s[6:7], v[10:11], v[14:15]
	scratch_store_b128 off, v[12:15], s15 offset:-8
	s_cbranch_scc0 .LBB217_44
; %bb.45:                               ;   in Loop: Header=BB217_43 Depth=2
	s_cmp_lt_i32 s2, 1
	s_cbranch_scc1 .LBB217_50
; %bb.46:                               ;   in Loop: Header=BB217_43 Depth=2
	s_mov_b32 s0, 0
	s_mov_b32 s14, s3
	s_set_inst_prefetch_distance 0x1
	.p2align	6
.LBB217_47:                             ;   Parent Loop BB217_40 Depth=1
                                        ;     Parent Loop BB217_43 Depth=2
                                        ; =>    This Loop Header: Depth=3
                                        ;         Child Loop BB217_48 Depth 4
	s_lshl_b64 s[22:23], s[0:1], 4
	s_mov_b32 s15, s17
	v_add_co_u32 v0, vcc_lo, v6, s22
	v_add_co_ci_u32_e32 v1, vcc_lo, s23, v7, vcc_lo
	s_mov_b32 s21, s14
	s_mov_b32 s22, s16
	global_load_b128 v[0:3], v[0:1], off
	.p2align	6
.LBB217_48:                             ;   Parent Loop BB217_40 Depth=1
                                        ;     Parent Loop BB217_43 Depth=2
                                        ;       Parent Loop BB217_47 Depth=3
                                        ; =>      This Inner Loop Header: Depth=4
	scratch_load_b128 v[10:13], off, s15 offset:-8
	v_mov_b32_e32 v14, s21
	s_add_i32 s22, s22, -1
	s_add_i32 s21, s21, 16
	ds_load_b128 v[14:17], v14
	s_waitcnt vmcnt(1) lgkmcnt(0)
	v_mul_f64 v[18:19], v[2:3], v[16:17]
	v_mul_f64 v[16:17], v[0:1], v[16:17]
	s_delay_alu instid0(VALU_DEP_2) | instskip(NEXT) | instid1(VALU_DEP_2)
	v_fma_f64 v[18:19], v[0:1], v[14:15], -v[18:19]
	v_fma_f64 v[14:15], v[2:3], v[14:15], v[16:17]
	s_waitcnt vmcnt(0)
	s_delay_alu instid0(VALU_DEP_2) | instskip(NEXT) | instid1(VALU_DEP_2)
	v_add_f64 v[10:11], v[10:11], -v[18:19]
	v_add_f64 v[12:13], v[12:13], -v[14:15]
	scratch_store_b128 off, v[10:13], s15 offset:-8
	s_add_i32 s15, s15, 16
	s_cmp_eq_u32 s22, 0
	s_cbranch_scc0 .LBB217_48
; %bb.49:                               ;   in Loop: Header=BB217_47 Depth=3
	s_add_i32 s0, s0, 1
	s_addk_i32 s14, 0x100
	s_cmp_ge_i32 s0, s2
	s_cbranch_scc0 .LBB217_47
.LBB217_50:                             ;   in Loop: Header=BB217_43 Depth=2
	s_set_inst_prefetch_distance 0x2
	s_mov_b32 s0, 0
	s_mov_b32 s21, s19
	s_branch .LBB217_52
.LBB217_51:                             ;   in Loop: Header=BB217_52 Depth=3
	s_mul_i32 s15, s14, 0x110
	s_lshl_b32 s22, s0, 4
	v_mov_b32_e32 v10, s15
	s_ashr_i32 s15, s14, 31
	s_add_i32 s0, s0, 1
	s_lshl_b64 s[14:15], s[14:15], 4
	s_add_i32 s21, s21, 16
	ds_load_b128 v[10:13], v10
	s_waitcnt vmcnt(0) lgkmcnt(0)
	v_mul_f64 v[14:15], v[12:13], v[2:3]
	v_mul_f64 v[2:3], v[10:11], v[2:3]
	s_delay_alu instid0(VALU_DEP_2) | instskip(NEXT) | instid1(VALU_DEP_2)
	v_fma_f64 v[10:11], v[10:11], v[0:1], -v[14:15]
	v_fma_f64 v[12:13], v[12:13], v[0:1], v[2:3]
	v_add_co_u32 v0, vcc_lo, v6, s14
	v_add_co_ci_u32_e32 v1, vcc_lo, s15, v7, vcc_lo
	s_add_i32 s14, s22, 0
	s_cmp_eq_u32 s0, s16
	scratch_store_b128 off, v[10:13], s14
	global_store_b128 v[0:1], v[10:13], off
	s_cbranch_scc1 .LBB217_42
.LBB217_52:                             ;   Parent Loop BB217_40 Depth=1
                                        ;     Parent Loop BB217_43 Depth=2
                                        ; =>    This Loop Header: Depth=3
                                        ;         Child Loop BB217_54 Depth 4
	s_cmp_lg_u32 s0, 0
	s_cbranch_scc0 .LBB217_56
; %bb.53:                               ;   in Loop: Header=BB217_52 Depth=3
	s_lshl_b32 s15, s0, 4
	s_mov_b32 s22, s17
	s_add_i32 s14, s15, 0
	v_add_nc_u32_e64 v10, s15, 0
	scratch_load_b128 v[0:3], off, s14
	s_add_i32 s14, s0, s2
	s_mov_b32 s15, 0
	s_mov_b32 s23, s21
	.p2align	6
.LBB217_54:                             ;   Parent Loop BB217_40 Depth=1
                                        ;     Parent Loop BB217_43 Depth=2
                                        ;       Parent Loop BB217_52 Depth=3
                                        ; =>      This Inner Loop Header: Depth=4
	scratch_load_b128 v[11:14], off, s22 offset:-8
	v_mov_b32_e32 v15, s23
	s_add_i32 s15, s15, 1
	s_addk_i32 s23, 0x100
	s_add_i32 s22, s22, 16
	s_cmp_ge_u32 s15, s0
	ds_load_b128 v[15:18], v15
	s_waitcnt vmcnt(0) lgkmcnt(0)
	v_mul_f64 v[19:20], v[17:18], v[13:14]
	v_mul_f64 v[13:14], v[15:16], v[13:14]
	s_delay_alu instid0(VALU_DEP_2) | instskip(NEXT) | instid1(VALU_DEP_2)
	v_fma_f64 v[15:16], v[15:16], v[11:12], -v[19:20]
	v_fma_f64 v[11:12], v[17:18], v[11:12], v[13:14]
	s_delay_alu instid0(VALU_DEP_2) | instskip(NEXT) | instid1(VALU_DEP_2)
	v_add_f64 v[0:1], v[0:1], -v[15:16]
	v_add_f64 v[2:3], v[2:3], -v[11:12]
	scratch_store_b128 v10, v[0:3], off
	s_cbranch_scc0 .LBB217_54
; %bb.55:                               ;   in Loop: Header=BB217_52 Depth=3
	s_branch .LBB217_51
.LBB217_56:                             ;   in Loop: Header=BB217_52 Depth=3
                                        ; implicit-def: $vgpr0_vgpr1
                                        ; implicit-def: $sgpr14
	s_cbranch_execz .LBB217_51
; %bb.57:                               ;   in Loop: Header=BB217_52 Depth=3
	scratch_load_b128 v[0:3], off, off
	s_mov_b32 s14, s2
	s_branch .LBB217_51
.LBB217_58:
	s_endpgm
	.section	.rodata,"a",@progbits
	.p2align	6, 0x0
	.amdhsa_kernel _ZL30rocblas_trsm_small_left_deviceILi16ELi16ELb1E19rocblas_complex_numIdES1_PKPKS1_PKPS1_Ev13rocblas_fill_18rocblas_operation_17rocblas_diagonal_iiT3_T4_lilT5_lili
		.amdhsa_group_segment_fixed_size 4096
		.amdhsa_private_segment_fixed_size 272
		.amdhsa_kernarg_size 368
		.amdhsa_user_sgpr_count 14
		.amdhsa_user_sgpr_dispatch_ptr 0
		.amdhsa_user_sgpr_queue_ptr 0
		.amdhsa_user_sgpr_kernarg_segment_ptr 1
		.amdhsa_user_sgpr_dispatch_id 0
		.amdhsa_user_sgpr_private_segment_size 0
		.amdhsa_wavefront_size32 1
		.amdhsa_uses_dynamic_stack 0
		.amdhsa_enable_private_segment 1
		.amdhsa_system_sgpr_workgroup_id_x 1
		.amdhsa_system_sgpr_workgroup_id_y 0
		.amdhsa_system_sgpr_workgroup_id_z 1
		.amdhsa_system_sgpr_workgroup_info 0
		.amdhsa_system_vgpr_workitem_id 0
		.amdhsa_next_free_vgpr 25
		.amdhsa_next_free_sgpr 31
		.amdhsa_reserve_vcc 1
		.amdhsa_float_round_mode_32 0
		.amdhsa_float_round_mode_16_64 0
		.amdhsa_float_denorm_mode_32 3
		.amdhsa_float_denorm_mode_16_64 3
		.amdhsa_dx10_clamp 1
		.amdhsa_ieee_mode 1
		.amdhsa_fp16_overflow 0
		.amdhsa_workgroup_processor_mode 1
		.amdhsa_memory_ordered 1
		.amdhsa_forward_progress 0
		.amdhsa_shared_vgpr_count 0
		.amdhsa_exception_fp_ieee_invalid_op 0
		.amdhsa_exception_fp_denorm_src 0
		.amdhsa_exception_fp_ieee_div_zero 0
		.amdhsa_exception_fp_ieee_overflow 0
		.amdhsa_exception_fp_ieee_underflow 0
		.amdhsa_exception_fp_ieee_inexact 0
		.amdhsa_exception_int_div_zero 0
	.end_amdhsa_kernel
	.section	.text._ZL30rocblas_trsm_small_left_deviceILi16ELi16ELb1E19rocblas_complex_numIdES1_PKPKS1_PKPS1_Ev13rocblas_fill_18rocblas_operation_17rocblas_diagonal_iiT3_T4_lilT5_lili,"axG",@progbits,_ZL30rocblas_trsm_small_left_deviceILi16ELi16ELb1E19rocblas_complex_numIdES1_PKPKS1_PKPS1_Ev13rocblas_fill_18rocblas_operation_17rocblas_diagonal_iiT3_T4_lilT5_lili,comdat
.Lfunc_end217:
	.size	_ZL30rocblas_trsm_small_left_deviceILi16ELi16ELb1E19rocblas_complex_numIdES1_PKPKS1_PKPS1_Ev13rocblas_fill_18rocblas_operation_17rocblas_diagonal_iiT3_T4_lilT5_lili, .Lfunc_end217-_ZL30rocblas_trsm_small_left_deviceILi16ELi16ELb1E19rocblas_complex_numIdES1_PKPKS1_PKPS1_Ev13rocblas_fill_18rocblas_operation_17rocblas_diagonal_iiT3_T4_lilT5_lili
                                        ; -- End function
	.section	.AMDGPU.csdata,"",@progbits
; Kernel info:
; codeLenInByte = 3168
; NumSgprs: 33
; NumVgprs: 25
; ScratchSize: 272
; MemoryBound: 0
; FloatMode: 240
; IeeeMode: 1
; LDSByteSize: 4096 bytes/workgroup (compile time only)
; SGPRBlocks: 4
; VGPRBlocks: 3
; NumSGPRsForWavesPerEU: 33
; NumVGPRsForWavesPerEU: 25
; Occupancy: 8
; WaveLimiterHint : 1
; COMPUTE_PGM_RSRC2:SCRATCH_EN: 1
; COMPUTE_PGM_RSRC2:USER_SGPR: 14
; COMPUTE_PGM_RSRC2:TRAP_HANDLER: 0
; COMPUTE_PGM_RSRC2:TGID_X_EN: 1
; COMPUTE_PGM_RSRC2:TGID_Y_EN: 0
; COMPUTE_PGM_RSRC2:TGID_Z_EN: 1
; COMPUTE_PGM_RSRC2:TIDIG_COMP_CNT: 0
	.section	.text._ZL31rocblas_trsm_small_right_deviceI19rocblas_complex_numIdES1_PKPKS1_PKPS1_Li16EEv13rocblas_fill_18rocblas_operation_17rocblas_diagonal_iiT0_T1_lilT2_lili,"axG",@progbits,_ZL31rocblas_trsm_small_right_deviceI19rocblas_complex_numIdES1_PKPKS1_PKPS1_Li16EEv13rocblas_fill_18rocblas_operation_17rocblas_diagonal_iiT0_T1_lilT2_lili,comdat
	.globl	_ZL31rocblas_trsm_small_right_deviceI19rocblas_complex_numIdES1_PKPKS1_PKPS1_Li16EEv13rocblas_fill_18rocblas_operation_17rocblas_diagonal_iiT0_T1_lilT2_lili ; -- Begin function _ZL31rocblas_trsm_small_right_deviceI19rocblas_complex_numIdES1_PKPKS1_PKPS1_Li16EEv13rocblas_fill_18rocblas_operation_17rocblas_diagonal_iiT0_T1_lilT2_lili
	.p2align	8
	.type	_ZL31rocblas_trsm_small_right_deviceI19rocblas_complex_numIdES1_PKPKS1_PKPS1_Li16EEv13rocblas_fill_18rocblas_operation_17rocblas_diagonal_iiT0_T1_lilT2_lili,@function
_ZL31rocblas_trsm_small_right_deviceI19rocblas_complex_numIdES1_PKPKS1_PKPS1_Li16EEv13rocblas_fill_18rocblas_operation_17rocblas_diagonal_iiT0_T1_lilT2_lili: ; @_ZL31rocblas_trsm_small_right_deviceI19rocblas_complex_numIdES1_PKPKS1_PKPS1_Li16EEv13rocblas_fill_18rocblas_operation_17rocblas_diagonal_iiT0_T1_lilT2_lili
; %bb.0:
	s_clause 0x1
	s_load_b128 s[20:23], s[0:1], 0x48
	s_load_b32 s28, s[0:1], 0x10
	s_mov_b32 s2, s15
	s_mov_b32 s3, 0
	s_load_b128 s[16:19], s[0:1], 0x0
	s_lshl_b64 s[24:25], s[2:3], 3
	s_mov_b32 s15, exec_lo
	s_waitcnt lgkmcnt(0)
	s_add_u32 s12, s20, s24
	s_addc_u32 s13, s21, s25
	s_load_b256 s[4:11], s[0:1], 0x18
	s_load_b64 s[12:13], s[12:13], 0x0
	s_min_i32 s29, s28, 16
	s_delay_alu instid0(SALU_CYCLE_1)
	s_add_i32 s30, s29, -1
	v_cmpx_gt_i32_e64 s29, v0
	s_cbranch_execz .LBB218_9
; %bb.1:
	s_load_b32 s20, s[0:1], 0x38
	s_waitcnt lgkmcnt(0)
	s_ashr_i32 s21, s20, 31
	s_cmpk_eq_i32 s17, 0x71
	s_cselect_b32 vcc_lo, -1, 0
	s_add_u32 s8, s8, s24
	s_addc_u32 s9, s9, s25
	s_cmp_lt_u32 s30, 3
	s_load_b64 s[8:9], s[8:9], 0x0
	s_cbranch_scc1 .LBB218_4
; %bb.2:
	v_lshlrev_b32_e32 v1, 4, v0
	s_lshl_b64 s[24:25], s[10:11], 4
	s_and_b32 s3, s29, -4
	s_waitcnt lgkmcnt(0)
	s_add_u32 s2, s8, s24
	s_addc_u32 s24, s9, s25
	v_add_co_u32 v1, s2, s2, v1
	s_delay_alu instid0(VALU_DEP_1) | instskip(SKIP_1) | instid1(VALU_DEP_3)
	v_add_co_ci_u32_e64 v2, null, s24, 0, s2
	v_lshlrev_b32_e32 v3, 4, v0
	v_add_co_u32 v1, s2, v1, 8
	s_delay_alu instid0(VALU_DEP_1)
	v_add_co_ci_u32_e64 v2, s2, 0, v2, s2
	s_lshl_b64 s[24:25], s[20:21], 6
	s_lshl_b64 s[26:27], s[20:21], 4
	s_mov_b32 s31, 0
.LBB218_3:                              ; =>This Inner Loop Header: Depth=1
	v_add_co_u32 v8, s2, v1, s26
	s_delay_alu instid0(VALU_DEP_1) | instskip(SKIP_1) | instid1(VALU_DEP_2)
	v_add_co_ci_u32_e64 v9, s2, s27, v2, s2
	s_add_i32 s31, s31, 4
	v_add_co_u32 v12, s2, v8, s26
	s_delay_alu instid0(VALU_DEP_1) | instskip(SKIP_1) | instid1(VALU_DEP_2)
	v_add_co_ci_u32_e64 v13, s2, s27, v9, s2
	s_cmp_eq_u32 s3, s31
	v_add_co_u32 v16, s2, v12, s26
	s_delay_alu instid0(VALU_DEP_1)
	v_add_co_ci_u32_e64 v17, s2, s27, v13, s2
	s_clause 0x3
	global_load_b128 v[4:7], v[1:2], off offset:-8
	global_load_b128 v[8:11], v[8:9], off offset:-8
	;; [unrolled: 1-line block ×4, first 2 shown]
	v_add_co_u32 v1, s2, v1, s24
	s_delay_alu instid0(VALU_DEP_1)
	v_add_co_ci_u32_e64 v2, s2, s25, v2, s2
	s_waitcnt vmcnt(3)
	v_xor_b32_e32 v20, 0x80000000, v7
	s_waitcnt vmcnt(2)
	v_xor_b32_e32 v21, 0x80000000, v11
	s_waitcnt vmcnt(1)
	v_xor_b32_e32 v22, 0x80000000, v15
	s_waitcnt vmcnt(0)
	v_xor_b32_e32 v23, 0x80000000, v19
	v_cndmask_b32_e32 v7, v7, v20, vcc_lo
	v_cndmask_b32_e32 v11, v11, v21, vcc_lo
	;; [unrolled: 1-line block ×3, first 2 shown]
	s_delay_alu instid0(VALU_DEP_4)
	v_cndmask_b32_e32 v19, v19, v23, vcc_lo
	ds_store_b128 v3, v[4:7]
	ds_store_b128 v3, v[8:11] offset:256
	ds_store_b128 v3, v[12:15] offset:512
	ds_store_b128 v3, v[16:19] offset:768
	v_add_nc_u32_e32 v3, 0x400, v3
	s_cbranch_scc0 .LBB218_3
.LBB218_4:
	s_and_b32 s24, s29, 3
	s_delay_alu instid0(SALU_CYCLE_1)
	s_cmp_eq_u32 s24, 0
	s_cbranch_scc1 .LBB218_7
; %bb.5:
	s_mul_i32 s2, s21, s3
	s_mul_hi_u32 s25, s20, s3
	s_mul_i32 s26, s20, s3
	s_add_i32 s27, s25, s2
	s_lshl_b64 s[10:11], s[10:11], 4
	s_lshl_b64 s[26:27], s[26:27], 4
	v_lshlrev_b32_e32 v1, 4, v0
	s_add_u32 s2, s26, s10
	s_addc_u32 s10, s27, s11
	s_waitcnt lgkmcnt(0)
	s_add_u32 s2, s8, s2
	s_addc_u32 s8, s9, s10
	v_add_co_u32 v2, s2, s2, v1
	s_delay_alu instid0(VALU_DEP_1) | instskip(SKIP_1) | instid1(VALU_DEP_3)
	v_add_co_ci_u32_e64 v4, null, s8, 0, s2
	v_lshl_or_b32 v3, s3, 8, v1
	v_add_co_u32 v1, s2, v2, 8
	s_delay_alu instid0(VALU_DEP_1)
	v_add_co_ci_u32_e64 v2, s2, 0, v4, s2
	s_lshl_b64 s[8:9], s[20:21], 4
.LBB218_6:                              ; =>This Inner Loop Header: Depth=1
	global_load_b128 v[4:7], v[1:2], off offset:-8
	v_add_co_u32 v1, s2, v1, s8
	s_delay_alu instid0(VALU_DEP_1) | instskip(SKIP_1) | instid1(SALU_CYCLE_1)
	v_add_co_ci_u32_e64 v2, s2, s9, v2, s2
	s_add_i32 s24, s24, -1
	s_cmp_lg_u32 s24, 0
	s_waitcnt vmcnt(0)
	v_xor_b32_e32 v8, 0x80000000, v7
	s_delay_alu instid0(VALU_DEP_1)
	v_cndmask_b32_e32 v7, v7, v8, vcc_lo
	ds_store_b128 v3, v[4:7]
	v_add_nc_u32_e32 v3, 0x100, v3
	s_cbranch_scc1 .LBB218_6
.LBB218_7:
	s_cmpk_eq_i32 s18, 0x84
	s_cbranch_scc0 .LBB218_9
; %bb.8:
	v_mul_u32_u24_e32 v3, 17, v0
	v_dual_mov_b32 v1, 0 :: v_dual_mov_b32 v2, 0x3ff00000
	s_delay_alu instid0(VALU_DEP_1)
	v_dual_mov_b32 v4, v1 :: v_dual_lshlrev_b32 v5, 4, v3
	v_mov_b32_e32 v3, v1
	ds_store_b128 v5, v[1:4]
.LBB218_9:
	s_or_b32 exec_lo, exec_lo, s15
	s_waitcnt lgkmcnt(0)
	s_load_b32 s8, s[0:1], 0x70
	s_lshl_b64 s[2:3], s[22:23], 4
	s_load_b32 s0, s[0:1], 0x58
	s_add_u32 s1, s12, s2
	s_addc_u32 s10, s13, s3
	s_lshl_b32 s9, s14, 4
	s_mov_b32 s22, 0
	s_sub_i32 s9, s19, s9
	s_waitcnt lgkmcnt(0)
	s_add_i32 s8, s8, -1
	s_delay_alu instid0(SALU_CYCLE_1) | instskip(SKIP_4) | instid1(SALU_CYCLE_1)
	s_cmp_ge_u32 s14, s8
	s_cselect_b32 s11, s9, 16
	s_ashr_i32 s15, s14, 31
	v_cmp_gt_i32_e32 vcc_lo, s11, v0
	s_lshl_b64 s[8:9], s[14:15], 8
	s_add_u32 s18, s1, s8
	s_addc_u32 s19, s10, s9
	s_cmp_gt_i32 s28, 0
	s_cselect_b32 s1, -1, 0
	s_delay_alu instid0(SALU_CYCLE_1) | instskip(NEXT) | instid1(SALU_CYCLE_1)
	s_and_b32 s20, vcc_lo, s1
	s_and_saveexec_b32 s21, s20
	s_cbranch_execz .LBB218_16
; %bb.10:
	s_ashr_i32 s1, s0, 31
	s_cmp_lt_u32 s28, 4
	s_cbranch_scc1 .LBB218_13
; %bb.11:
	v_lshlrev_b32_e32 v1, 4, v0
	v_lshl_or_b32 v3, v0, 4, 0x1000
	s_and_b32 s22, s28, 0x7ffffffc
	s_lshl_b64 s[14:15], s[0:1], 4
	s_mov_b32 s23, 0
	v_add_co_u32 v1, s10, s18, v1
	s_delay_alu instid0(VALU_DEP_1)
	v_add_co_ci_u32_e64 v2, null, s19, 0, s10
	s_lshl_b64 s[10:11], s[0:1], 6
.LBB218_12:                             ; =>This Inner Loop Header: Depth=1
	s_delay_alu instid0(VALU_DEP_2) | instskip(NEXT) | instid1(VALU_DEP_2)
	v_add_co_u32 v8, vcc_lo, v1, s14
	v_add_co_ci_u32_e32 v9, vcc_lo, s15, v2, vcc_lo
	global_load_b128 v[4:7], v[1:2], off
	v_add_co_u32 v12, vcc_lo, v8, s14
	v_add_co_ci_u32_e32 v13, vcc_lo, s15, v9, vcc_lo
	global_load_b128 v[8:11], v[8:9], off
	v_add_co_u32 v16, vcc_lo, v12, s14
	v_add_co_ci_u32_e32 v17, vcc_lo, s15, v13, vcc_lo
	v_add_co_u32 v1, vcc_lo, v1, s10
	s_clause 0x1
	global_load_b128 v[12:15], v[12:13], off
	global_load_b128 v[16:19], v[16:17], off
	v_add_co_ci_u32_e32 v2, vcc_lo, s11, v2, vcc_lo
	s_add_i32 s23, s23, 4
	s_delay_alu instid0(SALU_CYCLE_1)
	s_cmp_lg_u32 s22, s23
	s_waitcnt vmcnt(3)
	v_mul_f64 v[20:21], s[6:7], v[6:7]
	v_mul_f64 v[6:7], s[4:5], v[6:7]
	s_waitcnt vmcnt(2)
	v_mul_f64 v[22:23], s[6:7], v[10:11]
	v_mul_f64 v[10:11], s[4:5], v[10:11]
	;; [unrolled: 3-line block ×4, first 2 shown]
	v_fma_f64 v[18:19], s[4:5], v[4:5], -v[20:21]
	v_fma_f64 v[20:21], s[6:7], v[4:5], v[6:7]
	v_fma_f64 v[4:5], s[4:5], v[8:9], -v[22:23]
	v_fma_f64 v[6:7], s[6:7], v[8:9], v[10:11]
	;; [unrolled: 2-line block ×4, first 2 shown]
	ds_store_b128 v3, v[18:21]
	ds_store_b128 v3, v[4:7] offset:256
	ds_store_b128 v3, v[8:11] offset:512
	;; [unrolled: 1-line block ×3, first 2 shown]
	v_add_nc_u32_e32 v3, 0x400, v3
	s_cbranch_scc1 .LBB218_12
.LBB218_13:
	s_and_b32 s14, s28, 3
	s_delay_alu instid0(SALU_CYCLE_1)
	s_cmp_eq_u32 s14, 0
	s_cbranch_scc1 .LBB218_16
; %bb.14:
	s_mul_hi_i32 s11, s0, s22
	s_mul_i32 s10, s0, s22
	v_lshlrev_b32_e32 v1, 4, v0
	s_lshl_b64 s[10:11], s[10:11], 4
	s_delay_alu instid0(SALU_CYCLE_1)
	s_add_u32 s10, s10, s8
	s_addc_u32 s11, s11, s9
	s_add_u32 s10, s10, s2
	s_addc_u32 s11, s11, s3
	s_add_u32 s10, s12, s10
	v_lshl_or_b32 v2, s22, 8, v1
	s_addc_u32 s11, s13, s11
	v_add_co_u32 v1, s10, s10, v1
	s_delay_alu instid0(VALU_DEP_1) | instskip(NEXT) | instid1(VALU_DEP_3)
	v_add_co_ci_u32_e64 v4, null, s11, 0, s10
	v_add_nc_u32_e32 v3, 0x1000, v2
	s_delay_alu instid0(VALU_DEP_3) | instskip(NEXT) | instid1(VALU_DEP_3)
	v_add_co_u32 v1, vcc_lo, v1, 8
	v_add_co_ci_u32_e32 v2, vcc_lo, 0, v4, vcc_lo
	s_lshl_b64 s[10:11], s[0:1], 4
	.p2align	6
.LBB218_15:                             ; =>This Inner Loop Header: Depth=1
	global_load_b128 v[4:7], v[1:2], off offset:-8
	v_add_co_u32 v1, vcc_lo, v1, s10
	v_add_co_ci_u32_e32 v2, vcc_lo, s11, v2, vcc_lo
	s_add_i32 s14, s14, -1
	s_delay_alu instid0(SALU_CYCLE_1) | instskip(SKIP_3) | instid1(VALU_DEP_2)
	s_cmp_lg_u32 s14, 0
	s_waitcnt vmcnt(0)
	v_mul_f64 v[8:9], s[6:7], v[6:7]
	v_mul_f64 v[10:11], s[4:5], v[6:7]
	v_fma_f64 v[6:7], s[4:5], v[4:5], -v[8:9]
	s_delay_alu instid0(VALU_DEP_2)
	v_fma_f64 v[8:9], s[6:7], v[4:5], v[10:11]
	ds_store_b128 v3, v[6:9]
	v_add_nc_u32_e32 v3, 0x100, v3
	s_cbranch_scc1 .LBB218_15
.LBB218_16:
	s_or_b32 exec_lo, exec_lo, s21
	s_cmpk_eq_i32 s17, 0x6f
	s_waitcnt lgkmcnt(0)
	s_cselect_b32 s1, -1, 0
	s_cmpk_eq_i32 s16, 0x79
	; wave barrier
	buffer_gl0_inv
	s_cselect_b32 s5, -1, 0
	s_cmpk_lg_i32 s16, 0x79
	s_cselect_b32 s4, -1, 0
	s_and_b32 s5, s5, s1
	s_delay_alu instid0(SALU_CYCLE_1)
	s_and_not1_b32 vcc_lo, exec_lo, s5
	s_mov_b32 s5, -1
	s_cbranch_vccz .LBB218_124
; %bb.17:
	s_cmpk_lg_i32 s16, 0x7a
	s_cselect_b32 s5, -1, 0
	s_xor_b32 s1, s1, -1
	s_delay_alu instid0(SALU_CYCLE_1)
	s_or_b32 s5, s5, s1
	s_cmp_gt_i32 s28, 3
	s_cselect_b32 s1, -1, 0
	s_and_b32 vcc_lo, exec_lo, s5
	s_mov_b32 s5, -1
	s_cbranch_vccz .LBB218_91
; %bb.18:
	s_and_not1_b32 vcc_lo, exec_lo, s4
	s_mov_b32 s4, -1
	s_cbranch_vccnz .LBB218_58
; %bb.19:
	s_and_not1_b32 vcc_lo, exec_lo, s1
	s_mov_b32 s6, 0
	s_cbranch_vccnz .LBB218_42
; %bb.20:
	v_lshl_or_b32 v25, v0, 4, 0x1000
	s_mov_b32 s4, 0
	s_mov_b32 s5, 0
.LBB218_21:                             ; =>This Loop Header: Depth=1
                                        ;     Child Loop BB218_23 Depth 2
	s_delay_alu instid0(SALU_CYCLE_1)
	s_lshl_b32 s6, s5, 4
	s_lshl_b32 s10, s5, 8
	s_or_b32 s7, s6, 16
	v_or_b32_e32 v1, s6, v0
	s_or_b32 s6, s6, 32
	v_or_b32_e32 v2, s7, v0
	v_or_b32_e32 v3, s6, v0
	v_lshl_or_b32 v16, v0, 4, s10
	v_lshlrev_b32_e32 v13, 4, v1
	s_cmp_eq_u32 s5, 0
	v_lshlrev_b32_e32 v14, 4, v2
	v_lshlrev_b32_e32 v15, 4, v3
	ds_load_b128 v[17:20], v13 offset:4096
	ds_load_b128 v[9:12], v14 offset:4096
	;; [unrolled: 1-line block ×4, first 2 shown]
	s_cbranch_scc1 .LBB218_24
; %bb.22:                               ;   in Loop: Header=BB218_21 Depth=1
	v_mov_b32_e32 v21, v25
	s_mov_b32 s10, 0
	s_mov_b32 s11, s4
.LBB218_23:                             ;   Parent Loop BB218_21 Depth=1
                                        ; =>  This Inner Loop Header: Depth=2
	s_delay_alu instid0(SALU_CYCLE_1)
	v_mov_b32_e32 v24, s11
	s_add_i32 s10, s10, 2
	s_addk_i32 s11, 0x200
	s_cmp_ge_u32 s10, s5
	ds_load_b128 v[26:29], v21
	ds_load_b128 v[30:33], v24
	ds_load_b128 v[34:37], v24 offset:16
	ds_load_b128 v[38:41], v24 offset:32
	;; [unrolled: 1-line block ×4, first 2 shown]
	v_add_nc_u32_e32 v21, 0x200, v21
	ds_load_b128 v[50:53], v24 offset:256
	ds_load_b128 v[54:57], v24 offset:272
	;; [unrolled: 1-line block ×4, first 2 shown]
	s_waitcnt lgkmcnt(8)
	v_mul_f64 v[22:23], v[28:29], v[32:33]
	v_mul_f64 v[32:33], v[26:27], v[32:33]
	s_waitcnt lgkmcnt(7)
	v_mul_f64 v[66:67], v[28:29], v[36:37]
	v_mul_f64 v[36:37], v[26:27], v[36:37]
	;; [unrolled: 3-line block ×8, first 2 shown]
	v_fma_f64 v[22:23], v[26:27], v[30:31], -v[22:23]
	v_fma_f64 v[30:31], v[28:29], v[30:31], v[32:33]
	v_fma_f64 v[32:33], v[26:27], v[34:35], -v[66:67]
	v_fma_f64 v[34:35], v[28:29], v[34:35], v[36:37]
	;; [unrolled: 2-line block ×8, first 2 shown]
	v_add_f64 v[17:18], v[17:18], -v[22:23]
	v_add_f64 v[19:20], v[19:20], -v[30:31]
	;; [unrolled: 1-line block ×16, first 2 shown]
	s_cbranch_scc0 .LBB218_23
.LBB218_24:                             ;   in Loop: Header=BB218_21 Depth=1
	s_mul_i32 s10, s5, 0x110
	v_add_nc_u32_e32 v29, 0x1000, v13
	v_dual_mov_b32 v13, s10 :: v_dual_add_nc_u32 v28, 0x1000, v14
	v_add_nc_u32_e32 v27, 0x1000, v15
	ds_load_b128 v[21:24], v13
	s_waitcnt lgkmcnt(0)
	v_dual_mov_b32 v13, v21 :: v_dual_add_nc_u32 v26, 0x1300, v16
	v_cmp_gt_f64_e32 vcc_lo, 0, v[21:22]
	v_xor_b32_e32 v14, 0x80000000, v22
	v_xor_b32_e32 v15, 0x80000000, v24
	s_delay_alu instid0(VALU_DEP_2) | instskip(SKIP_1) | instid1(VALU_DEP_3)
	v_cndmask_b32_e32 v14, v22, v14, vcc_lo
	v_cmp_gt_f64_e32 vcc_lo, 0, v[23:24]
	v_dual_cndmask_b32 v16, v24, v15 :: v_dual_mov_b32 v15, v23
	s_delay_alu instid0(VALU_DEP_1)
	v_cmp_ngt_f64_e32 vcc_lo, v[13:14], v[15:16]
	s_cbranch_vccz .LBB218_26
; %bb.25:                               ;   in Loop: Header=BB218_21 Depth=1
	v_div_scale_f64 v[13:14], null, v[23:24], v[23:24], v[21:22]
	v_div_scale_f64 v[32:33], vcc_lo, v[21:22], v[23:24], v[21:22]
	s_delay_alu instid0(VALU_DEP_2) | instskip(SKIP_2) | instid1(VALU_DEP_1)
	v_rcp_f64_e32 v[15:16], v[13:14]
	s_waitcnt_depctr 0xfff
	v_fma_f64 v[30:31], -v[13:14], v[15:16], 1.0
	v_fma_f64 v[15:16], v[15:16], v[30:31], v[15:16]
	s_delay_alu instid0(VALU_DEP_1) | instskip(NEXT) | instid1(VALU_DEP_1)
	v_fma_f64 v[30:31], -v[13:14], v[15:16], 1.0
	v_fma_f64 v[15:16], v[15:16], v[30:31], v[15:16]
	s_delay_alu instid0(VALU_DEP_1) | instskip(NEXT) | instid1(VALU_DEP_1)
	v_mul_f64 v[30:31], v[32:33], v[15:16]
	v_fma_f64 v[13:14], -v[13:14], v[30:31], v[32:33]
	s_delay_alu instid0(VALU_DEP_1) | instskip(NEXT) | instid1(VALU_DEP_1)
	v_div_fmas_f64 v[13:14], v[13:14], v[15:16], v[30:31]
	v_div_fixup_f64 v[13:14], v[13:14], v[23:24], v[21:22]
	s_delay_alu instid0(VALU_DEP_1) | instskip(NEXT) | instid1(VALU_DEP_1)
	v_fma_f64 v[15:16], v[21:22], v[13:14], v[23:24]
	v_div_scale_f64 v[30:31], null, v[15:16], v[15:16], 1.0
	v_div_scale_f64 v[36:37], vcc_lo, 1.0, v[15:16], 1.0
	s_delay_alu instid0(VALU_DEP_2) | instskip(SKIP_2) | instid1(VALU_DEP_1)
	v_rcp_f64_e32 v[32:33], v[30:31]
	s_waitcnt_depctr 0xfff
	v_fma_f64 v[34:35], -v[30:31], v[32:33], 1.0
	v_fma_f64 v[32:33], v[32:33], v[34:35], v[32:33]
	s_delay_alu instid0(VALU_DEP_1) | instskip(NEXT) | instid1(VALU_DEP_1)
	v_fma_f64 v[34:35], -v[30:31], v[32:33], 1.0
	v_fma_f64 v[32:33], v[32:33], v[34:35], v[32:33]
	s_delay_alu instid0(VALU_DEP_1) | instskip(NEXT) | instid1(VALU_DEP_1)
	v_mul_f64 v[34:35], v[36:37], v[32:33]
	v_fma_f64 v[30:31], -v[30:31], v[34:35], v[36:37]
	s_delay_alu instid0(VALU_DEP_1) | instskip(SKIP_1) | instid1(VALU_DEP_2)
	v_div_fmas_f64 v[30:31], v[30:31], v[32:33], v[34:35]
	v_fma_f64 v[32:33], v[17:18], v[13:14], v[19:20]
	v_div_fixup_f64 v[15:16], v[30:31], v[15:16], 1.0
	v_fma_f64 v[30:31], v[19:20], v[13:14], -v[17:18]
	s_delay_alu instid0(VALU_DEP_2) | instskip(NEXT) | instid1(VALU_DEP_2)
	v_mul_f64 v[13:14], v[32:33], v[15:16]
	v_mul_f64 v[15:16], v[30:31], v[15:16]
	s_cbranch_execz .LBB218_27
	s_branch .LBB218_28
.LBB218_26:                             ;   in Loop: Header=BB218_21 Depth=1
                                        ; implicit-def: $vgpr15_vgpr16
.LBB218_27:                             ;   in Loop: Header=BB218_21 Depth=1
	v_div_scale_f64 v[13:14], null, v[21:22], v[21:22], v[23:24]
	v_div_scale_f64 v[32:33], vcc_lo, v[23:24], v[21:22], v[23:24]
	s_delay_alu instid0(VALU_DEP_2) | instskip(SKIP_2) | instid1(VALU_DEP_1)
	v_rcp_f64_e32 v[15:16], v[13:14]
	s_waitcnt_depctr 0xfff
	v_fma_f64 v[30:31], -v[13:14], v[15:16], 1.0
	v_fma_f64 v[15:16], v[15:16], v[30:31], v[15:16]
	s_delay_alu instid0(VALU_DEP_1) | instskip(NEXT) | instid1(VALU_DEP_1)
	v_fma_f64 v[30:31], -v[13:14], v[15:16], 1.0
	v_fma_f64 v[15:16], v[15:16], v[30:31], v[15:16]
	s_delay_alu instid0(VALU_DEP_1) | instskip(NEXT) | instid1(VALU_DEP_1)
	v_mul_f64 v[30:31], v[32:33], v[15:16]
	v_fma_f64 v[13:14], -v[13:14], v[30:31], v[32:33]
	s_delay_alu instid0(VALU_DEP_1) | instskip(NEXT) | instid1(VALU_DEP_1)
	v_div_fmas_f64 v[13:14], v[13:14], v[15:16], v[30:31]
	v_div_fixup_f64 v[13:14], v[13:14], v[21:22], v[23:24]
	s_delay_alu instid0(VALU_DEP_1) | instskip(NEXT) | instid1(VALU_DEP_1)
	v_fma_f64 v[15:16], v[23:24], v[13:14], v[21:22]
	v_div_scale_f64 v[21:22], null, v[15:16], v[15:16], 1.0
	v_div_scale_f64 v[32:33], vcc_lo, 1.0, v[15:16], 1.0
	s_delay_alu instid0(VALU_DEP_2) | instskip(SKIP_2) | instid1(VALU_DEP_1)
	v_rcp_f64_e32 v[23:24], v[21:22]
	s_waitcnt_depctr 0xfff
	v_fma_f64 v[30:31], -v[21:22], v[23:24], 1.0
	v_fma_f64 v[23:24], v[23:24], v[30:31], v[23:24]
	s_delay_alu instid0(VALU_DEP_1) | instskip(NEXT) | instid1(VALU_DEP_1)
	v_fma_f64 v[30:31], -v[21:22], v[23:24], 1.0
	v_fma_f64 v[23:24], v[23:24], v[30:31], v[23:24]
	s_delay_alu instid0(VALU_DEP_1) | instskip(NEXT) | instid1(VALU_DEP_1)
	v_mul_f64 v[30:31], v[32:33], v[23:24]
	v_fma_f64 v[21:22], -v[21:22], v[30:31], v[32:33]
	s_delay_alu instid0(VALU_DEP_1) | instskip(SKIP_2) | instid1(VALU_DEP_3)
	v_div_fmas_f64 v[21:22], v[21:22], v[23:24], v[30:31]
	v_fma_f64 v[23:24], v[19:20], v[13:14], v[17:18]
	v_fma_f64 v[17:18], -v[17:18], v[13:14], v[19:20]
	v_div_fixup_f64 v[15:16], v[21:22], v[15:16], 1.0
	s_delay_alu instid0(VALU_DEP_1) | instskip(NEXT) | instid1(VALU_DEP_3)
	v_mul_f64 v[13:14], v[23:24], v[15:16]
	v_mul_f64 v[15:16], v[17:18], v[15:16]
.LBB218_28:                             ;   in Loop: Header=BB218_21 Depth=1
	v_mov_b32_e32 v17, s10
	ds_load_b128 v[21:24], v17 offset:16
	ds_load_b128 v[17:20], v17 offset:272
	ds_store_b128 v29, v[13:16]
	s_waitcnt lgkmcnt(2)
	v_mul_f64 v[30:31], v[15:16], v[23:24]
	s_waitcnt lgkmcnt(1)
	v_mov_b32_e32 v32, v19
	v_mul_f64 v[23:24], v[13:14], v[23:24]
	v_cmp_gt_f64_e32 vcc_lo, 0, v[17:18]
	v_xor_b32_e32 v33, 0x80000000, v20
	v_fma_f64 v[30:31], v[13:14], v[21:22], -v[30:31]
	s_delay_alu instid0(VALU_DEP_4) | instskip(SKIP_1) | instid1(VALU_DEP_1)
	v_fma_f64 v[23:24], v[15:16], v[21:22], v[23:24]
	v_xor_b32_e32 v22, 0x80000000, v18
	v_dual_mov_b32 v21, v17 :: v_dual_cndmask_b32 v22, v18, v22
	v_cmp_gt_f64_e32 vcc_lo, 0, v[19:20]
	s_delay_alu instid0(VALU_DEP_4) | instskip(SKIP_1) | instid1(VALU_DEP_1)
	v_add_f64 v[23:24], v[11:12], -v[23:24]
	v_cndmask_b32_e32 v33, v20, v33, vcc_lo
	v_cmp_ngt_f64_e32 vcc_lo, v[21:22], v[32:33]
	v_add_f64 v[21:22], v[9:10], -v[30:31]
	s_cbranch_vccz .LBB218_30
; %bb.29:                               ;   in Loop: Header=BB218_21 Depth=1
	v_div_scale_f64 v[9:10], null, v[19:20], v[19:20], v[17:18]
	v_div_scale_f64 v[31:32], vcc_lo, v[17:18], v[19:20], v[17:18]
	s_delay_alu instid0(VALU_DEP_2) | instskip(SKIP_2) | instid1(VALU_DEP_1)
	v_rcp_f64_e32 v[11:12], v[9:10]
	s_waitcnt_depctr 0xfff
	v_fma_f64 v[29:30], -v[9:10], v[11:12], 1.0
	v_fma_f64 v[11:12], v[11:12], v[29:30], v[11:12]
	s_delay_alu instid0(VALU_DEP_1) | instskip(NEXT) | instid1(VALU_DEP_1)
	v_fma_f64 v[29:30], -v[9:10], v[11:12], 1.0
	v_fma_f64 v[11:12], v[11:12], v[29:30], v[11:12]
	s_delay_alu instid0(VALU_DEP_1) | instskip(NEXT) | instid1(VALU_DEP_1)
	v_mul_f64 v[29:30], v[31:32], v[11:12]
	v_fma_f64 v[9:10], -v[9:10], v[29:30], v[31:32]
	s_delay_alu instid0(VALU_DEP_1) | instskip(NEXT) | instid1(VALU_DEP_1)
	v_div_fmas_f64 v[9:10], v[9:10], v[11:12], v[29:30]
	v_div_fixup_f64 v[9:10], v[9:10], v[19:20], v[17:18]
	s_delay_alu instid0(VALU_DEP_1) | instskip(NEXT) | instid1(VALU_DEP_1)
	v_fma_f64 v[11:12], v[17:18], v[9:10], v[19:20]
	v_div_scale_f64 v[29:30], null, v[11:12], v[11:12], 1.0
	v_div_scale_f64 v[35:36], vcc_lo, 1.0, v[11:12], 1.0
	s_delay_alu instid0(VALU_DEP_2) | instskip(SKIP_2) | instid1(VALU_DEP_1)
	v_rcp_f64_e32 v[31:32], v[29:30]
	s_waitcnt_depctr 0xfff
	v_fma_f64 v[33:34], -v[29:30], v[31:32], 1.0
	v_fma_f64 v[31:32], v[31:32], v[33:34], v[31:32]
	s_delay_alu instid0(VALU_DEP_1) | instskip(NEXT) | instid1(VALU_DEP_1)
	v_fma_f64 v[33:34], -v[29:30], v[31:32], 1.0
	v_fma_f64 v[31:32], v[31:32], v[33:34], v[31:32]
	s_delay_alu instid0(VALU_DEP_1) | instskip(NEXT) | instid1(VALU_DEP_1)
	v_mul_f64 v[33:34], v[35:36], v[31:32]
	v_fma_f64 v[29:30], -v[29:30], v[33:34], v[35:36]
	s_delay_alu instid0(VALU_DEP_1) | instskip(SKIP_1) | instid1(VALU_DEP_2)
	v_div_fmas_f64 v[29:30], v[29:30], v[31:32], v[33:34]
	v_fma_f64 v[31:32], v[9:10], v[21:22], v[23:24]
	v_div_fixup_f64 v[11:12], v[29:30], v[11:12], 1.0
	v_fma_f64 v[29:30], v[9:10], v[23:24], -v[21:22]
	s_delay_alu instid0(VALU_DEP_2) | instskip(NEXT) | instid1(VALU_DEP_2)
	v_mul_f64 v[9:10], v[31:32], v[11:12]
	v_mul_f64 v[11:12], v[29:30], v[11:12]
	s_cbranch_execz .LBB218_31
	s_branch .LBB218_32
.LBB218_30:                             ;   in Loop: Header=BB218_21 Depth=1
                                        ; implicit-def: $vgpr11_vgpr12
.LBB218_31:                             ;   in Loop: Header=BB218_21 Depth=1
	v_div_scale_f64 v[9:10], null, v[17:18], v[17:18], v[19:20]
	v_div_scale_f64 v[31:32], vcc_lo, v[19:20], v[17:18], v[19:20]
	s_delay_alu instid0(VALU_DEP_2) | instskip(SKIP_2) | instid1(VALU_DEP_1)
	v_rcp_f64_e32 v[11:12], v[9:10]
	s_waitcnt_depctr 0xfff
	v_fma_f64 v[29:30], -v[9:10], v[11:12], 1.0
	v_fma_f64 v[11:12], v[11:12], v[29:30], v[11:12]
	s_delay_alu instid0(VALU_DEP_1) | instskip(NEXT) | instid1(VALU_DEP_1)
	v_fma_f64 v[29:30], -v[9:10], v[11:12], 1.0
	v_fma_f64 v[11:12], v[11:12], v[29:30], v[11:12]
	s_delay_alu instid0(VALU_DEP_1) | instskip(NEXT) | instid1(VALU_DEP_1)
	v_mul_f64 v[29:30], v[31:32], v[11:12]
	v_fma_f64 v[9:10], -v[9:10], v[29:30], v[31:32]
	s_delay_alu instid0(VALU_DEP_1) | instskip(NEXT) | instid1(VALU_DEP_1)
	v_div_fmas_f64 v[9:10], v[9:10], v[11:12], v[29:30]
	v_div_fixup_f64 v[9:10], v[9:10], v[17:18], v[19:20]
	s_delay_alu instid0(VALU_DEP_1) | instskip(NEXT) | instid1(VALU_DEP_1)
	v_fma_f64 v[11:12], v[19:20], v[9:10], v[17:18]
	v_div_scale_f64 v[17:18], null, v[11:12], v[11:12], 1.0
	v_div_scale_f64 v[31:32], vcc_lo, 1.0, v[11:12], 1.0
	s_delay_alu instid0(VALU_DEP_2) | instskip(SKIP_2) | instid1(VALU_DEP_1)
	v_rcp_f64_e32 v[19:20], v[17:18]
	s_waitcnt_depctr 0xfff
	v_fma_f64 v[29:30], -v[17:18], v[19:20], 1.0
	v_fma_f64 v[19:20], v[19:20], v[29:30], v[19:20]
	s_delay_alu instid0(VALU_DEP_1) | instskip(NEXT) | instid1(VALU_DEP_1)
	v_fma_f64 v[29:30], -v[17:18], v[19:20], 1.0
	v_fma_f64 v[19:20], v[19:20], v[29:30], v[19:20]
	s_delay_alu instid0(VALU_DEP_1) | instskip(NEXT) | instid1(VALU_DEP_1)
	v_mul_f64 v[29:30], v[31:32], v[19:20]
	v_fma_f64 v[17:18], -v[17:18], v[29:30], v[31:32]
	s_delay_alu instid0(VALU_DEP_1) | instskip(SKIP_1) | instid1(VALU_DEP_2)
	v_div_fmas_f64 v[17:18], v[17:18], v[19:20], v[29:30]
	v_fma_f64 v[19:20], v[9:10], v[23:24], v[21:22]
	v_div_fixup_f64 v[11:12], v[17:18], v[11:12], 1.0
	v_fma_f64 v[17:18], -v[9:10], v[21:22], v[23:24]
	s_delay_alu instid0(VALU_DEP_2) | instskip(NEXT) | instid1(VALU_DEP_2)
	v_mul_f64 v[9:10], v[19:20], v[11:12]
	v_mul_f64 v[11:12], v[17:18], v[11:12]
.LBB218_32:                             ;   in Loop: Header=BB218_21 Depth=1
	v_mov_b32_e32 v17, s10
	s_add_i32 s7, s7, s5
	ds_load_b128 v[21:24], v17 offset:32
	ds_load_b128 v[17:20], v17 offset:544
	s_lshl_b32 s7, s7, 4
	ds_store_b128 v28, v[9:12]
	s_waitcnt lgkmcnt(2)
	v_mul_f64 v[33:34], v[15:16], v[23:24]
	v_mul_f64 v[23:24], v[13:14], v[23:24]
	s_waitcnt lgkmcnt(1)
	v_cmp_gt_f64_e32 vcc_lo, 0, v[17:18]
	s_delay_alu instid0(VALU_DEP_3) | instskip(NEXT) | instid1(VALU_DEP_3)
	v_fma_f64 v[33:34], v[13:14], v[21:22], -v[33:34]
	v_fma_f64 v[21:22], v[15:16], v[21:22], v[23:24]
	s_delay_alu instid0(VALU_DEP_2) | instskip(NEXT) | instid1(VALU_DEP_2)
	v_add_f64 v[5:6], v[5:6], -v[33:34]
	v_add_f64 v[7:8], v[7:8], -v[21:22]
	v_xor_b32_e32 v22, 0x80000000, v18
	s_delay_alu instid0(VALU_DEP_1)
	v_dual_mov_b32 v21, v17 :: v_dual_cndmask_b32 v22, v18, v22
	v_cmp_gt_f64_e32 vcc_lo, 0, v[19:20]
	v_mov_b32_e32 v29, s7
	ds_load_b128 v[29:32], v29 offset:32
	s_waitcnt lgkmcnt(0)
	v_mul_f64 v[35:36], v[11:12], v[31:32]
	v_mul_f64 v[31:32], v[9:10], v[31:32]
	s_delay_alu instid0(VALU_DEP_2) | instskip(NEXT) | instid1(VALU_DEP_2)
	v_fma_f64 v[23:24], v[9:10], v[29:30], -v[35:36]
	v_fma_f64 v[29:30], v[11:12], v[29:30], v[31:32]
	v_xor_b32_e32 v32, 0x80000000, v20
	s_delay_alu instid0(VALU_DEP_1) | instskip(NEXT) | instid1(VALU_DEP_1)
	v_dual_mov_b32 v31, v19 :: v_dual_cndmask_b32 v32, v20, v32
	v_cmp_ngt_f64_e32 vcc_lo, v[21:22], v[31:32]
	v_add_f64 v[21:22], v[5:6], -v[23:24]
	v_add_f64 v[23:24], v[7:8], -v[29:30]
	s_cbranch_vccz .LBB218_34
; %bb.33:                               ;   in Loop: Header=BB218_21 Depth=1
	v_div_scale_f64 v[5:6], null, v[19:20], v[19:20], v[17:18]
	v_div_scale_f64 v[30:31], vcc_lo, v[17:18], v[19:20], v[17:18]
	s_delay_alu instid0(VALU_DEP_2) | instskip(SKIP_2) | instid1(VALU_DEP_1)
	v_rcp_f64_e32 v[7:8], v[5:6]
	s_waitcnt_depctr 0xfff
	v_fma_f64 v[28:29], -v[5:6], v[7:8], 1.0
	v_fma_f64 v[7:8], v[7:8], v[28:29], v[7:8]
	s_delay_alu instid0(VALU_DEP_1) | instskip(NEXT) | instid1(VALU_DEP_1)
	v_fma_f64 v[28:29], -v[5:6], v[7:8], 1.0
	v_fma_f64 v[7:8], v[7:8], v[28:29], v[7:8]
	s_delay_alu instid0(VALU_DEP_1) | instskip(NEXT) | instid1(VALU_DEP_1)
	v_mul_f64 v[28:29], v[30:31], v[7:8]
	v_fma_f64 v[5:6], -v[5:6], v[28:29], v[30:31]
	s_delay_alu instid0(VALU_DEP_1) | instskip(NEXT) | instid1(VALU_DEP_1)
	v_div_fmas_f64 v[5:6], v[5:6], v[7:8], v[28:29]
	v_div_fixup_f64 v[5:6], v[5:6], v[19:20], v[17:18]
	s_delay_alu instid0(VALU_DEP_1) | instskip(NEXT) | instid1(VALU_DEP_1)
	v_fma_f64 v[7:8], v[17:18], v[5:6], v[19:20]
	v_div_scale_f64 v[28:29], null, v[7:8], v[7:8], 1.0
	v_div_scale_f64 v[34:35], vcc_lo, 1.0, v[7:8], 1.0
	s_delay_alu instid0(VALU_DEP_2) | instskip(SKIP_2) | instid1(VALU_DEP_1)
	v_rcp_f64_e32 v[30:31], v[28:29]
	s_waitcnt_depctr 0xfff
	v_fma_f64 v[32:33], -v[28:29], v[30:31], 1.0
	v_fma_f64 v[30:31], v[30:31], v[32:33], v[30:31]
	s_delay_alu instid0(VALU_DEP_1) | instskip(NEXT) | instid1(VALU_DEP_1)
	v_fma_f64 v[32:33], -v[28:29], v[30:31], 1.0
	v_fma_f64 v[30:31], v[30:31], v[32:33], v[30:31]
	s_delay_alu instid0(VALU_DEP_1) | instskip(NEXT) | instid1(VALU_DEP_1)
	v_mul_f64 v[32:33], v[34:35], v[30:31]
	v_fma_f64 v[28:29], -v[28:29], v[32:33], v[34:35]
	s_delay_alu instid0(VALU_DEP_1) | instskip(SKIP_1) | instid1(VALU_DEP_2)
	v_div_fmas_f64 v[28:29], v[28:29], v[30:31], v[32:33]
	v_fma_f64 v[30:31], v[5:6], v[21:22], v[23:24]
	v_div_fixup_f64 v[7:8], v[28:29], v[7:8], 1.0
	v_fma_f64 v[28:29], v[5:6], v[23:24], -v[21:22]
	s_delay_alu instid0(VALU_DEP_2) | instskip(NEXT) | instid1(VALU_DEP_2)
	v_mul_f64 v[5:6], v[30:31], v[7:8]
	v_mul_f64 v[7:8], v[28:29], v[7:8]
	s_cbranch_execz .LBB218_35
	s_branch .LBB218_36
.LBB218_34:                             ;   in Loop: Header=BB218_21 Depth=1
                                        ; implicit-def: $vgpr7_vgpr8
.LBB218_35:                             ;   in Loop: Header=BB218_21 Depth=1
	v_div_scale_f64 v[5:6], null, v[17:18], v[17:18], v[19:20]
	v_div_scale_f64 v[30:31], vcc_lo, v[19:20], v[17:18], v[19:20]
	s_delay_alu instid0(VALU_DEP_2) | instskip(SKIP_2) | instid1(VALU_DEP_1)
	v_rcp_f64_e32 v[7:8], v[5:6]
	s_waitcnt_depctr 0xfff
	v_fma_f64 v[28:29], -v[5:6], v[7:8], 1.0
	v_fma_f64 v[7:8], v[7:8], v[28:29], v[7:8]
	s_delay_alu instid0(VALU_DEP_1) | instskip(NEXT) | instid1(VALU_DEP_1)
	v_fma_f64 v[28:29], -v[5:6], v[7:8], 1.0
	v_fma_f64 v[7:8], v[7:8], v[28:29], v[7:8]
	s_delay_alu instid0(VALU_DEP_1) | instskip(NEXT) | instid1(VALU_DEP_1)
	v_mul_f64 v[28:29], v[30:31], v[7:8]
	v_fma_f64 v[5:6], -v[5:6], v[28:29], v[30:31]
	s_delay_alu instid0(VALU_DEP_1) | instskip(NEXT) | instid1(VALU_DEP_1)
	v_div_fmas_f64 v[5:6], v[5:6], v[7:8], v[28:29]
	v_div_fixup_f64 v[5:6], v[5:6], v[17:18], v[19:20]
	s_delay_alu instid0(VALU_DEP_1) | instskip(NEXT) | instid1(VALU_DEP_1)
	v_fma_f64 v[7:8], v[19:20], v[5:6], v[17:18]
	v_div_scale_f64 v[17:18], null, v[7:8], v[7:8], 1.0
	v_div_scale_f64 v[30:31], vcc_lo, 1.0, v[7:8], 1.0
	s_delay_alu instid0(VALU_DEP_2) | instskip(SKIP_2) | instid1(VALU_DEP_1)
	v_rcp_f64_e32 v[19:20], v[17:18]
	s_waitcnt_depctr 0xfff
	v_fma_f64 v[28:29], -v[17:18], v[19:20], 1.0
	v_fma_f64 v[19:20], v[19:20], v[28:29], v[19:20]
	s_delay_alu instid0(VALU_DEP_1) | instskip(NEXT) | instid1(VALU_DEP_1)
	v_fma_f64 v[28:29], -v[17:18], v[19:20], 1.0
	v_fma_f64 v[19:20], v[19:20], v[28:29], v[19:20]
	s_delay_alu instid0(VALU_DEP_1) | instskip(NEXT) | instid1(VALU_DEP_1)
	v_mul_f64 v[28:29], v[30:31], v[19:20]
	v_fma_f64 v[17:18], -v[17:18], v[28:29], v[30:31]
	s_delay_alu instid0(VALU_DEP_1) | instskip(SKIP_1) | instid1(VALU_DEP_2)
	v_div_fmas_f64 v[17:18], v[17:18], v[19:20], v[28:29]
	v_fma_f64 v[19:20], v[5:6], v[23:24], v[21:22]
	v_div_fixup_f64 v[7:8], v[17:18], v[7:8], 1.0
	v_fma_f64 v[17:18], -v[5:6], v[21:22], v[23:24]
	s_delay_alu instid0(VALU_DEP_2) | instskip(NEXT) | instid1(VALU_DEP_2)
	v_mul_f64 v[5:6], v[19:20], v[7:8]
	v_mul_f64 v[7:8], v[17:18], v[7:8]
.LBB218_36:                             ;   in Loop: Header=BB218_21 Depth=1
	v_dual_mov_b32 v17, s10 :: v_dual_mov_b32 v28, s7
	s_add_i32 s6, s6, s5
	ds_load_b128 v[21:24], v17 offset:48
	ds_load_b128 v[17:20], v17 offset:816
	ds_load_b128 v[28:31], v28 offset:48
	s_lshl_b32 s6, s6, 4
	ds_store_b128 v27, v[5:8]
	v_mov_b32_e32 v32, s6
	ds_load_b128 v[32:35], v32 offset:48
	s_waitcnt lgkmcnt(4)
	v_mul_f64 v[36:37], v[15:16], v[23:24]
	v_mul_f64 v[23:24], v[13:14], v[23:24]
	s_waitcnt lgkmcnt(2)
	v_mul_f64 v[38:39], v[11:12], v[30:31]
	v_mul_f64 v[30:31], v[9:10], v[30:31]
	v_cmp_gt_f64_e32 vcc_lo, 0, v[17:18]
	v_fma_f64 v[13:14], v[13:14], v[21:22], -v[36:37]
	v_fma_f64 v[15:16], v[15:16], v[21:22], v[23:24]
	v_fma_f64 v[9:10], v[9:10], v[28:29], -v[38:39]
	v_fma_f64 v[11:12], v[11:12], v[28:29], v[30:31]
	s_waitcnt lgkmcnt(0)
	v_mul_f64 v[21:22], v[7:8], v[34:35]
	v_mul_f64 v[23:24], v[5:6], v[34:35]
	v_add_f64 v[1:2], v[1:2], -v[13:14]
	v_add_f64 v[3:4], v[3:4], -v[15:16]
	s_delay_alu instid0(VALU_DEP_4) | instskip(NEXT) | instid1(VALU_DEP_4)
	v_fma_f64 v[13:14], v[5:6], v[32:33], -v[21:22]
	v_fma_f64 v[15:16], v[7:8], v[32:33], v[23:24]
	s_delay_alu instid0(VALU_DEP_4)
	v_add_f64 v[1:2], v[1:2], -v[9:10]
	v_mov_b32_e32 v9, v17
	v_xor_b32_e32 v10, 0x80000000, v18
	v_add_f64 v[3:4], v[3:4], -v[11:12]
	v_mov_b32_e32 v11, v19
	v_xor_b32_e32 v12, 0x80000000, v20
	s_delay_alu instid0(VALU_DEP_4) | instskip(SKIP_1) | instid1(VALU_DEP_3)
	v_cndmask_b32_e32 v10, v18, v10, vcc_lo
	v_cmp_gt_f64_e32 vcc_lo, 0, v[19:20]
	v_cndmask_b32_e32 v12, v20, v12, vcc_lo
	s_delay_alu instid0(VALU_DEP_1)
	v_cmp_ngt_f64_e32 vcc_lo, v[9:10], v[11:12]
	v_add_f64 v[9:10], v[1:2], -v[13:14]
	v_add_f64 v[11:12], v[3:4], -v[15:16]
	s_cbranch_vccz .LBB218_38
; %bb.37:                               ;   in Loop: Header=BB218_21 Depth=1
	v_div_scale_f64 v[1:2], null, v[19:20], v[19:20], v[17:18]
	v_div_scale_f64 v[7:8], vcc_lo, v[17:18], v[19:20], v[17:18]
	s_delay_alu instid0(VALU_DEP_2) | instskip(SKIP_2) | instid1(VALU_DEP_1)
	v_rcp_f64_e32 v[3:4], v[1:2]
	s_waitcnt_depctr 0xfff
	v_fma_f64 v[5:6], -v[1:2], v[3:4], 1.0
	v_fma_f64 v[3:4], v[3:4], v[5:6], v[3:4]
	s_delay_alu instid0(VALU_DEP_1) | instskip(NEXT) | instid1(VALU_DEP_1)
	v_fma_f64 v[5:6], -v[1:2], v[3:4], 1.0
	v_fma_f64 v[3:4], v[3:4], v[5:6], v[3:4]
	s_delay_alu instid0(VALU_DEP_1) | instskip(NEXT) | instid1(VALU_DEP_1)
	v_mul_f64 v[5:6], v[7:8], v[3:4]
	v_fma_f64 v[1:2], -v[1:2], v[5:6], v[7:8]
	s_delay_alu instid0(VALU_DEP_1) | instskip(NEXT) | instid1(VALU_DEP_1)
	v_div_fmas_f64 v[1:2], v[1:2], v[3:4], v[5:6]
	v_div_fixup_f64 v[1:2], v[1:2], v[19:20], v[17:18]
	s_delay_alu instid0(VALU_DEP_1) | instskip(NEXT) | instid1(VALU_DEP_1)
	v_fma_f64 v[3:4], v[17:18], v[1:2], v[19:20]
	v_div_scale_f64 v[5:6], null, v[3:4], v[3:4], 1.0
	v_div_scale_f64 v[15:16], vcc_lo, 1.0, v[3:4], 1.0
	s_delay_alu instid0(VALU_DEP_2) | instskip(SKIP_2) | instid1(VALU_DEP_1)
	v_rcp_f64_e32 v[7:8], v[5:6]
	s_waitcnt_depctr 0xfff
	v_fma_f64 v[13:14], -v[5:6], v[7:8], 1.0
	v_fma_f64 v[7:8], v[7:8], v[13:14], v[7:8]
	s_delay_alu instid0(VALU_DEP_1) | instskip(NEXT) | instid1(VALU_DEP_1)
	v_fma_f64 v[13:14], -v[5:6], v[7:8], 1.0
	v_fma_f64 v[7:8], v[7:8], v[13:14], v[7:8]
	s_delay_alu instid0(VALU_DEP_1) | instskip(NEXT) | instid1(VALU_DEP_1)
	v_mul_f64 v[13:14], v[15:16], v[7:8]
	v_fma_f64 v[5:6], -v[5:6], v[13:14], v[15:16]
	s_delay_alu instid0(VALU_DEP_1) | instskip(SKIP_1) | instid1(VALU_DEP_2)
	v_div_fmas_f64 v[5:6], v[5:6], v[7:8], v[13:14]
	v_fma_f64 v[7:8], v[1:2], v[9:10], v[11:12]
	v_div_fixup_f64 v[3:4], v[5:6], v[3:4], 1.0
	v_fma_f64 v[5:6], v[1:2], v[11:12], -v[9:10]
	s_delay_alu instid0(VALU_DEP_2) | instskip(NEXT) | instid1(VALU_DEP_2)
	v_mul_f64 v[1:2], v[7:8], v[3:4]
	v_mul_f64 v[3:4], v[5:6], v[3:4]
	s_cbranch_execz .LBB218_39
	s_branch .LBB218_40
.LBB218_38:                             ;   in Loop: Header=BB218_21 Depth=1
                                        ; implicit-def: $vgpr3_vgpr4
.LBB218_39:                             ;   in Loop: Header=BB218_21 Depth=1
	v_div_scale_f64 v[1:2], null, v[17:18], v[17:18], v[19:20]
	v_div_scale_f64 v[7:8], vcc_lo, v[19:20], v[17:18], v[19:20]
	s_delay_alu instid0(VALU_DEP_2) | instskip(SKIP_2) | instid1(VALU_DEP_1)
	v_rcp_f64_e32 v[3:4], v[1:2]
	s_waitcnt_depctr 0xfff
	v_fma_f64 v[5:6], -v[1:2], v[3:4], 1.0
	v_fma_f64 v[3:4], v[3:4], v[5:6], v[3:4]
	s_delay_alu instid0(VALU_DEP_1) | instskip(NEXT) | instid1(VALU_DEP_1)
	v_fma_f64 v[5:6], -v[1:2], v[3:4], 1.0
	v_fma_f64 v[3:4], v[3:4], v[5:6], v[3:4]
	s_delay_alu instid0(VALU_DEP_1) | instskip(NEXT) | instid1(VALU_DEP_1)
	v_mul_f64 v[5:6], v[7:8], v[3:4]
	v_fma_f64 v[1:2], -v[1:2], v[5:6], v[7:8]
	s_delay_alu instid0(VALU_DEP_1) | instskip(NEXT) | instid1(VALU_DEP_1)
	v_div_fmas_f64 v[1:2], v[1:2], v[3:4], v[5:6]
	v_div_fixup_f64 v[1:2], v[1:2], v[17:18], v[19:20]
	s_delay_alu instid0(VALU_DEP_1) | instskip(NEXT) | instid1(VALU_DEP_1)
	v_fma_f64 v[3:4], v[19:20], v[1:2], v[17:18]
	v_div_scale_f64 v[5:6], null, v[3:4], v[3:4], 1.0
	v_div_scale_f64 v[15:16], vcc_lo, 1.0, v[3:4], 1.0
	s_delay_alu instid0(VALU_DEP_2) | instskip(SKIP_2) | instid1(VALU_DEP_1)
	v_rcp_f64_e32 v[7:8], v[5:6]
	s_waitcnt_depctr 0xfff
	v_fma_f64 v[13:14], -v[5:6], v[7:8], 1.0
	v_fma_f64 v[7:8], v[7:8], v[13:14], v[7:8]
	s_delay_alu instid0(VALU_DEP_1) | instskip(NEXT) | instid1(VALU_DEP_1)
	v_fma_f64 v[13:14], -v[5:6], v[7:8], 1.0
	v_fma_f64 v[7:8], v[7:8], v[13:14], v[7:8]
	s_delay_alu instid0(VALU_DEP_1) | instskip(NEXT) | instid1(VALU_DEP_1)
	v_mul_f64 v[13:14], v[15:16], v[7:8]
	v_fma_f64 v[5:6], -v[5:6], v[13:14], v[15:16]
	s_delay_alu instid0(VALU_DEP_1) | instskip(SKIP_1) | instid1(VALU_DEP_2)
	v_div_fmas_f64 v[5:6], v[5:6], v[7:8], v[13:14]
	v_fma_f64 v[7:8], v[1:2], v[11:12], v[9:10]
	v_div_fixup_f64 v[3:4], v[5:6], v[3:4], 1.0
	v_fma_f64 v[5:6], -v[1:2], v[9:10], v[11:12]
	s_delay_alu instid0(VALU_DEP_2) | instskip(NEXT) | instid1(VALU_DEP_2)
	v_mul_f64 v[1:2], v[7:8], v[3:4]
	v_mul_f64 v[3:4], v[5:6], v[3:4]
.LBB218_40:                             ;   in Loop: Header=BB218_21 Depth=1
	s_add_i32 s6, s5, 4
	s_add_i32 s5, s5, 7
	;; [unrolled: 1-line block ×3, first 2 shown]
	s_cmp_ge_i32 s5, s29
	ds_store_b128 v26, v[1:4]
	s_cbranch_scc1 .LBB218_42
; %bb.41:                               ;   in Loop: Header=BB218_21 Depth=1
	s_mov_b32 s5, s6
	s_branch .LBB218_21
.LBB218_42:
	s_cmp_ge_i32 s6, s29
	s_cbranch_scc1 .LBB218_57
; %bb.43:
	v_lshl_or_b32 v13, v0, 4, 0x1000
	v_lshlrev_b32_e32 v14, 4, v0
	s_add_i32 s4, s6, -1
	s_lshl_b32 s5, s6, 4
	s_mov_b32 s7, 0
	s_mov_b32 s10, s6
	s_branch .LBB218_45
.LBB218_44:                             ;   in Loop: Header=BB218_45 Depth=1
	v_add_nc_u16 v1, s10, 1
	s_add_i32 s6, s6, 1
	s_add_i32 s7, s7, 1
	;; [unrolled: 1-line block ×3, first 2 shown]
	s_cmp_ge_i32 s6, s29
	v_readfirstlane_b32 s10, v1
	ds_store_b128 v15, v[9:12]
	s_cbranch_scc1 .LBB218_57
.LBB218_45:                             ; =>This Loop Header: Depth=1
                                        ;     Child Loop BB218_48 Depth 2
                                        ;     Child Loop BB218_52 Depth 2
	v_lshl_or_b32 v5, s6, 8, v14
	s_cmp_eq_u32 s6, 0
	ds_load_b128 v[1:4], v5 offset:4096
	s_cbranch_scc1 .LBB218_53
; %bb.46:                               ;   in Loop: Header=BB218_45 Depth=1
	s_add_i32 s11, s4, s7
	s_delay_alu instid0(SALU_CYCLE_1)
	s_cmp_lt_u32 s11, 3
	s_cbranch_scc1 .LBB218_50
; %bb.47:                               ;   in Loop: Header=BB218_45 Depth=1
	v_mov_b32_e32 v6, v13
	s_and_b32 s11, s6, -4
	s_mov_b32 s14, 0
	s_mov_b32 s15, s5
.LBB218_48:                             ;   Parent Loop BB218_45 Depth=1
                                        ; =>  This Inner Loop Header: Depth=2
	s_delay_alu instid0(SALU_CYCLE_1)
	v_mov_b32_e32 v31, s15
	s_add_i32 s14, s14, 4
	s_addk_i32 s15, 0x400
	s_cmp_eq_u32 s11, s14
	ds_load_b128 v[7:10], v6
	ds_load_b128 v[15:18], v31
	ds_load_b128 v[19:22], v6 offset:256
	ds_load_b128 v[23:26], v31 offset:256
	s_waitcnt lgkmcnt(2)
	v_mul_f64 v[11:12], v[17:18], v[9:10]
	v_mul_f64 v[9:10], v[15:16], v[9:10]
	s_waitcnt lgkmcnt(0)
	v_mul_f64 v[35:36], v[25:26], v[21:22]
	v_mul_f64 v[21:22], v[23:24], v[21:22]
	s_delay_alu instid0(VALU_DEP_4) | instskip(NEXT) | instid1(VALU_DEP_4)
	v_fma_f64 v[11:12], v[15:16], v[7:8], -v[11:12]
	v_fma_f64 v[37:38], v[17:18], v[7:8], v[9:10]
	ds_load_b128 v[7:10], v6 offset:512
	ds_load_b128 v[15:18], v31 offset:512
	ds_load_b128 v[27:30], v6 offset:768
	ds_load_b128 v[31:34], v31 offset:768
	v_add_nc_u32_e32 v6, 0x400, v6
	v_fma_f64 v[23:24], v[23:24], v[19:20], -v[35:36]
	v_fma_f64 v[19:20], v[25:26], v[19:20], v[21:22]
	s_waitcnt lgkmcnt(2)
	v_mul_f64 v[39:40], v[17:18], v[9:10]
	v_mul_f64 v[9:10], v[15:16], v[9:10]
	s_waitcnt lgkmcnt(0)
	v_mul_f64 v[21:22], v[31:32], v[29:30]
	v_add_f64 v[1:2], v[1:2], -v[11:12]
	v_add_f64 v[3:4], v[3:4], -v[37:38]
	v_mul_f64 v[11:12], v[33:34], v[29:30]
	v_fma_f64 v[15:16], v[15:16], v[7:8], -v[39:40]
	v_fma_f64 v[7:8], v[17:18], v[7:8], v[9:10]
	v_add_f64 v[1:2], v[1:2], -v[23:24]
	v_add_f64 v[3:4], v[3:4], -v[19:20]
	v_fma_f64 v[9:10], v[31:32], v[27:28], -v[11:12]
	v_fma_f64 v[11:12], v[33:34], v[27:28], v[21:22]
	s_delay_alu instid0(VALU_DEP_4) | instskip(NEXT) | instid1(VALU_DEP_4)
	v_add_f64 v[1:2], v[1:2], -v[15:16]
	v_add_f64 v[3:4], v[3:4], -v[7:8]
	s_delay_alu instid0(VALU_DEP_2) | instskip(NEXT) | instid1(VALU_DEP_2)
	v_add_f64 v[1:2], v[1:2], -v[9:10]
	v_add_f64 v[3:4], v[3:4], -v[11:12]
	s_cbranch_scc0 .LBB218_48
; %bb.49:                               ;   in Loop: Header=BB218_45 Depth=1
	s_and_b32 s14, s6, 3
	s_delay_alu instid0(SALU_CYCLE_1)
	s_cmp_eq_u32 s14, 0
	s_cbranch_scc0 .LBB218_51
	s_branch .LBB218_53
.LBB218_50:                             ;   in Loop: Header=BB218_45 Depth=1
	s_mov_b32 s11, 0
	s_and_b32 s14, s6, 3
	s_delay_alu instid0(SALU_CYCLE_1)
	s_cmp_eq_u32 s14, 0
	s_cbranch_scc1 .LBB218_53
.LBB218_51:                             ;   in Loop: Header=BB218_45 Depth=1
	s_and_b32 s14, s10, 3
	s_lshl_b32 s11, s11, 8
	.p2align	6
.LBB218_52:                             ;   Parent Loop BB218_45 Depth=1
                                        ; =>  This Inner Loop Header: Depth=2
	s_delay_alu instid0(SALU_CYCLE_1)
	s_add_i32 s15, s5, s11
	v_add_nc_u32_e32 v6, s11, v13
	v_mov_b32_e32 v10, s15
	s_add_i32 s14, s14, -1
	s_addk_i32 s11, 0x100
	s_cmp_lg_u32 s14, 0
	ds_load_b128 v[6:9], v6
	ds_load_b128 v[15:18], v10
	s_waitcnt lgkmcnt(0)
	v_mul_f64 v[10:11], v[17:18], v[8:9]
	v_mul_f64 v[8:9], v[15:16], v[8:9]
	s_delay_alu instid0(VALU_DEP_2) | instskip(NEXT) | instid1(VALU_DEP_2)
	v_fma_f64 v[10:11], v[15:16], v[6:7], -v[10:11]
	v_fma_f64 v[6:7], v[17:18], v[6:7], v[8:9]
	s_delay_alu instid0(VALU_DEP_2) | instskip(NEXT) | instid1(VALU_DEP_2)
	v_add_f64 v[1:2], v[1:2], -v[10:11]
	v_add_f64 v[3:4], v[3:4], -v[6:7]
	s_cbranch_scc1 .LBB218_52
.LBB218_53:                             ;   in Loop: Header=BB218_45 Depth=1
	s_mul_i32 s11, s6, 0x110
	v_add_nc_u32_e32 v15, 0x1000, v5
	v_mov_b32_e32 v5, s11
	ds_load_b128 v[5:8], v5
	s_waitcnt lgkmcnt(0)
	v_cmp_gt_f64_e32 vcc_lo, 0, v[5:6]
	v_xor_b32_e32 v10, 0x80000000, v6
	v_xor_b32_e32 v11, 0x80000000, v8
	s_delay_alu instid0(VALU_DEP_2) | instskip(SKIP_1) | instid1(VALU_DEP_3)
	v_dual_mov_b32 v9, v5 :: v_dual_cndmask_b32 v10, v6, v10
	v_cmp_gt_f64_e32 vcc_lo, 0, v[7:8]
	v_dual_cndmask_b32 v12, v8, v11 :: v_dual_mov_b32 v11, v7
	s_delay_alu instid0(VALU_DEP_1)
	v_cmp_ngt_f64_e32 vcc_lo, v[9:10], v[11:12]
	s_cbranch_vccz .LBB218_55
; %bb.54:                               ;   in Loop: Header=BB218_45 Depth=1
	v_div_scale_f64 v[9:10], null, v[7:8], v[7:8], v[5:6]
	v_div_scale_f64 v[18:19], vcc_lo, v[5:6], v[7:8], v[5:6]
	s_delay_alu instid0(VALU_DEP_2) | instskip(SKIP_2) | instid1(VALU_DEP_1)
	v_rcp_f64_e32 v[11:12], v[9:10]
	s_waitcnt_depctr 0xfff
	v_fma_f64 v[16:17], -v[9:10], v[11:12], 1.0
	v_fma_f64 v[11:12], v[11:12], v[16:17], v[11:12]
	s_delay_alu instid0(VALU_DEP_1) | instskip(NEXT) | instid1(VALU_DEP_1)
	v_fma_f64 v[16:17], -v[9:10], v[11:12], 1.0
	v_fma_f64 v[11:12], v[11:12], v[16:17], v[11:12]
	s_delay_alu instid0(VALU_DEP_1) | instskip(NEXT) | instid1(VALU_DEP_1)
	v_mul_f64 v[16:17], v[18:19], v[11:12]
	v_fma_f64 v[9:10], -v[9:10], v[16:17], v[18:19]
	s_delay_alu instid0(VALU_DEP_1) | instskip(NEXT) | instid1(VALU_DEP_1)
	v_div_fmas_f64 v[9:10], v[9:10], v[11:12], v[16:17]
	v_div_fixup_f64 v[9:10], v[9:10], v[7:8], v[5:6]
	s_delay_alu instid0(VALU_DEP_1) | instskip(NEXT) | instid1(VALU_DEP_1)
	v_fma_f64 v[11:12], v[5:6], v[9:10], v[7:8]
	v_div_scale_f64 v[16:17], null, v[11:12], v[11:12], 1.0
	v_div_scale_f64 v[22:23], vcc_lo, 1.0, v[11:12], 1.0
	s_delay_alu instid0(VALU_DEP_2) | instskip(SKIP_2) | instid1(VALU_DEP_1)
	v_rcp_f64_e32 v[18:19], v[16:17]
	s_waitcnt_depctr 0xfff
	v_fma_f64 v[20:21], -v[16:17], v[18:19], 1.0
	v_fma_f64 v[18:19], v[18:19], v[20:21], v[18:19]
	s_delay_alu instid0(VALU_DEP_1) | instskip(NEXT) | instid1(VALU_DEP_1)
	v_fma_f64 v[20:21], -v[16:17], v[18:19], 1.0
	v_fma_f64 v[18:19], v[18:19], v[20:21], v[18:19]
	s_delay_alu instid0(VALU_DEP_1) | instskip(NEXT) | instid1(VALU_DEP_1)
	v_mul_f64 v[20:21], v[22:23], v[18:19]
	v_fma_f64 v[16:17], -v[16:17], v[20:21], v[22:23]
	s_delay_alu instid0(VALU_DEP_1) | instskip(SKIP_1) | instid1(VALU_DEP_2)
	v_div_fmas_f64 v[16:17], v[16:17], v[18:19], v[20:21]
	v_fma_f64 v[18:19], v[1:2], v[9:10], v[3:4]
	v_div_fixup_f64 v[11:12], v[16:17], v[11:12], 1.0
	v_fma_f64 v[16:17], v[3:4], v[9:10], -v[1:2]
	s_delay_alu instid0(VALU_DEP_2) | instskip(NEXT) | instid1(VALU_DEP_2)
	v_mul_f64 v[9:10], v[18:19], v[11:12]
	v_mul_f64 v[11:12], v[16:17], v[11:12]
	s_cbranch_execnz .LBB218_44
	s_branch .LBB218_56
.LBB218_55:                             ;   in Loop: Header=BB218_45 Depth=1
                                        ; implicit-def: $vgpr9_vgpr10
.LBB218_56:                             ;   in Loop: Header=BB218_45 Depth=1
	v_div_scale_f64 v[9:10], null, v[5:6], v[5:6], v[7:8]
	v_div_scale_f64 v[18:19], vcc_lo, v[7:8], v[5:6], v[7:8]
	s_delay_alu instid0(VALU_DEP_2) | instskip(SKIP_2) | instid1(VALU_DEP_1)
	v_rcp_f64_e32 v[11:12], v[9:10]
	s_waitcnt_depctr 0xfff
	v_fma_f64 v[16:17], -v[9:10], v[11:12], 1.0
	v_fma_f64 v[11:12], v[11:12], v[16:17], v[11:12]
	s_delay_alu instid0(VALU_DEP_1) | instskip(NEXT) | instid1(VALU_DEP_1)
	v_fma_f64 v[16:17], -v[9:10], v[11:12], 1.0
	v_fma_f64 v[11:12], v[11:12], v[16:17], v[11:12]
	s_delay_alu instid0(VALU_DEP_1) | instskip(NEXT) | instid1(VALU_DEP_1)
	v_mul_f64 v[16:17], v[18:19], v[11:12]
	v_fma_f64 v[9:10], -v[9:10], v[16:17], v[18:19]
	s_delay_alu instid0(VALU_DEP_1) | instskip(NEXT) | instid1(VALU_DEP_1)
	v_div_fmas_f64 v[9:10], v[9:10], v[11:12], v[16:17]
	v_div_fixup_f64 v[9:10], v[9:10], v[5:6], v[7:8]
	s_delay_alu instid0(VALU_DEP_1) | instskip(NEXT) | instid1(VALU_DEP_1)
	v_fma_f64 v[5:6], v[7:8], v[9:10], v[5:6]
	v_div_scale_f64 v[7:8], null, v[5:6], v[5:6], 1.0
	v_div_scale_f64 v[18:19], vcc_lo, 1.0, v[5:6], 1.0
	s_delay_alu instid0(VALU_DEP_2) | instskip(SKIP_2) | instid1(VALU_DEP_1)
	v_rcp_f64_e32 v[11:12], v[7:8]
	s_waitcnt_depctr 0xfff
	v_fma_f64 v[16:17], -v[7:8], v[11:12], 1.0
	v_fma_f64 v[11:12], v[11:12], v[16:17], v[11:12]
	s_delay_alu instid0(VALU_DEP_1) | instskip(NEXT) | instid1(VALU_DEP_1)
	v_fma_f64 v[16:17], -v[7:8], v[11:12], 1.0
	v_fma_f64 v[11:12], v[11:12], v[16:17], v[11:12]
	s_delay_alu instid0(VALU_DEP_1) | instskip(NEXT) | instid1(VALU_DEP_1)
	v_mul_f64 v[16:17], v[18:19], v[11:12]
	v_fma_f64 v[7:8], -v[7:8], v[16:17], v[18:19]
	s_delay_alu instid0(VALU_DEP_1) | instskip(SKIP_2) | instid1(VALU_DEP_3)
	v_div_fmas_f64 v[7:8], v[7:8], v[11:12], v[16:17]
	v_fma_f64 v[11:12], v[3:4], v[9:10], v[1:2]
	v_fma_f64 v[1:2], -v[1:2], v[9:10], v[3:4]
	v_div_fixup_f64 v[5:6], v[7:8], v[5:6], 1.0
	s_delay_alu instid0(VALU_DEP_1) | instskip(NEXT) | instid1(VALU_DEP_3)
	v_mul_f64 v[9:10], v[11:12], v[5:6]
	v_mul_f64 v[11:12], v[1:2], v[5:6]
	s_branch .LBB218_44
.LBB218_57:
	s_mov_b32 s4, 0
.LBB218_58:
	s_delay_alu instid0(SALU_CYCLE_1)
	s_and_b32 vcc_lo, exec_lo, s4
	s_cbranch_vccz .LBB218_90
; %bb.59:
	s_and_not1_b32 vcc_lo, exec_lo, s1
	s_mov_b32 s6, s30
	s_cbranch_vccnz .LBB218_81
; %bb.60:
	v_lshlrev_b32_e32 v25, 4, v0
	s_mul_i32 s4, s29, 0x110
	s_mov_b32 s5, s30
	s_addk_i32 s4, 0xfdc0
	s_delay_alu instid0(VALU_DEP_1) | instskip(NEXT) | instid1(VALU_DEP_1)
	v_lshl_or_b32 v1, s29, 8, v25
	v_add_nc_u32_e32 v26, 0xe00, v1
.LBB218_61:                             ; =>This Loop Header: Depth=1
                                        ;     Child Loop BB218_62 Depth 2
	s_add_i32 s15, s5, -1
	s_lshl_b32 s10, s5, 4
	s_add_i32 s14, s5, -2
	s_lshl_b32 s7, s15, 4
	v_or_b32_e32 v1, s10, v0
	s_lshl_b32 s6, s14, 4
	v_or_b32_e32 v2, s7, v0
	v_or_b32_e32 v3, s6, v0
	s_add_i32 s11, s5, -3
	v_lshlrev_b32_e32 v13, 4, v1
	v_lshl_or_b32 v16, s11, 8, v25
	v_dual_mov_b32 v21, v26 :: v_dual_lshlrev_b32 v14, 4, v2
	v_lshlrev_b32_e32 v15, 4, v3
	ds_load_b128 v[17:20], v13 offset:4096
	ds_load_b128 v[9:12], v14 offset:4096
	;; [unrolled: 1-line block ×4, first 2 shown]
	s_cmp_le_i32 s30, s5
	s_mov_b32 s16, s4
	s_mov_b32 s17, s30
	s_cbranch_scc1 .LBB218_63
.LBB218_62:                             ;   Parent Loop BB218_61 Depth=1
                                        ; =>  This Inner Loop Header: Depth=2
	v_mov_b32_e32 v24, s16
	s_add_i32 s17, s17, -2
	s_addk_i32 s16, 0xfe00
	s_cmp_le_i32 s17, s5
	ds_load_b128 v[27:30], v21 offset:256
	ds_load_b128 v[31:34], v24 offset:304
	;; [unrolled: 1-line block ×5, first 2 shown]
	ds_load_b128 v[47:50], v21
	v_add_nc_u32_e32 v21, 0xfffffe00, v21
	ds_load_b128 v[51:54], v24 offset:48
	ds_load_b128 v[55:58], v24 offset:32
	;; [unrolled: 1-line block ×3, first 2 shown]
	ds_load_b128 v[63:66], v24
	s_waitcnt lgkmcnt(8)
	v_mul_f64 v[22:23], v[29:30], v[33:34]
	v_mul_f64 v[33:34], v[27:28], v[33:34]
	s_waitcnt lgkmcnt(7)
	v_mul_f64 v[67:68], v[29:30], v[37:38]
	v_mul_f64 v[37:38], v[27:28], v[37:38]
	;; [unrolled: 3-line block ×8, first 2 shown]
	v_fma_f64 v[22:23], v[27:28], v[31:32], -v[22:23]
	v_fma_f64 v[31:32], v[29:30], v[31:32], v[33:34]
	v_fma_f64 v[33:34], v[27:28], v[35:36], -v[67:68]
	v_fma_f64 v[35:36], v[29:30], v[35:36], v[37:38]
	v_fma_f64 v[37:38], v[27:28], v[39:40], -v[69:70]
	v_fma_f64 v[39:40], v[29:30], v[39:40], v[41:42]
	v_fma_f64 v[27:28], v[27:28], v[43:44], -v[71:72]
	v_fma_f64 v[29:30], v[29:30], v[43:44], v[45:46]
	v_fma_f64 v[41:42], v[47:48], v[51:52], -v[73:74]
	v_fma_f64 v[43:44], v[49:50], v[51:52], v[53:54]
	v_fma_f64 v[45:46], v[47:48], v[55:56], -v[75:76]
	v_fma_f64 v[51:52], v[49:50], v[55:56], v[57:58]
	v_fma_f64 v[53:54], v[47:48], v[59:60], -v[77:78]
	v_fma_f64 v[55:56], v[49:50], v[59:60], v[61:62]
	v_fma_f64 v[47:48], v[47:48], v[63:64], -v[79:80]
	v_fma_f64 v[49:50], v[49:50], v[63:64], v[65:66]
	v_add_f64 v[17:18], v[17:18], -v[22:23]
	v_add_f64 v[19:20], v[19:20], -v[31:32]
	;; [unrolled: 1-line block ×16, first 2 shown]
	s_cbranch_scc0 .LBB218_62
.LBB218_63:                             ;   in Loop: Header=BB218_61 Depth=1
	s_mul_i32 s16, s5, 0x110
	s_delay_alu instid0(SALU_CYCLE_1)
	v_dual_mov_b32 v13, s16 :: v_dual_add_nc_u32 v30, 0x1000, v13
	ds_load_b128 v[21:24], v13
	s_waitcnt lgkmcnt(0)
	v_dual_mov_b32 v13, v21 :: v_dual_add_nc_u32 v28, 0x1000, v15
	v_cmp_gt_f64_e32 vcc_lo, 0, v[21:22]
	v_xor_b32_e32 v15, 0x80000000, v24
	v_add_nc_u32_e32 v29, 0x1000, v14
	v_xor_b32_e32 v14, 0x80000000, v22
	s_delay_alu instid0(VALU_DEP_1) | instskip(SKIP_2) | instid1(VALU_DEP_1)
	v_dual_cndmask_b32 v14, v22, v14 :: v_dual_add_nc_u32 v27, 0x1000, v16
	v_cmp_gt_f64_e32 vcc_lo, 0, v[23:24]
	v_dual_cndmask_b32 v16, v24, v15 :: v_dual_mov_b32 v15, v23
	v_cmp_ngt_f64_e32 vcc_lo, v[13:14], v[15:16]
	s_cbranch_vccz .LBB218_65
; %bb.64:                               ;   in Loop: Header=BB218_61 Depth=1
	v_div_scale_f64 v[13:14], null, v[23:24], v[23:24], v[21:22]
	v_div_scale_f64 v[33:34], vcc_lo, v[21:22], v[23:24], v[21:22]
	s_delay_alu instid0(VALU_DEP_2) | instskip(SKIP_2) | instid1(VALU_DEP_1)
	v_rcp_f64_e32 v[15:16], v[13:14]
	s_waitcnt_depctr 0xfff
	v_fma_f64 v[31:32], -v[13:14], v[15:16], 1.0
	v_fma_f64 v[15:16], v[15:16], v[31:32], v[15:16]
	s_delay_alu instid0(VALU_DEP_1) | instskip(NEXT) | instid1(VALU_DEP_1)
	v_fma_f64 v[31:32], -v[13:14], v[15:16], 1.0
	v_fma_f64 v[15:16], v[15:16], v[31:32], v[15:16]
	s_delay_alu instid0(VALU_DEP_1) | instskip(NEXT) | instid1(VALU_DEP_1)
	v_mul_f64 v[31:32], v[33:34], v[15:16]
	v_fma_f64 v[13:14], -v[13:14], v[31:32], v[33:34]
	s_delay_alu instid0(VALU_DEP_1) | instskip(NEXT) | instid1(VALU_DEP_1)
	v_div_fmas_f64 v[13:14], v[13:14], v[15:16], v[31:32]
	v_div_fixup_f64 v[13:14], v[13:14], v[23:24], v[21:22]
	s_delay_alu instid0(VALU_DEP_1) | instskip(NEXT) | instid1(VALU_DEP_1)
	v_fma_f64 v[15:16], v[21:22], v[13:14], v[23:24]
	v_div_scale_f64 v[31:32], null, v[15:16], v[15:16], 1.0
	v_div_scale_f64 v[37:38], vcc_lo, 1.0, v[15:16], 1.0
	s_delay_alu instid0(VALU_DEP_2) | instskip(SKIP_2) | instid1(VALU_DEP_1)
	v_rcp_f64_e32 v[33:34], v[31:32]
	s_waitcnt_depctr 0xfff
	v_fma_f64 v[35:36], -v[31:32], v[33:34], 1.0
	v_fma_f64 v[33:34], v[33:34], v[35:36], v[33:34]
	s_delay_alu instid0(VALU_DEP_1) | instskip(NEXT) | instid1(VALU_DEP_1)
	v_fma_f64 v[35:36], -v[31:32], v[33:34], 1.0
	v_fma_f64 v[33:34], v[33:34], v[35:36], v[33:34]
	s_delay_alu instid0(VALU_DEP_1) | instskip(NEXT) | instid1(VALU_DEP_1)
	v_mul_f64 v[35:36], v[37:38], v[33:34]
	v_fma_f64 v[31:32], -v[31:32], v[35:36], v[37:38]
	s_delay_alu instid0(VALU_DEP_1) | instskip(SKIP_1) | instid1(VALU_DEP_2)
	v_div_fmas_f64 v[31:32], v[31:32], v[33:34], v[35:36]
	v_fma_f64 v[33:34], v[17:18], v[13:14], v[19:20]
	v_div_fixup_f64 v[15:16], v[31:32], v[15:16], 1.0
	v_fma_f64 v[31:32], v[19:20], v[13:14], -v[17:18]
	s_delay_alu instid0(VALU_DEP_2) | instskip(NEXT) | instid1(VALU_DEP_2)
	v_mul_f64 v[13:14], v[33:34], v[15:16]
	v_mul_f64 v[15:16], v[31:32], v[15:16]
	s_cbranch_execz .LBB218_66
	s_branch .LBB218_67
.LBB218_65:                             ;   in Loop: Header=BB218_61 Depth=1
                                        ; implicit-def: $vgpr15_vgpr16
.LBB218_66:                             ;   in Loop: Header=BB218_61 Depth=1
	v_div_scale_f64 v[13:14], null, v[21:22], v[21:22], v[23:24]
	v_div_scale_f64 v[33:34], vcc_lo, v[23:24], v[21:22], v[23:24]
	s_delay_alu instid0(VALU_DEP_2) | instskip(SKIP_2) | instid1(VALU_DEP_1)
	v_rcp_f64_e32 v[15:16], v[13:14]
	s_waitcnt_depctr 0xfff
	v_fma_f64 v[31:32], -v[13:14], v[15:16], 1.0
	v_fma_f64 v[15:16], v[15:16], v[31:32], v[15:16]
	s_delay_alu instid0(VALU_DEP_1) | instskip(NEXT) | instid1(VALU_DEP_1)
	v_fma_f64 v[31:32], -v[13:14], v[15:16], 1.0
	v_fma_f64 v[15:16], v[15:16], v[31:32], v[15:16]
	s_delay_alu instid0(VALU_DEP_1) | instskip(NEXT) | instid1(VALU_DEP_1)
	v_mul_f64 v[31:32], v[33:34], v[15:16]
	v_fma_f64 v[13:14], -v[13:14], v[31:32], v[33:34]
	s_delay_alu instid0(VALU_DEP_1) | instskip(NEXT) | instid1(VALU_DEP_1)
	v_div_fmas_f64 v[13:14], v[13:14], v[15:16], v[31:32]
	v_div_fixup_f64 v[13:14], v[13:14], v[21:22], v[23:24]
	s_delay_alu instid0(VALU_DEP_1) | instskip(NEXT) | instid1(VALU_DEP_1)
	v_fma_f64 v[15:16], v[23:24], v[13:14], v[21:22]
	v_div_scale_f64 v[21:22], null, v[15:16], v[15:16], 1.0
	v_div_scale_f64 v[33:34], vcc_lo, 1.0, v[15:16], 1.0
	s_delay_alu instid0(VALU_DEP_2) | instskip(SKIP_2) | instid1(VALU_DEP_1)
	v_rcp_f64_e32 v[23:24], v[21:22]
	s_waitcnt_depctr 0xfff
	v_fma_f64 v[31:32], -v[21:22], v[23:24], 1.0
	v_fma_f64 v[23:24], v[23:24], v[31:32], v[23:24]
	s_delay_alu instid0(VALU_DEP_1) | instskip(NEXT) | instid1(VALU_DEP_1)
	v_fma_f64 v[31:32], -v[21:22], v[23:24], 1.0
	v_fma_f64 v[23:24], v[23:24], v[31:32], v[23:24]
	s_delay_alu instid0(VALU_DEP_1) | instskip(NEXT) | instid1(VALU_DEP_1)
	v_mul_f64 v[31:32], v[33:34], v[23:24]
	v_fma_f64 v[21:22], -v[21:22], v[31:32], v[33:34]
	s_delay_alu instid0(VALU_DEP_1) | instskip(SKIP_2) | instid1(VALU_DEP_3)
	v_div_fmas_f64 v[21:22], v[21:22], v[23:24], v[31:32]
	v_fma_f64 v[23:24], v[19:20], v[13:14], v[17:18]
	v_fma_f64 v[17:18], -v[17:18], v[13:14], v[19:20]
	v_div_fixup_f64 v[15:16], v[21:22], v[15:16], 1.0
	s_delay_alu instid0(VALU_DEP_1) | instskip(NEXT) | instid1(VALU_DEP_3)
	v_mul_f64 v[13:14], v[23:24], v[15:16]
	v_mul_f64 v[15:16], v[17:18], v[15:16]
.LBB218_67:                             ;   in Loop: Header=BB218_61 Depth=1
	s_add_i32 s15, s10, s15
	ds_store_b128 v30, v[13:16]
	s_lshl_b32 s15, s15, 4
	s_delay_alu instid0(SALU_CYCLE_1)
	v_mov_b32_e32 v17, s15
	s_add_i32 s15, s16, 0xfffffef0
	ds_load_b128 v[21:24], v17
	v_mov_b32_e32 v17, s15
	ds_load_b128 v[17:20], v17
	s_waitcnt lgkmcnt(1)
	v_mul_f64 v[31:32], v[15:16], v[23:24]
	v_mul_f64 v[23:24], v[13:14], v[23:24]
	s_waitcnt lgkmcnt(0)
	v_cmp_gt_f64_e32 vcc_lo, 0, v[17:18]
	v_xor_b32_e32 v34, 0x80000000, v20
	v_mov_b32_e32 v33, v19
	v_fma_f64 v[31:32], v[13:14], v[21:22], -v[31:32]
	v_fma_f64 v[23:24], v[15:16], v[21:22], v[23:24]
	v_xor_b32_e32 v22, 0x80000000, v18
	s_delay_alu instid0(VALU_DEP_1) | instskip(SKIP_1) | instid1(VALU_DEP_4)
	v_dual_mov_b32 v21, v17 :: v_dual_cndmask_b32 v22, v18, v22
	v_cmp_gt_f64_e32 vcc_lo, 0, v[19:20]
	v_add_f64 v[23:24], v[11:12], -v[23:24]
	v_cndmask_b32_e32 v34, v20, v34, vcc_lo
	s_delay_alu instid0(VALU_DEP_1)
	v_cmp_ngt_f64_e32 vcc_lo, v[21:22], v[33:34]
	v_add_f64 v[21:22], v[9:10], -v[31:32]
	s_cbranch_vccz .LBB218_69
; %bb.68:                               ;   in Loop: Header=BB218_61 Depth=1
	v_div_scale_f64 v[9:10], null, v[19:20], v[19:20], v[17:18]
	v_div_scale_f64 v[32:33], vcc_lo, v[17:18], v[19:20], v[17:18]
	s_delay_alu instid0(VALU_DEP_2) | instskip(SKIP_2) | instid1(VALU_DEP_1)
	v_rcp_f64_e32 v[11:12], v[9:10]
	s_waitcnt_depctr 0xfff
	v_fma_f64 v[30:31], -v[9:10], v[11:12], 1.0
	v_fma_f64 v[11:12], v[11:12], v[30:31], v[11:12]
	s_delay_alu instid0(VALU_DEP_1) | instskip(NEXT) | instid1(VALU_DEP_1)
	v_fma_f64 v[30:31], -v[9:10], v[11:12], 1.0
	v_fma_f64 v[11:12], v[11:12], v[30:31], v[11:12]
	s_delay_alu instid0(VALU_DEP_1) | instskip(NEXT) | instid1(VALU_DEP_1)
	v_mul_f64 v[30:31], v[32:33], v[11:12]
	v_fma_f64 v[9:10], -v[9:10], v[30:31], v[32:33]
	s_delay_alu instid0(VALU_DEP_1) | instskip(NEXT) | instid1(VALU_DEP_1)
	v_div_fmas_f64 v[9:10], v[9:10], v[11:12], v[30:31]
	v_div_fixup_f64 v[9:10], v[9:10], v[19:20], v[17:18]
	s_delay_alu instid0(VALU_DEP_1) | instskip(NEXT) | instid1(VALU_DEP_1)
	v_fma_f64 v[11:12], v[17:18], v[9:10], v[19:20]
	v_div_scale_f64 v[30:31], null, v[11:12], v[11:12], 1.0
	v_div_scale_f64 v[36:37], vcc_lo, 1.0, v[11:12], 1.0
	s_delay_alu instid0(VALU_DEP_2) | instskip(SKIP_2) | instid1(VALU_DEP_1)
	v_rcp_f64_e32 v[32:33], v[30:31]
	s_waitcnt_depctr 0xfff
	v_fma_f64 v[34:35], -v[30:31], v[32:33], 1.0
	v_fma_f64 v[32:33], v[32:33], v[34:35], v[32:33]
	s_delay_alu instid0(VALU_DEP_1) | instskip(NEXT) | instid1(VALU_DEP_1)
	v_fma_f64 v[34:35], -v[30:31], v[32:33], 1.0
	v_fma_f64 v[32:33], v[32:33], v[34:35], v[32:33]
	s_delay_alu instid0(VALU_DEP_1) | instskip(NEXT) | instid1(VALU_DEP_1)
	v_mul_f64 v[34:35], v[36:37], v[32:33]
	v_fma_f64 v[30:31], -v[30:31], v[34:35], v[36:37]
	s_delay_alu instid0(VALU_DEP_1) | instskip(SKIP_1) | instid1(VALU_DEP_2)
	v_div_fmas_f64 v[30:31], v[30:31], v[32:33], v[34:35]
	v_fma_f64 v[32:33], v[9:10], v[21:22], v[23:24]
	v_div_fixup_f64 v[11:12], v[30:31], v[11:12], 1.0
	v_fma_f64 v[30:31], v[9:10], v[23:24], -v[21:22]
	s_delay_alu instid0(VALU_DEP_2) | instskip(NEXT) | instid1(VALU_DEP_2)
	v_mul_f64 v[9:10], v[32:33], v[11:12]
	v_mul_f64 v[11:12], v[30:31], v[11:12]
	s_cbranch_execz .LBB218_70
	s_branch .LBB218_71
.LBB218_69:                             ;   in Loop: Header=BB218_61 Depth=1
                                        ; implicit-def: $vgpr11_vgpr12
.LBB218_70:                             ;   in Loop: Header=BB218_61 Depth=1
	v_div_scale_f64 v[9:10], null, v[17:18], v[17:18], v[19:20]
	v_div_scale_f64 v[32:33], vcc_lo, v[19:20], v[17:18], v[19:20]
	s_delay_alu instid0(VALU_DEP_2) | instskip(SKIP_2) | instid1(VALU_DEP_1)
	v_rcp_f64_e32 v[11:12], v[9:10]
	s_waitcnt_depctr 0xfff
	v_fma_f64 v[30:31], -v[9:10], v[11:12], 1.0
	v_fma_f64 v[11:12], v[11:12], v[30:31], v[11:12]
	s_delay_alu instid0(VALU_DEP_1) | instskip(NEXT) | instid1(VALU_DEP_1)
	v_fma_f64 v[30:31], -v[9:10], v[11:12], 1.0
	v_fma_f64 v[11:12], v[11:12], v[30:31], v[11:12]
	s_delay_alu instid0(VALU_DEP_1) | instskip(NEXT) | instid1(VALU_DEP_1)
	v_mul_f64 v[30:31], v[32:33], v[11:12]
	v_fma_f64 v[9:10], -v[9:10], v[30:31], v[32:33]
	s_delay_alu instid0(VALU_DEP_1) | instskip(NEXT) | instid1(VALU_DEP_1)
	v_div_fmas_f64 v[9:10], v[9:10], v[11:12], v[30:31]
	v_div_fixup_f64 v[9:10], v[9:10], v[17:18], v[19:20]
	s_delay_alu instid0(VALU_DEP_1) | instskip(NEXT) | instid1(VALU_DEP_1)
	v_fma_f64 v[11:12], v[19:20], v[9:10], v[17:18]
	v_div_scale_f64 v[17:18], null, v[11:12], v[11:12], 1.0
	v_div_scale_f64 v[32:33], vcc_lo, 1.0, v[11:12], 1.0
	s_delay_alu instid0(VALU_DEP_2) | instskip(SKIP_2) | instid1(VALU_DEP_1)
	v_rcp_f64_e32 v[19:20], v[17:18]
	s_waitcnt_depctr 0xfff
	v_fma_f64 v[30:31], -v[17:18], v[19:20], 1.0
	v_fma_f64 v[19:20], v[19:20], v[30:31], v[19:20]
	s_delay_alu instid0(VALU_DEP_1) | instskip(NEXT) | instid1(VALU_DEP_1)
	v_fma_f64 v[30:31], -v[17:18], v[19:20], 1.0
	v_fma_f64 v[19:20], v[19:20], v[30:31], v[19:20]
	s_delay_alu instid0(VALU_DEP_1) | instskip(NEXT) | instid1(VALU_DEP_1)
	v_mul_f64 v[30:31], v[32:33], v[19:20]
	v_fma_f64 v[17:18], -v[17:18], v[30:31], v[32:33]
	s_delay_alu instid0(VALU_DEP_1) | instskip(SKIP_1) | instid1(VALU_DEP_2)
	v_div_fmas_f64 v[17:18], v[17:18], v[19:20], v[30:31]
	v_fma_f64 v[19:20], v[9:10], v[23:24], v[21:22]
	v_div_fixup_f64 v[11:12], v[17:18], v[11:12], 1.0
	v_fma_f64 v[17:18], -v[9:10], v[21:22], v[23:24]
	s_delay_alu instid0(VALU_DEP_2) | instskip(NEXT) | instid1(VALU_DEP_2)
	v_mul_f64 v[9:10], v[19:20], v[11:12]
	v_mul_f64 v[11:12], v[17:18], v[11:12]
.LBB218_71:                             ;   in Loop: Header=BB218_61 Depth=1
	s_add_i32 s16, s10, s14
	s_add_i32 s14, s7, s14
	s_lshl_b32 s16, s16, 4
	s_lshl_b32 s14, s14, 4
	v_mov_b32_e32 v17, s16
	v_mov_b32_e32 v21, s14
	s_add_i32 s14, s15, 0xfffffef0
	ds_store_b128 v29, v[9:12]
	ds_load_b128 v[17:20], v17
	ds_load_b128 v[21:24], v21
	s_waitcnt lgkmcnt(1)
	v_mul_f64 v[30:31], v[15:16], v[19:20]
	v_mul_f64 v[19:20], v[13:14], v[19:20]
	s_waitcnt lgkmcnt(0)
	v_mul_f64 v[32:33], v[11:12], v[23:24]
	v_mul_f64 v[23:24], v[9:10], v[23:24]
	s_delay_alu instid0(VALU_DEP_4) | instskip(NEXT) | instid1(VALU_DEP_4)
	v_fma_f64 v[30:31], v[13:14], v[17:18], -v[30:31]
	v_fma_f64 v[17:18], v[15:16], v[17:18], v[19:20]
	v_mov_b32_e32 v19, s14
	v_fma_f64 v[32:33], v[9:10], v[21:22], -v[32:33]
	v_fma_f64 v[23:24], v[11:12], v[21:22], v[23:24]
	v_add_f64 v[5:6], v[5:6], -v[30:31]
	v_add_f64 v[7:8], v[7:8], -v[17:18]
	ds_load_b128 v[17:20], v19
	s_waitcnt lgkmcnt(0)
	v_cmp_gt_f64_e32 vcc_lo, 0, v[17:18]
	v_xor_b32_e32 v22, 0x80000000, v18
	v_xor_b32_e32 v31, 0x80000000, v20
	v_dual_mov_b32 v21, v17 :: v_dual_mov_b32 v30, v19
	v_add_f64 v[23:24], v[7:8], -v[23:24]
	s_delay_alu instid0(VALU_DEP_4) | instskip(SKIP_2) | instid1(VALU_DEP_1)
	v_cndmask_b32_e32 v22, v18, v22, vcc_lo
	v_cmp_gt_f64_e32 vcc_lo, 0, v[19:20]
	v_cndmask_b32_e32 v31, v20, v31, vcc_lo
	v_cmp_ngt_f64_e32 vcc_lo, v[21:22], v[30:31]
	v_add_f64 v[21:22], v[5:6], -v[32:33]
	s_cbranch_vccz .LBB218_73
; %bb.72:                               ;   in Loop: Header=BB218_61 Depth=1
	v_div_scale_f64 v[5:6], null, v[19:20], v[19:20], v[17:18]
	v_div_scale_f64 v[31:32], vcc_lo, v[17:18], v[19:20], v[17:18]
	s_delay_alu instid0(VALU_DEP_2) | instskip(SKIP_2) | instid1(VALU_DEP_1)
	v_rcp_f64_e32 v[7:8], v[5:6]
	s_waitcnt_depctr 0xfff
	v_fma_f64 v[29:30], -v[5:6], v[7:8], 1.0
	v_fma_f64 v[7:8], v[7:8], v[29:30], v[7:8]
	s_delay_alu instid0(VALU_DEP_1) | instskip(NEXT) | instid1(VALU_DEP_1)
	v_fma_f64 v[29:30], -v[5:6], v[7:8], 1.0
	v_fma_f64 v[7:8], v[7:8], v[29:30], v[7:8]
	s_delay_alu instid0(VALU_DEP_1) | instskip(NEXT) | instid1(VALU_DEP_1)
	v_mul_f64 v[29:30], v[31:32], v[7:8]
	v_fma_f64 v[5:6], -v[5:6], v[29:30], v[31:32]
	s_delay_alu instid0(VALU_DEP_1) | instskip(NEXT) | instid1(VALU_DEP_1)
	v_div_fmas_f64 v[5:6], v[5:6], v[7:8], v[29:30]
	v_div_fixup_f64 v[5:6], v[5:6], v[19:20], v[17:18]
	s_delay_alu instid0(VALU_DEP_1) | instskip(NEXT) | instid1(VALU_DEP_1)
	v_fma_f64 v[7:8], v[17:18], v[5:6], v[19:20]
	v_div_scale_f64 v[29:30], null, v[7:8], v[7:8], 1.0
	v_div_scale_f64 v[35:36], vcc_lo, 1.0, v[7:8], 1.0
	s_delay_alu instid0(VALU_DEP_2) | instskip(SKIP_2) | instid1(VALU_DEP_1)
	v_rcp_f64_e32 v[31:32], v[29:30]
	s_waitcnt_depctr 0xfff
	v_fma_f64 v[33:34], -v[29:30], v[31:32], 1.0
	v_fma_f64 v[31:32], v[31:32], v[33:34], v[31:32]
	s_delay_alu instid0(VALU_DEP_1) | instskip(NEXT) | instid1(VALU_DEP_1)
	v_fma_f64 v[33:34], -v[29:30], v[31:32], 1.0
	v_fma_f64 v[31:32], v[31:32], v[33:34], v[31:32]
	s_delay_alu instid0(VALU_DEP_1) | instskip(NEXT) | instid1(VALU_DEP_1)
	v_mul_f64 v[33:34], v[35:36], v[31:32]
	v_fma_f64 v[29:30], -v[29:30], v[33:34], v[35:36]
	s_delay_alu instid0(VALU_DEP_1) | instskip(SKIP_1) | instid1(VALU_DEP_2)
	v_div_fmas_f64 v[29:30], v[29:30], v[31:32], v[33:34]
	v_fma_f64 v[31:32], v[5:6], v[21:22], v[23:24]
	v_div_fixup_f64 v[7:8], v[29:30], v[7:8], 1.0
	v_fma_f64 v[29:30], v[5:6], v[23:24], -v[21:22]
	s_delay_alu instid0(VALU_DEP_2) | instskip(NEXT) | instid1(VALU_DEP_2)
	v_mul_f64 v[5:6], v[31:32], v[7:8]
	v_mul_f64 v[7:8], v[29:30], v[7:8]
	s_cbranch_execz .LBB218_74
	s_branch .LBB218_75
.LBB218_73:                             ;   in Loop: Header=BB218_61 Depth=1
                                        ; implicit-def: $vgpr7_vgpr8
.LBB218_74:                             ;   in Loop: Header=BB218_61 Depth=1
	v_div_scale_f64 v[5:6], null, v[17:18], v[17:18], v[19:20]
	v_div_scale_f64 v[31:32], vcc_lo, v[19:20], v[17:18], v[19:20]
	s_delay_alu instid0(VALU_DEP_2) | instskip(SKIP_2) | instid1(VALU_DEP_1)
	v_rcp_f64_e32 v[7:8], v[5:6]
	s_waitcnt_depctr 0xfff
	v_fma_f64 v[29:30], -v[5:6], v[7:8], 1.0
	v_fma_f64 v[7:8], v[7:8], v[29:30], v[7:8]
	s_delay_alu instid0(VALU_DEP_1) | instskip(NEXT) | instid1(VALU_DEP_1)
	v_fma_f64 v[29:30], -v[5:6], v[7:8], 1.0
	v_fma_f64 v[7:8], v[7:8], v[29:30], v[7:8]
	s_delay_alu instid0(VALU_DEP_1) | instskip(NEXT) | instid1(VALU_DEP_1)
	v_mul_f64 v[29:30], v[31:32], v[7:8]
	v_fma_f64 v[5:6], -v[5:6], v[29:30], v[31:32]
	s_delay_alu instid0(VALU_DEP_1) | instskip(NEXT) | instid1(VALU_DEP_1)
	v_div_fmas_f64 v[5:6], v[5:6], v[7:8], v[29:30]
	v_div_fixup_f64 v[5:6], v[5:6], v[17:18], v[19:20]
	s_delay_alu instid0(VALU_DEP_1) | instskip(NEXT) | instid1(VALU_DEP_1)
	v_fma_f64 v[7:8], v[19:20], v[5:6], v[17:18]
	v_div_scale_f64 v[17:18], null, v[7:8], v[7:8], 1.0
	v_div_scale_f64 v[31:32], vcc_lo, 1.0, v[7:8], 1.0
	s_delay_alu instid0(VALU_DEP_2) | instskip(SKIP_2) | instid1(VALU_DEP_1)
	v_rcp_f64_e32 v[19:20], v[17:18]
	s_waitcnt_depctr 0xfff
	v_fma_f64 v[29:30], -v[17:18], v[19:20], 1.0
	v_fma_f64 v[19:20], v[19:20], v[29:30], v[19:20]
	s_delay_alu instid0(VALU_DEP_1) | instskip(NEXT) | instid1(VALU_DEP_1)
	v_fma_f64 v[29:30], -v[17:18], v[19:20], 1.0
	v_fma_f64 v[19:20], v[19:20], v[29:30], v[19:20]
	s_delay_alu instid0(VALU_DEP_1) | instskip(NEXT) | instid1(VALU_DEP_1)
	v_mul_f64 v[29:30], v[31:32], v[19:20]
	v_fma_f64 v[17:18], -v[17:18], v[29:30], v[31:32]
	s_delay_alu instid0(VALU_DEP_1) | instskip(SKIP_1) | instid1(VALU_DEP_2)
	v_div_fmas_f64 v[17:18], v[17:18], v[19:20], v[29:30]
	v_fma_f64 v[19:20], v[5:6], v[23:24], v[21:22]
	v_div_fixup_f64 v[7:8], v[17:18], v[7:8], 1.0
	v_fma_f64 v[17:18], -v[5:6], v[21:22], v[23:24]
	s_delay_alu instid0(VALU_DEP_2) | instskip(NEXT) | instid1(VALU_DEP_2)
	v_mul_f64 v[5:6], v[19:20], v[7:8]
	v_mul_f64 v[7:8], v[17:18], v[7:8]
.LBB218_75:                             ;   in Loop: Header=BB218_61 Depth=1
	s_add_i32 s10, s10, s11
	s_add_i32 s7, s7, s11
	s_lshl_b32 s10, s10, 4
	s_lshl_b32 s7, s7, 4
	v_mov_b32_e32 v17, s10
	v_mov_b32_e32 v21, s7
	s_add_i32 s6, s6, s11
	ds_store_b128 v28, v[5:8]
	s_lshl_b32 s6, s6, 4
	ds_load_b128 v[17:20], v17
	ds_load_b128 v[21:24], v21
	s_waitcnt lgkmcnt(1)
	v_mul_f64 v[29:30], v[15:16], v[19:20]
	v_mul_f64 v[19:20], v[13:14], v[19:20]
	s_delay_alu instid0(VALU_DEP_2) | instskip(SKIP_1) | instid1(VALU_DEP_3)
	v_fma_f64 v[29:30], v[13:14], v[17:18], -v[29:30]
	v_mov_b32_e32 v13, s6
	v_fma_f64 v[33:34], v[15:16], v[17:18], v[19:20]
	s_add_i32 s6, s14, 0xfffffef0
	ds_load_b128 v[17:20], v13
	s_waitcnt lgkmcnt(1)
	v_mul_f64 v[31:32], v[11:12], v[23:24]
	v_mul_f64 v[23:24], v[9:10], v[23:24]
	v_mov_b32_e32 v13, s6
	ds_load_b128 v[13:16], v13
	s_waitcnt lgkmcnt(1)
	v_mul_f64 v[35:36], v[7:8], v[19:20]
	v_mul_f64 v[19:20], v[5:6], v[19:20]
	s_waitcnt lgkmcnt(0)
	v_cmp_gt_f64_e32 vcc_lo, 0, v[13:14]
	v_add_f64 v[1:2], v[1:2], -v[29:30]
	v_add_f64 v[3:4], v[3:4], -v[33:34]
	v_fma_f64 v[9:10], v[9:10], v[21:22], -v[31:32]
	v_fma_f64 v[11:12], v[11:12], v[21:22], v[23:24]
	v_fma_f64 v[21:22], v[5:6], v[17:18], -v[35:36]
	v_fma_f64 v[17:18], v[7:8], v[17:18], v[19:20]
	s_delay_alu instid0(VALU_DEP_4) | instskip(SKIP_4) | instid1(VALU_DEP_4)
	v_add_f64 v[1:2], v[1:2], -v[9:10]
	v_xor_b32_e32 v10, 0x80000000, v14
	v_add_f64 v[3:4], v[3:4], -v[11:12]
	v_xor_b32_e32 v12, 0x80000000, v16
	v_mov_b32_e32 v9, v13
	v_dual_mov_b32 v11, v15 :: v_dual_cndmask_b32 v10, v14, v10
	v_cmp_gt_f64_e32 vcc_lo, 0, v[15:16]
	s_delay_alu instid0(VALU_DEP_4) | instskip(NEXT) | instid1(VALU_DEP_1)
	v_cndmask_b32_e32 v12, v16, v12, vcc_lo
	v_cmp_ngt_f64_e32 vcc_lo, v[9:10], v[11:12]
	v_add_f64 v[9:10], v[1:2], -v[21:22]
	v_add_f64 v[11:12], v[3:4], -v[17:18]
	s_cbranch_vccz .LBB218_77
; %bb.76:                               ;   in Loop: Header=BB218_61 Depth=1
	v_div_scale_f64 v[1:2], null, v[15:16], v[15:16], v[13:14]
	v_div_scale_f64 v[7:8], vcc_lo, v[13:14], v[15:16], v[13:14]
	s_delay_alu instid0(VALU_DEP_2) | instskip(SKIP_2) | instid1(VALU_DEP_1)
	v_rcp_f64_e32 v[3:4], v[1:2]
	s_waitcnt_depctr 0xfff
	v_fma_f64 v[5:6], -v[1:2], v[3:4], 1.0
	v_fma_f64 v[3:4], v[3:4], v[5:6], v[3:4]
	s_delay_alu instid0(VALU_DEP_1) | instskip(NEXT) | instid1(VALU_DEP_1)
	v_fma_f64 v[5:6], -v[1:2], v[3:4], 1.0
	v_fma_f64 v[3:4], v[3:4], v[5:6], v[3:4]
	s_delay_alu instid0(VALU_DEP_1) | instskip(NEXT) | instid1(VALU_DEP_1)
	v_mul_f64 v[5:6], v[7:8], v[3:4]
	v_fma_f64 v[1:2], -v[1:2], v[5:6], v[7:8]
	s_delay_alu instid0(VALU_DEP_1) | instskip(NEXT) | instid1(VALU_DEP_1)
	v_div_fmas_f64 v[1:2], v[1:2], v[3:4], v[5:6]
	v_div_fixup_f64 v[1:2], v[1:2], v[15:16], v[13:14]
	s_delay_alu instid0(VALU_DEP_1) | instskip(NEXT) | instid1(VALU_DEP_1)
	v_fma_f64 v[3:4], v[13:14], v[1:2], v[15:16]
	v_div_scale_f64 v[5:6], null, v[3:4], v[3:4], 1.0
	v_div_scale_f64 v[19:20], vcc_lo, 1.0, v[3:4], 1.0
	s_delay_alu instid0(VALU_DEP_2) | instskip(SKIP_2) | instid1(VALU_DEP_1)
	v_rcp_f64_e32 v[7:8], v[5:6]
	s_waitcnt_depctr 0xfff
	v_fma_f64 v[17:18], -v[5:6], v[7:8], 1.0
	v_fma_f64 v[7:8], v[7:8], v[17:18], v[7:8]
	s_delay_alu instid0(VALU_DEP_1) | instskip(NEXT) | instid1(VALU_DEP_1)
	v_fma_f64 v[17:18], -v[5:6], v[7:8], 1.0
	v_fma_f64 v[7:8], v[7:8], v[17:18], v[7:8]
	s_delay_alu instid0(VALU_DEP_1) | instskip(NEXT) | instid1(VALU_DEP_1)
	v_mul_f64 v[17:18], v[19:20], v[7:8]
	v_fma_f64 v[5:6], -v[5:6], v[17:18], v[19:20]
	s_delay_alu instid0(VALU_DEP_1) | instskip(SKIP_1) | instid1(VALU_DEP_2)
	v_div_fmas_f64 v[5:6], v[5:6], v[7:8], v[17:18]
	v_fma_f64 v[7:8], v[1:2], v[9:10], v[11:12]
	v_div_fixup_f64 v[3:4], v[5:6], v[3:4], 1.0
	v_fma_f64 v[5:6], v[1:2], v[11:12], -v[9:10]
	s_delay_alu instid0(VALU_DEP_2) | instskip(NEXT) | instid1(VALU_DEP_2)
	v_mul_f64 v[1:2], v[7:8], v[3:4]
	v_mul_f64 v[3:4], v[5:6], v[3:4]
	s_cbranch_execz .LBB218_78
	s_branch .LBB218_79
.LBB218_77:                             ;   in Loop: Header=BB218_61 Depth=1
                                        ; implicit-def: $vgpr3_vgpr4
.LBB218_78:                             ;   in Loop: Header=BB218_61 Depth=1
	v_div_scale_f64 v[1:2], null, v[13:14], v[13:14], v[15:16]
	v_div_scale_f64 v[7:8], vcc_lo, v[15:16], v[13:14], v[15:16]
	s_delay_alu instid0(VALU_DEP_2) | instskip(SKIP_2) | instid1(VALU_DEP_1)
	v_rcp_f64_e32 v[3:4], v[1:2]
	s_waitcnt_depctr 0xfff
	v_fma_f64 v[5:6], -v[1:2], v[3:4], 1.0
	v_fma_f64 v[3:4], v[3:4], v[5:6], v[3:4]
	s_delay_alu instid0(VALU_DEP_1) | instskip(NEXT) | instid1(VALU_DEP_1)
	v_fma_f64 v[5:6], -v[1:2], v[3:4], 1.0
	v_fma_f64 v[3:4], v[3:4], v[5:6], v[3:4]
	s_delay_alu instid0(VALU_DEP_1) | instskip(NEXT) | instid1(VALU_DEP_1)
	v_mul_f64 v[5:6], v[7:8], v[3:4]
	v_fma_f64 v[1:2], -v[1:2], v[5:6], v[7:8]
	s_delay_alu instid0(VALU_DEP_1) | instskip(NEXT) | instid1(VALU_DEP_1)
	v_div_fmas_f64 v[1:2], v[1:2], v[3:4], v[5:6]
	v_div_fixup_f64 v[1:2], v[1:2], v[13:14], v[15:16]
	s_delay_alu instid0(VALU_DEP_1) | instskip(NEXT) | instid1(VALU_DEP_1)
	v_fma_f64 v[3:4], v[15:16], v[1:2], v[13:14]
	v_div_scale_f64 v[5:6], null, v[3:4], v[3:4], 1.0
	v_div_scale_f64 v[15:16], vcc_lo, 1.0, v[3:4], 1.0
	s_delay_alu instid0(VALU_DEP_2) | instskip(SKIP_2) | instid1(VALU_DEP_1)
	v_rcp_f64_e32 v[7:8], v[5:6]
	s_waitcnt_depctr 0xfff
	v_fma_f64 v[13:14], -v[5:6], v[7:8], 1.0
	v_fma_f64 v[7:8], v[7:8], v[13:14], v[7:8]
	s_delay_alu instid0(VALU_DEP_1) | instskip(NEXT) | instid1(VALU_DEP_1)
	v_fma_f64 v[13:14], -v[5:6], v[7:8], 1.0
	v_fma_f64 v[7:8], v[7:8], v[13:14], v[7:8]
	s_delay_alu instid0(VALU_DEP_1) | instskip(NEXT) | instid1(VALU_DEP_1)
	v_mul_f64 v[13:14], v[15:16], v[7:8]
	v_fma_f64 v[5:6], -v[5:6], v[13:14], v[15:16]
	s_delay_alu instid0(VALU_DEP_1) | instskip(SKIP_1) | instid1(VALU_DEP_2)
	v_div_fmas_f64 v[5:6], v[5:6], v[7:8], v[13:14]
	v_fma_f64 v[7:8], v[1:2], v[11:12], v[9:10]
	v_div_fixup_f64 v[3:4], v[5:6], v[3:4], 1.0
	v_fma_f64 v[5:6], -v[1:2], v[9:10], v[11:12]
	s_delay_alu instid0(VALU_DEP_2) | instskip(NEXT) | instid1(VALU_DEP_2)
	v_mul_f64 v[1:2], v[7:8], v[3:4]
	v_mul_f64 v[3:4], v[5:6], v[3:4]
.LBB218_79:                             ;   in Loop: Header=BB218_61 Depth=1
	s_add_i32 s6, s5, -4
	s_sub_i32 s4, s4, 64
	s_cmp_lt_i32 s5, 7
	ds_store_b128 v27, v[1:4]
	s_cbranch_scc1 .LBB218_81
; %bb.80:                               ;   in Loop: Header=BB218_61 Depth=1
	s_mov_b32 s5, s6
	s_branch .LBB218_61
.LBB218_81:
	s_cmp_lt_i32 s6, 0
	s_cbranch_scc1 .LBB218_90
; %bb.82:
	s_lshl_b32 s4, s29, 8
	s_lshl_b32 s5, s6, 4
	v_lshl_or_b32 v1, v0, 4, s4
	v_lshlrev_b32_e32 v14, 4, v0
	s_add_i32 s4, s4, s5
	s_delay_alu instid0(SALU_CYCLE_1) | instskip(NEXT) | instid1(VALU_DEP_2)
	s_addk_i32 s4, 0xff00
	v_add_nc_u32_e32 v13, 0xf00, v1
	s_branch .LBB218_84
.LBB218_83:                             ;   in Loop: Header=BB218_84 Depth=1
	s_add_i32 s5, s6, -1
	s_add_i32 s4, s4, -16
	s_cmp_lt_i32 s6, 1
	s_mov_b32 s6, s5
	ds_store_b128 v15, v[9:12]
	s_cbranch_scc1 .LBB218_90
.LBB218_84:                             ; =>This Loop Header: Depth=1
                                        ;     Child Loop BB218_85 Depth 2
	v_lshl_or_b32 v5, s6, 8, v14
	s_delay_alu instid0(VALU_DEP_2)
	v_mov_b32_e32 v6, v13
	s_cmp_le_i32 s30, s6
	s_mov_b32 s5, s4
	s_mov_b32 s7, s30
	ds_load_b128 v[1:4], v5 offset:4096
	s_cbranch_scc1 .LBB218_86
	.p2align	6
.LBB218_85:                             ;   Parent Loop BB218_84 Depth=1
                                        ; =>  This Inner Loop Header: Depth=2
	v_mov_b32_e32 v11, s5
	s_add_i32 s7, s7, -1
	s_addk_i32 s5, 0xff00
	s_cmp_le_i32 s7, s6
	ds_load_b128 v[7:10], v6
	ds_load_b128 v[15:18], v11
	v_add_nc_u32_e32 v6, 0xffffff00, v6
	s_waitcnt lgkmcnt(0)
	v_mul_f64 v[11:12], v[17:18], v[9:10]
	v_mul_f64 v[9:10], v[15:16], v[9:10]
	s_delay_alu instid0(VALU_DEP_2) | instskip(NEXT) | instid1(VALU_DEP_2)
	v_fma_f64 v[11:12], v[15:16], v[7:8], -v[11:12]
	v_fma_f64 v[7:8], v[17:18], v[7:8], v[9:10]
	s_delay_alu instid0(VALU_DEP_2) | instskip(NEXT) | instid1(VALU_DEP_2)
	v_add_f64 v[1:2], v[1:2], -v[11:12]
	v_add_f64 v[3:4], v[3:4], -v[7:8]
	s_cbranch_scc0 .LBB218_85
.LBB218_86:                             ;   in Loop: Header=BB218_84 Depth=1
	s_mul_i32 s5, s6, 0x110
	v_add_nc_u32_e32 v15, 0x1000, v5
	v_mov_b32_e32 v5, s5
	ds_load_b128 v[5:8], v5
	s_waitcnt lgkmcnt(0)
	v_cmp_gt_f64_e32 vcc_lo, 0, v[5:6]
	v_xor_b32_e32 v10, 0x80000000, v6
	v_xor_b32_e32 v11, 0x80000000, v8
	s_delay_alu instid0(VALU_DEP_2) | instskip(SKIP_1) | instid1(VALU_DEP_3)
	v_dual_mov_b32 v9, v5 :: v_dual_cndmask_b32 v10, v6, v10
	v_cmp_gt_f64_e32 vcc_lo, 0, v[7:8]
	v_dual_cndmask_b32 v12, v8, v11 :: v_dual_mov_b32 v11, v7
	s_delay_alu instid0(VALU_DEP_1)
	v_cmp_ngt_f64_e32 vcc_lo, v[9:10], v[11:12]
	s_cbranch_vccz .LBB218_88
; %bb.87:                               ;   in Loop: Header=BB218_84 Depth=1
	v_div_scale_f64 v[9:10], null, v[7:8], v[7:8], v[5:6]
	v_div_scale_f64 v[18:19], vcc_lo, v[5:6], v[7:8], v[5:6]
	s_delay_alu instid0(VALU_DEP_2) | instskip(SKIP_2) | instid1(VALU_DEP_1)
	v_rcp_f64_e32 v[11:12], v[9:10]
	s_waitcnt_depctr 0xfff
	v_fma_f64 v[16:17], -v[9:10], v[11:12], 1.0
	v_fma_f64 v[11:12], v[11:12], v[16:17], v[11:12]
	s_delay_alu instid0(VALU_DEP_1) | instskip(NEXT) | instid1(VALU_DEP_1)
	v_fma_f64 v[16:17], -v[9:10], v[11:12], 1.0
	v_fma_f64 v[11:12], v[11:12], v[16:17], v[11:12]
	s_delay_alu instid0(VALU_DEP_1) | instskip(NEXT) | instid1(VALU_DEP_1)
	v_mul_f64 v[16:17], v[18:19], v[11:12]
	v_fma_f64 v[9:10], -v[9:10], v[16:17], v[18:19]
	s_delay_alu instid0(VALU_DEP_1) | instskip(NEXT) | instid1(VALU_DEP_1)
	v_div_fmas_f64 v[9:10], v[9:10], v[11:12], v[16:17]
	v_div_fixup_f64 v[9:10], v[9:10], v[7:8], v[5:6]
	s_delay_alu instid0(VALU_DEP_1) | instskip(NEXT) | instid1(VALU_DEP_1)
	v_fma_f64 v[11:12], v[5:6], v[9:10], v[7:8]
	v_div_scale_f64 v[16:17], null, v[11:12], v[11:12], 1.0
	v_div_scale_f64 v[22:23], vcc_lo, 1.0, v[11:12], 1.0
	s_delay_alu instid0(VALU_DEP_2) | instskip(SKIP_2) | instid1(VALU_DEP_1)
	v_rcp_f64_e32 v[18:19], v[16:17]
	s_waitcnt_depctr 0xfff
	v_fma_f64 v[20:21], -v[16:17], v[18:19], 1.0
	v_fma_f64 v[18:19], v[18:19], v[20:21], v[18:19]
	s_delay_alu instid0(VALU_DEP_1) | instskip(NEXT) | instid1(VALU_DEP_1)
	v_fma_f64 v[20:21], -v[16:17], v[18:19], 1.0
	v_fma_f64 v[18:19], v[18:19], v[20:21], v[18:19]
	s_delay_alu instid0(VALU_DEP_1) | instskip(NEXT) | instid1(VALU_DEP_1)
	v_mul_f64 v[20:21], v[22:23], v[18:19]
	v_fma_f64 v[16:17], -v[16:17], v[20:21], v[22:23]
	s_delay_alu instid0(VALU_DEP_1) | instskip(SKIP_1) | instid1(VALU_DEP_2)
	v_div_fmas_f64 v[16:17], v[16:17], v[18:19], v[20:21]
	v_fma_f64 v[18:19], v[1:2], v[9:10], v[3:4]
	v_div_fixup_f64 v[11:12], v[16:17], v[11:12], 1.0
	v_fma_f64 v[16:17], v[3:4], v[9:10], -v[1:2]
	s_delay_alu instid0(VALU_DEP_2) | instskip(NEXT) | instid1(VALU_DEP_2)
	v_mul_f64 v[9:10], v[18:19], v[11:12]
	v_mul_f64 v[11:12], v[16:17], v[11:12]
	s_cbranch_execnz .LBB218_83
	s_branch .LBB218_89
.LBB218_88:                             ;   in Loop: Header=BB218_84 Depth=1
                                        ; implicit-def: $vgpr9_vgpr10
.LBB218_89:                             ;   in Loop: Header=BB218_84 Depth=1
	v_div_scale_f64 v[9:10], null, v[5:6], v[5:6], v[7:8]
	v_div_scale_f64 v[18:19], vcc_lo, v[7:8], v[5:6], v[7:8]
	s_delay_alu instid0(VALU_DEP_2) | instskip(SKIP_2) | instid1(VALU_DEP_1)
	v_rcp_f64_e32 v[11:12], v[9:10]
	s_waitcnt_depctr 0xfff
	v_fma_f64 v[16:17], -v[9:10], v[11:12], 1.0
	v_fma_f64 v[11:12], v[11:12], v[16:17], v[11:12]
	s_delay_alu instid0(VALU_DEP_1) | instskip(NEXT) | instid1(VALU_DEP_1)
	v_fma_f64 v[16:17], -v[9:10], v[11:12], 1.0
	v_fma_f64 v[11:12], v[11:12], v[16:17], v[11:12]
	s_delay_alu instid0(VALU_DEP_1) | instskip(NEXT) | instid1(VALU_DEP_1)
	v_mul_f64 v[16:17], v[18:19], v[11:12]
	v_fma_f64 v[9:10], -v[9:10], v[16:17], v[18:19]
	s_delay_alu instid0(VALU_DEP_1) | instskip(NEXT) | instid1(VALU_DEP_1)
	v_div_fmas_f64 v[9:10], v[9:10], v[11:12], v[16:17]
	v_div_fixup_f64 v[9:10], v[9:10], v[5:6], v[7:8]
	s_delay_alu instid0(VALU_DEP_1) | instskip(NEXT) | instid1(VALU_DEP_1)
	v_fma_f64 v[5:6], v[7:8], v[9:10], v[5:6]
	v_div_scale_f64 v[7:8], null, v[5:6], v[5:6], 1.0
	v_div_scale_f64 v[18:19], vcc_lo, 1.0, v[5:6], 1.0
	s_delay_alu instid0(VALU_DEP_2) | instskip(SKIP_2) | instid1(VALU_DEP_1)
	v_rcp_f64_e32 v[11:12], v[7:8]
	s_waitcnt_depctr 0xfff
	v_fma_f64 v[16:17], -v[7:8], v[11:12], 1.0
	v_fma_f64 v[11:12], v[11:12], v[16:17], v[11:12]
	s_delay_alu instid0(VALU_DEP_1) | instskip(NEXT) | instid1(VALU_DEP_1)
	v_fma_f64 v[16:17], -v[7:8], v[11:12], 1.0
	v_fma_f64 v[11:12], v[11:12], v[16:17], v[11:12]
	s_delay_alu instid0(VALU_DEP_1) | instskip(NEXT) | instid1(VALU_DEP_1)
	v_mul_f64 v[16:17], v[18:19], v[11:12]
	v_fma_f64 v[7:8], -v[7:8], v[16:17], v[18:19]
	s_delay_alu instid0(VALU_DEP_1) | instskip(SKIP_2) | instid1(VALU_DEP_3)
	v_div_fmas_f64 v[7:8], v[7:8], v[11:12], v[16:17]
	v_fma_f64 v[11:12], v[3:4], v[9:10], v[1:2]
	v_fma_f64 v[1:2], -v[1:2], v[9:10], v[3:4]
	v_div_fixup_f64 v[5:6], v[7:8], v[5:6], 1.0
	s_delay_alu instid0(VALU_DEP_1) | instskip(NEXT) | instid1(VALU_DEP_3)
	v_mul_f64 v[9:10], v[11:12], v[5:6]
	v_mul_f64 v[11:12], v[1:2], v[5:6]
	s_branch .LBB218_83
.LBB218_90:
	s_mov_b32 s5, 0
.LBB218_91:
	s_delay_alu instid0(SALU_CYCLE_1)
	s_and_not1_b32 vcc_lo, exec_lo, s5
	s_cbranch_vccnz .LBB218_123
; %bb.92:
	s_and_not1_b32 vcc_lo, exec_lo, s1
	s_mov_b32 s5, s30
	s_cbranch_vccnz .LBB218_114
; %bb.93:
	v_lshlrev_b32_e32 v1, 4, v0
	s_mul_i32 s1, s29, 0x110
	s_mov_b32 s4, s30
	s_addk_i32 s1, 0xfbe0
	s_delay_alu instid0(VALU_DEP_1) | instskip(NEXT) | instid1(VALU_DEP_1)
	v_lshl_or_b32 v1, s29, 8, v1
	v_add_nc_u32_e32 v25, 0xe00, v1
.LBB218_94:                             ; =>This Loop Header: Depth=1
                                        ;     Child Loop BB218_95 Depth 2
	s_add_i32 s6, s4, -1
	s_lshl_b32 s7, s4, 4
	s_add_i32 s5, s4, -2
	s_lshl_b32 s11, s6, 4
	v_or_b32_e32 v1, s7, v0
	s_lshl_b32 s10, s5, 4
	v_or_b32_e32 v2, s11, v0
	s_sub_i32 s7, s7, 48
	v_or_b32_e32 v3, s10, v0
	v_or_b32_e32 v4, s7, v0
	v_lshlrev_b32_e32 v13, 4, v1
	v_dual_mov_b32 v21, v25 :: v_dual_lshlrev_b32 v14, 4, v2
	s_delay_alu instid0(VALU_DEP_4) | instskip(NEXT) | instid1(VALU_DEP_4)
	v_lshlrev_b32_e32 v15, 4, v3
	v_lshlrev_b32_e32 v16, 4, v4
	ds_load_b128 v[17:20], v13 offset:4096
	ds_load_b128 v[9:12], v14 offset:4096
	;; [unrolled: 1-line block ×4, first 2 shown]
	s_cmp_le_i32 s30, s4
	s_mov_b32 s14, s1
	s_mov_b32 s15, s30
	s_cbranch_scc1 .LBB218_96
.LBB218_95:                             ;   Parent Loop BB218_94 Depth=1
                                        ; =>  This Inner Loop Header: Depth=2
	v_mov_b32_e32 v22, s14
	s_add_i32 s15, s15, -2
	s_sub_i32 s14, s14, 32
	s_cmp_le_i32 s15, s4
	ds_load_b128 v[26:29], v21 offset:256
	ds_load_b128 v[30:33], v22 offset:784
	;; [unrolled: 1-line block ×5, first 2 shown]
	ds_load_b128 v[46:49], v22
	ds_load_b128 v[50:53], v21
	ds_load_b128 v[54:57], v22 offset:768
	ds_load_b128 v[58:61], v22 offset:512
	;; [unrolled: 1-line block ×3, first 2 shown]
	v_add_nc_u32_e32 v21, 0xfffffe00, v21
	s_waitcnt lgkmcnt(8)
	v_mul_f64 v[22:23], v[28:29], v[32:33]
	v_mul_f64 v[32:33], v[26:27], v[32:33]
	s_waitcnt lgkmcnt(7)
	v_mul_f64 v[66:67], v[28:29], v[36:37]
	v_mul_f64 v[36:37], v[26:27], v[36:37]
	;; [unrolled: 3-line block ×7, first 2 shown]
	v_mul_f64 v[78:79], v[52:53], v[48:49]
	v_mul_f64 v[48:49], v[50:51], v[48:49]
	v_fma_f64 v[22:23], v[26:27], v[30:31], -v[22:23]
	v_fma_f64 v[30:31], v[28:29], v[30:31], v[32:33]
	v_fma_f64 v[32:33], v[26:27], v[34:35], -v[66:67]
	v_fma_f64 v[34:35], v[28:29], v[34:35], v[36:37]
	;; [unrolled: 2-line block ×8, first 2 shown]
	v_add_f64 v[17:18], v[17:18], -v[22:23]
	v_add_f64 v[19:20], v[19:20], -v[30:31]
	;; [unrolled: 1-line block ×16, first 2 shown]
	s_cbranch_scc0 .LBB218_95
.LBB218_96:                             ;   in Loop: Header=BB218_94 Depth=1
	s_mul_i32 s14, s4, 0x110
	v_add_nc_u32_e32 v29, 0x1000, v13
	v_dual_mov_b32 v13, s14 :: v_dual_add_nc_u32 v28, 0x1000, v14
	v_add_nc_u32_e32 v27, 0x1000, v15
	ds_load_b128 v[21:24], v13
	s_waitcnt lgkmcnt(0)
	v_dual_mov_b32 v13, v21 :: v_dual_add_nc_u32 v26, 0x1000, v16
	v_cmp_gt_f64_e32 vcc_lo, 0, v[21:22]
	v_xor_b32_e32 v14, 0x80000000, v22
	v_xor_b32_e32 v15, 0x80000000, v24
	s_delay_alu instid0(VALU_DEP_2) | instskip(SKIP_1) | instid1(VALU_DEP_3)
	v_cndmask_b32_e32 v14, v22, v14, vcc_lo
	v_cmp_gt_f64_e32 vcc_lo, 0, v[23:24]
	v_dual_cndmask_b32 v16, v24, v15 :: v_dual_mov_b32 v15, v23
	s_delay_alu instid0(VALU_DEP_1)
	v_cmp_ngt_f64_e32 vcc_lo, v[13:14], v[15:16]
	s_cbranch_vccz .LBB218_98
; %bb.97:                               ;   in Loop: Header=BB218_94 Depth=1
	v_div_scale_f64 v[13:14], null, v[23:24], v[23:24], v[21:22]
	v_div_scale_f64 v[32:33], vcc_lo, v[21:22], v[23:24], v[21:22]
	s_delay_alu instid0(VALU_DEP_2) | instskip(SKIP_2) | instid1(VALU_DEP_1)
	v_rcp_f64_e32 v[15:16], v[13:14]
	s_waitcnt_depctr 0xfff
	v_fma_f64 v[30:31], -v[13:14], v[15:16], 1.0
	v_fma_f64 v[15:16], v[15:16], v[30:31], v[15:16]
	s_delay_alu instid0(VALU_DEP_1) | instskip(NEXT) | instid1(VALU_DEP_1)
	v_fma_f64 v[30:31], -v[13:14], v[15:16], 1.0
	v_fma_f64 v[15:16], v[15:16], v[30:31], v[15:16]
	s_delay_alu instid0(VALU_DEP_1) | instskip(NEXT) | instid1(VALU_DEP_1)
	v_mul_f64 v[30:31], v[32:33], v[15:16]
	v_fma_f64 v[13:14], -v[13:14], v[30:31], v[32:33]
	s_delay_alu instid0(VALU_DEP_1) | instskip(NEXT) | instid1(VALU_DEP_1)
	v_div_fmas_f64 v[13:14], v[13:14], v[15:16], v[30:31]
	v_div_fixup_f64 v[13:14], v[13:14], v[23:24], v[21:22]
	s_delay_alu instid0(VALU_DEP_1) | instskip(NEXT) | instid1(VALU_DEP_1)
	v_fma_f64 v[15:16], v[21:22], v[13:14], v[23:24]
	v_div_scale_f64 v[30:31], null, v[15:16], v[15:16], 1.0
	v_div_scale_f64 v[36:37], vcc_lo, 1.0, v[15:16], 1.0
	s_delay_alu instid0(VALU_DEP_2) | instskip(SKIP_2) | instid1(VALU_DEP_1)
	v_rcp_f64_e32 v[32:33], v[30:31]
	s_waitcnt_depctr 0xfff
	v_fma_f64 v[34:35], -v[30:31], v[32:33], 1.0
	v_fma_f64 v[32:33], v[32:33], v[34:35], v[32:33]
	s_delay_alu instid0(VALU_DEP_1) | instskip(NEXT) | instid1(VALU_DEP_1)
	v_fma_f64 v[34:35], -v[30:31], v[32:33], 1.0
	v_fma_f64 v[32:33], v[32:33], v[34:35], v[32:33]
	s_delay_alu instid0(VALU_DEP_1) | instskip(NEXT) | instid1(VALU_DEP_1)
	v_mul_f64 v[34:35], v[36:37], v[32:33]
	v_fma_f64 v[30:31], -v[30:31], v[34:35], v[36:37]
	s_delay_alu instid0(VALU_DEP_1) | instskip(SKIP_1) | instid1(VALU_DEP_2)
	v_div_fmas_f64 v[30:31], v[30:31], v[32:33], v[34:35]
	v_fma_f64 v[32:33], v[17:18], v[13:14], v[19:20]
	v_div_fixup_f64 v[15:16], v[30:31], v[15:16], 1.0
	v_fma_f64 v[30:31], v[19:20], v[13:14], -v[17:18]
	s_delay_alu instid0(VALU_DEP_2) | instskip(NEXT) | instid1(VALU_DEP_2)
	v_mul_f64 v[13:14], v[32:33], v[15:16]
	v_mul_f64 v[15:16], v[30:31], v[15:16]
	s_cbranch_execz .LBB218_99
	s_branch .LBB218_100
.LBB218_98:                             ;   in Loop: Header=BB218_94 Depth=1
                                        ; implicit-def: $vgpr15_vgpr16
.LBB218_99:                             ;   in Loop: Header=BB218_94 Depth=1
	v_div_scale_f64 v[13:14], null, v[21:22], v[21:22], v[23:24]
	v_div_scale_f64 v[32:33], vcc_lo, v[23:24], v[21:22], v[23:24]
	s_delay_alu instid0(VALU_DEP_2) | instskip(SKIP_2) | instid1(VALU_DEP_1)
	v_rcp_f64_e32 v[15:16], v[13:14]
	s_waitcnt_depctr 0xfff
	v_fma_f64 v[30:31], -v[13:14], v[15:16], 1.0
	v_fma_f64 v[15:16], v[15:16], v[30:31], v[15:16]
	s_delay_alu instid0(VALU_DEP_1) | instskip(NEXT) | instid1(VALU_DEP_1)
	v_fma_f64 v[30:31], -v[13:14], v[15:16], 1.0
	v_fma_f64 v[15:16], v[15:16], v[30:31], v[15:16]
	s_delay_alu instid0(VALU_DEP_1) | instskip(NEXT) | instid1(VALU_DEP_1)
	v_mul_f64 v[30:31], v[32:33], v[15:16]
	v_fma_f64 v[13:14], -v[13:14], v[30:31], v[32:33]
	s_delay_alu instid0(VALU_DEP_1) | instskip(NEXT) | instid1(VALU_DEP_1)
	v_div_fmas_f64 v[13:14], v[13:14], v[15:16], v[30:31]
	v_div_fixup_f64 v[13:14], v[13:14], v[21:22], v[23:24]
	s_delay_alu instid0(VALU_DEP_1) | instskip(NEXT) | instid1(VALU_DEP_1)
	v_fma_f64 v[15:16], v[23:24], v[13:14], v[21:22]
	v_div_scale_f64 v[21:22], null, v[15:16], v[15:16], 1.0
	v_div_scale_f64 v[32:33], vcc_lo, 1.0, v[15:16], 1.0
	s_delay_alu instid0(VALU_DEP_2) | instskip(SKIP_2) | instid1(VALU_DEP_1)
	v_rcp_f64_e32 v[23:24], v[21:22]
	s_waitcnt_depctr 0xfff
	v_fma_f64 v[30:31], -v[21:22], v[23:24], 1.0
	v_fma_f64 v[23:24], v[23:24], v[30:31], v[23:24]
	s_delay_alu instid0(VALU_DEP_1) | instskip(NEXT) | instid1(VALU_DEP_1)
	v_fma_f64 v[30:31], -v[21:22], v[23:24], 1.0
	v_fma_f64 v[23:24], v[23:24], v[30:31], v[23:24]
	s_delay_alu instid0(VALU_DEP_1) | instskip(NEXT) | instid1(VALU_DEP_1)
	v_mul_f64 v[30:31], v[32:33], v[23:24]
	v_fma_f64 v[21:22], -v[21:22], v[30:31], v[32:33]
	s_delay_alu instid0(VALU_DEP_1) | instskip(SKIP_2) | instid1(VALU_DEP_3)
	v_div_fmas_f64 v[21:22], v[21:22], v[23:24], v[30:31]
	v_fma_f64 v[23:24], v[19:20], v[13:14], v[17:18]
	v_fma_f64 v[17:18], -v[17:18], v[13:14], v[19:20]
	v_div_fixup_f64 v[15:16], v[21:22], v[15:16], 1.0
	s_delay_alu instid0(VALU_DEP_1) | instskip(NEXT) | instid1(VALU_DEP_3)
	v_mul_f64 v[13:14], v[23:24], v[15:16]
	v_mul_f64 v[15:16], v[17:18], v[15:16]
.LBB218_100:                            ;   in Loop: Header=BB218_94 Depth=1
	s_add_i32 s11, s11, s4
	ds_store_b128 v29, v[13:16]
	s_lshl_b32 s11, s11, 4
	s_delay_alu instid0(SALU_CYCLE_1)
	v_mov_b32_e32 v17, s11
	s_add_i32 s11, s14, 0xfffffef0
	ds_load_b128 v[21:24], v17
	v_mov_b32_e32 v17, s11
	ds_load_b128 v[17:20], v17
	s_waitcnt lgkmcnt(1)
	v_mul_f64 v[30:31], v[15:16], v[23:24]
	v_mul_f64 v[23:24], v[13:14], v[23:24]
	s_waitcnt lgkmcnt(0)
	v_cmp_gt_f64_e32 vcc_lo, 0, v[17:18]
	v_xor_b32_e32 v33, 0x80000000, v20
	v_mov_b32_e32 v32, v19
	v_fma_f64 v[30:31], v[13:14], v[21:22], -v[30:31]
	v_fma_f64 v[23:24], v[15:16], v[21:22], v[23:24]
	v_xor_b32_e32 v22, 0x80000000, v18
	s_delay_alu instid0(VALU_DEP_1) | instskip(SKIP_1) | instid1(VALU_DEP_4)
	v_dual_mov_b32 v21, v17 :: v_dual_cndmask_b32 v22, v18, v22
	v_cmp_gt_f64_e32 vcc_lo, 0, v[19:20]
	v_add_f64 v[23:24], v[11:12], -v[23:24]
	v_cndmask_b32_e32 v33, v20, v33, vcc_lo
	s_delay_alu instid0(VALU_DEP_1)
	v_cmp_ngt_f64_e32 vcc_lo, v[21:22], v[32:33]
	v_add_f64 v[21:22], v[9:10], -v[30:31]
	s_cbranch_vccz .LBB218_102
; %bb.101:                              ;   in Loop: Header=BB218_94 Depth=1
	v_div_scale_f64 v[9:10], null, v[19:20], v[19:20], v[17:18]
	v_div_scale_f64 v[31:32], vcc_lo, v[17:18], v[19:20], v[17:18]
	s_delay_alu instid0(VALU_DEP_2) | instskip(SKIP_2) | instid1(VALU_DEP_1)
	v_rcp_f64_e32 v[11:12], v[9:10]
	s_waitcnt_depctr 0xfff
	v_fma_f64 v[29:30], -v[9:10], v[11:12], 1.0
	v_fma_f64 v[11:12], v[11:12], v[29:30], v[11:12]
	s_delay_alu instid0(VALU_DEP_1) | instskip(NEXT) | instid1(VALU_DEP_1)
	v_fma_f64 v[29:30], -v[9:10], v[11:12], 1.0
	v_fma_f64 v[11:12], v[11:12], v[29:30], v[11:12]
	s_delay_alu instid0(VALU_DEP_1) | instskip(NEXT) | instid1(VALU_DEP_1)
	v_mul_f64 v[29:30], v[31:32], v[11:12]
	v_fma_f64 v[9:10], -v[9:10], v[29:30], v[31:32]
	s_delay_alu instid0(VALU_DEP_1) | instskip(NEXT) | instid1(VALU_DEP_1)
	v_div_fmas_f64 v[9:10], v[9:10], v[11:12], v[29:30]
	v_div_fixup_f64 v[9:10], v[9:10], v[19:20], v[17:18]
	s_delay_alu instid0(VALU_DEP_1) | instskip(NEXT) | instid1(VALU_DEP_1)
	v_fma_f64 v[11:12], v[17:18], v[9:10], v[19:20]
	v_div_scale_f64 v[29:30], null, v[11:12], v[11:12], 1.0
	v_div_scale_f64 v[35:36], vcc_lo, 1.0, v[11:12], 1.0
	s_delay_alu instid0(VALU_DEP_2) | instskip(SKIP_2) | instid1(VALU_DEP_1)
	v_rcp_f64_e32 v[31:32], v[29:30]
	s_waitcnt_depctr 0xfff
	v_fma_f64 v[33:34], -v[29:30], v[31:32], 1.0
	v_fma_f64 v[31:32], v[31:32], v[33:34], v[31:32]
	s_delay_alu instid0(VALU_DEP_1) | instskip(NEXT) | instid1(VALU_DEP_1)
	v_fma_f64 v[33:34], -v[29:30], v[31:32], 1.0
	v_fma_f64 v[31:32], v[31:32], v[33:34], v[31:32]
	s_delay_alu instid0(VALU_DEP_1) | instskip(NEXT) | instid1(VALU_DEP_1)
	v_mul_f64 v[33:34], v[35:36], v[31:32]
	v_fma_f64 v[29:30], -v[29:30], v[33:34], v[35:36]
	s_delay_alu instid0(VALU_DEP_1) | instskip(SKIP_1) | instid1(VALU_DEP_2)
	v_div_fmas_f64 v[29:30], v[29:30], v[31:32], v[33:34]
	v_fma_f64 v[31:32], v[9:10], v[21:22], v[23:24]
	v_div_fixup_f64 v[11:12], v[29:30], v[11:12], 1.0
	v_fma_f64 v[29:30], v[9:10], v[23:24], -v[21:22]
	s_delay_alu instid0(VALU_DEP_2) | instskip(NEXT) | instid1(VALU_DEP_2)
	v_mul_f64 v[9:10], v[31:32], v[11:12]
	v_mul_f64 v[11:12], v[29:30], v[11:12]
	s_cbranch_execz .LBB218_103
	s_branch .LBB218_104
.LBB218_102:                            ;   in Loop: Header=BB218_94 Depth=1
                                        ; implicit-def: $vgpr11_vgpr12
.LBB218_103:                            ;   in Loop: Header=BB218_94 Depth=1
	v_div_scale_f64 v[9:10], null, v[17:18], v[17:18], v[19:20]
	v_div_scale_f64 v[31:32], vcc_lo, v[19:20], v[17:18], v[19:20]
	s_delay_alu instid0(VALU_DEP_2) | instskip(SKIP_2) | instid1(VALU_DEP_1)
	v_rcp_f64_e32 v[11:12], v[9:10]
	s_waitcnt_depctr 0xfff
	v_fma_f64 v[29:30], -v[9:10], v[11:12], 1.0
	v_fma_f64 v[11:12], v[11:12], v[29:30], v[11:12]
	s_delay_alu instid0(VALU_DEP_1) | instskip(NEXT) | instid1(VALU_DEP_1)
	v_fma_f64 v[29:30], -v[9:10], v[11:12], 1.0
	v_fma_f64 v[11:12], v[11:12], v[29:30], v[11:12]
	s_delay_alu instid0(VALU_DEP_1) | instskip(NEXT) | instid1(VALU_DEP_1)
	v_mul_f64 v[29:30], v[31:32], v[11:12]
	v_fma_f64 v[9:10], -v[9:10], v[29:30], v[31:32]
	s_delay_alu instid0(VALU_DEP_1) | instskip(NEXT) | instid1(VALU_DEP_1)
	v_div_fmas_f64 v[9:10], v[9:10], v[11:12], v[29:30]
	v_div_fixup_f64 v[9:10], v[9:10], v[17:18], v[19:20]
	s_delay_alu instid0(VALU_DEP_1) | instskip(NEXT) | instid1(VALU_DEP_1)
	v_fma_f64 v[11:12], v[19:20], v[9:10], v[17:18]
	v_div_scale_f64 v[17:18], null, v[11:12], v[11:12], 1.0
	v_div_scale_f64 v[31:32], vcc_lo, 1.0, v[11:12], 1.0
	s_delay_alu instid0(VALU_DEP_2) | instskip(SKIP_2) | instid1(VALU_DEP_1)
	v_rcp_f64_e32 v[19:20], v[17:18]
	s_waitcnt_depctr 0xfff
	v_fma_f64 v[29:30], -v[17:18], v[19:20], 1.0
	v_fma_f64 v[19:20], v[19:20], v[29:30], v[19:20]
	s_delay_alu instid0(VALU_DEP_1) | instskip(NEXT) | instid1(VALU_DEP_1)
	v_fma_f64 v[29:30], -v[17:18], v[19:20], 1.0
	v_fma_f64 v[19:20], v[19:20], v[29:30], v[19:20]
	s_delay_alu instid0(VALU_DEP_1) | instskip(NEXT) | instid1(VALU_DEP_1)
	v_mul_f64 v[29:30], v[31:32], v[19:20]
	v_fma_f64 v[17:18], -v[17:18], v[29:30], v[31:32]
	s_delay_alu instid0(VALU_DEP_1) | instskip(SKIP_1) | instid1(VALU_DEP_2)
	v_div_fmas_f64 v[17:18], v[17:18], v[19:20], v[29:30]
	v_fma_f64 v[19:20], v[9:10], v[23:24], v[21:22]
	v_div_fixup_f64 v[11:12], v[17:18], v[11:12], 1.0
	v_fma_f64 v[17:18], -v[9:10], v[21:22], v[23:24]
	s_delay_alu instid0(VALU_DEP_2) | instskip(NEXT) | instid1(VALU_DEP_2)
	v_mul_f64 v[9:10], v[19:20], v[11:12]
	v_mul_f64 v[11:12], v[17:18], v[11:12]
.LBB218_104:                            ;   in Loop: Header=BB218_94 Depth=1
	s_add_i32 s14, s10, s4
	s_add_i32 s10, s10, s6
	s_lshl_b32 s14, s14, 4
	s_lshl_b32 s10, s10, 4
	v_mov_b32_e32 v17, s14
	v_mov_b32_e32 v21, s10
	s_add_i32 s10, s11, 0xfffffef0
	ds_store_b128 v28, v[9:12]
	ds_load_b128 v[17:20], v17
	ds_load_b128 v[21:24], v21
	s_waitcnt lgkmcnt(1)
	v_mul_f64 v[29:30], v[15:16], v[19:20]
	v_mul_f64 v[19:20], v[13:14], v[19:20]
	s_waitcnt lgkmcnt(0)
	v_mul_f64 v[31:32], v[11:12], v[23:24]
	v_mul_f64 v[23:24], v[9:10], v[23:24]
	s_delay_alu instid0(VALU_DEP_4) | instskip(NEXT) | instid1(VALU_DEP_4)
	v_fma_f64 v[29:30], v[13:14], v[17:18], -v[29:30]
	v_fma_f64 v[17:18], v[15:16], v[17:18], v[19:20]
	v_mov_b32_e32 v19, s10
	v_fma_f64 v[31:32], v[9:10], v[21:22], -v[31:32]
	v_fma_f64 v[23:24], v[11:12], v[21:22], v[23:24]
	v_add_f64 v[5:6], v[5:6], -v[29:30]
	v_add_f64 v[7:8], v[7:8], -v[17:18]
	ds_load_b128 v[17:20], v19
	s_waitcnt lgkmcnt(0)
	v_cmp_gt_f64_e32 vcc_lo, 0, v[17:18]
	v_xor_b32_e32 v22, 0x80000000, v18
	v_xor_b32_e32 v30, 0x80000000, v20
	v_mov_b32_e32 v21, v17
	v_mov_b32_e32 v29, v19
	v_add_f64 v[23:24], v[7:8], -v[23:24]
	v_cndmask_b32_e32 v22, v18, v22, vcc_lo
	v_cmp_gt_f64_e32 vcc_lo, 0, v[19:20]
	v_cndmask_b32_e32 v30, v20, v30, vcc_lo
	s_delay_alu instid0(VALU_DEP_1)
	v_cmp_ngt_f64_e32 vcc_lo, v[21:22], v[29:30]
	v_add_f64 v[21:22], v[5:6], -v[31:32]
	s_cbranch_vccz .LBB218_106
; %bb.105:                              ;   in Loop: Header=BB218_94 Depth=1
	v_div_scale_f64 v[5:6], null, v[19:20], v[19:20], v[17:18]
	v_div_scale_f64 v[30:31], vcc_lo, v[17:18], v[19:20], v[17:18]
	s_delay_alu instid0(VALU_DEP_2) | instskip(SKIP_2) | instid1(VALU_DEP_1)
	v_rcp_f64_e32 v[7:8], v[5:6]
	s_waitcnt_depctr 0xfff
	v_fma_f64 v[28:29], -v[5:6], v[7:8], 1.0
	v_fma_f64 v[7:8], v[7:8], v[28:29], v[7:8]
	s_delay_alu instid0(VALU_DEP_1) | instskip(NEXT) | instid1(VALU_DEP_1)
	v_fma_f64 v[28:29], -v[5:6], v[7:8], 1.0
	v_fma_f64 v[7:8], v[7:8], v[28:29], v[7:8]
	s_delay_alu instid0(VALU_DEP_1) | instskip(NEXT) | instid1(VALU_DEP_1)
	v_mul_f64 v[28:29], v[30:31], v[7:8]
	v_fma_f64 v[5:6], -v[5:6], v[28:29], v[30:31]
	s_delay_alu instid0(VALU_DEP_1) | instskip(NEXT) | instid1(VALU_DEP_1)
	v_div_fmas_f64 v[5:6], v[5:6], v[7:8], v[28:29]
	v_div_fixup_f64 v[5:6], v[5:6], v[19:20], v[17:18]
	s_delay_alu instid0(VALU_DEP_1) | instskip(NEXT) | instid1(VALU_DEP_1)
	v_fma_f64 v[7:8], v[17:18], v[5:6], v[19:20]
	v_div_scale_f64 v[28:29], null, v[7:8], v[7:8], 1.0
	v_div_scale_f64 v[34:35], vcc_lo, 1.0, v[7:8], 1.0
	s_delay_alu instid0(VALU_DEP_2) | instskip(SKIP_2) | instid1(VALU_DEP_1)
	v_rcp_f64_e32 v[30:31], v[28:29]
	s_waitcnt_depctr 0xfff
	v_fma_f64 v[32:33], -v[28:29], v[30:31], 1.0
	v_fma_f64 v[30:31], v[30:31], v[32:33], v[30:31]
	s_delay_alu instid0(VALU_DEP_1) | instskip(NEXT) | instid1(VALU_DEP_1)
	v_fma_f64 v[32:33], -v[28:29], v[30:31], 1.0
	v_fma_f64 v[30:31], v[30:31], v[32:33], v[30:31]
	s_delay_alu instid0(VALU_DEP_1) | instskip(NEXT) | instid1(VALU_DEP_1)
	v_mul_f64 v[32:33], v[34:35], v[30:31]
	v_fma_f64 v[28:29], -v[28:29], v[32:33], v[34:35]
	s_delay_alu instid0(VALU_DEP_1) | instskip(SKIP_1) | instid1(VALU_DEP_2)
	v_div_fmas_f64 v[28:29], v[28:29], v[30:31], v[32:33]
	v_fma_f64 v[30:31], v[5:6], v[21:22], v[23:24]
	v_div_fixup_f64 v[7:8], v[28:29], v[7:8], 1.0
	v_fma_f64 v[28:29], v[5:6], v[23:24], -v[21:22]
	s_delay_alu instid0(VALU_DEP_2) | instskip(NEXT) | instid1(VALU_DEP_2)
	v_mul_f64 v[5:6], v[30:31], v[7:8]
	v_mul_f64 v[7:8], v[28:29], v[7:8]
	s_cbranch_execz .LBB218_107
	s_branch .LBB218_108
.LBB218_106:                            ;   in Loop: Header=BB218_94 Depth=1
                                        ; implicit-def: $vgpr7_vgpr8
.LBB218_107:                            ;   in Loop: Header=BB218_94 Depth=1
	v_div_scale_f64 v[5:6], null, v[17:18], v[17:18], v[19:20]
	v_div_scale_f64 v[30:31], vcc_lo, v[19:20], v[17:18], v[19:20]
	s_delay_alu instid0(VALU_DEP_2) | instskip(SKIP_2) | instid1(VALU_DEP_1)
	v_rcp_f64_e32 v[7:8], v[5:6]
	s_waitcnt_depctr 0xfff
	v_fma_f64 v[28:29], -v[5:6], v[7:8], 1.0
	v_fma_f64 v[7:8], v[7:8], v[28:29], v[7:8]
	s_delay_alu instid0(VALU_DEP_1) | instskip(NEXT) | instid1(VALU_DEP_1)
	v_fma_f64 v[28:29], -v[5:6], v[7:8], 1.0
	v_fma_f64 v[7:8], v[7:8], v[28:29], v[7:8]
	s_delay_alu instid0(VALU_DEP_1) | instskip(NEXT) | instid1(VALU_DEP_1)
	v_mul_f64 v[28:29], v[30:31], v[7:8]
	v_fma_f64 v[5:6], -v[5:6], v[28:29], v[30:31]
	s_delay_alu instid0(VALU_DEP_1) | instskip(NEXT) | instid1(VALU_DEP_1)
	v_div_fmas_f64 v[5:6], v[5:6], v[7:8], v[28:29]
	v_div_fixup_f64 v[5:6], v[5:6], v[17:18], v[19:20]
	s_delay_alu instid0(VALU_DEP_1) | instskip(NEXT) | instid1(VALU_DEP_1)
	v_fma_f64 v[7:8], v[19:20], v[5:6], v[17:18]
	v_div_scale_f64 v[17:18], null, v[7:8], v[7:8], 1.0
	v_div_scale_f64 v[30:31], vcc_lo, 1.0, v[7:8], 1.0
	s_delay_alu instid0(VALU_DEP_2) | instskip(SKIP_2) | instid1(VALU_DEP_1)
	v_rcp_f64_e32 v[19:20], v[17:18]
	s_waitcnt_depctr 0xfff
	v_fma_f64 v[28:29], -v[17:18], v[19:20], 1.0
	v_fma_f64 v[19:20], v[19:20], v[28:29], v[19:20]
	s_delay_alu instid0(VALU_DEP_1) | instskip(NEXT) | instid1(VALU_DEP_1)
	v_fma_f64 v[28:29], -v[17:18], v[19:20], 1.0
	v_fma_f64 v[19:20], v[19:20], v[28:29], v[19:20]
	s_delay_alu instid0(VALU_DEP_1) | instskip(NEXT) | instid1(VALU_DEP_1)
	v_mul_f64 v[28:29], v[30:31], v[19:20]
	v_fma_f64 v[17:18], -v[17:18], v[28:29], v[30:31]
	s_delay_alu instid0(VALU_DEP_1) | instskip(SKIP_1) | instid1(VALU_DEP_2)
	v_div_fmas_f64 v[17:18], v[17:18], v[19:20], v[28:29]
	v_fma_f64 v[19:20], v[5:6], v[23:24], v[21:22]
	v_div_fixup_f64 v[7:8], v[17:18], v[7:8], 1.0
	v_fma_f64 v[17:18], -v[5:6], v[21:22], v[23:24]
	s_delay_alu instid0(VALU_DEP_2) | instskip(NEXT) | instid1(VALU_DEP_2)
	v_mul_f64 v[5:6], v[19:20], v[7:8]
	v_mul_f64 v[7:8], v[17:18], v[7:8]
.LBB218_108:                            ;   in Loop: Header=BB218_94 Depth=1
	s_add_i32 s11, s7, s4
	s_add_i32 s6, s7, s6
	s_lshl_b32 s11, s11, 4
	s_lshl_b32 s6, s6, 4
	v_mov_b32_e32 v17, s11
	v_mov_b32_e32 v21, s6
	s_add_i32 s7, s7, s5
	ds_store_b128 v27, v[5:8]
	s_lshl_b32 s5, s7, 4
	ds_load_b128 v[17:20], v17
	ds_load_b128 v[21:24], v21
	s_waitcnt lgkmcnt(1)
	v_mul_f64 v[28:29], v[15:16], v[19:20]
	v_mul_f64 v[19:20], v[13:14], v[19:20]
	s_delay_alu instid0(VALU_DEP_2) | instskip(SKIP_1) | instid1(VALU_DEP_3)
	v_fma_f64 v[28:29], v[13:14], v[17:18], -v[28:29]
	v_mov_b32_e32 v13, s5
	v_fma_f64 v[32:33], v[15:16], v[17:18], v[19:20]
	s_add_i32 s5, s10, 0xfffffef0
	ds_load_b128 v[17:20], v13
	s_waitcnt lgkmcnt(1)
	v_mul_f64 v[30:31], v[11:12], v[23:24]
	v_mul_f64 v[23:24], v[9:10], v[23:24]
	v_mov_b32_e32 v13, s5
	ds_load_b128 v[13:16], v13
	s_waitcnt lgkmcnt(1)
	v_mul_f64 v[34:35], v[7:8], v[19:20]
	v_mul_f64 v[19:20], v[5:6], v[19:20]
	s_waitcnt lgkmcnt(0)
	v_cmp_gt_f64_e32 vcc_lo, 0, v[13:14]
	v_add_f64 v[1:2], v[1:2], -v[28:29]
	v_add_f64 v[3:4], v[3:4], -v[32:33]
	v_fma_f64 v[9:10], v[9:10], v[21:22], -v[30:31]
	v_fma_f64 v[11:12], v[11:12], v[21:22], v[23:24]
	v_fma_f64 v[21:22], v[5:6], v[17:18], -v[34:35]
	v_fma_f64 v[17:18], v[7:8], v[17:18], v[19:20]
	s_delay_alu instid0(VALU_DEP_4) | instskip(SKIP_4) | instid1(VALU_DEP_4)
	v_add_f64 v[1:2], v[1:2], -v[9:10]
	v_xor_b32_e32 v10, 0x80000000, v14
	v_add_f64 v[3:4], v[3:4], -v[11:12]
	v_xor_b32_e32 v12, 0x80000000, v16
	v_mov_b32_e32 v9, v13
	v_dual_mov_b32 v11, v15 :: v_dual_cndmask_b32 v10, v14, v10
	v_cmp_gt_f64_e32 vcc_lo, 0, v[15:16]
	s_delay_alu instid0(VALU_DEP_4) | instskip(NEXT) | instid1(VALU_DEP_1)
	v_cndmask_b32_e32 v12, v16, v12, vcc_lo
	v_cmp_ngt_f64_e32 vcc_lo, v[9:10], v[11:12]
	v_add_f64 v[9:10], v[1:2], -v[21:22]
	v_add_f64 v[11:12], v[3:4], -v[17:18]
	s_cbranch_vccz .LBB218_110
; %bb.109:                              ;   in Loop: Header=BB218_94 Depth=1
	v_div_scale_f64 v[1:2], null, v[15:16], v[15:16], v[13:14]
	v_div_scale_f64 v[7:8], vcc_lo, v[13:14], v[15:16], v[13:14]
	s_delay_alu instid0(VALU_DEP_2) | instskip(SKIP_2) | instid1(VALU_DEP_1)
	v_rcp_f64_e32 v[3:4], v[1:2]
	s_waitcnt_depctr 0xfff
	v_fma_f64 v[5:6], -v[1:2], v[3:4], 1.0
	v_fma_f64 v[3:4], v[3:4], v[5:6], v[3:4]
	s_delay_alu instid0(VALU_DEP_1) | instskip(NEXT) | instid1(VALU_DEP_1)
	v_fma_f64 v[5:6], -v[1:2], v[3:4], 1.0
	v_fma_f64 v[3:4], v[3:4], v[5:6], v[3:4]
	s_delay_alu instid0(VALU_DEP_1) | instskip(NEXT) | instid1(VALU_DEP_1)
	v_mul_f64 v[5:6], v[7:8], v[3:4]
	v_fma_f64 v[1:2], -v[1:2], v[5:6], v[7:8]
	s_delay_alu instid0(VALU_DEP_1) | instskip(NEXT) | instid1(VALU_DEP_1)
	v_div_fmas_f64 v[1:2], v[1:2], v[3:4], v[5:6]
	v_div_fixup_f64 v[1:2], v[1:2], v[15:16], v[13:14]
	s_delay_alu instid0(VALU_DEP_1) | instskip(NEXT) | instid1(VALU_DEP_1)
	v_fma_f64 v[3:4], v[13:14], v[1:2], v[15:16]
	v_div_scale_f64 v[5:6], null, v[3:4], v[3:4], 1.0
	v_div_scale_f64 v[19:20], vcc_lo, 1.0, v[3:4], 1.0
	s_delay_alu instid0(VALU_DEP_2) | instskip(SKIP_2) | instid1(VALU_DEP_1)
	v_rcp_f64_e32 v[7:8], v[5:6]
	s_waitcnt_depctr 0xfff
	v_fma_f64 v[17:18], -v[5:6], v[7:8], 1.0
	v_fma_f64 v[7:8], v[7:8], v[17:18], v[7:8]
	s_delay_alu instid0(VALU_DEP_1) | instskip(NEXT) | instid1(VALU_DEP_1)
	v_fma_f64 v[17:18], -v[5:6], v[7:8], 1.0
	v_fma_f64 v[7:8], v[7:8], v[17:18], v[7:8]
	s_delay_alu instid0(VALU_DEP_1) | instskip(NEXT) | instid1(VALU_DEP_1)
	v_mul_f64 v[17:18], v[19:20], v[7:8]
	v_fma_f64 v[5:6], -v[5:6], v[17:18], v[19:20]
	s_delay_alu instid0(VALU_DEP_1) | instskip(SKIP_1) | instid1(VALU_DEP_2)
	v_div_fmas_f64 v[5:6], v[5:6], v[7:8], v[17:18]
	v_fma_f64 v[7:8], v[1:2], v[9:10], v[11:12]
	v_div_fixup_f64 v[3:4], v[5:6], v[3:4], 1.0
	v_fma_f64 v[5:6], v[1:2], v[11:12], -v[9:10]
	s_delay_alu instid0(VALU_DEP_2) | instskip(NEXT) | instid1(VALU_DEP_2)
	v_mul_f64 v[1:2], v[7:8], v[3:4]
	v_mul_f64 v[3:4], v[5:6], v[3:4]
	s_cbranch_execz .LBB218_111
	s_branch .LBB218_112
.LBB218_110:                            ;   in Loop: Header=BB218_94 Depth=1
                                        ; implicit-def: $vgpr3_vgpr4
.LBB218_111:                            ;   in Loop: Header=BB218_94 Depth=1
	v_div_scale_f64 v[1:2], null, v[13:14], v[13:14], v[15:16]
	v_div_scale_f64 v[7:8], vcc_lo, v[15:16], v[13:14], v[15:16]
	s_delay_alu instid0(VALU_DEP_2) | instskip(SKIP_2) | instid1(VALU_DEP_1)
	v_rcp_f64_e32 v[3:4], v[1:2]
	s_waitcnt_depctr 0xfff
	v_fma_f64 v[5:6], -v[1:2], v[3:4], 1.0
	v_fma_f64 v[3:4], v[3:4], v[5:6], v[3:4]
	s_delay_alu instid0(VALU_DEP_1) | instskip(NEXT) | instid1(VALU_DEP_1)
	v_fma_f64 v[5:6], -v[1:2], v[3:4], 1.0
	v_fma_f64 v[3:4], v[3:4], v[5:6], v[3:4]
	s_delay_alu instid0(VALU_DEP_1) | instskip(NEXT) | instid1(VALU_DEP_1)
	v_mul_f64 v[5:6], v[7:8], v[3:4]
	v_fma_f64 v[1:2], -v[1:2], v[5:6], v[7:8]
	s_delay_alu instid0(VALU_DEP_1) | instskip(NEXT) | instid1(VALU_DEP_1)
	v_div_fmas_f64 v[1:2], v[1:2], v[3:4], v[5:6]
	v_div_fixup_f64 v[1:2], v[1:2], v[13:14], v[15:16]
	s_delay_alu instid0(VALU_DEP_1) | instskip(NEXT) | instid1(VALU_DEP_1)
	v_fma_f64 v[3:4], v[15:16], v[1:2], v[13:14]
	v_div_scale_f64 v[5:6], null, v[3:4], v[3:4], 1.0
	v_div_scale_f64 v[15:16], vcc_lo, 1.0, v[3:4], 1.0
	s_delay_alu instid0(VALU_DEP_2) | instskip(SKIP_2) | instid1(VALU_DEP_1)
	v_rcp_f64_e32 v[7:8], v[5:6]
	s_waitcnt_depctr 0xfff
	v_fma_f64 v[13:14], -v[5:6], v[7:8], 1.0
	v_fma_f64 v[7:8], v[7:8], v[13:14], v[7:8]
	s_delay_alu instid0(VALU_DEP_1) | instskip(NEXT) | instid1(VALU_DEP_1)
	v_fma_f64 v[13:14], -v[5:6], v[7:8], 1.0
	v_fma_f64 v[7:8], v[7:8], v[13:14], v[7:8]
	s_delay_alu instid0(VALU_DEP_1) | instskip(NEXT) | instid1(VALU_DEP_1)
	v_mul_f64 v[13:14], v[15:16], v[7:8]
	v_fma_f64 v[5:6], -v[5:6], v[13:14], v[15:16]
	s_delay_alu instid0(VALU_DEP_1) | instskip(SKIP_1) | instid1(VALU_DEP_2)
	v_div_fmas_f64 v[5:6], v[5:6], v[7:8], v[13:14]
	v_fma_f64 v[7:8], v[1:2], v[11:12], v[9:10]
	v_div_fixup_f64 v[3:4], v[5:6], v[3:4], 1.0
	v_fma_f64 v[5:6], -v[1:2], v[9:10], v[11:12]
	s_delay_alu instid0(VALU_DEP_2) | instskip(NEXT) | instid1(VALU_DEP_2)
	v_mul_f64 v[1:2], v[7:8], v[3:4]
	v_mul_f64 v[3:4], v[5:6], v[3:4]
.LBB218_112:                            ;   in Loop: Header=BB218_94 Depth=1
	s_add_i32 s5, s4, -4
	s_addk_i32 s1, 0xfc00
	s_cmp_lt_i32 s4, 7
	ds_store_b128 v26, v[1:4]
	s_cbranch_scc1 .LBB218_114
; %bb.113:                              ;   in Loop: Header=BB218_94 Depth=1
	s_mov_b32 s4, s5
	s_branch .LBB218_94
.LBB218_114:
	s_cmp_lt_i32 s5, 0
	s_cbranch_scc1 .LBB218_123
; %bb.115:
	v_lshlrev_b32_e32 v13, 4, v0
	s_lshl_b32 s1, s5, 8
	s_lshl_b32 s4, s29, 4
	s_delay_alu instid0(SALU_CYCLE_1) | instskip(NEXT) | instid1(VALU_DEP_1)
	s_add_i32 s1, s1, s4
	v_lshl_or_b32 v1, s29, 8, v13
	s_add_i32 s1, s1, -16
	s_delay_alu instid0(VALU_DEP_1)
	v_add_nc_u32_e32 v14, 0xf00, v1
	s_branch .LBB218_117
.LBB218_116:                            ;   in Loop: Header=BB218_117 Depth=1
	s_add_i32 s4, s5, -1
	s_addk_i32 s1, 0xff00
	s_cmp_lt_i32 s5, 1
	s_mov_b32 s5, s4
	ds_store_b128 v15, v[9:12]
	s_cbranch_scc1 .LBB218_123
.LBB218_117:                            ; =>This Loop Header: Depth=1
                                        ;     Child Loop BB218_118 Depth 2
	v_lshl_or_b32 v5, s5, 8, v13
	s_delay_alu instid0(VALU_DEP_2)
	v_mov_b32_e32 v6, v14
	s_cmp_le_i32 s30, s5
	s_mov_b32 s4, s1
	s_mov_b32 s6, s30
	ds_load_b128 v[1:4], v5 offset:4096
	s_cbranch_scc1 .LBB218_119
	.p2align	6
.LBB218_118:                            ;   Parent Loop BB218_117 Depth=1
                                        ; =>  This Inner Loop Header: Depth=2
	v_mov_b32_e32 v11, s4
	s_add_i32 s6, s6, -1
	s_add_i32 s4, s4, -16
	s_cmp_le_i32 s6, s5
	ds_load_b128 v[7:10], v6
	ds_load_b128 v[15:18], v11
	v_add_nc_u32_e32 v6, 0xffffff00, v6
	s_waitcnt lgkmcnt(0)
	v_mul_f64 v[11:12], v[17:18], v[9:10]
	v_mul_f64 v[9:10], v[15:16], v[9:10]
	s_delay_alu instid0(VALU_DEP_2) | instskip(NEXT) | instid1(VALU_DEP_2)
	v_fma_f64 v[11:12], v[15:16], v[7:8], -v[11:12]
	v_fma_f64 v[7:8], v[17:18], v[7:8], v[9:10]
	s_delay_alu instid0(VALU_DEP_2) | instskip(NEXT) | instid1(VALU_DEP_2)
	v_add_f64 v[1:2], v[1:2], -v[11:12]
	v_add_f64 v[3:4], v[3:4], -v[7:8]
	s_cbranch_scc0 .LBB218_118
.LBB218_119:                            ;   in Loop: Header=BB218_117 Depth=1
	s_mul_i32 s4, s5, 0x110
	v_add_nc_u32_e32 v15, 0x1000, v5
	v_mov_b32_e32 v5, s4
	ds_load_b128 v[5:8], v5
	s_waitcnt lgkmcnt(0)
	v_cmp_gt_f64_e32 vcc_lo, 0, v[5:6]
	v_xor_b32_e32 v10, 0x80000000, v6
	v_xor_b32_e32 v11, 0x80000000, v8
	s_delay_alu instid0(VALU_DEP_2) | instskip(SKIP_1) | instid1(VALU_DEP_3)
	v_dual_mov_b32 v9, v5 :: v_dual_cndmask_b32 v10, v6, v10
	v_cmp_gt_f64_e32 vcc_lo, 0, v[7:8]
	v_dual_cndmask_b32 v12, v8, v11 :: v_dual_mov_b32 v11, v7
	s_delay_alu instid0(VALU_DEP_1)
	v_cmp_ngt_f64_e32 vcc_lo, v[9:10], v[11:12]
	s_cbranch_vccz .LBB218_121
; %bb.120:                              ;   in Loop: Header=BB218_117 Depth=1
	v_div_scale_f64 v[9:10], null, v[7:8], v[7:8], v[5:6]
	v_div_scale_f64 v[18:19], vcc_lo, v[5:6], v[7:8], v[5:6]
	s_delay_alu instid0(VALU_DEP_2) | instskip(SKIP_2) | instid1(VALU_DEP_1)
	v_rcp_f64_e32 v[11:12], v[9:10]
	s_waitcnt_depctr 0xfff
	v_fma_f64 v[16:17], -v[9:10], v[11:12], 1.0
	v_fma_f64 v[11:12], v[11:12], v[16:17], v[11:12]
	s_delay_alu instid0(VALU_DEP_1) | instskip(NEXT) | instid1(VALU_DEP_1)
	v_fma_f64 v[16:17], -v[9:10], v[11:12], 1.0
	v_fma_f64 v[11:12], v[11:12], v[16:17], v[11:12]
	s_delay_alu instid0(VALU_DEP_1) | instskip(NEXT) | instid1(VALU_DEP_1)
	v_mul_f64 v[16:17], v[18:19], v[11:12]
	v_fma_f64 v[9:10], -v[9:10], v[16:17], v[18:19]
	s_delay_alu instid0(VALU_DEP_1) | instskip(NEXT) | instid1(VALU_DEP_1)
	v_div_fmas_f64 v[9:10], v[9:10], v[11:12], v[16:17]
	v_div_fixup_f64 v[9:10], v[9:10], v[7:8], v[5:6]
	s_delay_alu instid0(VALU_DEP_1) | instskip(NEXT) | instid1(VALU_DEP_1)
	v_fma_f64 v[11:12], v[5:6], v[9:10], v[7:8]
	v_div_scale_f64 v[16:17], null, v[11:12], v[11:12], 1.0
	v_div_scale_f64 v[22:23], vcc_lo, 1.0, v[11:12], 1.0
	s_delay_alu instid0(VALU_DEP_2) | instskip(SKIP_2) | instid1(VALU_DEP_1)
	v_rcp_f64_e32 v[18:19], v[16:17]
	s_waitcnt_depctr 0xfff
	v_fma_f64 v[20:21], -v[16:17], v[18:19], 1.0
	v_fma_f64 v[18:19], v[18:19], v[20:21], v[18:19]
	s_delay_alu instid0(VALU_DEP_1) | instskip(NEXT) | instid1(VALU_DEP_1)
	v_fma_f64 v[20:21], -v[16:17], v[18:19], 1.0
	v_fma_f64 v[18:19], v[18:19], v[20:21], v[18:19]
	s_delay_alu instid0(VALU_DEP_1) | instskip(NEXT) | instid1(VALU_DEP_1)
	v_mul_f64 v[20:21], v[22:23], v[18:19]
	v_fma_f64 v[16:17], -v[16:17], v[20:21], v[22:23]
	s_delay_alu instid0(VALU_DEP_1) | instskip(SKIP_1) | instid1(VALU_DEP_2)
	v_div_fmas_f64 v[16:17], v[16:17], v[18:19], v[20:21]
	v_fma_f64 v[18:19], v[1:2], v[9:10], v[3:4]
	v_div_fixup_f64 v[11:12], v[16:17], v[11:12], 1.0
	v_fma_f64 v[16:17], v[3:4], v[9:10], -v[1:2]
	s_delay_alu instid0(VALU_DEP_2) | instskip(NEXT) | instid1(VALU_DEP_2)
	v_mul_f64 v[9:10], v[18:19], v[11:12]
	v_mul_f64 v[11:12], v[16:17], v[11:12]
	s_cbranch_execnz .LBB218_116
	s_branch .LBB218_122
.LBB218_121:                            ;   in Loop: Header=BB218_117 Depth=1
                                        ; implicit-def: $vgpr9_vgpr10
.LBB218_122:                            ;   in Loop: Header=BB218_117 Depth=1
	v_div_scale_f64 v[9:10], null, v[5:6], v[5:6], v[7:8]
	v_div_scale_f64 v[18:19], vcc_lo, v[7:8], v[5:6], v[7:8]
	s_delay_alu instid0(VALU_DEP_2) | instskip(SKIP_2) | instid1(VALU_DEP_1)
	v_rcp_f64_e32 v[11:12], v[9:10]
	s_waitcnt_depctr 0xfff
	v_fma_f64 v[16:17], -v[9:10], v[11:12], 1.0
	v_fma_f64 v[11:12], v[11:12], v[16:17], v[11:12]
	s_delay_alu instid0(VALU_DEP_1) | instskip(NEXT) | instid1(VALU_DEP_1)
	v_fma_f64 v[16:17], -v[9:10], v[11:12], 1.0
	v_fma_f64 v[11:12], v[11:12], v[16:17], v[11:12]
	s_delay_alu instid0(VALU_DEP_1) | instskip(NEXT) | instid1(VALU_DEP_1)
	v_mul_f64 v[16:17], v[18:19], v[11:12]
	v_fma_f64 v[9:10], -v[9:10], v[16:17], v[18:19]
	s_delay_alu instid0(VALU_DEP_1) | instskip(NEXT) | instid1(VALU_DEP_1)
	v_div_fmas_f64 v[9:10], v[9:10], v[11:12], v[16:17]
	v_div_fixup_f64 v[9:10], v[9:10], v[5:6], v[7:8]
	s_delay_alu instid0(VALU_DEP_1) | instskip(NEXT) | instid1(VALU_DEP_1)
	v_fma_f64 v[5:6], v[7:8], v[9:10], v[5:6]
	v_div_scale_f64 v[7:8], null, v[5:6], v[5:6], 1.0
	v_div_scale_f64 v[18:19], vcc_lo, 1.0, v[5:6], 1.0
	s_delay_alu instid0(VALU_DEP_2) | instskip(SKIP_2) | instid1(VALU_DEP_1)
	v_rcp_f64_e32 v[11:12], v[7:8]
	s_waitcnt_depctr 0xfff
	v_fma_f64 v[16:17], -v[7:8], v[11:12], 1.0
	v_fma_f64 v[11:12], v[11:12], v[16:17], v[11:12]
	s_delay_alu instid0(VALU_DEP_1) | instskip(NEXT) | instid1(VALU_DEP_1)
	v_fma_f64 v[16:17], -v[7:8], v[11:12], 1.0
	v_fma_f64 v[11:12], v[11:12], v[16:17], v[11:12]
	s_delay_alu instid0(VALU_DEP_1) | instskip(NEXT) | instid1(VALU_DEP_1)
	v_mul_f64 v[16:17], v[18:19], v[11:12]
	v_fma_f64 v[7:8], -v[7:8], v[16:17], v[18:19]
	s_delay_alu instid0(VALU_DEP_1) | instskip(SKIP_2) | instid1(VALU_DEP_3)
	v_div_fmas_f64 v[7:8], v[7:8], v[11:12], v[16:17]
	v_fma_f64 v[11:12], v[3:4], v[9:10], v[1:2]
	v_fma_f64 v[1:2], -v[1:2], v[9:10], v[3:4]
	v_div_fixup_f64 v[5:6], v[7:8], v[5:6], 1.0
	s_delay_alu instid0(VALU_DEP_1) | instskip(NEXT) | instid1(VALU_DEP_3)
	v_mul_f64 v[9:10], v[11:12], v[5:6]
	v_mul_f64 v[11:12], v[1:2], v[5:6]
	s_branch .LBB218_116
.LBB218_123:
	s_mov_b32 s5, 0
.LBB218_124:
	s_delay_alu instid0(SALU_CYCLE_1)
	s_and_not1_b32 vcc_lo, exec_lo, s5
	s_cbranch_vccnz .LBB218_163
; %bb.125:
	s_cmp_lt_i32 s28, 4
	s_mov_b32 s5, 0
	s_cbranch_scc1 .LBB218_148
; %bb.126:
	v_lshl_or_b32 v25, v0, 4, 0x1000
	s_mov_b32 s1, 0
	s_mov_b32 s4, 0
.LBB218_127:                            ; =>This Loop Header: Depth=1
                                        ;     Child Loop BB218_129 Depth 2
	s_delay_alu instid0(SALU_CYCLE_1) | instskip(NEXT) | instid1(SALU_CYCLE_1)
	s_lshl_b32 s5, s4, 4
	s_or_b32 s10, s5, 16
	v_or_b32_e32 v1, s5, v0
	s_or_b32 s6, s5, 32
	v_or_b32_e32 v2, s10, v0
	;; [unrolled: 2-line block ×3, first 2 shown]
	v_or_b32_e32 v4, s5, v0
	v_lshlrev_b32_e32 v13, 4, v1
	v_lshlrev_b32_e32 v14, 4, v2
	s_cmp_eq_u32 s4, 0
	v_lshlrev_b32_e32 v15, 4, v3
	v_lshlrev_b32_e32 v16, 4, v4
	ds_load_b128 v[17:20], v13 offset:4096
	ds_load_b128 v[9:12], v14 offset:4096
	;; [unrolled: 1-line block ×4, first 2 shown]
	s_cbranch_scc1 .LBB218_130
; %bb.128:                              ;   in Loop: Header=BB218_127 Depth=1
	v_mov_b32_e32 v21, v25
	s_mov_b32 s7, 0
	s_mov_b32 s11, s1
.LBB218_129:                            ;   Parent Loop BB218_127 Depth=1
                                        ; =>  This Inner Loop Header: Depth=2
	s_delay_alu instid0(SALU_CYCLE_1)
	v_mov_b32_e32 v22, s11
	s_add_i32 s7, s7, 2
	s_add_i32 s11, s11, 32
	s_cmp_ge_u32 s7, s4
	ds_load_b128 v[26:29], v21
	ds_load_b128 v[30:33], v22
	ds_load_b128 v[34:37], v22 offset:256
	ds_load_b128 v[38:41], v22 offset:512
	;; [unrolled: 1-line block ×8, first 2 shown]
	v_add_nc_u32_e32 v21, 0x200, v21
	s_waitcnt lgkmcnt(8)
	v_mul_f64 v[22:23], v[28:29], v[32:33]
	v_mul_f64 v[32:33], v[26:27], v[32:33]
	s_waitcnt lgkmcnt(7)
	v_mul_f64 v[66:67], v[28:29], v[36:37]
	v_mul_f64 v[36:37], v[26:27], v[36:37]
	;; [unrolled: 3-line block ×8, first 2 shown]
	v_fma_f64 v[22:23], v[26:27], v[30:31], -v[22:23]
	v_fma_f64 v[30:31], v[28:29], v[30:31], v[32:33]
	v_fma_f64 v[32:33], v[26:27], v[34:35], -v[66:67]
	v_fma_f64 v[34:35], v[28:29], v[34:35], v[36:37]
	;; [unrolled: 2-line block ×8, first 2 shown]
	v_add_f64 v[17:18], v[17:18], -v[22:23]
	v_add_f64 v[19:20], v[19:20], -v[30:31]
	;; [unrolled: 1-line block ×16, first 2 shown]
	s_cbranch_scc0 .LBB218_129
.LBB218_130:                            ;   in Loop: Header=BB218_127 Depth=1
	s_mul_i32 s7, s4, 0x110
	v_add_nc_u32_e32 v29, 0x1000, v13
	v_dual_mov_b32 v13, s7 :: v_dual_add_nc_u32 v28, 0x1000, v14
	v_add_nc_u32_e32 v27, 0x1000, v15
	ds_load_b128 v[21:24], v13
	s_waitcnt lgkmcnt(0)
	v_dual_mov_b32 v13, v21 :: v_dual_add_nc_u32 v26, 0x1000, v16
	v_cmp_gt_f64_e32 vcc_lo, 0, v[21:22]
	v_xor_b32_e32 v14, 0x80000000, v22
	v_xor_b32_e32 v15, 0x80000000, v24
	s_delay_alu instid0(VALU_DEP_2) | instskip(SKIP_1) | instid1(VALU_DEP_3)
	v_cndmask_b32_e32 v14, v22, v14, vcc_lo
	v_cmp_gt_f64_e32 vcc_lo, 0, v[23:24]
	v_dual_cndmask_b32 v16, v24, v15 :: v_dual_mov_b32 v15, v23
	s_delay_alu instid0(VALU_DEP_1)
	v_cmp_ngt_f64_e32 vcc_lo, v[13:14], v[15:16]
	s_cbranch_vccz .LBB218_132
; %bb.131:                              ;   in Loop: Header=BB218_127 Depth=1
	v_div_scale_f64 v[13:14], null, v[23:24], v[23:24], v[21:22]
	v_div_scale_f64 v[32:33], vcc_lo, v[21:22], v[23:24], v[21:22]
	s_delay_alu instid0(VALU_DEP_2) | instskip(SKIP_2) | instid1(VALU_DEP_1)
	v_rcp_f64_e32 v[15:16], v[13:14]
	s_waitcnt_depctr 0xfff
	v_fma_f64 v[30:31], -v[13:14], v[15:16], 1.0
	v_fma_f64 v[15:16], v[15:16], v[30:31], v[15:16]
	s_delay_alu instid0(VALU_DEP_1) | instskip(NEXT) | instid1(VALU_DEP_1)
	v_fma_f64 v[30:31], -v[13:14], v[15:16], 1.0
	v_fma_f64 v[15:16], v[15:16], v[30:31], v[15:16]
	s_delay_alu instid0(VALU_DEP_1) | instskip(NEXT) | instid1(VALU_DEP_1)
	v_mul_f64 v[30:31], v[32:33], v[15:16]
	v_fma_f64 v[13:14], -v[13:14], v[30:31], v[32:33]
	s_delay_alu instid0(VALU_DEP_1) | instskip(NEXT) | instid1(VALU_DEP_1)
	v_div_fmas_f64 v[13:14], v[13:14], v[15:16], v[30:31]
	v_div_fixup_f64 v[13:14], v[13:14], v[23:24], v[21:22]
	s_delay_alu instid0(VALU_DEP_1) | instskip(NEXT) | instid1(VALU_DEP_1)
	v_fma_f64 v[15:16], v[21:22], v[13:14], v[23:24]
	v_div_scale_f64 v[30:31], null, v[15:16], v[15:16], 1.0
	v_div_scale_f64 v[36:37], vcc_lo, 1.0, v[15:16], 1.0
	s_delay_alu instid0(VALU_DEP_2) | instskip(SKIP_2) | instid1(VALU_DEP_1)
	v_rcp_f64_e32 v[32:33], v[30:31]
	s_waitcnt_depctr 0xfff
	v_fma_f64 v[34:35], -v[30:31], v[32:33], 1.0
	v_fma_f64 v[32:33], v[32:33], v[34:35], v[32:33]
	s_delay_alu instid0(VALU_DEP_1) | instskip(NEXT) | instid1(VALU_DEP_1)
	v_fma_f64 v[34:35], -v[30:31], v[32:33], 1.0
	v_fma_f64 v[32:33], v[32:33], v[34:35], v[32:33]
	s_delay_alu instid0(VALU_DEP_1) | instskip(NEXT) | instid1(VALU_DEP_1)
	v_mul_f64 v[34:35], v[36:37], v[32:33]
	v_fma_f64 v[30:31], -v[30:31], v[34:35], v[36:37]
	s_delay_alu instid0(VALU_DEP_1) | instskip(SKIP_1) | instid1(VALU_DEP_2)
	v_div_fmas_f64 v[30:31], v[30:31], v[32:33], v[34:35]
	v_fma_f64 v[32:33], v[17:18], v[13:14], v[19:20]
	v_div_fixup_f64 v[15:16], v[30:31], v[15:16], 1.0
	v_fma_f64 v[30:31], v[19:20], v[13:14], -v[17:18]
	s_delay_alu instid0(VALU_DEP_2) | instskip(NEXT) | instid1(VALU_DEP_2)
	v_mul_f64 v[13:14], v[32:33], v[15:16]
	v_mul_f64 v[15:16], v[30:31], v[15:16]
	s_cbranch_execz .LBB218_133
	s_branch .LBB218_134
.LBB218_132:                            ;   in Loop: Header=BB218_127 Depth=1
                                        ; implicit-def: $vgpr15_vgpr16
.LBB218_133:                            ;   in Loop: Header=BB218_127 Depth=1
	v_div_scale_f64 v[13:14], null, v[21:22], v[21:22], v[23:24]
	v_div_scale_f64 v[32:33], vcc_lo, v[23:24], v[21:22], v[23:24]
	s_delay_alu instid0(VALU_DEP_2) | instskip(SKIP_2) | instid1(VALU_DEP_1)
	v_rcp_f64_e32 v[15:16], v[13:14]
	s_waitcnt_depctr 0xfff
	v_fma_f64 v[30:31], -v[13:14], v[15:16], 1.0
	v_fma_f64 v[15:16], v[15:16], v[30:31], v[15:16]
	s_delay_alu instid0(VALU_DEP_1) | instskip(NEXT) | instid1(VALU_DEP_1)
	v_fma_f64 v[30:31], -v[13:14], v[15:16], 1.0
	v_fma_f64 v[15:16], v[15:16], v[30:31], v[15:16]
	s_delay_alu instid0(VALU_DEP_1) | instskip(NEXT) | instid1(VALU_DEP_1)
	v_mul_f64 v[30:31], v[32:33], v[15:16]
	v_fma_f64 v[13:14], -v[13:14], v[30:31], v[32:33]
	s_delay_alu instid0(VALU_DEP_1) | instskip(NEXT) | instid1(VALU_DEP_1)
	v_div_fmas_f64 v[13:14], v[13:14], v[15:16], v[30:31]
	v_div_fixup_f64 v[13:14], v[13:14], v[21:22], v[23:24]
	s_delay_alu instid0(VALU_DEP_1) | instskip(NEXT) | instid1(VALU_DEP_1)
	v_fma_f64 v[15:16], v[23:24], v[13:14], v[21:22]
	v_div_scale_f64 v[21:22], null, v[15:16], v[15:16], 1.0
	v_div_scale_f64 v[32:33], vcc_lo, 1.0, v[15:16], 1.0
	s_delay_alu instid0(VALU_DEP_2) | instskip(SKIP_2) | instid1(VALU_DEP_1)
	v_rcp_f64_e32 v[23:24], v[21:22]
	s_waitcnt_depctr 0xfff
	v_fma_f64 v[30:31], -v[21:22], v[23:24], 1.0
	v_fma_f64 v[23:24], v[23:24], v[30:31], v[23:24]
	s_delay_alu instid0(VALU_DEP_1) | instskip(NEXT) | instid1(VALU_DEP_1)
	v_fma_f64 v[30:31], -v[21:22], v[23:24], 1.0
	v_fma_f64 v[23:24], v[23:24], v[30:31], v[23:24]
	s_delay_alu instid0(VALU_DEP_1) | instskip(NEXT) | instid1(VALU_DEP_1)
	v_mul_f64 v[30:31], v[32:33], v[23:24]
	v_fma_f64 v[21:22], -v[21:22], v[30:31], v[32:33]
	s_delay_alu instid0(VALU_DEP_1) | instskip(SKIP_2) | instid1(VALU_DEP_3)
	v_div_fmas_f64 v[21:22], v[21:22], v[23:24], v[30:31]
	v_fma_f64 v[23:24], v[19:20], v[13:14], v[17:18]
	v_fma_f64 v[17:18], -v[17:18], v[13:14], v[19:20]
	v_div_fixup_f64 v[15:16], v[21:22], v[15:16], 1.0
	s_delay_alu instid0(VALU_DEP_1) | instskip(NEXT) | instid1(VALU_DEP_3)
	v_mul_f64 v[13:14], v[23:24], v[15:16]
	v_mul_f64 v[15:16], v[17:18], v[15:16]
.LBB218_134:                            ;   in Loop: Header=BB218_127 Depth=1
	s_add_i32 s10, s10, s4
	ds_store_b128 v29, v[13:16]
	s_lshl_b32 s10, s10, 4
	s_delay_alu instid0(SALU_CYCLE_1)
	v_mov_b32_e32 v17, s10
	ds_load_b128 v[21:24], v17
	v_mov_b32_e32 v17, s7
	ds_load_b128 v[17:20], v17 offset:272
	s_waitcnt lgkmcnt(1)
	v_mul_f64 v[30:31], v[15:16], v[23:24]
	v_mul_f64 v[23:24], v[13:14], v[23:24]
	s_waitcnt lgkmcnt(0)
	v_cmp_gt_f64_e32 vcc_lo, 0, v[17:18]
	v_xor_b32_e32 v33, 0x80000000, v20
	v_mov_b32_e32 v32, v19
	v_fma_f64 v[30:31], v[13:14], v[21:22], -v[30:31]
	v_fma_f64 v[23:24], v[15:16], v[21:22], v[23:24]
	v_xor_b32_e32 v22, 0x80000000, v18
	s_delay_alu instid0(VALU_DEP_1) | instskip(SKIP_1) | instid1(VALU_DEP_4)
	v_dual_mov_b32 v21, v17 :: v_dual_cndmask_b32 v22, v18, v22
	v_cmp_gt_f64_e32 vcc_lo, 0, v[19:20]
	v_add_f64 v[23:24], v[11:12], -v[23:24]
	v_cndmask_b32_e32 v33, v20, v33, vcc_lo
	s_delay_alu instid0(VALU_DEP_1)
	v_cmp_ngt_f64_e32 vcc_lo, v[21:22], v[32:33]
	v_add_f64 v[21:22], v[9:10], -v[30:31]
	s_cbranch_vccz .LBB218_136
; %bb.135:                              ;   in Loop: Header=BB218_127 Depth=1
	v_div_scale_f64 v[9:10], null, v[19:20], v[19:20], v[17:18]
	v_div_scale_f64 v[31:32], vcc_lo, v[17:18], v[19:20], v[17:18]
	s_delay_alu instid0(VALU_DEP_2) | instskip(SKIP_2) | instid1(VALU_DEP_1)
	v_rcp_f64_e32 v[11:12], v[9:10]
	s_waitcnt_depctr 0xfff
	v_fma_f64 v[29:30], -v[9:10], v[11:12], 1.0
	v_fma_f64 v[11:12], v[11:12], v[29:30], v[11:12]
	s_delay_alu instid0(VALU_DEP_1) | instskip(NEXT) | instid1(VALU_DEP_1)
	v_fma_f64 v[29:30], -v[9:10], v[11:12], 1.0
	v_fma_f64 v[11:12], v[11:12], v[29:30], v[11:12]
	s_delay_alu instid0(VALU_DEP_1) | instskip(NEXT) | instid1(VALU_DEP_1)
	v_mul_f64 v[29:30], v[31:32], v[11:12]
	v_fma_f64 v[9:10], -v[9:10], v[29:30], v[31:32]
	s_delay_alu instid0(VALU_DEP_1) | instskip(NEXT) | instid1(VALU_DEP_1)
	v_div_fmas_f64 v[9:10], v[9:10], v[11:12], v[29:30]
	v_div_fixup_f64 v[9:10], v[9:10], v[19:20], v[17:18]
	s_delay_alu instid0(VALU_DEP_1) | instskip(NEXT) | instid1(VALU_DEP_1)
	v_fma_f64 v[11:12], v[17:18], v[9:10], v[19:20]
	v_div_scale_f64 v[29:30], null, v[11:12], v[11:12], 1.0
	v_div_scale_f64 v[35:36], vcc_lo, 1.0, v[11:12], 1.0
	s_delay_alu instid0(VALU_DEP_2) | instskip(SKIP_2) | instid1(VALU_DEP_1)
	v_rcp_f64_e32 v[31:32], v[29:30]
	s_waitcnt_depctr 0xfff
	v_fma_f64 v[33:34], -v[29:30], v[31:32], 1.0
	v_fma_f64 v[31:32], v[31:32], v[33:34], v[31:32]
	s_delay_alu instid0(VALU_DEP_1) | instskip(NEXT) | instid1(VALU_DEP_1)
	v_fma_f64 v[33:34], -v[29:30], v[31:32], 1.0
	v_fma_f64 v[31:32], v[31:32], v[33:34], v[31:32]
	s_delay_alu instid0(VALU_DEP_1) | instskip(NEXT) | instid1(VALU_DEP_1)
	v_mul_f64 v[33:34], v[35:36], v[31:32]
	v_fma_f64 v[29:30], -v[29:30], v[33:34], v[35:36]
	s_delay_alu instid0(VALU_DEP_1) | instskip(SKIP_1) | instid1(VALU_DEP_2)
	v_div_fmas_f64 v[29:30], v[29:30], v[31:32], v[33:34]
	v_fma_f64 v[31:32], v[9:10], v[21:22], v[23:24]
	v_div_fixup_f64 v[11:12], v[29:30], v[11:12], 1.0
	v_fma_f64 v[29:30], v[9:10], v[23:24], -v[21:22]
	s_delay_alu instid0(VALU_DEP_2) | instskip(NEXT) | instid1(VALU_DEP_2)
	v_mul_f64 v[9:10], v[31:32], v[11:12]
	v_mul_f64 v[11:12], v[29:30], v[11:12]
	s_cbranch_execz .LBB218_137
	s_branch .LBB218_138
.LBB218_136:                            ;   in Loop: Header=BB218_127 Depth=1
                                        ; implicit-def: $vgpr11_vgpr12
.LBB218_137:                            ;   in Loop: Header=BB218_127 Depth=1
	v_div_scale_f64 v[9:10], null, v[17:18], v[17:18], v[19:20]
	v_div_scale_f64 v[31:32], vcc_lo, v[19:20], v[17:18], v[19:20]
	s_delay_alu instid0(VALU_DEP_2) | instskip(SKIP_2) | instid1(VALU_DEP_1)
	v_rcp_f64_e32 v[11:12], v[9:10]
	s_waitcnt_depctr 0xfff
	v_fma_f64 v[29:30], -v[9:10], v[11:12], 1.0
	v_fma_f64 v[11:12], v[11:12], v[29:30], v[11:12]
	s_delay_alu instid0(VALU_DEP_1) | instskip(NEXT) | instid1(VALU_DEP_1)
	v_fma_f64 v[29:30], -v[9:10], v[11:12], 1.0
	v_fma_f64 v[11:12], v[11:12], v[29:30], v[11:12]
	s_delay_alu instid0(VALU_DEP_1) | instskip(NEXT) | instid1(VALU_DEP_1)
	v_mul_f64 v[29:30], v[31:32], v[11:12]
	v_fma_f64 v[9:10], -v[9:10], v[29:30], v[31:32]
	s_delay_alu instid0(VALU_DEP_1) | instskip(NEXT) | instid1(VALU_DEP_1)
	v_div_fmas_f64 v[9:10], v[9:10], v[11:12], v[29:30]
	v_div_fixup_f64 v[9:10], v[9:10], v[17:18], v[19:20]
	s_delay_alu instid0(VALU_DEP_1) | instskip(NEXT) | instid1(VALU_DEP_1)
	v_fma_f64 v[11:12], v[19:20], v[9:10], v[17:18]
	v_div_scale_f64 v[17:18], null, v[11:12], v[11:12], 1.0
	v_div_scale_f64 v[31:32], vcc_lo, 1.0, v[11:12], 1.0
	s_delay_alu instid0(VALU_DEP_2) | instskip(SKIP_2) | instid1(VALU_DEP_1)
	v_rcp_f64_e32 v[19:20], v[17:18]
	s_waitcnt_depctr 0xfff
	v_fma_f64 v[29:30], -v[17:18], v[19:20], 1.0
	v_fma_f64 v[19:20], v[19:20], v[29:30], v[19:20]
	s_delay_alu instid0(VALU_DEP_1) | instskip(NEXT) | instid1(VALU_DEP_1)
	v_fma_f64 v[29:30], -v[17:18], v[19:20], 1.0
	v_fma_f64 v[19:20], v[19:20], v[29:30], v[19:20]
	s_delay_alu instid0(VALU_DEP_1) | instskip(NEXT) | instid1(VALU_DEP_1)
	v_mul_f64 v[29:30], v[31:32], v[19:20]
	v_fma_f64 v[17:18], -v[17:18], v[29:30], v[31:32]
	s_delay_alu instid0(VALU_DEP_1) | instskip(SKIP_1) | instid1(VALU_DEP_2)
	v_div_fmas_f64 v[17:18], v[17:18], v[19:20], v[29:30]
	v_fma_f64 v[19:20], v[9:10], v[23:24], v[21:22]
	v_div_fixup_f64 v[11:12], v[17:18], v[11:12], 1.0
	v_fma_f64 v[17:18], -v[9:10], v[21:22], v[23:24]
	s_delay_alu instid0(VALU_DEP_2) | instskip(NEXT) | instid1(VALU_DEP_2)
	v_mul_f64 v[9:10], v[19:20], v[11:12]
	v_mul_f64 v[11:12], v[17:18], v[11:12]
.LBB218_138:                            ;   in Loop: Header=BB218_127 Depth=1
	s_add_i32 s6, s6, s4
	s_delay_alu instid0(SALU_CYCLE_1) | instskip(NEXT) | instid1(SALU_CYCLE_1)
	s_lshl_b32 s6, s6, 4
	v_mov_b32_e32 v21, s6
	ds_load_b128 v[17:20], v21
	ds_load_b128 v[21:24], v21 offset:16
	ds_store_b128 v28, v[9:12]
	s_waitcnt lgkmcnt(2)
	v_mul_f64 v[29:30], v[15:16], v[19:20]
	v_mul_f64 v[19:20], v[13:14], v[19:20]
	s_waitcnt lgkmcnt(1)
	v_mul_f64 v[31:32], v[11:12], v[23:24]
	v_mul_f64 v[23:24], v[9:10], v[23:24]
	s_delay_alu instid0(VALU_DEP_4) | instskip(NEXT) | instid1(VALU_DEP_4)
	v_fma_f64 v[29:30], v[13:14], v[17:18], -v[29:30]
	v_fma_f64 v[17:18], v[15:16], v[17:18], v[19:20]
	v_mov_b32_e32 v19, s7
	v_fma_f64 v[31:32], v[9:10], v[21:22], -v[31:32]
	v_fma_f64 v[23:24], v[11:12], v[21:22], v[23:24]
	v_add_f64 v[5:6], v[5:6], -v[29:30]
	v_add_f64 v[7:8], v[7:8], -v[17:18]
	ds_load_b128 v[17:20], v19 offset:544
	s_waitcnt lgkmcnt(0)
	v_cmp_gt_f64_e32 vcc_lo, 0, v[17:18]
	v_xor_b32_e32 v22, 0x80000000, v18
	v_xor_b32_e32 v30, 0x80000000, v20
	v_mov_b32_e32 v21, v17
	v_mov_b32_e32 v29, v19
	v_add_f64 v[23:24], v[7:8], -v[23:24]
	v_cndmask_b32_e32 v22, v18, v22, vcc_lo
	v_cmp_gt_f64_e32 vcc_lo, 0, v[19:20]
	v_cndmask_b32_e32 v30, v20, v30, vcc_lo
	s_delay_alu instid0(VALU_DEP_1)
	v_cmp_ngt_f64_e32 vcc_lo, v[21:22], v[29:30]
	v_add_f64 v[21:22], v[5:6], -v[31:32]
	s_cbranch_vccz .LBB218_140
; %bb.139:                              ;   in Loop: Header=BB218_127 Depth=1
	v_div_scale_f64 v[5:6], null, v[19:20], v[19:20], v[17:18]
	v_div_scale_f64 v[30:31], vcc_lo, v[17:18], v[19:20], v[17:18]
	s_delay_alu instid0(VALU_DEP_2) | instskip(SKIP_2) | instid1(VALU_DEP_1)
	v_rcp_f64_e32 v[7:8], v[5:6]
	s_waitcnt_depctr 0xfff
	v_fma_f64 v[28:29], -v[5:6], v[7:8], 1.0
	v_fma_f64 v[7:8], v[7:8], v[28:29], v[7:8]
	s_delay_alu instid0(VALU_DEP_1) | instskip(NEXT) | instid1(VALU_DEP_1)
	v_fma_f64 v[28:29], -v[5:6], v[7:8], 1.0
	v_fma_f64 v[7:8], v[7:8], v[28:29], v[7:8]
	s_delay_alu instid0(VALU_DEP_1) | instskip(NEXT) | instid1(VALU_DEP_1)
	v_mul_f64 v[28:29], v[30:31], v[7:8]
	v_fma_f64 v[5:6], -v[5:6], v[28:29], v[30:31]
	s_delay_alu instid0(VALU_DEP_1) | instskip(NEXT) | instid1(VALU_DEP_1)
	v_div_fmas_f64 v[5:6], v[5:6], v[7:8], v[28:29]
	v_div_fixup_f64 v[5:6], v[5:6], v[19:20], v[17:18]
	s_delay_alu instid0(VALU_DEP_1) | instskip(NEXT) | instid1(VALU_DEP_1)
	v_fma_f64 v[7:8], v[17:18], v[5:6], v[19:20]
	v_div_scale_f64 v[28:29], null, v[7:8], v[7:8], 1.0
	v_div_scale_f64 v[34:35], vcc_lo, 1.0, v[7:8], 1.0
	s_delay_alu instid0(VALU_DEP_2) | instskip(SKIP_2) | instid1(VALU_DEP_1)
	v_rcp_f64_e32 v[30:31], v[28:29]
	s_waitcnt_depctr 0xfff
	v_fma_f64 v[32:33], -v[28:29], v[30:31], 1.0
	v_fma_f64 v[30:31], v[30:31], v[32:33], v[30:31]
	s_delay_alu instid0(VALU_DEP_1) | instskip(NEXT) | instid1(VALU_DEP_1)
	v_fma_f64 v[32:33], -v[28:29], v[30:31], 1.0
	v_fma_f64 v[30:31], v[30:31], v[32:33], v[30:31]
	s_delay_alu instid0(VALU_DEP_1) | instskip(NEXT) | instid1(VALU_DEP_1)
	v_mul_f64 v[32:33], v[34:35], v[30:31]
	v_fma_f64 v[28:29], -v[28:29], v[32:33], v[34:35]
	s_delay_alu instid0(VALU_DEP_1) | instskip(SKIP_1) | instid1(VALU_DEP_2)
	v_div_fmas_f64 v[28:29], v[28:29], v[30:31], v[32:33]
	v_fma_f64 v[30:31], v[5:6], v[21:22], v[23:24]
	v_div_fixup_f64 v[7:8], v[28:29], v[7:8], 1.0
	v_fma_f64 v[28:29], v[5:6], v[23:24], -v[21:22]
	s_delay_alu instid0(VALU_DEP_2) | instskip(NEXT) | instid1(VALU_DEP_2)
	v_mul_f64 v[5:6], v[30:31], v[7:8]
	v_mul_f64 v[7:8], v[28:29], v[7:8]
	s_cbranch_execz .LBB218_141
	s_branch .LBB218_142
.LBB218_140:                            ;   in Loop: Header=BB218_127 Depth=1
                                        ; implicit-def: $vgpr7_vgpr8
.LBB218_141:                            ;   in Loop: Header=BB218_127 Depth=1
	v_div_scale_f64 v[5:6], null, v[17:18], v[17:18], v[19:20]
	v_div_scale_f64 v[30:31], vcc_lo, v[19:20], v[17:18], v[19:20]
	s_delay_alu instid0(VALU_DEP_2) | instskip(SKIP_2) | instid1(VALU_DEP_1)
	v_rcp_f64_e32 v[7:8], v[5:6]
	s_waitcnt_depctr 0xfff
	v_fma_f64 v[28:29], -v[5:6], v[7:8], 1.0
	v_fma_f64 v[7:8], v[7:8], v[28:29], v[7:8]
	s_delay_alu instid0(VALU_DEP_1) | instskip(NEXT) | instid1(VALU_DEP_1)
	v_fma_f64 v[28:29], -v[5:6], v[7:8], 1.0
	v_fma_f64 v[7:8], v[7:8], v[28:29], v[7:8]
	s_delay_alu instid0(VALU_DEP_1) | instskip(NEXT) | instid1(VALU_DEP_1)
	v_mul_f64 v[28:29], v[30:31], v[7:8]
	v_fma_f64 v[5:6], -v[5:6], v[28:29], v[30:31]
	s_delay_alu instid0(VALU_DEP_1) | instskip(NEXT) | instid1(VALU_DEP_1)
	v_div_fmas_f64 v[5:6], v[5:6], v[7:8], v[28:29]
	v_div_fixup_f64 v[5:6], v[5:6], v[17:18], v[19:20]
	s_delay_alu instid0(VALU_DEP_1) | instskip(NEXT) | instid1(VALU_DEP_1)
	v_fma_f64 v[7:8], v[19:20], v[5:6], v[17:18]
	v_div_scale_f64 v[17:18], null, v[7:8], v[7:8], 1.0
	v_div_scale_f64 v[30:31], vcc_lo, 1.0, v[7:8], 1.0
	s_delay_alu instid0(VALU_DEP_2) | instskip(SKIP_2) | instid1(VALU_DEP_1)
	v_rcp_f64_e32 v[19:20], v[17:18]
	s_waitcnt_depctr 0xfff
	v_fma_f64 v[28:29], -v[17:18], v[19:20], 1.0
	v_fma_f64 v[19:20], v[19:20], v[28:29], v[19:20]
	s_delay_alu instid0(VALU_DEP_1) | instskip(NEXT) | instid1(VALU_DEP_1)
	v_fma_f64 v[28:29], -v[17:18], v[19:20], 1.0
	v_fma_f64 v[19:20], v[19:20], v[28:29], v[19:20]
	s_delay_alu instid0(VALU_DEP_1) | instskip(NEXT) | instid1(VALU_DEP_1)
	v_mul_f64 v[28:29], v[30:31], v[19:20]
	v_fma_f64 v[17:18], -v[17:18], v[28:29], v[30:31]
	s_delay_alu instid0(VALU_DEP_1) | instskip(SKIP_1) | instid1(VALU_DEP_2)
	v_div_fmas_f64 v[17:18], v[17:18], v[19:20], v[28:29]
	v_fma_f64 v[19:20], v[5:6], v[23:24], v[21:22]
	v_div_fixup_f64 v[7:8], v[17:18], v[7:8], 1.0
	v_fma_f64 v[17:18], -v[5:6], v[21:22], v[23:24]
	s_delay_alu instid0(VALU_DEP_2) | instskip(NEXT) | instid1(VALU_DEP_2)
	v_mul_f64 v[5:6], v[19:20], v[7:8]
	v_mul_f64 v[7:8], v[17:18], v[7:8]
.LBB218_142:                            ;   in Loop: Header=BB218_127 Depth=1
	s_add_i32 s5, s5, s4
	s_delay_alu instid0(SALU_CYCLE_1) | instskip(NEXT) | instid1(SALU_CYCLE_1)
	s_lshl_b32 s5, s5, 4
	v_mov_b32_e32 v34, s5
	ds_load_b128 v[17:20], v34
	ds_load_b128 v[21:24], v34 offset:16
	ds_store_b128 v27, v[5:8]
	s_waitcnt lgkmcnt(2)
	v_mul_f64 v[28:29], v[15:16], v[19:20]
	v_mul_f64 v[19:20], v[13:14], v[19:20]
	s_waitcnt lgkmcnt(1)
	v_mul_f64 v[30:31], v[11:12], v[23:24]
	v_mul_f64 v[23:24], v[9:10], v[23:24]
	s_delay_alu instid0(VALU_DEP_4)
	v_fma_f64 v[28:29], v[13:14], v[17:18], -v[28:29]
	v_mov_b32_e32 v13, s7
	v_fma_f64 v[32:33], v[15:16], v[17:18], v[19:20]
	ds_load_b128 v[17:20], v34 offset:32
	v_fma_f64 v[9:10], v[9:10], v[21:22], -v[30:31]
	v_fma_f64 v[11:12], v[11:12], v[21:22], v[23:24]
	ds_load_b128 v[13:16], v13 offset:816
	s_waitcnt lgkmcnt(1)
	v_mul_f64 v[34:35], v[7:8], v[19:20]
	v_mul_f64 v[19:20], v[5:6], v[19:20]
	s_waitcnt lgkmcnt(0)
	v_cmp_gt_f64_e32 vcc_lo, 0, v[13:14]
	v_add_f64 v[1:2], v[1:2], -v[28:29]
	v_add_f64 v[3:4], v[3:4], -v[32:33]
	v_fma_f64 v[21:22], v[5:6], v[17:18], -v[34:35]
	v_fma_f64 v[17:18], v[7:8], v[17:18], v[19:20]
	s_delay_alu instid0(VALU_DEP_4) | instskip(SKIP_4) | instid1(VALU_DEP_4)
	v_add_f64 v[1:2], v[1:2], -v[9:10]
	v_xor_b32_e32 v10, 0x80000000, v14
	v_mov_b32_e32 v9, v13
	v_add_f64 v[3:4], v[3:4], -v[11:12]
	v_xor_b32_e32 v12, 0x80000000, v16
	v_cndmask_b32_e32 v10, v14, v10, vcc_lo
	v_cmp_gt_f64_e32 vcc_lo, 0, v[15:16]
	s_delay_alu instid0(VALU_DEP_3) | instskip(NEXT) | instid1(VALU_DEP_1)
	v_dual_mov_b32 v11, v15 :: v_dual_cndmask_b32 v12, v16, v12
	v_cmp_ngt_f64_e32 vcc_lo, v[9:10], v[11:12]
	v_add_f64 v[9:10], v[1:2], -v[21:22]
	v_add_f64 v[11:12], v[3:4], -v[17:18]
	s_cbranch_vccz .LBB218_144
; %bb.143:                              ;   in Loop: Header=BB218_127 Depth=1
	v_div_scale_f64 v[1:2], null, v[15:16], v[15:16], v[13:14]
	v_div_scale_f64 v[7:8], vcc_lo, v[13:14], v[15:16], v[13:14]
	s_delay_alu instid0(VALU_DEP_2) | instskip(SKIP_2) | instid1(VALU_DEP_1)
	v_rcp_f64_e32 v[3:4], v[1:2]
	s_waitcnt_depctr 0xfff
	v_fma_f64 v[5:6], -v[1:2], v[3:4], 1.0
	v_fma_f64 v[3:4], v[3:4], v[5:6], v[3:4]
	s_delay_alu instid0(VALU_DEP_1) | instskip(NEXT) | instid1(VALU_DEP_1)
	v_fma_f64 v[5:6], -v[1:2], v[3:4], 1.0
	v_fma_f64 v[3:4], v[3:4], v[5:6], v[3:4]
	s_delay_alu instid0(VALU_DEP_1) | instskip(NEXT) | instid1(VALU_DEP_1)
	v_mul_f64 v[5:6], v[7:8], v[3:4]
	v_fma_f64 v[1:2], -v[1:2], v[5:6], v[7:8]
	s_delay_alu instid0(VALU_DEP_1) | instskip(NEXT) | instid1(VALU_DEP_1)
	v_div_fmas_f64 v[1:2], v[1:2], v[3:4], v[5:6]
	v_div_fixup_f64 v[1:2], v[1:2], v[15:16], v[13:14]
	s_delay_alu instid0(VALU_DEP_1) | instskip(NEXT) | instid1(VALU_DEP_1)
	v_fma_f64 v[3:4], v[13:14], v[1:2], v[15:16]
	v_div_scale_f64 v[5:6], null, v[3:4], v[3:4], 1.0
	v_div_scale_f64 v[19:20], vcc_lo, 1.0, v[3:4], 1.0
	s_delay_alu instid0(VALU_DEP_2) | instskip(SKIP_2) | instid1(VALU_DEP_1)
	v_rcp_f64_e32 v[7:8], v[5:6]
	s_waitcnt_depctr 0xfff
	v_fma_f64 v[17:18], -v[5:6], v[7:8], 1.0
	v_fma_f64 v[7:8], v[7:8], v[17:18], v[7:8]
	s_delay_alu instid0(VALU_DEP_1) | instskip(NEXT) | instid1(VALU_DEP_1)
	v_fma_f64 v[17:18], -v[5:6], v[7:8], 1.0
	v_fma_f64 v[7:8], v[7:8], v[17:18], v[7:8]
	s_delay_alu instid0(VALU_DEP_1) | instskip(NEXT) | instid1(VALU_DEP_1)
	v_mul_f64 v[17:18], v[19:20], v[7:8]
	v_fma_f64 v[5:6], -v[5:6], v[17:18], v[19:20]
	s_delay_alu instid0(VALU_DEP_1) | instskip(SKIP_1) | instid1(VALU_DEP_2)
	v_div_fmas_f64 v[5:6], v[5:6], v[7:8], v[17:18]
	v_fma_f64 v[7:8], v[1:2], v[9:10], v[11:12]
	v_div_fixup_f64 v[3:4], v[5:6], v[3:4], 1.0
	v_fma_f64 v[5:6], v[1:2], v[11:12], -v[9:10]
	s_delay_alu instid0(VALU_DEP_2) | instskip(NEXT) | instid1(VALU_DEP_2)
	v_mul_f64 v[1:2], v[7:8], v[3:4]
	v_mul_f64 v[3:4], v[5:6], v[3:4]
	s_cbranch_execz .LBB218_145
	s_branch .LBB218_146
.LBB218_144:                            ;   in Loop: Header=BB218_127 Depth=1
                                        ; implicit-def: $vgpr3_vgpr4
.LBB218_145:                            ;   in Loop: Header=BB218_127 Depth=1
	v_div_scale_f64 v[1:2], null, v[13:14], v[13:14], v[15:16]
	v_div_scale_f64 v[7:8], vcc_lo, v[15:16], v[13:14], v[15:16]
	s_delay_alu instid0(VALU_DEP_2) | instskip(SKIP_2) | instid1(VALU_DEP_1)
	v_rcp_f64_e32 v[3:4], v[1:2]
	s_waitcnt_depctr 0xfff
	v_fma_f64 v[5:6], -v[1:2], v[3:4], 1.0
	v_fma_f64 v[3:4], v[3:4], v[5:6], v[3:4]
	s_delay_alu instid0(VALU_DEP_1) | instskip(NEXT) | instid1(VALU_DEP_1)
	v_fma_f64 v[5:6], -v[1:2], v[3:4], 1.0
	v_fma_f64 v[3:4], v[3:4], v[5:6], v[3:4]
	s_delay_alu instid0(VALU_DEP_1) | instskip(NEXT) | instid1(VALU_DEP_1)
	v_mul_f64 v[5:6], v[7:8], v[3:4]
	v_fma_f64 v[1:2], -v[1:2], v[5:6], v[7:8]
	s_delay_alu instid0(VALU_DEP_1) | instskip(NEXT) | instid1(VALU_DEP_1)
	v_div_fmas_f64 v[1:2], v[1:2], v[3:4], v[5:6]
	v_div_fixup_f64 v[1:2], v[1:2], v[13:14], v[15:16]
	s_delay_alu instid0(VALU_DEP_1) | instskip(NEXT) | instid1(VALU_DEP_1)
	v_fma_f64 v[3:4], v[15:16], v[1:2], v[13:14]
	v_div_scale_f64 v[5:6], null, v[3:4], v[3:4], 1.0
	v_div_scale_f64 v[15:16], vcc_lo, 1.0, v[3:4], 1.0
	s_delay_alu instid0(VALU_DEP_2) | instskip(SKIP_2) | instid1(VALU_DEP_1)
	v_rcp_f64_e32 v[7:8], v[5:6]
	s_waitcnt_depctr 0xfff
	v_fma_f64 v[13:14], -v[5:6], v[7:8], 1.0
	v_fma_f64 v[7:8], v[7:8], v[13:14], v[7:8]
	s_delay_alu instid0(VALU_DEP_1) | instskip(NEXT) | instid1(VALU_DEP_1)
	v_fma_f64 v[13:14], -v[5:6], v[7:8], 1.0
	v_fma_f64 v[7:8], v[7:8], v[13:14], v[7:8]
	s_delay_alu instid0(VALU_DEP_1) | instskip(NEXT) | instid1(VALU_DEP_1)
	v_mul_f64 v[13:14], v[15:16], v[7:8]
	v_fma_f64 v[5:6], -v[5:6], v[13:14], v[15:16]
	s_delay_alu instid0(VALU_DEP_1) | instskip(SKIP_1) | instid1(VALU_DEP_2)
	v_div_fmas_f64 v[5:6], v[5:6], v[7:8], v[13:14]
	v_fma_f64 v[7:8], v[1:2], v[11:12], v[9:10]
	v_div_fixup_f64 v[3:4], v[5:6], v[3:4], 1.0
	v_fma_f64 v[5:6], -v[1:2], v[9:10], v[11:12]
	s_delay_alu instid0(VALU_DEP_2) | instskip(NEXT) | instid1(VALU_DEP_2)
	v_mul_f64 v[1:2], v[7:8], v[3:4]
	v_mul_f64 v[3:4], v[5:6], v[3:4]
.LBB218_146:                            ;   in Loop: Header=BB218_127 Depth=1
	s_add_i32 s5, s4, 4
	s_add_i32 s4, s4, 7
	s_addk_i32 s1, 0x400
	s_cmp_ge_i32 s4, s29
	ds_store_b128 v26, v[1:4]
	s_cbranch_scc1 .LBB218_148
; %bb.147:                              ;   in Loop: Header=BB218_127 Depth=1
	s_mov_b32 s4, s5
	s_branch .LBB218_127
.LBB218_148:
	s_cmp_ge_i32 s5, s29
	s_cbranch_scc1 .LBB218_163
; %bb.149:
	v_lshl_or_b32 v13, v0, 4, 0x1000
	v_lshlrev_b32_e32 v14, 4, v0
	s_add_i32 s1, s5, -1
	s_lshl_b32 s4, s5, 8
	s_mov_b32 s6, 0
	s_mov_b32 s7, s5
	s_branch .LBB218_151
.LBB218_150:                            ;   in Loop: Header=BB218_151 Depth=1
	v_add_nc_u16 v1, s7, 1
	s_add_i32 s5, s5, 1
	s_add_i32 s6, s6, 1
	s_addk_i32 s4, 0x100
	s_cmp_ge_i32 s5, s29
	v_readfirstlane_b32 s7, v1
	ds_store_b128 v15, v[9:12]
	s_cbranch_scc1 .LBB218_163
.LBB218_151:                            ; =>This Loop Header: Depth=1
                                        ;     Child Loop BB218_154 Depth 2
                                        ;     Child Loop BB218_158 Depth 2
	v_lshl_or_b32 v5, s5, 8, v14
	s_cmp_eq_u32 s5, 0
	ds_load_b128 v[1:4], v5 offset:4096
	s_cbranch_scc1 .LBB218_159
; %bb.152:                              ;   in Loop: Header=BB218_151 Depth=1
	s_add_i32 s10, s1, s6
	s_delay_alu instid0(SALU_CYCLE_1)
	s_cmp_lt_u32 s10, 3
	s_cbranch_scc1 .LBB218_156
; %bb.153:                              ;   in Loop: Header=BB218_151 Depth=1
	v_mov_b32_e32 v6, v13
	s_and_b32 s10, s5, -4
	s_mov_b32 s11, 0
	s_mov_b32 s14, s4
.LBB218_154:                            ;   Parent Loop BB218_151 Depth=1
                                        ; =>  This Inner Loop Header: Depth=2
	s_delay_alu instid0(SALU_CYCLE_1)
	v_mov_b32_e32 v31, s14
	s_add_i32 s11, s11, 4
	s_add_i32 s14, s14, 64
	s_cmp_eq_u32 s10, s11
	ds_load_b128 v[7:10], v6
	ds_load_b128 v[15:18], v31
	ds_load_b128 v[19:22], v6 offset:256
	ds_load_b128 v[23:26], v31 offset:16
	s_waitcnt lgkmcnt(2)
	v_mul_f64 v[11:12], v[17:18], v[9:10]
	v_mul_f64 v[9:10], v[15:16], v[9:10]
	s_waitcnt lgkmcnt(0)
	v_mul_f64 v[35:36], v[25:26], v[21:22]
	v_mul_f64 v[21:22], v[23:24], v[21:22]
	s_delay_alu instid0(VALU_DEP_4) | instskip(NEXT) | instid1(VALU_DEP_4)
	v_fma_f64 v[11:12], v[15:16], v[7:8], -v[11:12]
	v_fma_f64 v[37:38], v[17:18], v[7:8], v[9:10]
	ds_load_b128 v[7:10], v6 offset:512
	ds_load_b128 v[15:18], v31 offset:32
	;; [unrolled: 1-line block ×4, first 2 shown]
	v_add_nc_u32_e32 v6, 0x400, v6
	v_fma_f64 v[23:24], v[23:24], v[19:20], -v[35:36]
	v_fma_f64 v[19:20], v[25:26], v[19:20], v[21:22]
	s_waitcnt lgkmcnt(2)
	v_mul_f64 v[39:40], v[17:18], v[9:10]
	v_mul_f64 v[9:10], v[15:16], v[9:10]
	s_waitcnt lgkmcnt(0)
	v_mul_f64 v[21:22], v[31:32], v[29:30]
	v_add_f64 v[1:2], v[1:2], -v[11:12]
	v_add_f64 v[3:4], v[3:4], -v[37:38]
	v_mul_f64 v[11:12], v[33:34], v[29:30]
	v_fma_f64 v[15:16], v[15:16], v[7:8], -v[39:40]
	v_fma_f64 v[7:8], v[17:18], v[7:8], v[9:10]
	v_add_f64 v[1:2], v[1:2], -v[23:24]
	v_add_f64 v[3:4], v[3:4], -v[19:20]
	v_fma_f64 v[9:10], v[31:32], v[27:28], -v[11:12]
	v_fma_f64 v[11:12], v[33:34], v[27:28], v[21:22]
	s_delay_alu instid0(VALU_DEP_4) | instskip(NEXT) | instid1(VALU_DEP_4)
	v_add_f64 v[1:2], v[1:2], -v[15:16]
	v_add_f64 v[3:4], v[3:4], -v[7:8]
	s_delay_alu instid0(VALU_DEP_2) | instskip(NEXT) | instid1(VALU_DEP_2)
	v_add_f64 v[1:2], v[1:2], -v[9:10]
	v_add_f64 v[3:4], v[3:4], -v[11:12]
	s_cbranch_scc0 .LBB218_154
; %bb.155:                              ;   in Loop: Header=BB218_151 Depth=1
	s_and_b32 s11, s5, 3
	s_delay_alu instid0(SALU_CYCLE_1)
	s_cmp_eq_u32 s11, 0
	s_cbranch_scc0 .LBB218_157
	s_branch .LBB218_159
.LBB218_156:                            ;   in Loop: Header=BB218_151 Depth=1
	s_mov_b32 s10, 0
	s_and_b32 s11, s5, 3
	s_delay_alu instid0(SALU_CYCLE_1)
	s_cmp_eq_u32 s11, 0
	s_cbranch_scc1 .LBB218_159
.LBB218_157:                            ;   in Loop: Header=BB218_151 Depth=1
	v_lshl_add_u32 v6, s10, 8, v13
	s_and_b32 s11, s7, 3
	s_lshl_b32 s10, s10, 4
	.p2align	6
.LBB218_158:                            ;   Parent Loop BB218_151 Depth=1
                                        ; =>  This Inner Loop Header: Depth=2
	s_delay_alu instid0(SALU_CYCLE_1)
	s_add_i32 s14, s4, s10
	s_add_i32 s11, s11, -1
	v_mov_b32_e32 v11, s14
	s_add_i32 s10, s10, 16
	s_cmp_lg_u32 s11, 0
	ds_load_b128 v[7:10], v6
	ds_load_b128 v[15:18], v11
	v_add_nc_u32_e32 v6, 0x100, v6
	s_waitcnt lgkmcnt(0)
	v_mul_f64 v[11:12], v[17:18], v[9:10]
	v_mul_f64 v[9:10], v[15:16], v[9:10]
	s_delay_alu instid0(VALU_DEP_2) | instskip(NEXT) | instid1(VALU_DEP_2)
	v_fma_f64 v[11:12], v[15:16], v[7:8], -v[11:12]
	v_fma_f64 v[7:8], v[17:18], v[7:8], v[9:10]
	s_delay_alu instid0(VALU_DEP_2) | instskip(NEXT) | instid1(VALU_DEP_2)
	v_add_f64 v[1:2], v[1:2], -v[11:12]
	v_add_f64 v[3:4], v[3:4], -v[7:8]
	s_cbranch_scc1 .LBB218_158
.LBB218_159:                            ;   in Loop: Header=BB218_151 Depth=1
	s_mul_i32 s10, s5, 0x110
	v_add_nc_u32_e32 v15, 0x1000, v5
	v_mov_b32_e32 v5, s10
	ds_load_b128 v[5:8], v5
	s_waitcnt lgkmcnt(0)
	v_cmp_gt_f64_e32 vcc_lo, 0, v[5:6]
	v_xor_b32_e32 v10, 0x80000000, v6
	v_xor_b32_e32 v11, 0x80000000, v8
	s_delay_alu instid0(VALU_DEP_2) | instskip(SKIP_1) | instid1(VALU_DEP_3)
	v_dual_mov_b32 v9, v5 :: v_dual_cndmask_b32 v10, v6, v10
	v_cmp_gt_f64_e32 vcc_lo, 0, v[7:8]
	v_dual_cndmask_b32 v12, v8, v11 :: v_dual_mov_b32 v11, v7
	s_delay_alu instid0(VALU_DEP_1)
	v_cmp_ngt_f64_e32 vcc_lo, v[9:10], v[11:12]
	s_cbranch_vccz .LBB218_161
; %bb.160:                              ;   in Loop: Header=BB218_151 Depth=1
	v_div_scale_f64 v[9:10], null, v[7:8], v[7:8], v[5:6]
	v_div_scale_f64 v[18:19], vcc_lo, v[5:6], v[7:8], v[5:6]
	s_delay_alu instid0(VALU_DEP_2) | instskip(SKIP_2) | instid1(VALU_DEP_1)
	v_rcp_f64_e32 v[11:12], v[9:10]
	s_waitcnt_depctr 0xfff
	v_fma_f64 v[16:17], -v[9:10], v[11:12], 1.0
	v_fma_f64 v[11:12], v[11:12], v[16:17], v[11:12]
	s_delay_alu instid0(VALU_DEP_1) | instskip(NEXT) | instid1(VALU_DEP_1)
	v_fma_f64 v[16:17], -v[9:10], v[11:12], 1.0
	v_fma_f64 v[11:12], v[11:12], v[16:17], v[11:12]
	s_delay_alu instid0(VALU_DEP_1) | instskip(NEXT) | instid1(VALU_DEP_1)
	v_mul_f64 v[16:17], v[18:19], v[11:12]
	v_fma_f64 v[9:10], -v[9:10], v[16:17], v[18:19]
	s_delay_alu instid0(VALU_DEP_1) | instskip(NEXT) | instid1(VALU_DEP_1)
	v_div_fmas_f64 v[9:10], v[9:10], v[11:12], v[16:17]
	v_div_fixup_f64 v[9:10], v[9:10], v[7:8], v[5:6]
	s_delay_alu instid0(VALU_DEP_1) | instskip(NEXT) | instid1(VALU_DEP_1)
	v_fma_f64 v[11:12], v[5:6], v[9:10], v[7:8]
	v_div_scale_f64 v[16:17], null, v[11:12], v[11:12], 1.0
	v_div_scale_f64 v[22:23], vcc_lo, 1.0, v[11:12], 1.0
	s_delay_alu instid0(VALU_DEP_2) | instskip(SKIP_2) | instid1(VALU_DEP_1)
	v_rcp_f64_e32 v[18:19], v[16:17]
	s_waitcnt_depctr 0xfff
	v_fma_f64 v[20:21], -v[16:17], v[18:19], 1.0
	v_fma_f64 v[18:19], v[18:19], v[20:21], v[18:19]
	s_delay_alu instid0(VALU_DEP_1) | instskip(NEXT) | instid1(VALU_DEP_1)
	v_fma_f64 v[20:21], -v[16:17], v[18:19], 1.0
	v_fma_f64 v[18:19], v[18:19], v[20:21], v[18:19]
	s_delay_alu instid0(VALU_DEP_1) | instskip(NEXT) | instid1(VALU_DEP_1)
	v_mul_f64 v[20:21], v[22:23], v[18:19]
	v_fma_f64 v[16:17], -v[16:17], v[20:21], v[22:23]
	s_delay_alu instid0(VALU_DEP_1) | instskip(SKIP_1) | instid1(VALU_DEP_2)
	v_div_fmas_f64 v[16:17], v[16:17], v[18:19], v[20:21]
	v_fma_f64 v[18:19], v[1:2], v[9:10], v[3:4]
	v_div_fixup_f64 v[11:12], v[16:17], v[11:12], 1.0
	v_fma_f64 v[16:17], v[3:4], v[9:10], -v[1:2]
	s_delay_alu instid0(VALU_DEP_2) | instskip(NEXT) | instid1(VALU_DEP_2)
	v_mul_f64 v[9:10], v[18:19], v[11:12]
	v_mul_f64 v[11:12], v[16:17], v[11:12]
	s_cbranch_execnz .LBB218_150
	s_branch .LBB218_162
.LBB218_161:                            ;   in Loop: Header=BB218_151 Depth=1
                                        ; implicit-def: $vgpr9_vgpr10
.LBB218_162:                            ;   in Loop: Header=BB218_151 Depth=1
	v_div_scale_f64 v[9:10], null, v[5:6], v[5:6], v[7:8]
	v_div_scale_f64 v[18:19], vcc_lo, v[7:8], v[5:6], v[7:8]
	s_delay_alu instid0(VALU_DEP_2) | instskip(SKIP_2) | instid1(VALU_DEP_1)
	v_rcp_f64_e32 v[11:12], v[9:10]
	s_waitcnt_depctr 0xfff
	v_fma_f64 v[16:17], -v[9:10], v[11:12], 1.0
	v_fma_f64 v[11:12], v[11:12], v[16:17], v[11:12]
	s_delay_alu instid0(VALU_DEP_1) | instskip(NEXT) | instid1(VALU_DEP_1)
	v_fma_f64 v[16:17], -v[9:10], v[11:12], 1.0
	v_fma_f64 v[11:12], v[11:12], v[16:17], v[11:12]
	s_delay_alu instid0(VALU_DEP_1) | instskip(NEXT) | instid1(VALU_DEP_1)
	v_mul_f64 v[16:17], v[18:19], v[11:12]
	v_fma_f64 v[9:10], -v[9:10], v[16:17], v[18:19]
	s_delay_alu instid0(VALU_DEP_1) | instskip(NEXT) | instid1(VALU_DEP_1)
	v_div_fmas_f64 v[9:10], v[9:10], v[11:12], v[16:17]
	v_div_fixup_f64 v[9:10], v[9:10], v[5:6], v[7:8]
	s_delay_alu instid0(VALU_DEP_1) | instskip(NEXT) | instid1(VALU_DEP_1)
	v_fma_f64 v[5:6], v[7:8], v[9:10], v[5:6]
	v_div_scale_f64 v[7:8], null, v[5:6], v[5:6], 1.0
	v_div_scale_f64 v[18:19], vcc_lo, 1.0, v[5:6], 1.0
	s_delay_alu instid0(VALU_DEP_2) | instskip(SKIP_2) | instid1(VALU_DEP_1)
	v_rcp_f64_e32 v[11:12], v[7:8]
	s_waitcnt_depctr 0xfff
	v_fma_f64 v[16:17], -v[7:8], v[11:12], 1.0
	v_fma_f64 v[11:12], v[11:12], v[16:17], v[11:12]
	s_delay_alu instid0(VALU_DEP_1) | instskip(NEXT) | instid1(VALU_DEP_1)
	v_fma_f64 v[16:17], -v[7:8], v[11:12], 1.0
	v_fma_f64 v[11:12], v[11:12], v[16:17], v[11:12]
	s_delay_alu instid0(VALU_DEP_1) | instskip(NEXT) | instid1(VALU_DEP_1)
	v_mul_f64 v[16:17], v[18:19], v[11:12]
	v_fma_f64 v[7:8], -v[7:8], v[16:17], v[18:19]
	s_delay_alu instid0(VALU_DEP_1) | instskip(SKIP_2) | instid1(VALU_DEP_3)
	v_div_fmas_f64 v[7:8], v[7:8], v[11:12], v[16:17]
	v_fma_f64 v[11:12], v[3:4], v[9:10], v[1:2]
	v_fma_f64 v[1:2], -v[1:2], v[9:10], v[3:4]
	v_div_fixup_f64 v[5:6], v[7:8], v[5:6], 1.0
	s_delay_alu instid0(VALU_DEP_1) | instskip(NEXT) | instid1(VALU_DEP_3)
	v_mul_f64 v[9:10], v[11:12], v[5:6]
	v_mul_f64 v[11:12], v[1:2], v[5:6]
	s_branch .LBB218_150
.LBB218_163:
	s_and_saveexec_b32 s1, s20
	s_cbranch_execz .LBB218_170
; %bb.164:
	v_lshlrev_b32_e32 v3, 4, v0
	s_ashr_i32 s1, s0, 31
	s_cmp_lt_u32 s28, 4
	s_mov_b32 s14, 0
	s_cbranch_scc1 .LBB218_167
; %bb.165:
	v_add_co_u32 v1, s4, s18, v3
	s_delay_alu instid0(VALU_DEP_1)
	v_add_co_ci_u32_e64 v2, null, s19, 0, s4
	v_lshl_or_b32 v0, v0, 4, 0x1000
	s_and_b32 s14, s28, 0x7ffffffc
	s_mul_hi_i32 s15, s0, 48
	s_mul_i32 s16, s0, 48
	s_lshl_b64 s[4:5], s[0:1], 6
	s_lshl_b64 s[6:7], s[0:1], 5
	;; [unrolled: 1-line block ×3, first 2 shown]
	s_mov_b32 s17, 0
	s_set_inst_prefetch_distance 0x1
	.p2align	6
.LBB218_166:                            ; =>This Inner Loop Header: Depth=1
	ds_load_2addr_b64 v[4:7], v0 offset1:1
	ds_load_2addr_b64 v[8:11], v0 offset0:32 offset1:33
	ds_load_2addr_b64 v[12:15], v0 offset0:64 offset1:65
	;; [unrolled: 1-line block ×3, first 2 shown]
	v_add_co_u32 v20, vcc_lo, v1, s10
	v_add_co_ci_u32_e32 v21, vcc_lo, s11, v2, vcc_lo
	v_add_co_u32 v22, vcc_lo, v1, s6
	v_add_co_ci_u32_e32 v23, vcc_lo, s7, v2, vcc_lo
	v_add_co_u32 v24, vcc_lo, v1, s16
	v_add_co_ci_u32_e32 v25, vcc_lo, s15, v2, vcc_lo
	v_add_nc_u32_e32 v0, 0x400, v0
	s_add_i32 s17, s17, 4
	s_delay_alu instid0(SALU_CYCLE_1)
	s_cmp_lg_u32 s14, s17
	s_waitcnt lgkmcnt(3)
	global_store_b128 v[1:2], v[4:7], off
	v_add_co_u32 v1, vcc_lo, v1, s4
	v_add_co_ci_u32_e32 v2, vcc_lo, s5, v2, vcc_lo
	s_waitcnt lgkmcnt(2)
	global_store_b128 v[20:21], v[8:11], off
	s_waitcnt lgkmcnt(1)
	global_store_b128 v[22:23], v[12:15], off
	;; [unrolled: 2-line block ×3, first 2 shown]
	s_cbranch_scc1 .LBB218_166
.LBB218_167:
	s_set_inst_prefetch_distance 0x2
	s_and_b32 s4, s28, 3
	s_delay_alu instid0(SALU_CYCLE_1)
	s_cmp_eq_u32 s4, 0
	s_cbranch_scc1 .LBB218_170
; %bb.168:
	s_mul_hi_i32 s7, s0, s14
	s_mul_i32 s6, s0, s14
	v_lshl_or_b32 v2, s14, 8, v3
	s_lshl_b64 s[6:7], s[6:7], 4
	s_delay_alu instid0(SALU_CYCLE_1)
	s_add_u32 s5, s6, s8
	s_addc_u32 s6, s7, s9
	s_add_u32 s2, s5, s2
	s_addc_u32 s3, s6, s3
	;; [unrolled: 2-line block ×3, first 2 shown]
	v_add_co_u32 v0, s2, s2, v3
	s_delay_alu instid0(VALU_DEP_1)
	v_add_co_ci_u32_e64 v1, null, s3, 0, s2
	v_add_nc_u32_e32 v2, 0x1000, v2
	s_lshl_b64 s[0:1], s[0:1], 4
.LBB218_169:                            ; =>This Inner Loop Header: Depth=1
	ds_load_2addr_b64 v[3:6], v2 offset1:1
	v_add_nc_u32_e32 v2, 0x100, v2
	s_add_i32 s4, s4, -1
	s_delay_alu instid0(SALU_CYCLE_1)
	s_cmp_lg_u32 s4, 0
	s_waitcnt lgkmcnt(0)
	global_store_b128 v[0:1], v[3:6], off
	v_add_co_u32 v0, vcc_lo, v0, s0
	v_add_co_ci_u32_e32 v1, vcc_lo, s1, v1, vcc_lo
	s_cbranch_scc1 .LBB218_169
.LBB218_170:
	s_nop 0
	s_sendmsg sendmsg(MSG_DEALLOC_VGPRS)
	s_endpgm
	.section	.rodata,"a",@progbits
	.p2align	6, 0x0
	.amdhsa_kernel _ZL31rocblas_trsm_small_right_deviceI19rocblas_complex_numIdES1_PKPKS1_PKPS1_Li16EEv13rocblas_fill_18rocblas_operation_17rocblas_diagonal_iiT0_T1_lilT2_lili
		.amdhsa_group_segment_fixed_size 8192
		.amdhsa_private_segment_fixed_size 0
		.amdhsa_kernarg_size 368
		.amdhsa_user_sgpr_count 14
		.amdhsa_user_sgpr_dispatch_ptr 0
		.amdhsa_user_sgpr_queue_ptr 0
		.amdhsa_user_sgpr_kernarg_segment_ptr 1
		.amdhsa_user_sgpr_dispatch_id 0
		.amdhsa_user_sgpr_private_segment_size 0
		.amdhsa_wavefront_size32 1
		.amdhsa_uses_dynamic_stack 0
		.amdhsa_enable_private_segment 0
		.amdhsa_system_sgpr_workgroup_id_x 1
		.amdhsa_system_sgpr_workgroup_id_y 0
		.amdhsa_system_sgpr_workgroup_id_z 1
		.amdhsa_system_sgpr_workgroup_info 0
		.amdhsa_system_vgpr_workitem_id 0
		.amdhsa_next_free_vgpr 81
		.amdhsa_next_free_sgpr 32
		.amdhsa_reserve_vcc 1
		.amdhsa_float_round_mode_32 0
		.amdhsa_float_round_mode_16_64 0
		.amdhsa_float_denorm_mode_32 3
		.amdhsa_float_denorm_mode_16_64 3
		.amdhsa_dx10_clamp 1
		.amdhsa_ieee_mode 1
		.amdhsa_fp16_overflow 0
		.amdhsa_workgroup_processor_mode 1
		.amdhsa_memory_ordered 1
		.amdhsa_forward_progress 0
		.amdhsa_shared_vgpr_count 0
		.amdhsa_exception_fp_ieee_invalid_op 0
		.amdhsa_exception_fp_denorm_src 0
		.amdhsa_exception_fp_ieee_div_zero 0
		.amdhsa_exception_fp_ieee_overflow 0
		.amdhsa_exception_fp_ieee_underflow 0
		.amdhsa_exception_fp_ieee_inexact 0
		.amdhsa_exception_int_div_zero 0
	.end_amdhsa_kernel
	.section	.text._ZL31rocblas_trsm_small_right_deviceI19rocblas_complex_numIdES1_PKPKS1_PKPS1_Li16EEv13rocblas_fill_18rocblas_operation_17rocblas_diagonal_iiT0_T1_lilT2_lili,"axG",@progbits,_ZL31rocblas_trsm_small_right_deviceI19rocblas_complex_numIdES1_PKPKS1_PKPS1_Li16EEv13rocblas_fill_18rocblas_operation_17rocblas_diagonal_iiT0_T1_lilT2_lili,comdat
.Lfunc_end218:
	.size	_ZL31rocblas_trsm_small_right_deviceI19rocblas_complex_numIdES1_PKPKS1_PKPS1_Li16EEv13rocblas_fill_18rocblas_operation_17rocblas_diagonal_iiT0_T1_lilT2_lili, .Lfunc_end218-_ZL31rocblas_trsm_small_right_deviceI19rocblas_complex_numIdES1_PKPKS1_PKPS1_Li16EEv13rocblas_fill_18rocblas_operation_17rocblas_diagonal_iiT0_T1_lilT2_lili
                                        ; -- End function
	.section	.AMDGPU.csdata,"",@progbits
; Kernel info:
; codeLenInByte = 20392
; NumSgprs: 34
; NumVgprs: 81
; ScratchSize: 0
; MemoryBound: 0
; FloatMode: 240
; IeeeMode: 1
; LDSByteSize: 8192 bytes/workgroup (compile time only)
; SGPRBlocks: 4
; VGPRBlocks: 10
; NumSGPRsForWavesPerEU: 34
; NumVGPRsForWavesPerEU: 81
; Occupancy: 4
; WaveLimiterHint : 0
; COMPUTE_PGM_RSRC2:SCRATCH_EN: 0
; COMPUTE_PGM_RSRC2:USER_SGPR: 14
; COMPUTE_PGM_RSRC2:TRAP_HANDLER: 0
; COMPUTE_PGM_RSRC2:TGID_X_EN: 1
; COMPUTE_PGM_RSRC2:TGID_Y_EN: 0
; COMPUTE_PGM_RSRC2:TGID_Z_EN: 1
; COMPUTE_PGM_RSRC2:TIDIG_COMP_CNT: 0
	.section	.text._ZL38rocblas_trsm_small_left_device_sharedBILi20ELi20ELb0E19rocblas_complex_numIdES1_PKPKS1_PKPS1_Ev13rocblas_fill_18rocblas_operation_17rocblas_diagonal_iiT3_T4_lilT5_lili,"axG",@progbits,_ZL38rocblas_trsm_small_left_device_sharedBILi20ELi20ELb0E19rocblas_complex_numIdES1_PKPKS1_PKPS1_Ev13rocblas_fill_18rocblas_operation_17rocblas_diagonal_iiT3_T4_lilT5_lili,comdat
	.globl	_ZL38rocblas_trsm_small_left_device_sharedBILi20ELi20ELb0E19rocblas_complex_numIdES1_PKPKS1_PKPS1_Ev13rocblas_fill_18rocblas_operation_17rocblas_diagonal_iiT3_T4_lilT5_lili ; -- Begin function _ZL38rocblas_trsm_small_left_device_sharedBILi20ELi20ELb0E19rocblas_complex_numIdES1_PKPKS1_PKPS1_Ev13rocblas_fill_18rocblas_operation_17rocblas_diagonal_iiT3_T4_lilT5_lili
	.p2align	8
	.type	_ZL38rocblas_trsm_small_left_device_sharedBILi20ELi20ELb0E19rocblas_complex_numIdES1_PKPKS1_PKPS1_Ev13rocblas_fill_18rocblas_operation_17rocblas_diagonal_iiT3_T4_lilT5_lili,@function
_ZL38rocblas_trsm_small_left_device_sharedBILi20ELi20ELb0E19rocblas_complex_numIdES1_PKPKS1_PKPS1_Ev13rocblas_fill_18rocblas_operation_17rocblas_diagonal_iiT3_T4_lilT5_lili: ; @_ZL38rocblas_trsm_small_left_device_sharedBILi20ELi20ELb0E19rocblas_complex_numIdES1_PKPKS1_PKPS1_Ev13rocblas_fill_18rocblas_operation_17rocblas_diagonal_iiT3_T4_lilT5_lili
; %bb.0:
	s_clause 0x1
	s_load_b128 s[20:23], s[0:1], 0x48
	s_load_b128 s[16:19], s[0:1], 0x4
	s_mov_b32 s2, s15
	s_mov_b32 s3, 0
	s_load_b32 s29, s[0:1], 0x70
	s_lshl_b64 s[24:25], s[2:3], 3
	s_mov_b32 s30, exec_lo
	s_waitcnt lgkmcnt(0)
	s_add_u32 s12, s20, s24
	s_addc_u32 s13, s21, s25
	s_load_b256 s[4:11], s[0:1], 0x18
	s_load_b64 s[12:13], s[12:13], 0x0
	s_min_i32 s15, s18, 20
	s_delay_alu instid0(SALU_CYCLE_1)
	s_add_i32 s28, s15, -1
	v_cmpx_gt_i32_e64 s15, v0
	s_cbranch_execz .LBB219_15
; %bb.1:
	s_load_b32 s20, s[0:1], 0x38
	s_waitcnt lgkmcnt(0)
	s_ashr_i32 s21, s20, 31
	s_cmpk_eq_i32 s16, 0x71
	s_cselect_b32 vcc_lo, -1, 0
	s_add_u32 s8, s8, s24
	s_addc_u32 s9, s9, s25
	s_cmp_lt_u32 s28, 3
	s_load_b64 s[8:9], s[8:9], 0x0
	s_cbranch_scc1 .LBB219_4
; %bb.2:
	v_lshlrev_b32_e32 v1, 4, v0
	s_lshl_b64 s[24:25], s[10:11], 4
	s_and_b32 s3, s15, -4
	s_waitcnt lgkmcnt(0)
	s_add_u32 s2, s8, s24
	s_addc_u32 s24, s9, s25
	v_add_co_u32 v1, s2, s2, v1
	s_delay_alu instid0(VALU_DEP_1) | instskip(SKIP_1) | instid1(VALU_DEP_3)
	v_add_co_ci_u32_e64 v2, null, s24, 0, s2
	v_lshlrev_b32_e32 v3, 4, v0
	v_add_co_u32 v1, s2, v1, 8
	s_delay_alu instid0(VALU_DEP_1)
	v_add_co_ci_u32_e64 v2, s2, 0, v2, s2
	s_lshl_b64 s[24:25], s[20:21], 6
	s_lshl_b64 s[26:27], s[20:21], 4
	s_mov_b32 s31, 0
.LBB219_3:                              ; =>This Inner Loop Header: Depth=1
	v_add_co_u32 v8, s2, v1, s26
	s_delay_alu instid0(VALU_DEP_1) | instskip(SKIP_1) | instid1(VALU_DEP_2)
	v_add_co_ci_u32_e64 v9, s2, s27, v2, s2
	s_add_i32 s31, s31, 4
	v_add_co_u32 v12, s2, v8, s26
	s_delay_alu instid0(VALU_DEP_1) | instskip(SKIP_1) | instid1(VALU_DEP_2)
	v_add_co_ci_u32_e64 v13, s2, s27, v9, s2
	s_cmp_eq_u32 s3, s31
	v_add_co_u32 v16, s2, v12, s26
	s_delay_alu instid0(VALU_DEP_1)
	v_add_co_ci_u32_e64 v17, s2, s27, v13, s2
	s_clause 0x3
	global_load_b128 v[4:7], v[1:2], off offset:-8
	global_load_b128 v[8:11], v[8:9], off offset:-8
	;; [unrolled: 1-line block ×4, first 2 shown]
	v_add_co_u32 v1, s2, v1, s24
	s_delay_alu instid0(VALU_DEP_1)
	v_add_co_ci_u32_e64 v2, s2, s25, v2, s2
	s_waitcnt vmcnt(3)
	v_xor_b32_e32 v20, 0x80000000, v7
	s_waitcnt vmcnt(2)
	v_xor_b32_e32 v21, 0x80000000, v11
	;; [unrolled: 2-line block ×4, first 2 shown]
	v_cndmask_b32_e32 v7, v7, v20, vcc_lo
	v_cndmask_b32_e32 v11, v11, v21, vcc_lo
	;; [unrolled: 1-line block ×3, first 2 shown]
	s_delay_alu instid0(VALU_DEP_4)
	v_cndmask_b32_e32 v19, v19, v23, vcc_lo
	ds_store_b128 v3, v[4:7]
	ds_store_b128 v3, v[8:11] offset:320
	ds_store_b128 v3, v[12:15] offset:640
	;; [unrolled: 1-line block ×3, first 2 shown]
	v_add_nc_u32_e32 v3, 0x500, v3
	s_cbranch_scc0 .LBB219_3
.LBB219_4:
	s_and_b32 s24, s15, 3
	s_delay_alu instid0(SALU_CYCLE_1)
	s_cmp_eq_u32 s24, 0
	s_cbranch_scc1 .LBB219_7
; %bb.5:
	s_mul_i32 s2, s21, s3
	s_mul_hi_u32 s25, s20, s3
	s_mul_i32 s26, s20, s3
	s_add_i32 s27, s25, s2
	s_lshl_b64 s[10:11], s[10:11], 4
	s_lshl_b64 s[26:27], s[26:27], 4
	v_lshlrev_b32_e32 v1, 4, v0
	s_mul_i32 s2, s3, 0x140
	s_add_u32 s3, s26, s10
	s_addc_u32 s10, s27, s11
	s_waitcnt lgkmcnt(0)
	s_add_u32 s3, s8, s3
	s_addc_u32 s8, s9, s10
	v_add_co_u32 v1, s3, s3, v1
	s_delay_alu instid0(VALU_DEP_1) | instskip(SKIP_1) | instid1(VALU_DEP_3)
	v_add_co_ci_u32_e64 v2, null, s8, 0, s3
	v_lshl_add_u32 v3, v0, 4, s2
	v_add_co_u32 v1, s2, v1, 8
	s_delay_alu instid0(VALU_DEP_1)
	v_add_co_ci_u32_e64 v2, s2, 0, v2, s2
	s_lshl_b64 s[8:9], s[20:21], 4
.LBB219_6:                              ; =>This Inner Loop Header: Depth=1
	global_load_b128 v[4:7], v[1:2], off offset:-8
	v_add_co_u32 v1, s2, v1, s8
	s_delay_alu instid0(VALU_DEP_1) | instskip(SKIP_1) | instid1(SALU_CYCLE_1)
	v_add_co_ci_u32_e64 v2, s2, s9, v2, s2
	s_add_i32 s24, s24, -1
	s_cmp_lg_u32 s24, 0
	s_waitcnt vmcnt(0)
	v_xor_b32_e32 v8, 0x80000000, v7
	s_delay_alu instid0(VALU_DEP_1)
	v_cndmask_b32_e32 v7, v7, v8, vcc_lo
	ds_store_b128 v3, v[4:7]
	v_add_nc_u32_e32 v3, 0x140, v3
	s_cbranch_scc1 .LBB219_6
.LBB219_7:
	v_mul_u32_u24_e32 v1, 21, v0
	s_cmpk_lg_i32 s17, 0x84
	s_delay_alu instid0(VALU_DEP_1)
	v_lshlrev_b32_e32 v9, 4, v1
	s_cbranch_scc0 .LBB219_13
; %bb.8:
	ds_load_b128 v[1:4], v9
	s_waitcnt lgkmcnt(0)
	v_cmp_gt_f64_e32 vcc_lo, 0, v[1:2]
	v_xor_b32_e32 v6, 0x80000000, v2
	v_mov_b32_e32 v5, v1
	v_xor_b32_e32 v7, 0x80000000, v4
	s_delay_alu instid0(VALU_DEP_3) | instskip(SKIP_1) | instid1(VALU_DEP_3)
	v_cndmask_b32_e32 v6, v2, v6, vcc_lo
	v_cmp_gt_f64_e32 vcc_lo, 0, v[3:4]
	v_dual_cndmask_b32 v8, v4, v7 :: v_dual_mov_b32 v7, v3
	s_delay_alu instid0(VALU_DEP_1) | instskip(SKIP_1) | instid1(SALU_CYCLE_1)
	v_cmp_ngt_f64_e32 vcc_lo, v[5:6], v[7:8]
                                        ; implicit-def: $vgpr7_vgpr8
	s_and_saveexec_b32 s2, vcc_lo
	s_xor_b32 s2, exec_lo, s2
	s_cbranch_execz .LBB219_10
; %bb.9:
	v_div_scale_f64 v[5:6], null, v[3:4], v[3:4], v[1:2]
	v_div_scale_f64 v[12:13], vcc_lo, v[1:2], v[3:4], v[1:2]
	s_delay_alu instid0(VALU_DEP_2) | instskip(SKIP_2) | instid1(VALU_DEP_1)
	v_rcp_f64_e32 v[7:8], v[5:6]
	s_waitcnt_depctr 0xfff
	v_fma_f64 v[10:11], -v[5:6], v[7:8], 1.0
	v_fma_f64 v[7:8], v[7:8], v[10:11], v[7:8]
	s_delay_alu instid0(VALU_DEP_1) | instskip(NEXT) | instid1(VALU_DEP_1)
	v_fma_f64 v[10:11], -v[5:6], v[7:8], 1.0
	v_fma_f64 v[7:8], v[7:8], v[10:11], v[7:8]
	s_delay_alu instid0(VALU_DEP_1) | instskip(NEXT) | instid1(VALU_DEP_1)
	v_mul_f64 v[10:11], v[12:13], v[7:8]
	v_fma_f64 v[5:6], -v[5:6], v[10:11], v[12:13]
	s_delay_alu instid0(VALU_DEP_1) | instskip(NEXT) | instid1(VALU_DEP_1)
	v_div_fmas_f64 v[5:6], v[5:6], v[7:8], v[10:11]
	v_div_fixup_f64 v[5:6], v[5:6], v[3:4], v[1:2]
	s_delay_alu instid0(VALU_DEP_1) | instskip(NEXT) | instid1(VALU_DEP_1)
	v_fma_f64 v[1:2], v[1:2], v[5:6], v[3:4]
	v_div_scale_f64 v[3:4], null, v[1:2], v[1:2], 1.0
	v_div_scale_f64 v[12:13], vcc_lo, 1.0, v[1:2], 1.0
	s_delay_alu instid0(VALU_DEP_2) | instskip(SKIP_2) | instid1(VALU_DEP_1)
	v_rcp_f64_e32 v[7:8], v[3:4]
	s_waitcnt_depctr 0xfff
	v_fma_f64 v[10:11], -v[3:4], v[7:8], 1.0
	v_fma_f64 v[7:8], v[7:8], v[10:11], v[7:8]
	s_delay_alu instid0(VALU_DEP_1) | instskip(NEXT) | instid1(VALU_DEP_1)
	v_fma_f64 v[10:11], -v[3:4], v[7:8], 1.0
	v_fma_f64 v[7:8], v[7:8], v[10:11], v[7:8]
	s_delay_alu instid0(VALU_DEP_1) | instskip(NEXT) | instid1(VALU_DEP_1)
	v_mul_f64 v[10:11], v[12:13], v[7:8]
	v_fma_f64 v[3:4], -v[3:4], v[10:11], v[12:13]
	s_delay_alu instid0(VALU_DEP_1) | instskip(SKIP_1) | instid1(VALU_DEP_2)
	v_div_fmas_f64 v[3:4], v[3:4], v[7:8], v[10:11]
	v_add_f64 v[7:8], v[5:6], 0
	v_div_fixup_f64 v[1:2], v[3:4], v[1:2], 1.0
	v_fma_f64 v[3:4], v[5:6], 0, -1.0
	s_delay_alu instid0(VALU_DEP_2) | instskip(NEXT) | instid1(VALU_DEP_2)
	v_mul_f64 v[5:6], v[7:8], v[1:2]
	v_mul_f64 v[7:8], v[3:4], v[1:2]
                                        ; implicit-def: $vgpr1_vgpr2
.LBB219_10:
	s_and_not1_saveexec_b32 s2, s2
	s_cbranch_execz .LBB219_12
; %bb.11:
	v_div_scale_f64 v[5:6], null, v[1:2], v[1:2], v[3:4]
	v_div_scale_f64 v[12:13], vcc_lo, v[3:4], v[1:2], v[3:4]
	s_delay_alu instid0(VALU_DEP_2) | instskip(SKIP_2) | instid1(VALU_DEP_1)
	v_rcp_f64_e32 v[7:8], v[5:6]
	s_waitcnt_depctr 0xfff
	v_fma_f64 v[10:11], -v[5:6], v[7:8], 1.0
	v_fma_f64 v[7:8], v[7:8], v[10:11], v[7:8]
	s_delay_alu instid0(VALU_DEP_1) | instskip(NEXT) | instid1(VALU_DEP_1)
	v_fma_f64 v[10:11], -v[5:6], v[7:8], 1.0
	v_fma_f64 v[7:8], v[7:8], v[10:11], v[7:8]
	s_delay_alu instid0(VALU_DEP_1) | instskip(NEXT) | instid1(VALU_DEP_1)
	v_mul_f64 v[10:11], v[12:13], v[7:8]
	v_fma_f64 v[5:6], -v[5:6], v[10:11], v[12:13]
	s_delay_alu instid0(VALU_DEP_1) | instskip(NEXT) | instid1(VALU_DEP_1)
	v_div_fmas_f64 v[5:6], v[5:6], v[7:8], v[10:11]
	v_div_fixup_f64 v[5:6], v[5:6], v[1:2], v[3:4]
	s_delay_alu instid0(VALU_DEP_1) | instskip(NEXT) | instid1(VALU_DEP_1)
	v_fma_f64 v[1:2], v[3:4], v[5:6], v[1:2]
	v_div_scale_f64 v[3:4], null, v[1:2], v[1:2], 1.0
	v_div_scale_f64 v[12:13], vcc_lo, 1.0, v[1:2], 1.0
	s_delay_alu instid0(VALU_DEP_2) | instskip(SKIP_2) | instid1(VALU_DEP_1)
	v_rcp_f64_e32 v[7:8], v[3:4]
	s_waitcnt_depctr 0xfff
	v_fma_f64 v[10:11], -v[3:4], v[7:8], 1.0
	v_fma_f64 v[7:8], v[7:8], v[10:11], v[7:8]
	s_delay_alu instid0(VALU_DEP_1) | instskip(NEXT) | instid1(VALU_DEP_1)
	v_fma_f64 v[10:11], -v[3:4], v[7:8], 1.0
	v_fma_f64 v[7:8], v[7:8], v[10:11], v[7:8]
	s_delay_alu instid0(VALU_DEP_1) | instskip(NEXT) | instid1(VALU_DEP_1)
	v_mul_f64 v[10:11], v[12:13], v[7:8]
	v_fma_f64 v[3:4], -v[3:4], v[10:11], v[12:13]
	s_delay_alu instid0(VALU_DEP_1) | instskip(SKIP_1) | instid1(VALU_DEP_2)
	v_div_fmas_f64 v[3:4], v[3:4], v[7:8], v[10:11]
	v_fma_f64 v[7:8], v[5:6], 0, 1.0
	v_div_fixup_f64 v[1:2], v[3:4], v[1:2], 1.0
	v_add_f64 v[3:4], -v[5:6], 0
	s_delay_alu instid0(VALU_DEP_2) | instskip(NEXT) | instid1(VALU_DEP_2)
	v_mul_f64 v[5:6], v[7:8], v[1:2]
	v_mul_f64 v[7:8], v[3:4], v[1:2]
.LBB219_12:
	s_or_b32 exec_lo, exec_lo, s2
	s_branch .LBB219_14
.LBB219_13:
	v_mov_b32_e32 v5, 0
	v_dual_mov_b32 v6, 0x3ff00000 :: v_dual_mov_b32 v7, 0
	v_mov_b32_e32 v8, 0
.LBB219_14:
	ds_store_b128 v9, v[5:8]
.LBB219_15:
	s_or_b32 exec_lo, exec_lo, s30
	s_load_b32 s17, s[0:1], 0x58
	s_lshl_b64 s[0:1], s[22:23], 4
	s_mul_i32 s3, s14, 0xffffffec
	s_mul_i32 s2, s14, 20
	s_waitcnt lgkmcnt(0)
	s_ashr_i32 s20, s17, 31
	s_add_u32 s10, s12, s0
	s_addc_u32 s11, s13, s1
	s_add_i32 s29, s29, -1
	s_add_i32 s3, s3, s19
	s_mul_hi_i32 s9, s17, s2
	s_cmp_ge_u32 s14, s29
	s_mul_i32 s8, s17, s2
	s_cselect_b32 s21, s3, 20
	s_lshl_b64 s[8:9], s[8:9], 4
	s_ashr_i32 s3, s2, 31
	s_add_u32 s14, s10, s8
	s_addc_u32 s19, s11, s9
	v_cmp_gt_i32_e32 vcc_lo, s21, v0
	s_cmp_gt_i32 s18, 0
	s_mov_b32 s8, 0
	s_cselect_b32 s9, -1, 0
	s_delay_alu instid0(SALU_CYCLE_1) | instskip(NEXT) | instid1(SALU_CYCLE_1)
	s_and_b32 s21, vcc_lo, s9
	s_and_saveexec_b32 s22, s21
	s_cbranch_execz .LBB219_22
; %bb.16:
	s_cmp_lt_i32 s18, 8
	s_cbranch_scc1 .LBB219_19
; %bb.17:
	v_mad_i64_i32 v[1:2], null, s17, v0, 0
	v_lshl_add_u32 v3, v0, 4, 0x1900
	s_lshl_b32 s8, s15, 4
	s_mov_b64 s[10:11], 0
	s_and_b32 s9, s8, 0x180
	s_mov_b32 s8, 0
	s_delay_alu instid0(VALU_DEP_2) | instskip(NEXT) | instid1(VALU_DEP_1)
	v_lshlrev_b64 v[1:2], 4, v[1:2]
	v_add_co_u32 v1, vcc_lo, s14, v1
	s_delay_alu instid0(VALU_DEP_2)
	v_add_co_ci_u32_e32 v2, vcc_lo, s19, v2, vcc_lo
.LBB219_18:                             ; =>This Inner Loop Header: Depth=1
	s_delay_alu instid0(VALU_DEP_2) | instskip(NEXT) | instid1(VALU_DEP_2)
	v_add_co_u32 v32, vcc_lo, v1, s10
	v_add_co_ci_u32_e32 v33, vcc_lo, s11, v2, vcc_lo
	s_add_i32 s8, s8, 8
	s_add_u32 s10, s10, 0x80
	s_addc_u32 s11, s11, 0
	s_clause 0x7
	global_load_b128 v[4:7], v[32:33], off
	global_load_b128 v[8:11], v[32:33], off offset:16
	global_load_b128 v[12:15], v[32:33], off offset:32
	;; [unrolled: 1-line block ×7, first 2 shown]
	s_cmp_lg_u32 s9, s10
	s_waitcnt vmcnt(7)
	v_mul_f64 v[36:37], s[6:7], v[6:7]
	v_mul_f64 v[6:7], s[4:5], v[6:7]
	s_waitcnt vmcnt(6)
	v_mul_f64 v[38:39], s[6:7], v[10:11]
	v_mul_f64 v[10:11], s[4:5], v[10:11]
	;; [unrolled: 3-line block ×8, first 2 shown]
	v_fma_f64 v[34:35], s[4:5], v[4:5], -v[36:37]
	v_fma_f64 v[36:37], s[6:7], v[4:5], v[6:7]
	v_fma_f64 v[4:5], s[4:5], v[8:9], -v[38:39]
	v_fma_f64 v[6:7], s[6:7], v[8:9], v[10:11]
	;; [unrolled: 2-line block ×8, first 2 shown]
	ds_store_b128 v3, v[34:37]
	ds_store_b128 v3, v[4:7] offset:320
	ds_store_b128 v3, v[8:11] offset:640
	ds_store_b128 v3, v[12:15] offset:960
	ds_store_b128 v3, v[16:19] offset:1280
	ds_store_b128 v3, v[20:23] offset:1600
	ds_store_b128 v3, v[24:27] offset:1920
	ds_store_b128 v3, v[28:31] offset:2240
	v_add_nc_u32_e32 v3, 0xa00, v3
	s_cbranch_scc1 .LBB219_18
.LBB219_19:
	s_and_b32 s10, s15, 7
	s_mov_b32 s9, 0
	s_cmp_eq_u32 s10, 0
	s_cbranch_scc1 .LBB219_22
; %bb.20:
	v_lshlrev_b32_e32 v3, 4, v0
	s_lshl_b64 s[24:25], s[2:3], 4
	s_lshl_b64 s[26:27], s[8:9], 4
	s_mulk_i32 s8, 0x140
	s_delay_alu instid0(VALU_DEP_1) | instskip(NEXT) | instid1(VALU_DEP_1)
	v_add_co_u32 v4, s9, s24, v3
	v_add_co_ci_u32_e64 v5, null, s25, 0, s9
	s_add_u32 s9, s12, s26
	s_addc_u32 s11, s13, s27
	s_add_u32 s24, s9, s0
	s_addc_u32 s25, s11, s1
	v_mul_lo_u32 v5, v5, s17
	v_mad_u64_u32 v[1:2], null, v4, s17, s[24:25]
	v_mul_lo_u32 v4, v4, s20
	v_add3_u32 v3, s8, v3, 0x1900
	s_delay_alu instid0(VALU_DEP_3) | instskip(NEXT) | instid1(VALU_DEP_3)
	v_add_co_u32 v1, vcc_lo, v1, 8
	v_add3_u32 v2, v5, v2, v4
	s_delay_alu instid0(VALU_DEP_1)
	v_add_co_ci_u32_e32 v2, vcc_lo, 0, v2, vcc_lo
	.p2align	6
.LBB219_21:                             ; =>This Inner Loop Header: Depth=1
	global_load_b128 v[4:7], v[1:2], off offset:-8
	v_add_co_u32 v1, vcc_lo, v1, 16
	v_add_co_ci_u32_e32 v2, vcc_lo, 0, v2, vcc_lo
	s_add_i32 s10, s10, -1
	s_delay_alu instid0(SALU_CYCLE_1) | instskip(SKIP_3) | instid1(VALU_DEP_2)
	s_cmp_lg_u32 s10, 0
	s_waitcnt vmcnt(0)
	v_mul_f64 v[8:9], s[6:7], v[6:7]
	v_mul_f64 v[10:11], s[4:5], v[6:7]
	v_fma_f64 v[6:7], s[4:5], v[4:5], -v[8:9]
	s_delay_alu instid0(VALU_DEP_2)
	v_fma_f64 v[8:9], s[6:7], v[4:5], v[10:11]
	ds_store_b128 v3, v[6:9]
	v_add_nc_u32_e32 v3, 0x140, v3
	s_cbranch_scc1 .LBB219_21
.LBB219_22:
	s_or_b32 exec_lo, exec_lo, s22
	s_or_b32 s6, 0, 8
	s_cmpk_eq_i32 s16, 0x6f
	s_mov_b32 s4, -1
	s_waitcnt vmcnt(0) lgkmcnt(0)
	s_waitcnt_vscnt null, 0x0
	; wave barrier
	s_waitcnt lgkmcnt(0)
	buffer_gl0_inv
	s_cbranch_scc1 .LBB219_44
; %bb.23:
	v_lshl_add_u32 v5, v0, 4, 0x1900
	s_mov_b32 s5, 0
	s_delay_alu instid0(SALU_CYCLE_1)
	s_mov_b32 s4, s5
	s_mov_b32 s7, s5
	s_branch .LBB219_25
.LBB219_24:                             ;   in Loop: Header=BB219_25 Depth=1
	s_cmp_ge_i32 s7, s15
	s_cselect_b32 s8, -1, 0
	s_add_i32 s4, s4, 1
	s_delay_alu instid0(SALU_CYCLE_1) | instskip(SKIP_1) | instid1(SALU_CYCLE_1)
	s_cmp_eq_u32 s4, 3
	s_cselect_b32 s9, -1, 0
	s_or_b32 s8, s8, s9
	s_delay_alu instid0(SALU_CYCLE_1)
	s_and_not1_b32 vcc_lo, exec_lo, s8
	s_cbranch_vccz .LBB219_43
.LBB219_25:                             ; =>This Loop Header: Depth=1
                                        ;     Child Loop BB219_28 Depth 2
                                        ;       Child Loop BB219_29 Depth 3
                                        ;       Child Loop BB219_32 Depth 3
                                        ;         Child Loop BB219_33 Depth 4
                                        ;       Child Loop BB219_37 Depth 3
                                        ;         Child Loop BB219_39 Depth 4
	s_getpc_b64 s[8:9]
	s_add_u32 s8, s8, __const._ZL38rocblas_trsm_small_left_device_sharedBILi20ELi20ELb0E19rocblas_complex_numIdES1_PKPKS1_PKPS1_Ev13rocblas_fill_18rocblas_operation_17rocblas_diagonal_iiT3_T4_lilT5_lili.step_sizes@rel32@lo+4
	s_addc_u32 s9, s9, __const._ZL38rocblas_trsm_small_left_device_sharedBILi20ELi20ELb0E19rocblas_complex_numIdES1_PKPKS1_PKPS1_Ev13rocblas_fill_18rocblas_operation_17rocblas_diagonal_iiT3_T4_lilT5_lili.step_sizes@rel32@hi+12
	s_lshl_b64 s[10:11], s[4:5], 2
	s_delay_alu instid0(SALU_CYCLE_1) | instskip(SKIP_4) | instid1(SALU_CYCLE_1)
	s_add_u32 s8, s10, s8
	s_addc_u32 s9, s11, s9
	s_load_b32 s8, s[8:9], 0x0
	s_waitcnt lgkmcnt(0)
	s_add_i32 s9, s8, -1
	s_add_i32 s10, s9, s7
	s_delay_alu instid0(SALU_CYCLE_1)
	s_cmp_ge_i32 s10, s15
	s_cbranch_scc1 .LBB219_24
; %bb.26:                               ;   in Loop: Header=BB219_25 Depth=1
	s_mul_i32 s10, s7, 0x140
	s_max_i32 s11, s8, 1
	v_add_nc_u32_e32 v6, s10, v5
	s_mul_i32 s16, s8, 0x140
	s_mul_i32 s22, s7, 0x150
	;; [unrolled: 1-line block ×3, first 2 shown]
	s_branch .LBB219_28
.LBB219_27:                             ;   in Loop: Header=BB219_28 Depth=2
	s_add_i32 s7, s7, s8
	v_add_nc_u32_e32 v6, s16, v6
	s_add_i32 s24, s9, s7
	s_add_i32 s10, s10, s16
	;; [unrolled: 1-line block ×3, first 2 shown]
	s_cmp_ge_i32 s24, s15
	s_cbranch_scc1 .LBB219_24
.LBB219_28:                             ;   Parent Loop BB219_25 Depth=1
                                        ; =>  This Loop Header: Depth=2
                                        ;       Child Loop BB219_29 Depth 3
                                        ;       Child Loop BB219_32 Depth 3
                                        ;         Child Loop BB219_33 Depth 4
                                        ;       Child Loop BB219_37 Depth 3
                                        ;         Child Loop BB219_39 Depth 4
	v_dual_mov_b32 v1, 0 :: v_dual_mov_b32 v2, v6
	s_mov_b32 s24, s11
.LBB219_29:                             ;   Parent Loop BB219_25 Depth=1
                                        ;     Parent Loop BB219_28 Depth=2
                                        ; =>    This Inner Loop Header: Depth=3
	ds_load_b128 v[7:10], v2
	v_add_nc_u32_e32 v2, 0x140, v2
	s_add_i32 s24, s24, -1
	s_delay_alu instid0(SALU_CYCLE_1)
	s_cmp_eq_u32 s24, 0
	s_waitcnt lgkmcnt(0)
	scratch_store_b128 v1, v[7:10], off
	v_add_nc_u32_e32 v1, 16, v1
	s_cbranch_scc0 .LBB219_29
; %bb.30:                               ;   in Loop: Header=BB219_28 Depth=2
	s_cmp_lt_i32 s7, 1
	s_cbranch_scc1 .LBB219_35
; %bb.31:                               ;   in Loop: Header=BB219_28 Depth=2
	s_mov_b32 s24, 0
	s_mov_b32 s25, s10
	s_set_inst_prefetch_distance 0x1
	.p2align	6
.LBB219_32:                             ;   Parent Loop BB219_25 Depth=1
                                        ;     Parent Loop BB219_28 Depth=2
                                        ; =>    This Loop Header: Depth=3
                                        ;         Child Loop BB219_33 Depth 4
	s_mul_i32 s26, s24, 20
	s_mov_b32 s27, s25
	v_add_lshl_u32 v1, s26, v0, 4
	s_mov_b32 s26, s6
	s_mov_b32 s29, s11
	ds_load_b128 v[1:4], v1 offset:6400
	.p2align	6
.LBB219_33:                             ;   Parent Loop BB219_25 Depth=1
                                        ;     Parent Loop BB219_28 Depth=2
                                        ;       Parent Loop BB219_32 Depth=3
                                        ; =>      This Inner Loop Header: Depth=4
	scratch_load_b128 v[7:10], off, s26 offset:-8
	v_mov_b32_e32 v11, s27
	s_add_i32 s29, s29, -1
	s_addk_i32 s27, 0x140
	ds_load_b128 v[11:14], v11
	s_waitcnt lgkmcnt(0)
	v_mul_f64 v[15:16], v[3:4], v[13:14]
	v_mul_f64 v[13:14], v[1:2], v[13:14]
	s_delay_alu instid0(VALU_DEP_2) | instskip(NEXT) | instid1(VALU_DEP_2)
	v_fma_f64 v[15:16], v[1:2], v[11:12], -v[15:16]
	v_fma_f64 v[11:12], v[3:4], v[11:12], v[13:14]
	s_waitcnt vmcnt(0)
	s_delay_alu instid0(VALU_DEP_2) | instskip(NEXT) | instid1(VALU_DEP_2)
	v_add_f64 v[7:8], v[7:8], -v[15:16]
	v_add_f64 v[9:10], v[9:10], -v[11:12]
	scratch_store_b128 off, v[7:10], s26 offset:-8
	s_add_i32 s26, s26, 16
	s_cmp_eq_u32 s29, 0
	s_cbranch_scc0 .LBB219_33
; %bb.34:                               ;   in Loop: Header=BB219_32 Depth=3
	s_add_i32 s24, s24, 1
	s_add_i32 s25, s25, 16
	s_cmp_ge_i32 s24, s7
	s_cbranch_scc0 .LBB219_32
.LBB219_35:                             ;   in Loop: Header=BB219_28 Depth=2
	s_set_inst_prefetch_distance 0x2
	s_mul_i32 s24, s7, 20
	s_mov_b32 s25, 0
	s_mov_b32 s26, s22
	s_branch .LBB219_37
.LBB219_36:                             ;   in Loop: Header=BB219_37 Depth=3
	s_mulk_i32 s29, 0x150
	s_addk_i32 s26, 0x140
	v_mov_b32_e32 v7, s29
	s_lshl_b32 s29, s25, 4
	s_add_i32 s25, s25, 1
	ds_load_b128 v[7:10], v7
	s_waitcnt vmcnt(0) lgkmcnt(0)
	v_mul_f64 v[11:12], v[9:10], v[3:4]
	v_mul_f64 v[3:4], v[7:8], v[3:4]
	s_delay_alu instid0(VALU_DEP_2) | instskip(NEXT) | instid1(VALU_DEP_2)
	v_fma_f64 v[7:8], v[7:8], v[1:2], -v[11:12]
	v_fma_f64 v[9:10], v[9:10], v[1:2], v[3:4]
	v_add_lshl_u32 v1, s27, v0, 4
	s_add_i32 s27, s29, 0
	s_cmp_eq_u32 s25, s11
	scratch_store_b128 off, v[7:10], s27
	ds_store_b128 v1, v[7:10] offset:6400
	s_cbranch_scc1 .LBB219_27
.LBB219_37:                             ;   Parent Loop BB219_25 Depth=1
                                        ;     Parent Loop BB219_28 Depth=2
                                        ; =>    This Loop Header: Depth=3
                                        ;         Child Loop BB219_39 Depth 4
	s_cmp_lg_u32 s25, 0
	s_cbranch_scc0 .LBB219_41
; %bb.38:                               ;   in Loop: Header=BB219_37 Depth=3
	s_lshl_b32 s30, s25, 4
	s_add_i32 s29, s25, s7
	s_add_i32 s27, s30, 0
	v_add_nc_u32_e64 v7, s30, 0
	scratch_load_b128 v[1:4], off, s27
	s_mul_i32 s27, s29, 20
	s_mov_b32 s30, 0
	s_mov_b32 s31, s26
	s_mov_b32 s33, s6
	.p2align	6
.LBB219_39:                             ;   Parent Loop BB219_25 Depth=1
                                        ;     Parent Loop BB219_28 Depth=2
                                        ;       Parent Loop BB219_37 Depth=3
                                        ; =>      This Inner Loop Header: Depth=4
	scratch_load_b128 v[8:11], off, s33 offset:-8
	v_mov_b32_e32 v12, s31
	s_add_i32 s30, s30, 1
	s_add_i32 s33, s33, 16
	;; [unrolled: 1-line block ×3, first 2 shown]
	s_cmp_ge_u32 s30, s25
	ds_load_b128 v[12:15], v12
	s_waitcnt vmcnt(0) lgkmcnt(0)
	v_mul_f64 v[16:17], v[14:15], v[10:11]
	v_mul_f64 v[10:11], v[12:13], v[10:11]
	s_delay_alu instid0(VALU_DEP_2) | instskip(NEXT) | instid1(VALU_DEP_2)
	v_fma_f64 v[12:13], v[12:13], v[8:9], -v[16:17]
	v_fma_f64 v[8:9], v[14:15], v[8:9], v[10:11]
	s_delay_alu instid0(VALU_DEP_2) | instskip(NEXT) | instid1(VALU_DEP_2)
	v_add_f64 v[1:2], v[1:2], -v[12:13]
	v_add_f64 v[3:4], v[3:4], -v[8:9]
	scratch_store_b128 v7, v[1:4], off
	s_cbranch_scc0 .LBB219_39
; %bb.40:                               ;   in Loop: Header=BB219_37 Depth=3
	s_branch .LBB219_36
.LBB219_41:                             ;   in Loop: Header=BB219_37 Depth=3
                                        ; implicit-def: $vgpr1_vgpr2
                                        ; implicit-def: $sgpr29
                                        ; implicit-def: $sgpr27
	s_cbranch_execz .LBB219_36
; %bb.42:                               ;   in Loop: Header=BB219_37 Depth=3
	scratch_load_b128 v[1:4], off, off
	s_mov_b32 s27, s24
	s_mov_b32 s29, s7
	s_branch .LBB219_36
.LBB219_43:
	s_mov_b32 s4, 0
.LBB219_44:
	s_delay_alu instid0(SALU_CYCLE_1)
	s_and_b32 vcc_lo, exec_lo, s4
	s_cbranch_vccz .LBB219_64
; %bb.45:
	v_lshl_add_u32 v5, v0, 4, 0x1900
	s_mul_i32 s7, s15, 0x140
	s_mov_b32 s5, 0
	s_addk_i32 s7, 0xfec0
	s_mov_b32 s4, s5
	s_mov_b32 s8, s28
	s_branch .LBB219_47
.LBB219_46:                             ;   in Loop: Header=BB219_47 Depth=1
	s_cmp_lt_i32 s8, 0
	s_cselect_b32 s9, -1, 0
	s_add_i32 s4, s4, 1
	s_delay_alu instid0(SALU_CYCLE_1) | instskip(SKIP_1) | instid1(SALU_CYCLE_1)
	s_cmp_eq_u32 s4, 3
	s_cselect_b32 s10, -1, 0
	s_or_b32 s9, s9, s10
	s_delay_alu instid0(SALU_CYCLE_1)
	s_and_b32 vcc_lo, exec_lo, s9
	s_cbranch_vccnz .LBB219_64
.LBB219_47:                             ; =>This Loop Header: Depth=1
                                        ;     Child Loop BB219_50 Depth 2
                                        ;       Child Loop BB219_51 Depth 3
                                        ;       Child Loop BB219_53 Depth 3
                                        ;         Child Loop BB219_54 Depth 4
                                        ;       Child Loop BB219_58 Depth 3
                                        ;         Child Loop BB219_60 Depth 4
	s_getpc_b64 s[10:11]
	s_add_u32 s10, s10, __const._ZL38rocblas_trsm_small_left_device_sharedBILi20ELi20ELb0E19rocblas_complex_numIdES1_PKPKS1_PKPS1_Ev13rocblas_fill_18rocblas_operation_17rocblas_diagonal_iiT3_T4_lilT5_lili.step_sizes@rel32@lo+4
	s_addc_u32 s11, s11, __const._ZL38rocblas_trsm_small_left_device_sharedBILi20ELi20ELb0E19rocblas_complex_numIdES1_PKPKS1_PKPS1_Ev13rocblas_fill_18rocblas_operation_17rocblas_diagonal_iiT3_T4_lilT5_lili.step_sizes@rel32@hi+12
	s_lshl_b64 s[22:23], s[4:5], 2
	s_delay_alu instid0(SALU_CYCLE_1) | instskip(SKIP_4) | instid1(SALU_CYCLE_1)
	s_add_u32 s10, s22, s10
	s_addc_u32 s11, s23, s11
	s_load_b32 s9, s[10:11], 0x0
	s_waitcnt lgkmcnt(0)
	s_add_i32 s10, s9, -1
	s_cmp_lt_i32 s8, s10
	s_cbranch_scc1 .LBB219_46
; %bb.48:                               ;   in Loop: Header=BB219_47 Depth=1
	v_mad_u64_u32 v[6:7], null, 0x140, s8, v[5:6]
	s_lshl_b32 s22, s8, 4
	s_lshl_b32 s23, s9, 4
	s_max_i32 s11, s9, 1
	s_mul_i32 s16, s9, 0xfffffec0
	s_add_i32 s22, s7, s22
	s_sub_i32 s23, 0, s23
	s_mul_i32 s24, s8, 0x150
	s_mul_i32 s25, s9, 0xfffffeb0
	s_branch .LBB219_50
.LBB219_49:                             ;   in Loop: Header=BB219_50 Depth=2
	v_add_nc_u32_e32 v6, s16, v6
	s_sub_i32 s8, s8, s9
	s_add_i32 s22, s22, s23
	s_add_i32 s24, s24, s25
	s_cmp_lt_i32 s8, s10
	s_cbranch_scc1 .LBB219_46
.LBB219_50:                             ;   Parent Loop BB219_47 Depth=1
                                        ; =>  This Loop Header: Depth=2
                                        ;       Child Loop BB219_51 Depth 3
                                        ;       Child Loop BB219_53 Depth 3
                                        ;         Child Loop BB219_54 Depth 4
                                        ;       Child Loop BB219_58 Depth 3
                                        ;         Child Loop BB219_60 Depth 4
	v_dual_mov_b32 v1, 0 :: v_dual_mov_b32 v2, v6
	s_mov_b32 s26, s11
.LBB219_51:                             ;   Parent Loop BB219_47 Depth=1
                                        ;     Parent Loop BB219_50 Depth=2
                                        ; =>    This Inner Loop Header: Depth=3
	ds_load_b128 v[7:10], v2
	v_add_nc_u32_e32 v2, 0xfffffec0, v2
	s_add_i32 s26, s26, -1
	s_delay_alu instid0(SALU_CYCLE_1)
	s_cmp_eq_u32 s26, 0
	s_waitcnt lgkmcnt(0)
	scratch_store_b128 v1, v[7:10], off
	v_add_nc_u32_e32 v1, 16, v1
	s_cbranch_scc0 .LBB219_51
; %bb.52:                               ;   in Loop: Header=BB219_50 Depth=2
	s_cmp_le_i32 s28, s8
	s_mov_b32 s26, s22
	s_mov_b32 s27, s28
	s_cbranch_scc1 .LBB219_56
	.p2align	6
.LBB219_53:                             ;   Parent Loop BB219_47 Depth=1
                                        ;     Parent Loop BB219_50 Depth=2
                                        ; =>    This Loop Header: Depth=3
                                        ;         Child Loop BB219_54 Depth 4
	s_mul_i32 s29, s27, 20
	s_mov_b32 s30, s11
	v_add_lshl_u32 v1, s29, v0, 4
	s_mov_b32 s29, s6
	s_mov_b32 s31, s26
	ds_load_b128 v[1:4], v1 offset:6400
	.p2align	6
.LBB219_54:                             ;   Parent Loop BB219_47 Depth=1
                                        ;     Parent Loop BB219_50 Depth=2
                                        ;       Parent Loop BB219_53 Depth=3
                                        ; =>      This Inner Loop Header: Depth=4
	scratch_load_b128 v[7:10], off, s29 offset:-8
	v_mov_b32_e32 v11, s31
	s_add_i32 s30, s30, -1
	s_add_i32 s31, s31, -16
	ds_load_b128 v[11:14], v11
	s_waitcnt lgkmcnt(0)
	v_mul_f64 v[15:16], v[3:4], v[13:14]
	v_mul_f64 v[13:14], v[1:2], v[13:14]
	s_delay_alu instid0(VALU_DEP_2) | instskip(NEXT) | instid1(VALU_DEP_2)
	v_fma_f64 v[15:16], v[1:2], v[11:12], -v[15:16]
	v_fma_f64 v[11:12], v[3:4], v[11:12], v[13:14]
	s_waitcnt vmcnt(0)
	s_delay_alu instid0(VALU_DEP_2) | instskip(NEXT) | instid1(VALU_DEP_2)
	v_add_f64 v[7:8], v[7:8], -v[15:16]
	v_add_f64 v[9:10], v[9:10], -v[11:12]
	scratch_store_b128 off, v[7:10], s29 offset:-8
	s_add_i32 s29, s29, 16
	s_cmp_eq_u32 s30, 0
	s_cbranch_scc0 .LBB219_54
; %bb.55:                               ;   in Loop: Header=BB219_53 Depth=3
	s_add_i32 s27, s27, -1
	s_addk_i32 s26, 0xfec0
	s_cmp_le_i32 s27, s8
	s_cbranch_scc0 .LBB219_53
.LBB219_56:                             ;   in Loop: Header=BB219_50 Depth=2
	s_mov_b32 s26, 0
	s_mov_b32 s27, s24
	s_branch .LBB219_58
.LBB219_57:                             ;   in Loop: Header=BB219_58 Depth=3
	s_mul_i32 s30, s29, 0x150
	s_mul_i32 s29, s29, 20
	v_mov_b32_e32 v7, s30
	s_lshl_b32 s30, s26, 4
	s_add_i32 s26, s26, 1
	s_add_i32 s27, s27, -16
	ds_load_b128 v[7:10], v7
	s_waitcnt vmcnt(0) lgkmcnt(0)
	v_mul_f64 v[11:12], v[9:10], v[3:4]
	v_mul_f64 v[3:4], v[7:8], v[3:4]
	s_delay_alu instid0(VALU_DEP_2) | instskip(NEXT) | instid1(VALU_DEP_2)
	v_fma_f64 v[7:8], v[7:8], v[1:2], -v[11:12]
	v_fma_f64 v[9:10], v[9:10], v[1:2], v[3:4]
	v_add_lshl_u32 v1, s29, v0, 4
	s_add_i32 s29, s30, 0
	s_cmp_eq_u32 s26, s11
	scratch_store_b128 off, v[7:10], s29
	ds_store_b128 v1, v[7:10] offset:6400
	s_cbranch_scc1 .LBB219_49
.LBB219_58:                             ;   Parent Loop BB219_47 Depth=1
                                        ;     Parent Loop BB219_50 Depth=2
                                        ; =>    This Loop Header: Depth=3
                                        ;         Child Loop BB219_60 Depth 4
	s_cmp_lg_u32 s26, 0
	s_cbranch_scc0 .LBB219_62
; %bb.59:                               ;   in Loop: Header=BB219_58 Depth=3
	s_lshl_b32 s30, s26, 4
	s_mov_b32 s31, s6
	s_add_i32 s29, s30, 0
	v_add_nc_u32_e64 v7, s30, 0
	scratch_load_b128 v[1:4], off, s29
	s_sub_i32 s29, s8, s26
	s_mov_b32 s30, 0
	s_mov_b32 s33, s27
	.p2align	6
.LBB219_60:                             ;   Parent Loop BB219_47 Depth=1
                                        ;     Parent Loop BB219_50 Depth=2
                                        ;       Parent Loop BB219_58 Depth=3
                                        ; =>      This Inner Loop Header: Depth=4
	scratch_load_b128 v[8:11], off, s31 offset:-8
	v_mov_b32_e32 v12, s33
	s_add_i32 s30, s30, 1
	s_addk_i32 s33, 0xfec0
	s_add_i32 s31, s31, 16
	s_cmp_ge_u32 s30, s26
	ds_load_b128 v[12:15], v12
	s_waitcnt vmcnt(0) lgkmcnt(0)
	v_mul_f64 v[16:17], v[14:15], v[10:11]
	v_mul_f64 v[10:11], v[12:13], v[10:11]
	s_delay_alu instid0(VALU_DEP_2) | instskip(NEXT) | instid1(VALU_DEP_2)
	v_fma_f64 v[12:13], v[12:13], v[8:9], -v[16:17]
	v_fma_f64 v[8:9], v[14:15], v[8:9], v[10:11]
	s_delay_alu instid0(VALU_DEP_2) | instskip(NEXT) | instid1(VALU_DEP_2)
	v_add_f64 v[1:2], v[1:2], -v[12:13]
	v_add_f64 v[3:4], v[3:4], -v[8:9]
	scratch_store_b128 v7, v[1:4], off
	s_cbranch_scc0 .LBB219_60
; %bb.61:                               ;   in Loop: Header=BB219_58 Depth=3
	s_branch .LBB219_57
.LBB219_62:                             ;   in Loop: Header=BB219_58 Depth=3
                                        ; implicit-def: $vgpr1_vgpr2
                                        ; implicit-def: $sgpr29
	s_cbranch_execz .LBB219_57
; %bb.63:                               ;   in Loop: Header=BB219_58 Depth=3
	scratch_load_b128 v[1:4], off, off
	s_mov_b32 s29, s8
	s_branch .LBB219_57
.LBB219_64:
	s_waitcnt vmcnt(0) lgkmcnt(0)
	s_waitcnt_vscnt null, 0x0
	; wave barrier
	s_waitcnt lgkmcnt(0)
	s_waitcnt_vscnt null, 0x0
	buffer_gl0_inv
	s_and_saveexec_b32 s4, s21
	s_cbranch_execz .LBB219_71
; %bb.65:
	s_cmp_lt_i32 s18, 8
	s_mov_b32 s4, 0
	s_cbranch_scc1 .LBB219_68
; %bb.66:
	v_mad_i64_i32 v[1:2], null, s17, v0, 0
	v_lshl_add_u32 v3, v0, 4, 0x1900
	s_lshl_b32 s4, s15, 4
	s_mov_b64 s[6:7], 0
	s_and_b32 s5, s4, 0x180
	s_mov_b32 s4, 0
	s_delay_alu instid0(VALU_DEP_2) | instskip(NEXT) | instid1(VALU_DEP_1)
	v_lshlrev_b64 v[1:2], 4, v[1:2]
	v_add_co_u32 v1, vcc_lo, s14, v1
	s_delay_alu instid0(VALU_DEP_2)
	v_add_co_ci_u32_e32 v2, vcc_lo, s19, v2, vcc_lo
	s_set_inst_prefetch_distance 0x1
	.p2align	6
.LBB219_67:                             ; =>This Inner Loop Header: Depth=1
	v_add_nc_u32_e32 v32, 0x8c0, v3
	ds_load_2addr_b64 v[4:7], v3 offset1:1
	ds_load_2addr_b64 v[8:11], v3 offset0:40 offset1:41
	ds_load_2addr_b64 v[12:15], v3 offset0:80 offset1:81
	;; [unrolled: 1-line block ×6, first 2 shown]
	ds_load_2addr_b64 v[32:35], v32 offset1:1
	v_add_co_u32 v36, vcc_lo, v1, s6
	v_add_co_ci_u32_e32 v37, vcc_lo, s7, v2, vcc_lo
	s_add_i32 s4, s4, 8
	v_add_nc_u32_e32 v3, 0xa00, v3
	s_add_u32 s6, s6, 0x80
	s_addc_u32 s7, s7, 0
	s_cmp_lg_u32 s5, s6
	s_waitcnt lgkmcnt(7)
	global_store_b128 v[36:37], v[4:7], off
	s_waitcnt lgkmcnt(6)
	global_store_b128 v[36:37], v[8:11], off offset:16
	s_waitcnt lgkmcnt(5)
	global_store_b128 v[36:37], v[12:15], off offset:32
	;; [unrolled: 2-line block ×7, first 2 shown]
	s_cbranch_scc1 .LBB219_67
.LBB219_68:
	s_set_inst_prefetch_distance 0x2
	s_and_b32 s6, s15, 7
	s_mov_b32 s5, 0
	s_cmp_eq_u32 s6, 0
	s_cbranch_scc1 .LBB219_71
; %bb.69:
	v_lshlrev_b32_e32 v2, 4, v0
	s_lshl_b64 s[2:3], s[2:3], 4
	s_lshl_b64 s[8:9], s[4:5], 4
	s_delay_alu instid0(VALU_DEP_1) | instskip(NEXT) | instid1(VALU_DEP_1)
	v_add_co_u32 v3, s2, s2, v2
	v_add_co_ci_u32_e64 v4, null, s3, 0, s2
	s_add_u32 s2, s12, s8
	s_addc_u32 s3, s13, s9
	s_add_u32 s0, s2, s0
	s_addc_u32 s1, s3, s1
	v_mul_lo_u32 v4, v4, s17
	v_mad_u64_u32 v[0:1], null, v3, s17, s[0:1]
	v_mul_lo_u32 v3, v3, s20
	s_mul_i32 s0, s4, 0x140
	s_delay_alu instid0(SALU_CYCLE_1) | instskip(NEXT) | instid1(VALU_DEP_2)
	v_add3_u32 v2, s0, v2, 0x1900
	v_add3_u32 v1, v4, v1, v3
.LBB219_70:                             ; =>This Inner Loop Header: Depth=1
	ds_load_2addr_b64 v[3:6], v2 offset1:1
	v_add_nc_u32_e32 v2, 0x140, v2
	s_add_i32 s6, s6, -1
	s_delay_alu instid0(SALU_CYCLE_1)
	s_cmp_lg_u32 s6, 0
	s_waitcnt lgkmcnt(0)
	global_store_b128 v[0:1], v[3:6], off
	v_add_co_u32 v0, vcc_lo, v0, 16
	v_add_co_ci_u32_e32 v1, vcc_lo, 0, v1, vcc_lo
	s_cbranch_scc1 .LBB219_70
.LBB219_71:
	s_nop 0
	s_sendmsg sendmsg(MSG_DEALLOC_VGPRS)
	s_endpgm
	.section	.rodata,"a",@progbits
	.p2align	6, 0x0
	.amdhsa_kernel _ZL38rocblas_trsm_small_left_device_sharedBILi20ELi20ELb0E19rocblas_complex_numIdES1_PKPKS1_PKPS1_Ev13rocblas_fill_18rocblas_operation_17rocblas_diagonal_iiT3_T4_lilT5_lili
		.amdhsa_group_segment_fixed_size 12800
		.amdhsa_private_segment_fixed_size 336
		.amdhsa_kernarg_size 368
		.amdhsa_user_sgpr_count 14
		.amdhsa_user_sgpr_dispatch_ptr 0
		.amdhsa_user_sgpr_queue_ptr 0
		.amdhsa_user_sgpr_kernarg_segment_ptr 1
		.amdhsa_user_sgpr_dispatch_id 0
		.amdhsa_user_sgpr_private_segment_size 0
		.amdhsa_wavefront_size32 1
		.amdhsa_uses_dynamic_stack 0
		.amdhsa_enable_private_segment 1
		.amdhsa_system_sgpr_workgroup_id_x 1
		.amdhsa_system_sgpr_workgroup_id_y 0
		.amdhsa_system_sgpr_workgroup_id_z 1
		.amdhsa_system_sgpr_workgroup_info 0
		.amdhsa_system_vgpr_workitem_id 0
		.amdhsa_next_free_vgpr 54
		.amdhsa_next_free_sgpr 34
		.amdhsa_reserve_vcc 1
		.amdhsa_float_round_mode_32 0
		.amdhsa_float_round_mode_16_64 0
		.amdhsa_float_denorm_mode_32 3
		.amdhsa_float_denorm_mode_16_64 3
		.amdhsa_dx10_clamp 1
		.amdhsa_ieee_mode 1
		.amdhsa_fp16_overflow 0
		.amdhsa_workgroup_processor_mode 1
		.amdhsa_memory_ordered 1
		.amdhsa_forward_progress 0
		.amdhsa_shared_vgpr_count 0
		.amdhsa_exception_fp_ieee_invalid_op 0
		.amdhsa_exception_fp_denorm_src 0
		.amdhsa_exception_fp_ieee_div_zero 0
		.amdhsa_exception_fp_ieee_overflow 0
		.amdhsa_exception_fp_ieee_underflow 0
		.amdhsa_exception_fp_ieee_inexact 0
		.amdhsa_exception_int_div_zero 0
	.end_amdhsa_kernel
	.section	.text._ZL38rocblas_trsm_small_left_device_sharedBILi20ELi20ELb0E19rocblas_complex_numIdES1_PKPKS1_PKPS1_Ev13rocblas_fill_18rocblas_operation_17rocblas_diagonal_iiT3_T4_lilT5_lili,"axG",@progbits,_ZL38rocblas_trsm_small_left_device_sharedBILi20ELi20ELb0E19rocblas_complex_numIdES1_PKPKS1_PKPS1_Ev13rocblas_fill_18rocblas_operation_17rocblas_diagonal_iiT3_T4_lilT5_lili,comdat
.Lfunc_end219:
	.size	_ZL38rocblas_trsm_small_left_device_sharedBILi20ELi20ELb0E19rocblas_complex_numIdES1_PKPKS1_PKPS1_Ev13rocblas_fill_18rocblas_operation_17rocblas_diagonal_iiT3_T4_lilT5_lili, .Lfunc_end219-_ZL38rocblas_trsm_small_left_device_sharedBILi20ELi20ELb0E19rocblas_complex_numIdES1_PKPKS1_PKPS1_Ev13rocblas_fill_18rocblas_operation_17rocblas_diagonal_iiT3_T4_lilT5_lili
                                        ; -- End function
	.section	.AMDGPU.csdata,"",@progbits
; Kernel info:
; codeLenInByte = 4300
; NumSgprs: 36
; NumVgprs: 54
; ScratchSize: 336
; MemoryBound: 0
; FloatMode: 240
; IeeeMode: 1
; LDSByteSize: 12800 bytes/workgroup (compile time only)
; SGPRBlocks: 4
; VGPRBlocks: 6
; NumSGPRsForWavesPerEU: 36
; NumVGPRsForWavesPerEU: 54
; Occupancy: 3
; WaveLimiterHint : 1
; COMPUTE_PGM_RSRC2:SCRATCH_EN: 1
; COMPUTE_PGM_RSRC2:USER_SGPR: 14
; COMPUTE_PGM_RSRC2:TRAP_HANDLER: 0
; COMPUTE_PGM_RSRC2:TGID_X_EN: 1
; COMPUTE_PGM_RSRC2:TGID_Y_EN: 0
; COMPUTE_PGM_RSRC2:TGID_Z_EN: 1
; COMPUTE_PGM_RSRC2:TIDIG_COMP_CNT: 0
	.section	.text._ZL30rocblas_trsm_small_left_deviceILi20ELi20ELb0E19rocblas_complex_numIdES1_PKPKS1_PKPS1_Ev13rocblas_fill_18rocblas_operation_17rocblas_diagonal_iiT3_T4_lilT5_lili,"axG",@progbits,_ZL30rocblas_trsm_small_left_deviceILi20ELi20ELb0E19rocblas_complex_numIdES1_PKPKS1_PKPS1_Ev13rocblas_fill_18rocblas_operation_17rocblas_diagonal_iiT3_T4_lilT5_lili,comdat
	.globl	_ZL30rocblas_trsm_small_left_deviceILi20ELi20ELb0E19rocblas_complex_numIdES1_PKPKS1_PKPS1_Ev13rocblas_fill_18rocblas_operation_17rocblas_diagonal_iiT3_T4_lilT5_lili ; -- Begin function _ZL30rocblas_trsm_small_left_deviceILi20ELi20ELb0E19rocblas_complex_numIdES1_PKPKS1_PKPS1_Ev13rocblas_fill_18rocblas_operation_17rocblas_diagonal_iiT3_T4_lilT5_lili
	.p2align	8
	.type	_ZL30rocblas_trsm_small_left_deviceILi20ELi20ELb0E19rocblas_complex_numIdES1_PKPKS1_PKPS1_Ev13rocblas_fill_18rocblas_operation_17rocblas_diagonal_iiT3_T4_lilT5_lili,@function
_ZL30rocblas_trsm_small_left_deviceILi20ELi20ELb0E19rocblas_complex_numIdES1_PKPKS1_PKPS1_Ev13rocblas_fill_18rocblas_operation_17rocblas_diagonal_iiT3_T4_lilT5_lili: ; @_ZL30rocblas_trsm_small_left_deviceILi20ELi20ELb0E19rocblas_complex_numIdES1_PKPKS1_PKPS1_Ev13rocblas_fill_18rocblas_operation_17rocblas_diagonal_iiT3_T4_lilT5_lili
; %bb.0:
	s_clause 0x1
	s_load_b128 s[20:23], s[0:1], 0x48
	s_load_b128 s[16:19], s[0:1], 0x4
	s_mov_b32 s2, s15
	s_mov_b32 s3, 0
	s_load_b32 s15, s[0:1], 0x70
	s_lshl_b64 s[24:25], s[2:3], 3
	s_waitcnt lgkmcnt(0)
	s_add_u32 s12, s20, s24
	s_addc_u32 s13, s21, s25
	s_load_b256 s[4:11], s[0:1], 0x18
	s_load_b64 s[12:13], s[12:13], 0x0
	s_min_i32 s29, s18, 20
	s_mov_b32 s18, exec_lo
	s_add_i32 s28, s29, -1
	v_cmpx_gt_i32_e64 s29, v0
	s_cbranch_execz .LBB220_15
; %bb.1:
	s_load_b32 s20, s[0:1], 0x38
	v_lshlrev_b32_e32 v3, 4, v0
	s_waitcnt lgkmcnt(0)
	s_ashr_i32 s21, s20, 31
	s_cmpk_eq_i32 s16, 0x71
	s_cselect_b32 vcc_lo, -1, 0
	s_add_u32 s8, s8, s24
	s_addc_u32 s9, s9, s25
	s_cmp_lt_u32 s28, 3
	s_load_b64 s[8:9], s[8:9], 0x0
	s_cbranch_scc1 .LBB220_4
; %bb.2:
	v_dual_mov_b32 v4, v3 :: v_dual_lshlrev_b32 v1, 4, v0
	s_lshl_b64 s[24:25], s[10:11], 4
	s_and_b32 s3, s29, -4
	s_waitcnt lgkmcnt(0)
	s_add_u32 s2, s8, s24
	s_addc_u32 s24, s9, s25
	v_add_co_u32 v1, s2, s2, v1
	s_delay_alu instid0(VALU_DEP_1) | instskip(SKIP_1) | instid1(VALU_DEP_2)
	v_add_co_ci_u32_e64 v2, null, s24, 0, s2
	s_lshl_b64 s[24:25], s[20:21], 6
	v_add_co_u32 v1, s2, v1, 8
	s_delay_alu instid0(VALU_DEP_1)
	v_add_co_ci_u32_e64 v2, s2, 0, v2, s2
	s_lshl_b64 s[26:27], s[20:21], 4
	s_mov_b32 s30, 0
.LBB220_3:                              ; =>This Inner Loop Header: Depth=1
	s_delay_alu instid0(VALU_DEP_2) | instskip(NEXT) | instid1(VALU_DEP_1)
	v_add_co_u32 v9, s2, v1, s26
	v_add_co_ci_u32_e64 v10, s2, s27, v2, s2
	s_add_i32 s30, s30, 4
	s_delay_alu instid0(VALU_DEP_2) | instskip(NEXT) | instid1(VALU_DEP_1)
	v_add_co_u32 v13, s2, v9, s26
	v_add_co_ci_u32_e64 v14, s2, s27, v10, s2
	s_cmp_eq_u32 s3, s30
	s_delay_alu instid0(VALU_DEP_2) | instskip(NEXT) | instid1(VALU_DEP_1)
	v_add_co_u32 v17, s2, v13, s26
	v_add_co_ci_u32_e64 v18, s2, s27, v14, s2
	s_clause 0x3
	global_load_b128 v[5:8], v[1:2], off offset:-8
	global_load_b128 v[9:12], v[9:10], off offset:-8
	;; [unrolled: 1-line block ×4, first 2 shown]
	v_add_co_u32 v1, s2, v1, s24
	s_delay_alu instid0(VALU_DEP_1)
	v_add_co_ci_u32_e64 v2, s2, s25, v2, s2
	s_waitcnt vmcnt(3)
	v_xor_b32_e32 v21, 0x80000000, v8
	s_waitcnt vmcnt(2)
	v_xor_b32_e32 v22, 0x80000000, v12
	;; [unrolled: 2-line block ×4, first 2 shown]
	v_cndmask_b32_e32 v8, v8, v21, vcc_lo
	v_cndmask_b32_e32 v12, v12, v22, vcc_lo
	;; [unrolled: 1-line block ×3, first 2 shown]
	s_delay_alu instid0(VALU_DEP_4)
	v_cndmask_b32_e32 v20, v20, v24, vcc_lo
	ds_store_b128 v4, v[5:8]
	ds_store_b128 v4, v[9:12] offset:320
	ds_store_b128 v4, v[13:16] offset:640
	;; [unrolled: 1-line block ×3, first 2 shown]
	v_add_nc_u32_e32 v4, 0x500, v4
	s_cbranch_scc0 .LBB220_3
.LBB220_4:
	s_and_b32 s24, s29, 3
	s_delay_alu instid0(SALU_CYCLE_1)
	s_cmp_eq_u32 s24, 0
	s_cbranch_scc1 .LBB220_7
; %bb.5:
	s_mul_i32 s2, s21, s3
	s_mul_hi_u32 s25, s20, s3
	s_mul_i32 s26, s20, s3
	s_add_i32 s27, s25, s2
	s_lshl_b64 s[10:11], s[10:11], 4
	s_lshl_b64 s[26:27], s[26:27], 4
	s_mul_i32 s2, s3, 0x140
	s_add_u32 s3, s26, s10
	s_addc_u32 s10, s27, s11
	s_waitcnt lgkmcnt(0)
	s_add_u32 s3, s8, s3
	s_addc_u32 s8, s9, s10
	v_add_co_u32 v1, s3, s3, v3
	s_delay_alu instid0(VALU_DEP_1) | instskip(SKIP_1) | instid1(VALU_DEP_3)
	v_add_co_ci_u32_e64 v2, null, s8, 0, s3
	v_lshl_add_u32 v3, v0, 4, s2
	v_add_co_u32 v1, s2, v1, 8
	s_delay_alu instid0(VALU_DEP_1)
	v_add_co_ci_u32_e64 v2, s2, 0, v2, s2
	s_lshl_b64 s[8:9], s[20:21], 4
.LBB220_6:                              ; =>This Inner Loop Header: Depth=1
	global_load_b128 v[4:7], v[1:2], off offset:-8
	v_add_co_u32 v1, s2, v1, s8
	s_delay_alu instid0(VALU_DEP_1) | instskip(SKIP_1) | instid1(SALU_CYCLE_1)
	v_add_co_ci_u32_e64 v2, s2, s9, v2, s2
	s_add_i32 s24, s24, -1
	s_cmp_lg_u32 s24, 0
	s_waitcnt vmcnt(0)
	v_xor_b32_e32 v8, 0x80000000, v7
	s_delay_alu instid0(VALU_DEP_1)
	v_cndmask_b32_e32 v7, v7, v8, vcc_lo
	ds_store_b128 v3, v[4:7]
	v_add_nc_u32_e32 v3, 0x140, v3
	s_cbranch_scc1 .LBB220_6
.LBB220_7:
	v_mul_u32_u24_e32 v1, 21, v0
	s_cmpk_lg_i32 s17, 0x84
	s_delay_alu instid0(VALU_DEP_1)
	v_lshlrev_b32_e32 v9, 4, v1
	s_cbranch_scc0 .LBB220_13
; %bb.8:
	ds_load_b128 v[1:4], v9
	s_waitcnt lgkmcnt(0)
	v_cmp_gt_f64_e32 vcc_lo, 0, v[1:2]
	v_xor_b32_e32 v6, 0x80000000, v2
	v_mov_b32_e32 v5, v1
	v_xor_b32_e32 v7, 0x80000000, v4
	s_delay_alu instid0(VALU_DEP_3) | instskip(SKIP_1) | instid1(VALU_DEP_3)
	v_cndmask_b32_e32 v6, v2, v6, vcc_lo
	v_cmp_gt_f64_e32 vcc_lo, 0, v[3:4]
	v_dual_cndmask_b32 v8, v4, v7 :: v_dual_mov_b32 v7, v3
	s_delay_alu instid0(VALU_DEP_1) | instskip(SKIP_1) | instid1(SALU_CYCLE_1)
	v_cmp_ngt_f64_e32 vcc_lo, v[5:6], v[7:8]
                                        ; implicit-def: $vgpr7_vgpr8
	s_and_saveexec_b32 s2, vcc_lo
	s_xor_b32 s2, exec_lo, s2
	s_cbranch_execz .LBB220_10
; %bb.9:
	v_div_scale_f64 v[5:6], null, v[3:4], v[3:4], v[1:2]
	v_div_scale_f64 v[12:13], vcc_lo, v[1:2], v[3:4], v[1:2]
	s_delay_alu instid0(VALU_DEP_2) | instskip(SKIP_2) | instid1(VALU_DEP_1)
	v_rcp_f64_e32 v[7:8], v[5:6]
	s_waitcnt_depctr 0xfff
	v_fma_f64 v[10:11], -v[5:6], v[7:8], 1.0
	v_fma_f64 v[7:8], v[7:8], v[10:11], v[7:8]
	s_delay_alu instid0(VALU_DEP_1) | instskip(NEXT) | instid1(VALU_DEP_1)
	v_fma_f64 v[10:11], -v[5:6], v[7:8], 1.0
	v_fma_f64 v[7:8], v[7:8], v[10:11], v[7:8]
	s_delay_alu instid0(VALU_DEP_1) | instskip(NEXT) | instid1(VALU_DEP_1)
	v_mul_f64 v[10:11], v[12:13], v[7:8]
	v_fma_f64 v[5:6], -v[5:6], v[10:11], v[12:13]
	s_delay_alu instid0(VALU_DEP_1) | instskip(NEXT) | instid1(VALU_DEP_1)
	v_div_fmas_f64 v[5:6], v[5:6], v[7:8], v[10:11]
	v_div_fixup_f64 v[5:6], v[5:6], v[3:4], v[1:2]
	s_delay_alu instid0(VALU_DEP_1) | instskip(NEXT) | instid1(VALU_DEP_1)
	v_fma_f64 v[1:2], v[1:2], v[5:6], v[3:4]
	v_div_scale_f64 v[3:4], null, v[1:2], v[1:2], 1.0
	v_div_scale_f64 v[12:13], vcc_lo, 1.0, v[1:2], 1.0
	s_delay_alu instid0(VALU_DEP_2) | instskip(SKIP_2) | instid1(VALU_DEP_1)
	v_rcp_f64_e32 v[7:8], v[3:4]
	s_waitcnt_depctr 0xfff
	v_fma_f64 v[10:11], -v[3:4], v[7:8], 1.0
	v_fma_f64 v[7:8], v[7:8], v[10:11], v[7:8]
	s_delay_alu instid0(VALU_DEP_1) | instskip(NEXT) | instid1(VALU_DEP_1)
	v_fma_f64 v[10:11], -v[3:4], v[7:8], 1.0
	v_fma_f64 v[7:8], v[7:8], v[10:11], v[7:8]
	s_delay_alu instid0(VALU_DEP_1) | instskip(NEXT) | instid1(VALU_DEP_1)
	v_mul_f64 v[10:11], v[12:13], v[7:8]
	v_fma_f64 v[3:4], -v[3:4], v[10:11], v[12:13]
	s_delay_alu instid0(VALU_DEP_1) | instskip(SKIP_1) | instid1(VALU_DEP_2)
	v_div_fmas_f64 v[3:4], v[3:4], v[7:8], v[10:11]
	v_add_f64 v[7:8], v[5:6], 0
	v_div_fixup_f64 v[1:2], v[3:4], v[1:2], 1.0
	v_fma_f64 v[3:4], v[5:6], 0, -1.0
	s_delay_alu instid0(VALU_DEP_2) | instskip(NEXT) | instid1(VALU_DEP_2)
	v_mul_f64 v[5:6], v[7:8], v[1:2]
	v_mul_f64 v[7:8], v[3:4], v[1:2]
                                        ; implicit-def: $vgpr1_vgpr2
.LBB220_10:
	s_and_not1_saveexec_b32 s2, s2
	s_cbranch_execz .LBB220_12
; %bb.11:
	v_div_scale_f64 v[5:6], null, v[1:2], v[1:2], v[3:4]
	v_div_scale_f64 v[12:13], vcc_lo, v[3:4], v[1:2], v[3:4]
	s_delay_alu instid0(VALU_DEP_2) | instskip(SKIP_2) | instid1(VALU_DEP_1)
	v_rcp_f64_e32 v[7:8], v[5:6]
	s_waitcnt_depctr 0xfff
	v_fma_f64 v[10:11], -v[5:6], v[7:8], 1.0
	v_fma_f64 v[7:8], v[7:8], v[10:11], v[7:8]
	s_delay_alu instid0(VALU_DEP_1) | instskip(NEXT) | instid1(VALU_DEP_1)
	v_fma_f64 v[10:11], -v[5:6], v[7:8], 1.0
	v_fma_f64 v[7:8], v[7:8], v[10:11], v[7:8]
	s_delay_alu instid0(VALU_DEP_1) | instskip(NEXT) | instid1(VALU_DEP_1)
	v_mul_f64 v[10:11], v[12:13], v[7:8]
	v_fma_f64 v[5:6], -v[5:6], v[10:11], v[12:13]
	s_delay_alu instid0(VALU_DEP_1) | instskip(NEXT) | instid1(VALU_DEP_1)
	v_div_fmas_f64 v[5:6], v[5:6], v[7:8], v[10:11]
	v_div_fixup_f64 v[5:6], v[5:6], v[1:2], v[3:4]
	s_delay_alu instid0(VALU_DEP_1) | instskip(NEXT) | instid1(VALU_DEP_1)
	v_fma_f64 v[1:2], v[3:4], v[5:6], v[1:2]
	v_div_scale_f64 v[3:4], null, v[1:2], v[1:2], 1.0
	v_div_scale_f64 v[12:13], vcc_lo, 1.0, v[1:2], 1.0
	s_delay_alu instid0(VALU_DEP_2) | instskip(SKIP_2) | instid1(VALU_DEP_1)
	v_rcp_f64_e32 v[7:8], v[3:4]
	s_waitcnt_depctr 0xfff
	v_fma_f64 v[10:11], -v[3:4], v[7:8], 1.0
	v_fma_f64 v[7:8], v[7:8], v[10:11], v[7:8]
	s_delay_alu instid0(VALU_DEP_1) | instskip(NEXT) | instid1(VALU_DEP_1)
	v_fma_f64 v[10:11], -v[3:4], v[7:8], 1.0
	v_fma_f64 v[7:8], v[7:8], v[10:11], v[7:8]
	s_delay_alu instid0(VALU_DEP_1) | instskip(NEXT) | instid1(VALU_DEP_1)
	v_mul_f64 v[10:11], v[12:13], v[7:8]
	v_fma_f64 v[3:4], -v[3:4], v[10:11], v[12:13]
	s_delay_alu instid0(VALU_DEP_1) | instskip(SKIP_1) | instid1(VALU_DEP_2)
	v_div_fmas_f64 v[3:4], v[3:4], v[7:8], v[10:11]
	v_fma_f64 v[7:8], v[5:6], 0, 1.0
	v_div_fixup_f64 v[1:2], v[3:4], v[1:2], 1.0
	v_add_f64 v[3:4], -v[5:6], 0
	s_delay_alu instid0(VALU_DEP_2) | instskip(NEXT) | instid1(VALU_DEP_2)
	v_mul_f64 v[5:6], v[7:8], v[1:2]
	v_mul_f64 v[7:8], v[3:4], v[1:2]
.LBB220_12:
	s_or_b32 exec_lo, exec_lo, s2
	s_branch .LBB220_14
.LBB220_13:
	v_mov_b32_e32 v5, 0
	v_dual_mov_b32 v6, 0x3ff00000 :: v_dual_mov_b32 v7, 0
	v_mov_b32_e32 v8, 0
.LBB220_14:
	ds_store_b128 v9, v[5:8]
.LBB220_15:
	s_or_b32 exec_lo, exec_lo, s18
	s_mul_i32 s2, s14, 0xffffffec
	s_add_i32 s15, s15, -1
	s_add_i32 s2, s2, s19
	s_cmp_ge_u32 s14, s15
	s_waitcnt lgkmcnt(0)
	s_cselect_b32 s2, s2, 20
	; wave barrier
	buffer_gl0_inv
	v_cmp_gt_i32_e32 vcc_lo, s2, v0
	s_mov_b32 s2, -1
	s_and_saveexec_b32 s3, vcc_lo
	s_cbranch_execz .LBB220_58
; %bb.16:
	s_load_b32 s0, s[0:1], 0x58
	v_mad_u64_u32 v[1:2], null, s14, 20, v[0:1]
	s_waitcnt lgkmcnt(0)
	s_delay_alu instid0(VALU_DEP_1) | instskip(SKIP_1) | instid1(SALU_CYCLE_1)
	v_mad_i64_i32 v[2:3], null, s0, v1, 0
	s_lshl_b64 s[0:1], s[22:23], 4
	s_add_u32 s3, s12, s0
	s_addc_u32 s8, s13, s1
	s_or_b32 s20, 0, 8
	s_cmpk_eq_i32 s16, 0x6f
	s_delay_alu instid0(VALU_DEP_1) | instskip(NEXT) | instid1(VALU_DEP_1)
	v_lshlrev_b64 v[4:5], 4, v[2:3]
	v_add_co_u32 v8, vcc_lo, s3, v4
	s_delay_alu instid0(VALU_DEP_2)
	v_add_co_ci_u32_e32 v9, vcc_lo, s8, v5, vcc_lo
	s_cbranch_scc1 .LBB220_38
; %bb.17:
	s_add_u32 s2, s12, s0
	s_addc_u32 s3, s13, s1
	v_add_co_u32 v0, vcc_lo, s2, v4
	v_add_co_ci_u32_e32 v1, vcc_lo, s3, v5, vcc_lo
	s_mov_b32 s3, 0
	s_delay_alu instid0(VALU_DEP_2) | instskip(NEXT) | instid1(VALU_DEP_2)
	v_add_co_u32 v10, vcc_lo, v0, 8
	v_add_co_ci_u32_e32 v11, vcc_lo, 0, v1, vcc_lo
	s_mov_b32 s8, s3
	s_mov_b32 s10, s3
	s_branch .LBB220_19
.LBB220_18:                             ;   in Loop: Header=BB220_19 Depth=1
	s_cmp_ge_i32 s10, s29
	s_cselect_b32 s2, -1, 0
	s_add_i32 s8, s8, 1
	s_delay_alu instid0(SALU_CYCLE_1) | instskip(SKIP_1) | instid1(SALU_CYCLE_1)
	s_cmp_eq_u32 s8, 3
	s_cselect_b32 s9, -1, 0
	s_or_b32 s2, s2, s9
	s_delay_alu instid0(SALU_CYCLE_1)
	s_and_not1_b32 vcc_lo, exec_lo, s2
	s_cbranch_vccz .LBB220_37
.LBB220_19:                             ; =>This Loop Header: Depth=1
                                        ;     Child Loop BB220_22 Depth 2
                                        ;       Child Loop BB220_23 Depth 3
                                        ;       Child Loop BB220_26 Depth 3
                                        ;         Child Loop BB220_27 Depth 4
                                        ;       Child Loop BB220_31 Depth 3
                                        ;         Child Loop BB220_33 Depth 4
	s_mov_b32 s9, s3
	s_getpc_b64 s[14:15]
	s_add_u32 s14, s14, __const._ZL30rocblas_trsm_small_left_deviceILi20ELi20ELb0E19rocblas_complex_numIdES1_PKPKS1_PKPS1_Ev13rocblas_fill_18rocblas_operation_17rocblas_diagonal_iiT3_T4_lilT5_lili.step_sizes@rel32@lo+4
	s_addc_u32 s15, s15, __const._ZL30rocblas_trsm_small_left_deviceILi20ELi20ELb0E19rocblas_complex_numIdES1_PKPKS1_PKPS1_Ev13rocblas_fill_18rocblas_operation_17rocblas_diagonal_iiT3_T4_lilT5_lili.step_sizes@rel32@hi+12
	s_lshl_b64 s[16:17], s[8:9], 2
	s_delay_alu instid0(SALU_CYCLE_1) | instskip(SKIP_4) | instid1(SALU_CYCLE_1)
	s_add_u32 s14, s16, s14
	s_addc_u32 s15, s17, s15
	s_load_b32 s14, s[14:15], 0x0
	s_waitcnt lgkmcnt(0)
	s_add_i32 s9, s14, -1
	s_add_i32 s2, s9, s10
	s_delay_alu instid0(SALU_CYCLE_1)
	s_cmp_ge_i32 s2, s29
	s_cbranch_scc1 .LBB220_18
; %bb.20:                               ;   in Loop: Header=BB220_19 Depth=1
	s_ashr_i32 s11, s10, 31
	s_ashr_i32 s15, s14, 31
	s_lshl_b64 s[16:17], s[10:11], 4
	s_max_i32 s21, s14, 1
	v_add_co_u32 v6, vcc_lo, v10, s16
	v_add_co_ci_u32_e32 v7, vcc_lo, s17, v11, vcc_lo
	s_lshl_b64 s[16:17], s[14:15], 4
	s_mul_i32 s11, s10, 0x140
	s_mul_i32 s15, s14, 0x140
	;; [unrolled: 1-line block ×4, first 2 shown]
	s_branch .LBB220_22
.LBB220_21:                             ;   in Loop: Header=BB220_22 Depth=2
	v_add_co_u32 v6, vcc_lo, v6, s16
	s_add_i32 s10, s10, s14
	v_add_co_ci_u32_e32 v7, vcc_lo, s17, v7, vcc_lo
	s_add_i32 s2, s9, s10
	s_add_i32 s11, s11, s15
	;; [unrolled: 1-line block ×3, first 2 shown]
	s_cmp_ge_i32 s2, s29
	s_cbranch_scc1 .LBB220_18
.LBB220_22:                             ;   Parent Loop BB220_19 Depth=1
                                        ; =>  This Loop Header: Depth=2
                                        ;       Child Loop BB220_23 Depth 3
                                        ;       Child Loop BB220_26 Depth 3
                                        ;         Child Loop BB220_27 Depth 4
                                        ;       Child Loop BB220_31 Depth 3
                                        ;         Child Loop BB220_33 Depth 4
	v_dual_mov_b32 v0, v6 :: v_dual_mov_b32 v1, v7
	s_mov_b32 s2, 8
	s_mov_b32 s18, s21
	.p2align	6
.LBB220_23:                             ;   Parent Loop BB220_19 Depth=1
                                        ;     Parent Loop BB220_22 Depth=2
                                        ; =>    This Inner Loop Header: Depth=3
	global_load_b128 v[12:15], v[0:1], off offset:-8
	v_add_co_u32 v0, vcc_lo, v0, 16
	v_add_co_ci_u32_e32 v1, vcc_lo, 0, v1, vcc_lo
	s_add_i32 s18, s18, -1
	s_add_i32 s19, s2, 0
	s_add_i32 s2, s2, 16
	s_cmp_eq_u32 s18, 0
	s_waitcnt vmcnt(0)
	v_mul_f64 v[2:3], s[6:7], v[14:15]
	v_mul_f64 v[16:17], s[4:5], v[14:15]
	s_delay_alu instid0(VALU_DEP_2) | instskip(NEXT) | instid1(VALU_DEP_2)
	v_fma_f64 v[14:15], s[4:5], v[12:13], -v[2:3]
	v_fma_f64 v[16:17], s[6:7], v[12:13], v[16:17]
	scratch_store_b128 off, v[14:17], s19 offset:-8
	s_cbranch_scc0 .LBB220_23
; %bb.24:                               ;   in Loop: Header=BB220_22 Depth=2
	s_cmp_lt_i32 s10, 1
	s_cbranch_scc1 .LBB220_29
; %bb.25:                               ;   in Loop: Header=BB220_22 Depth=2
	s_mov_b32 s2, 0
	s_mov_b32 s18, s11
	s_set_inst_prefetch_distance 0x1
	.p2align	6
.LBB220_26:                             ;   Parent Loop BB220_19 Depth=1
                                        ;     Parent Loop BB220_22 Depth=2
                                        ; =>    This Loop Header: Depth=3
                                        ;         Child Loop BB220_27 Depth 4
	s_lshl_b64 s[24:25], s[2:3], 4
	s_mov_b32 s19, s20
	v_add_co_u32 v0, vcc_lo, v8, s24
	v_add_co_ci_u32_e32 v1, vcc_lo, s25, v9, vcc_lo
	s_mov_b32 s24, s18
	s_mov_b32 s25, s21
	global_load_b128 v[0:3], v[0:1], off
	.p2align	6
.LBB220_27:                             ;   Parent Loop BB220_19 Depth=1
                                        ;     Parent Loop BB220_22 Depth=2
                                        ;       Parent Loop BB220_26 Depth=3
                                        ; =>      This Inner Loop Header: Depth=4
	scratch_load_b128 v[12:15], off, s19 offset:-8
	v_mov_b32_e32 v16, s24
	s_add_i32 s25, s25, -1
	s_addk_i32 s24, 0x140
	ds_load_b128 v[16:19], v16
	s_waitcnt vmcnt(1) lgkmcnt(0)
	v_mul_f64 v[20:21], v[2:3], v[18:19]
	v_mul_f64 v[18:19], v[0:1], v[18:19]
	s_delay_alu instid0(VALU_DEP_2) | instskip(NEXT) | instid1(VALU_DEP_2)
	v_fma_f64 v[20:21], v[0:1], v[16:17], -v[20:21]
	v_fma_f64 v[16:17], v[2:3], v[16:17], v[18:19]
	s_waitcnt vmcnt(0)
	s_delay_alu instid0(VALU_DEP_2) | instskip(NEXT) | instid1(VALU_DEP_2)
	v_add_f64 v[12:13], v[12:13], -v[20:21]
	v_add_f64 v[14:15], v[14:15], -v[16:17]
	scratch_store_b128 off, v[12:15], s19 offset:-8
	s_add_i32 s19, s19, 16
	s_cmp_eq_u32 s25, 0
	s_cbranch_scc0 .LBB220_27
; %bb.28:                               ;   in Loop: Header=BB220_26 Depth=3
	s_add_i32 s2, s2, 1
	s_add_i32 s18, s18, 16
	s_cmp_ge_i32 s2, s10
	s_cbranch_scc0 .LBB220_26
.LBB220_29:                             ;   in Loop: Header=BB220_22 Depth=2
	s_set_inst_prefetch_distance 0x2
	s_mov_b32 s2, 0
	s_mov_b32 s24, s22
	s_branch .LBB220_31
.LBB220_30:                             ;   in Loop: Header=BB220_31 Depth=3
	s_mul_i32 s19, s18, 0x150
	s_lshl_b32 s25, s2, 4
	v_mov_b32_e32 v12, s19
	s_ashr_i32 s19, s18, 31
	s_add_i32 s2, s2, 1
	s_lshl_b64 s[18:19], s[18:19], 4
	s_addk_i32 s24, 0x140
	ds_load_b128 v[12:15], v12
	s_waitcnt vmcnt(0) lgkmcnt(0)
	v_mul_f64 v[16:17], v[14:15], v[2:3]
	v_mul_f64 v[2:3], v[12:13], v[2:3]
	s_delay_alu instid0(VALU_DEP_2) | instskip(NEXT) | instid1(VALU_DEP_2)
	v_fma_f64 v[12:13], v[12:13], v[0:1], -v[16:17]
	v_fma_f64 v[14:15], v[14:15], v[0:1], v[2:3]
	v_add_co_u32 v0, vcc_lo, v8, s18
	v_add_co_ci_u32_e32 v1, vcc_lo, s19, v9, vcc_lo
	s_add_i32 s18, s25, 0
	s_cmp_eq_u32 s2, s21
	scratch_store_b128 off, v[12:15], s18
	global_store_b128 v[0:1], v[12:15], off
	s_cbranch_scc1 .LBB220_21
.LBB220_31:                             ;   Parent Loop BB220_19 Depth=1
                                        ;     Parent Loop BB220_22 Depth=2
                                        ; =>    This Loop Header: Depth=3
                                        ;         Child Loop BB220_33 Depth 4
	s_cmp_lg_u32 s2, 0
	s_cbranch_scc0 .LBB220_35
; %bb.32:                               ;   in Loop: Header=BB220_31 Depth=3
	s_lshl_b32 s19, s2, 4
	s_mov_b32 s25, s24
	s_add_i32 s18, s19, 0
	v_add_nc_u32_e64 v12, s19, 0
	scratch_load_b128 v[0:3], off, s18
	s_add_i32 s18, s2, s10
	s_mov_b32 s19, 0
	s_mov_b32 s26, s20
	.p2align	6
.LBB220_33:                             ;   Parent Loop BB220_19 Depth=1
                                        ;     Parent Loop BB220_22 Depth=2
                                        ;       Parent Loop BB220_31 Depth=3
                                        ; =>      This Inner Loop Header: Depth=4
	scratch_load_b128 v[13:16], off, s26 offset:-8
	v_mov_b32_e32 v17, s25
	s_add_i32 s19, s19, 1
	s_add_i32 s26, s26, 16
	;; [unrolled: 1-line block ×3, first 2 shown]
	s_cmp_ge_u32 s19, s2
	ds_load_b128 v[17:20], v17
	s_waitcnt vmcnt(0) lgkmcnt(0)
	v_mul_f64 v[21:22], v[19:20], v[15:16]
	v_mul_f64 v[15:16], v[17:18], v[15:16]
	s_delay_alu instid0(VALU_DEP_2) | instskip(NEXT) | instid1(VALU_DEP_2)
	v_fma_f64 v[17:18], v[17:18], v[13:14], -v[21:22]
	v_fma_f64 v[13:14], v[19:20], v[13:14], v[15:16]
	s_delay_alu instid0(VALU_DEP_2) | instskip(NEXT) | instid1(VALU_DEP_2)
	v_add_f64 v[0:1], v[0:1], -v[17:18]
	v_add_f64 v[2:3], v[2:3], -v[13:14]
	scratch_store_b128 v12, v[0:3], off
	s_cbranch_scc0 .LBB220_33
; %bb.34:                               ;   in Loop: Header=BB220_31 Depth=3
	s_branch .LBB220_30
.LBB220_35:                             ;   in Loop: Header=BB220_31 Depth=3
                                        ; implicit-def: $vgpr0_vgpr1
                                        ; implicit-def: $sgpr18
	s_cbranch_execz .LBB220_30
; %bb.36:                               ;   in Loop: Header=BB220_31 Depth=3
	scratch_load_b128 v[0:3], off, off
	s_mov_b32 s18, s10
	s_branch .LBB220_30
.LBB220_37:
	s_mov_b32 s2, 0
.LBB220_38:
	s_delay_alu instid0(SALU_CYCLE_1)
	s_and_b32 vcc_lo, exec_lo, s2
	s_cbranch_vccz .LBB220_58
; %bb.39:
	s_add_u32 s0, s12, s0
	s_addc_u32 s1, s13, s1
	v_add_co_u32 v0, vcc_lo, s0, v4
	v_add_co_ci_u32_e32 v1, vcc_lo, s1, v5, vcc_lo
	s_mul_i32 s12, s29, 0x140
	s_delay_alu instid0(VALU_DEP_2) | instskip(NEXT) | instid1(VALU_DEP_2)
	v_add_co_u32 v4, vcc_lo, v0, 8
	v_add_co_ci_u32_e32 v5, vcc_lo, 0, v1, vcc_lo
	s_mov_b32 s1, 0
	s_addk_i32 s12, 0xfec0
	s_mov_b32 s2, s28
	s_mov_b32 s0, s1
	s_branch .LBB220_41
.LBB220_40:                             ;   in Loop: Header=BB220_41 Depth=1
	s_cmp_lt_i32 s2, 0
	s_cselect_b32 s3, -1, 0
	s_add_i32 s0, s0, 1
	s_delay_alu instid0(SALU_CYCLE_1) | instskip(SKIP_1) | instid1(SALU_CYCLE_1)
	s_cmp_eq_u32 s0, 3
	s_cselect_b32 s8, -1, 0
	s_or_b32 s3, s3, s8
	s_delay_alu instid0(SALU_CYCLE_1)
	s_and_b32 vcc_lo, exec_lo, s3
	s_cbranch_vccnz .LBB220_58
.LBB220_41:                             ; =>This Loop Header: Depth=1
                                        ;     Child Loop BB220_44 Depth 2
                                        ;       Child Loop BB220_45 Depth 3
                                        ;       Child Loop BB220_47 Depth 3
                                        ;         Child Loop BB220_48 Depth 4
                                        ;       Child Loop BB220_52 Depth 3
                                        ;         Child Loop BB220_54 Depth 4
	s_getpc_b64 s[8:9]
	s_add_u32 s8, s8, __const._ZL30rocblas_trsm_small_left_deviceILi20ELi20ELb0E19rocblas_complex_numIdES1_PKPKS1_PKPS1_Ev13rocblas_fill_18rocblas_operation_17rocblas_diagonal_iiT3_T4_lilT5_lili.step_sizes@rel32@lo+4
	s_addc_u32 s9, s9, __const._ZL30rocblas_trsm_small_left_deviceILi20ELi20ELb0E19rocblas_complex_numIdES1_PKPKS1_PKPS1_Ev13rocblas_fill_18rocblas_operation_17rocblas_diagonal_iiT3_T4_lilT5_lili.step_sizes@rel32@hi+12
	s_lshl_b64 s[10:11], s[0:1], 2
	s_delay_alu instid0(SALU_CYCLE_1) | instskip(SKIP_4) | instid1(SALU_CYCLE_1)
	s_add_u32 s8, s10, s8
	s_addc_u32 s9, s11, s9
	s_load_b32 s13, s[8:9], 0x0
	s_waitcnt lgkmcnt(0)
	s_add_i32 s14, s13, -1
	s_cmp_lt_i32 s2, s14
	s_cbranch_scc1 .LBB220_40
; %bb.42:                               ;   in Loop: Header=BB220_41 Depth=1
	s_lshl_b32 s3, s2, 4
	s_lshl_b32 s8, s13, 4
	s_max_i32 s15, s13, 1
	s_add_i32 s16, s12, s3
	s_sub_i32 s17, 0, s8
	s_mul_i32 s18, s2, 0x150
	s_mul_i32 s19, s13, 0xfffffeb0
	s_branch .LBB220_44
.LBB220_43:                             ;   in Loop: Header=BB220_44 Depth=2
	s_sub_i32 s2, s2, s13
	s_add_i32 s16, s16, s17
	s_add_i32 s18, s18, s19
	s_cmp_lt_i32 s2, s14
	s_cbranch_scc1 .LBB220_40
.LBB220_44:                             ;   Parent Loop BB220_41 Depth=1
                                        ; =>  This Loop Header: Depth=2
                                        ;       Child Loop BB220_45 Depth 3
                                        ;       Child Loop BB220_47 Depth 3
                                        ;         Child Loop BB220_48 Depth 4
                                        ;       Child Loop BB220_52 Depth 3
                                        ;         Child Loop BB220_54 Depth 4
	s_ashr_i32 s3, s2, 31
	s_delay_alu instid0(SALU_CYCLE_1) | instskip(NEXT) | instid1(SALU_CYCLE_1)
	s_lshl_b64 s[8:9], s[2:3], 4
	v_add_co_u32 v0, vcc_lo, v4, s8
	v_add_co_ci_u32_e32 v1, vcc_lo, s9, v5, vcc_lo
	s_mov_b32 s8, 8
	s_mov_b32 s9, s15
	.p2align	6
.LBB220_45:                             ;   Parent Loop BB220_41 Depth=1
                                        ;     Parent Loop BB220_44 Depth=2
                                        ; =>    This Inner Loop Header: Depth=3
	global_load_b128 v[10:13], v[0:1], off offset:-8
	v_add_co_u32 v0, vcc_lo, v0, -16
	v_add_co_ci_u32_e32 v1, vcc_lo, -1, v1, vcc_lo
	s_add_i32 s9, s9, -1
	s_add_i32 s10, s8, 0
	s_add_i32 s8, s8, 16
	s_cmp_eq_u32 s9, 0
	s_waitcnt vmcnt(0)
	v_mul_f64 v[2:3], s[6:7], v[12:13]
	v_mul_f64 v[6:7], s[4:5], v[12:13]
	s_delay_alu instid0(VALU_DEP_2) | instskip(NEXT) | instid1(VALU_DEP_2)
	v_fma_f64 v[12:13], s[4:5], v[10:11], -v[2:3]
	v_fma_f64 v[14:15], s[6:7], v[10:11], v[6:7]
	scratch_store_b128 off, v[12:15], s10 offset:-8
	s_cbranch_scc0 .LBB220_45
; %bb.46:                               ;   in Loop: Header=BB220_44 Depth=2
	s_cmp_le_i32 s28, s2
	s_mov_b32 s10, s16
	s_mov_b32 s8, s28
	s_cbranch_scc1 .LBB220_50
	.p2align	6
.LBB220_47:                             ;   Parent Loop BB220_41 Depth=1
                                        ;     Parent Loop BB220_44 Depth=2
                                        ; =>    This Loop Header: Depth=3
                                        ;         Child Loop BB220_48 Depth 4
	s_ashr_i32 s9, s8, 31
	s_mov_b32 s11, s15
	s_lshl_b64 s[22:23], s[8:9], 4
	s_mov_b32 s9, s20
	v_add_co_u32 v0, vcc_lo, v8, s22
	v_add_co_ci_u32_e32 v1, vcc_lo, s23, v9, vcc_lo
	s_mov_b32 s21, s10
	global_load_b128 v[0:3], v[0:1], off
	.p2align	6
.LBB220_48:                             ;   Parent Loop BB220_41 Depth=1
                                        ;     Parent Loop BB220_44 Depth=2
                                        ;       Parent Loop BB220_47 Depth=3
                                        ; =>      This Inner Loop Header: Depth=4
	scratch_load_b128 v[10:13], off, s9 offset:-8
	v_mov_b32_e32 v6, s21
	s_add_i32 s11, s11, -1
	s_add_i32 s21, s21, -16
	ds_load_b128 v[14:17], v6
	s_waitcnt vmcnt(1) lgkmcnt(0)
	v_mul_f64 v[6:7], v[2:3], v[16:17]
	v_mul_f64 v[16:17], v[0:1], v[16:17]
	s_delay_alu instid0(VALU_DEP_2) | instskip(NEXT) | instid1(VALU_DEP_2)
	v_fma_f64 v[6:7], v[0:1], v[14:15], -v[6:7]
	v_fma_f64 v[14:15], v[2:3], v[14:15], v[16:17]
	s_waitcnt vmcnt(0)
	s_delay_alu instid0(VALU_DEP_2) | instskip(NEXT) | instid1(VALU_DEP_2)
	v_add_f64 v[10:11], v[10:11], -v[6:7]
	v_add_f64 v[12:13], v[12:13], -v[14:15]
	scratch_store_b128 off, v[10:13], s9 offset:-8
	s_add_i32 s9, s9, 16
	s_cmp_eq_u32 s11, 0
	s_cbranch_scc0 .LBB220_48
; %bb.49:                               ;   in Loop: Header=BB220_47 Depth=3
	s_add_i32 s8, s8, -1
	s_addk_i32 s10, 0xfec0
	s_cmp_le_i32 s8, s2
	s_cbranch_scc0 .LBB220_47
.LBB220_50:                             ;   in Loop: Header=BB220_44 Depth=2
	s_mov_b32 s21, 0
	s_mov_b32 s22, s18
	s_branch .LBB220_52
.LBB220_51:                             ;   in Loop: Header=BB220_52 Depth=3
	s_mulk_i32 s10, 0x150
	s_lshl_b64 s[8:9], s[8:9], 4
	v_mov_b32_e32 v6, s10
	s_lshl_b32 s10, s21, 4
	s_add_i32 s21, s21, 1
	s_add_i32 s22, s22, -16
	ds_load_b128 v[10:13], v6
	s_waitcnt vmcnt(0) lgkmcnt(0)
	v_mul_f64 v[6:7], v[12:13], v[2:3]
	v_mul_f64 v[2:3], v[10:11], v[2:3]
	s_delay_alu instid0(VALU_DEP_2) | instskip(NEXT) | instid1(VALU_DEP_2)
	v_fma_f64 v[10:11], v[10:11], v[0:1], -v[6:7]
	v_fma_f64 v[12:13], v[12:13], v[0:1], v[2:3]
	v_add_co_u32 v0, vcc_lo, v8, s8
	v_add_co_ci_u32_e32 v1, vcc_lo, s9, v9, vcc_lo
	s_add_i32 s8, s10, 0
	s_cmp_eq_u32 s21, s15
	scratch_store_b128 off, v[10:13], s8
	global_store_b128 v[0:1], v[10:13], off
	s_cbranch_scc1 .LBB220_43
.LBB220_52:                             ;   Parent Loop BB220_41 Depth=1
                                        ;     Parent Loop BB220_44 Depth=2
                                        ; =>    This Loop Header: Depth=3
                                        ;         Child Loop BB220_54 Depth 4
	s_cmp_lg_u32 s21, 0
	s_cbranch_scc0 .LBB220_56
; %bb.53:                               ;   in Loop: Header=BB220_52 Depth=3
	s_lshl_b32 s8, s21, 4
	s_mov_b32 s10, s22
	s_add_i32 s9, s8, 0
	v_add_nc_u32_e64 v6, s8, 0
	scratch_load_b128 v[0:3], off, s9
	s_mov_b32 s8, 0
	s_mov_b32 s9, s20
	.p2align	6
.LBB220_54:                             ;   Parent Loop BB220_41 Depth=1
                                        ;     Parent Loop BB220_44 Depth=2
                                        ;       Parent Loop BB220_52 Depth=3
                                        ; =>      This Inner Loop Header: Depth=4
	scratch_load_b128 v[10:13], off, s9 offset:-8
	v_mov_b32_e32 v7, s10
	s_add_i32 s8, s8, 1
	s_addk_i32 s10, 0xfec0
	s_add_i32 s9, s9, 16
	s_cmp_ge_u32 s8, s21
	ds_load_b128 v[14:17], v7
	s_waitcnt vmcnt(0) lgkmcnt(0)
	v_mul_f64 v[18:19], v[16:17], v[12:13]
	v_mul_f64 v[12:13], v[14:15], v[12:13]
	s_delay_alu instid0(VALU_DEP_2) | instskip(NEXT) | instid1(VALU_DEP_2)
	v_fma_f64 v[14:15], v[14:15], v[10:11], -v[18:19]
	v_fma_f64 v[10:11], v[16:17], v[10:11], v[12:13]
	s_delay_alu instid0(VALU_DEP_2) | instskip(NEXT) | instid1(VALU_DEP_2)
	v_add_f64 v[0:1], v[0:1], -v[14:15]
	v_add_f64 v[2:3], v[2:3], -v[10:11]
	scratch_store_b128 v6, v[0:3], off
	s_cbranch_scc0 .LBB220_54
; %bb.55:                               ;   in Loop: Header=BB220_52 Depth=3
	s_sub_i32 s10, s2, s21
	s_delay_alu instid0(SALU_CYCLE_1) | instskip(NEXT) | instid1(SALU_CYCLE_1)
	s_ashr_i32 s11, s10, 31
	s_mov_b64 s[8:9], s[10:11]
	s_branch .LBB220_51
.LBB220_56:                             ;   in Loop: Header=BB220_52 Depth=3
                                        ; implicit-def: $vgpr0_vgpr1
                                        ; implicit-def: $sgpr10
                                        ; implicit-def: $sgpr8_sgpr9
	s_cbranch_execz .LBB220_51
; %bb.57:                               ;   in Loop: Header=BB220_52 Depth=3
	scratch_load_b128 v[0:3], off, off
	s_mov_b64 s[8:9], s[2:3]
	s_mov_b32 s10, s2
	s_branch .LBB220_51
.LBB220_58:
	s_endpgm
	.section	.rodata,"a",@progbits
	.p2align	6, 0x0
	.amdhsa_kernel _ZL30rocblas_trsm_small_left_deviceILi20ELi20ELb0E19rocblas_complex_numIdES1_PKPKS1_PKPS1_Ev13rocblas_fill_18rocblas_operation_17rocblas_diagonal_iiT3_T4_lilT5_lili
		.amdhsa_group_segment_fixed_size 6400
		.amdhsa_private_segment_fixed_size 336
		.amdhsa_kernarg_size 368
		.amdhsa_user_sgpr_count 14
		.amdhsa_user_sgpr_dispatch_ptr 0
		.amdhsa_user_sgpr_queue_ptr 0
		.amdhsa_user_sgpr_kernarg_segment_ptr 1
		.amdhsa_user_sgpr_dispatch_id 0
		.amdhsa_user_sgpr_private_segment_size 0
		.amdhsa_wavefront_size32 1
		.amdhsa_uses_dynamic_stack 0
		.amdhsa_enable_private_segment 1
		.amdhsa_system_sgpr_workgroup_id_x 1
		.amdhsa_system_sgpr_workgroup_id_y 0
		.amdhsa_system_sgpr_workgroup_id_z 1
		.amdhsa_system_sgpr_workgroup_info 0
		.amdhsa_system_vgpr_workitem_id 0
		.amdhsa_next_free_vgpr 25
		.amdhsa_next_free_sgpr 31
		.amdhsa_reserve_vcc 1
		.amdhsa_float_round_mode_32 0
		.amdhsa_float_round_mode_16_64 0
		.amdhsa_float_denorm_mode_32 3
		.amdhsa_float_denorm_mode_16_64 3
		.amdhsa_dx10_clamp 1
		.amdhsa_ieee_mode 1
		.amdhsa_fp16_overflow 0
		.amdhsa_workgroup_processor_mode 1
		.amdhsa_memory_ordered 1
		.amdhsa_forward_progress 0
		.amdhsa_shared_vgpr_count 0
		.amdhsa_exception_fp_ieee_invalid_op 0
		.amdhsa_exception_fp_denorm_src 0
		.amdhsa_exception_fp_ieee_div_zero 0
		.amdhsa_exception_fp_ieee_overflow 0
		.amdhsa_exception_fp_ieee_underflow 0
		.amdhsa_exception_fp_ieee_inexact 0
		.amdhsa_exception_int_div_zero 0
	.end_amdhsa_kernel
	.section	.text._ZL30rocblas_trsm_small_left_deviceILi20ELi20ELb0E19rocblas_complex_numIdES1_PKPKS1_PKPS1_Ev13rocblas_fill_18rocblas_operation_17rocblas_diagonal_iiT3_T4_lilT5_lili,"axG",@progbits,_ZL30rocblas_trsm_small_left_deviceILi20ELi20ELb0E19rocblas_complex_numIdES1_PKPKS1_PKPS1_Ev13rocblas_fill_18rocblas_operation_17rocblas_diagonal_iiT3_T4_lilT5_lili,comdat
.Lfunc_end220:
	.size	_ZL30rocblas_trsm_small_left_deviceILi20ELi20ELb0E19rocblas_complex_numIdES1_PKPKS1_PKPS1_Ev13rocblas_fill_18rocblas_operation_17rocblas_diagonal_iiT3_T4_lilT5_lili, .Lfunc_end220-_ZL30rocblas_trsm_small_left_deviceILi20ELi20ELb0E19rocblas_complex_numIdES1_PKPKS1_PKPS1_Ev13rocblas_fill_18rocblas_operation_17rocblas_diagonal_iiT3_T4_lilT5_lili
                                        ; -- End function
	.section	.AMDGPU.csdata,"",@progbits
; Kernel info:
; codeLenInByte = 3188
; NumSgprs: 33
; NumVgprs: 25
; ScratchSize: 336
; MemoryBound: 0
; FloatMode: 240
; IeeeMode: 1
; LDSByteSize: 6400 bytes/workgroup (compile time only)
; SGPRBlocks: 4
; VGPRBlocks: 3
; NumSGPRsForWavesPerEU: 33
; NumVGPRsForWavesPerEU: 25
; Occupancy: 5
; WaveLimiterHint : 1
; COMPUTE_PGM_RSRC2:SCRATCH_EN: 1
; COMPUTE_PGM_RSRC2:USER_SGPR: 14
; COMPUTE_PGM_RSRC2:TRAP_HANDLER: 0
; COMPUTE_PGM_RSRC2:TGID_X_EN: 1
; COMPUTE_PGM_RSRC2:TGID_Y_EN: 0
; COMPUTE_PGM_RSRC2:TGID_Z_EN: 1
; COMPUTE_PGM_RSRC2:TIDIG_COMP_CNT: 0
	.section	.text._ZL38rocblas_trsm_small_left_device_sharedBILi20ELi20ELb1E19rocblas_complex_numIdES1_PKPKS1_PKPS1_Ev13rocblas_fill_18rocblas_operation_17rocblas_diagonal_iiT3_T4_lilT5_lili,"axG",@progbits,_ZL38rocblas_trsm_small_left_device_sharedBILi20ELi20ELb1E19rocblas_complex_numIdES1_PKPKS1_PKPS1_Ev13rocblas_fill_18rocblas_operation_17rocblas_diagonal_iiT3_T4_lilT5_lili,comdat
	.globl	_ZL38rocblas_trsm_small_left_device_sharedBILi20ELi20ELb1E19rocblas_complex_numIdES1_PKPKS1_PKPS1_Ev13rocblas_fill_18rocblas_operation_17rocblas_diagonal_iiT3_T4_lilT5_lili ; -- Begin function _ZL38rocblas_trsm_small_left_device_sharedBILi20ELi20ELb1E19rocblas_complex_numIdES1_PKPKS1_PKPS1_Ev13rocblas_fill_18rocblas_operation_17rocblas_diagonal_iiT3_T4_lilT5_lili
	.p2align	8
	.type	_ZL38rocblas_trsm_small_left_device_sharedBILi20ELi20ELb1E19rocblas_complex_numIdES1_PKPKS1_PKPS1_Ev13rocblas_fill_18rocblas_operation_17rocblas_diagonal_iiT3_T4_lilT5_lili,@function
_ZL38rocblas_trsm_small_left_device_sharedBILi20ELi20ELb1E19rocblas_complex_numIdES1_PKPKS1_PKPS1_Ev13rocblas_fill_18rocblas_operation_17rocblas_diagonal_iiT3_T4_lilT5_lili: ; @_ZL38rocblas_trsm_small_left_device_sharedBILi20ELi20ELb1E19rocblas_complex_numIdES1_PKPKS1_PKPS1_Ev13rocblas_fill_18rocblas_operation_17rocblas_diagonal_iiT3_T4_lilT5_lili
; %bb.0:
	s_clause 0x1
	s_load_b128 s[20:23], s[0:1], 0x48
	s_load_b128 s[16:19], s[0:1], 0x4
	s_mov_b32 s2, s15
	s_mov_b32 s3, 0
	s_load_b32 s29, s[0:1], 0x70
	s_lshl_b64 s[24:25], s[2:3], 3
	s_mov_b32 s30, exec_lo
	s_waitcnt lgkmcnt(0)
	s_add_u32 s12, s20, s24
	s_addc_u32 s13, s21, s25
	s_load_b256 s[4:11], s[0:1], 0x18
	s_load_b64 s[12:13], s[12:13], 0x0
	s_min_i32 s15, s18, 20
	s_delay_alu instid0(SALU_CYCLE_1)
	s_add_i32 s28, s15, -1
	v_cmpx_gt_i32_e64 s15, v0
	s_cbranch_execz .LBB221_15
; %bb.1:
	s_load_b32 s20, s[0:1], 0x38
	s_waitcnt lgkmcnt(0)
	s_ashr_i32 s21, s20, 31
	s_cmpk_eq_i32 s16, 0x71
	s_cselect_b32 vcc_lo, -1, 0
	s_add_u32 s8, s8, s24
	s_addc_u32 s9, s9, s25
	s_cmp_lt_u32 s28, 3
	s_load_b64 s[8:9], s[8:9], 0x0
	s_cbranch_scc1 .LBB221_4
; %bb.2:
	v_lshlrev_b32_e32 v1, 4, v0
	s_lshl_b64 s[24:25], s[10:11], 4
	s_and_b32 s3, s15, -4
	s_waitcnt lgkmcnt(0)
	s_add_u32 s2, s8, s24
	s_addc_u32 s24, s9, s25
	v_add_co_u32 v1, s2, s2, v1
	s_delay_alu instid0(VALU_DEP_1) | instskip(SKIP_1) | instid1(VALU_DEP_3)
	v_add_co_ci_u32_e64 v2, null, s24, 0, s2
	v_lshlrev_b32_e32 v3, 4, v0
	v_add_co_u32 v1, s2, v1, 8
	s_delay_alu instid0(VALU_DEP_1)
	v_add_co_ci_u32_e64 v2, s2, 0, v2, s2
	s_lshl_b64 s[24:25], s[20:21], 6
	s_lshl_b64 s[26:27], s[20:21], 4
	s_mov_b32 s31, 0
.LBB221_3:                              ; =>This Inner Loop Header: Depth=1
	v_add_co_u32 v8, s2, v1, s26
	s_delay_alu instid0(VALU_DEP_1) | instskip(SKIP_1) | instid1(VALU_DEP_2)
	v_add_co_ci_u32_e64 v9, s2, s27, v2, s2
	s_add_i32 s31, s31, 4
	v_add_co_u32 v12, s2, v8, s26
	s_delay_alu instid0(VALU_DEP_1) | instskip(SKIP_1) | instid1(VALU_DEP_2)
	v_add_co_ci_u32_e64 v13, s2, s27, v9, s2
	s_cmp_eq_u32 s3, s31
	v_add_co_u32 v16, s2, v12, s26
	s_delay_alu instid0(VALU_DEP_1)
	v_add_co_ci_u32_e64 v17, s2, s27, v13, s2
	s_clause 0x3
	global_load_b128 v[4:7], v[1:2], off offset:-8
	global_load_b128 v[8:11], v[8:9], off offset:-8
	;; [unrolled: 1-line block ×4, first 2 shown]
	v_add_co_u32 v1, s2, v1, s24
	s_delay_alu instid0(VALU_DEP_1)
	v_add_co_ci_u32_e64 v2, s2, s25, v2, s2
	s_waitcnt vmcnt(3)
	v_xor_b32_e32 v20, 0x80000000, v7
	s_waitcnt vmcnt(2)
	v_xor_b32_e32 v21, 0x80000000, v11
	;; [unrolled: 2-line block ×4, first 2 shown]
	v_cndmask_b32_e32 v7, v7, v20, vcc_lo
	v_cndmask_b32_e32 v11, v11, v21, vcc_lo
	;; [unrolled: 1-line block ×3, first 2 shown]
	s_delay_alu instid0(VALU_DEP_4)
	v_cndmask_b32_e32 v19, v19, v23, vcc_lo
	ds_store_b128 v3, v[4:7]
	ds_store_b128 v3, v[8:11] offset:320
	ds_store_b128 v3, v[12:15] offset:640
	;; [unrolled: 1-line block ×3, first 2 shown]
	v_add_nc_u32_e32 v3, 0x500, v3
	s_cbranch_scc0 .LBB221_3
.LBB221_4:
	s_and_b32 s24, s15, 3
	s_delay_alu instid0(SALU_CYCLE_1)
	s_cmp_eq_u32 s24, 0
	s_cbranch_scc1 .LBB221_7
; %bb.5:
	s_mul_i32 s2, s21, s3
	s_mul_hi_u32 s25, s20, s3
	s_mul_i32 s26, s20, s3
	s_add_i32 s27, s25, s2
	s_lshl_b64 s[10:11], s[10:11], 4
	s_lshl_b64 s[26:27], s[26:27], 4
	v_lshlrev_b32_e32 v1, 4, v0
	s_mul_i32 s2, s3, 0x140
	s_add_u32 s3, s26, s10
	s_addc_u32 s10, s27, s11
	s_waitcnt lgkmcnt(0)
	s_add_u32 s3, s8, s3
	s_addc_u32 s8, s9, s10
	v_add_co_u32 v1, s3, s3, v1
	s_delay_alu instid0(VALU_DEP_1) | instskip(SKIP_1) | instid1(VALU_DEP_3)
	v_add_co_ci_u32_e64 v2, null, s8, 0, s3
	v_lshl_add_u32 v3, v0, 4, s2
	v_add_co_u32 v1, s2, v1, 8
	s_delay_alu instid0(VALU_DEP_1)
	v_add_co_ci_u32_e64 v2, s2, 0, v2, s2
	s_lshl_b64 s[8:9], s[20:21], 4
.LBB221_6:                              ; =>This Inner Loop Header: Depth=1
	global_load_b128 v[4:7], v[1:2], off offset:-8
	v_add_co_u32 v1, s2, v1, s8
	s_delay_alu instid0(VALU_DEP_1) | instskip(SKIP_1) | instid1(SALU_CYCLE_1)
	v_add_co_ci_u32_e64 v2, s2, s9, v2, s2
	s_add_i32 s24, s24, -1
	s_cmp_lg_u32 s24, 0
	s_waitcnt vmcnt(0)
	v_xor_b32_e32 v8, 0x80000000, v7
	s_delay_alu instid0(VALU_DEP_1)
	v_cndmask_b32_e32 v7, v7, v8, vcc_lo
	ds_store_b128 v3, v[4:7]
	v_add_nc_u32_e32 v3, 0x140, v3
	s_cbranch_scc1 .LBB221_6
.LBB221_7:
	v_mul_u32_u24_e32 v1, 21, v0
	s_cmpk_lg_i32 s17, 0x84
	s_delay_alu instid0(VALU_DEP_1)
	v_lshlrev_b32_e32 v9, 4, v1
	s_cbranch_scc0 .LBB221_13
; %bb.8:
	ds_load_b128 v[1:4], v9
	s_waitcnt lgkmcnt(0)
	v_cmp_gt_f64_e32 vcc_lo, 0, v[1:2]
	v_xor_b32_e32 v6, 0x80000000, v2
	v_mov_b32_e32 v5, v1
	v_xor_b32_e32 v7, 0x80000000, v4
	s_delay_alu instid0(VALU_DEP_3) | instskip(SKIP_1) | instid1(VALU_DEP_3)
	v_cndmask_b32_e32 v6, v2, v6, vcc_lo
	v_cmp_gt_f64_e32 vcc_lo, 0, v[3:4]
	v_dual_cndmask_b32 v8, v4, v7 :: v_dual_mov_b32 v7, v3
	s_delay_alu instid0(VALU_DEP_1) | instskip(SKIP_1) | instid1(SALU_CYCLE_1)
	v_cmp_ngt_f64_e32 vcc_lo, v[5:6], v[7:8]
                                        ; implicit-def: $vgpr7_vgpr8
	s_and_saveexec_b32 s2, vcc_lo
	s_xor_b32 s2, exec_lo, s2
	s_cbranch_execz .LBB221_10
; %bb.9:
	v_div_scale_f64 v[5:6], null, v[3:4], v[3:4], v[1:2]
	v_div_scale_f64 v[12:13], vcc_lo, v[1:2], v[3:4], v[1:2]
	s_delay_alu instid0(VALU_DEP_2) | instskip(SKIP_2) | instid1(VALU_DEP_1)
	v_rcp_f64_e32 v[7:8], v[5:6]
	s_waitcnt_depctr 0xfff
	v_fma_f64 v[10:11], -v[5:6], v[7:8], 1.0
	v_fma_f64 v[7:8], v[7:8], v[10:11], v[7:8]
	s_delay_alu instid0(VALU_DEP_1) | instskip(NEXT) | instid1(VALU_DEP_1)
	v_fma_f64 v[10:11], -v[5:6], v[7:8], 1.0
	v_fma_f64 v[7:8], v[7:8], v[10:11], v[7:8]
	s_delay_alu instid0(VALU_DEP_1) | instskip(NEXT) | instid1(VALU_DEP_1)
	v_mul_f64 v[10:11], v[12:13], v[7:8]
	v_fma_f64 v[5:6], -v[5:6], v[10:11], v[12:13]
	s_delay_alu instid0(VALU_DEP_1) | instskip(NEXT) | instid1(VALU_DEP_1)
	v_div_fmas_f64 v[5:6], v[5:6], v[7:8], v[10:11]
	v_div_fixup_f64 v[5:6], v[5:6], v[3:4], v[1:2]
	s_delay_alu instid0(VALU_DEP_1) | instskip(NEXT) | instid1(VALU_DEP_1)
	v_fma_f64 v[1:2], v[1:2], v[5:6], v[3:4]
	v_div_scale_f64 v[3:4], null, v[1:2], v[1:2], 1.0
	v_div_scale_f64 v[12:13], vcc_lo, 1.0, v[1:2], 1.0
	s_delay_alu instid0(VALU_DEP_2) | instskip(SKIP_2) | instid1(VALU_DEP_1)
	v_rcp_f64_e32 v[7:8], v[3:4]
	s_waitcnt_depctr 0xfff
	v_fma_f64 v[10:11], -v[3:4], v[7:8], 1.0
	v_fma_f64 v[7:8], v[7:8], v[10:11], v[7:8]
	s_delay_alu instid0(VALU_DEP_1) | instskip(NEXT) | instid1(VALU_DEP_1)
	v_fma_f64 v[10:11], -v[3:4], v[7:8], 1.0
	v_fma_f64 v[7:8], v[7:8], v[10:11], v[7:8]
	s_delay_alu instid0(VALU_DEP_1) | instskip(NEXT) | instid1(VALU_DEP_1)
	v_mul_f64 v[10:11], v[12:13], v[7:8]
	v_fma_f64 v[3:4], -v[3:4], v[10:11], v[12:13]
	s_delay_alu instid0(VALU_DEP_1) | instskip(SKIP_1) | instid1(VALU_DEP_2)
	v_div_fmas_f64 v[3:4], v[3:4], v[7:8], v[10:11]
	v_add_f64 v[7:8], v[5:6], 0
	v_div_fixup_f64 v[1:2], v[3:4], v[1:2], 1.0
	v_fma_f64 v[3:4], v[5:6], 0, -1.0
	s_delay_alu instid0(VALU_DEP_2) | instskip(NEXT) | instid1(VALU_DEP_2)
	v_mul_f64 v[5:6], v[7:8], v[1:2]
	v_mul_f64 v[7:8], v[3:4], v[1:2]
                                        ; implicit-def: $vgpr1_vgpr2
.LBB221_10:
	s_and_not1_saveexec_b32 s2, s2
	s_cbranch_execz .LBB221_12
; %bb.11:
	v_div_scale_f64 v[5:6], null, v[1:2], v[1:2], v[3:4]
	v_div_scale_f64 v[12:13], vcc_lo, v[3:4], v[1:2], v[3:4]
	s_delay_alu instid0(VALU_DEP_2) | instskip(SKIP_2) | instid1(VALU_DEP_1)
	v_rcp_f64_e32 v[7:8], v[5:6]
	s_waitcnt_depctr 0xfff
	v_fma_f64 v[10:11], -v[5:6], v[7:8], 1.0
	v_fma_f64 v[7:8], v[7:8], v[10:11], v[7:8]
	s_delay_alu instid0(VALU_DEP_1) | instskip(NEXT) | instid1(VALU_DEP_1)
	v_fma_f64 v[10:11], -v[5:6], v[7:8], 1.0
	v_fma_f64 v[7:8], v[7:8], v[10:11], v[7:8]
	s_delay_alu instid0(VALU_DEP_1) | instskip(NEXT) | instid1(VALU_DEP_1)
	v_mul_f64 v[10:11], v[12:13], v[7:8]
	v_fma_f64 v[5:6], -v[5:6], v[10:11], v[12:13]
	s_delay_alu instid0(VALU_DEP_1) | instskip(NEXT) | instid1(VALU_DEP_1)
	v_div_fmas_f64 v[5:6], v[5:6], v[7:8], v[10:11]
	v_div_fixup_f64 v[5:6], v[5:6], v[1:2], v[3:4]
	s_delay_alu instid0(VALU_DEP_1) | instskip(NEXT) | instid1(VALU_DEP_1)
	v_fma_f64 v[1:2], v[3:4], v[5:6], v[1:2]
	v_div_scale_f64 v[3:4], null, v[1:2], v[1:2], 1.0
	v_div_scale_f64 v[12:13], vcc_lo, 1.0, v[1:2], 1.0
	s_delay_alu instid0(VALU_DEP_2) | instskip(SKIP_2) | instid1(VALU_DEP_1)
	v_rcp_f64_e32 v[7:8], v[3:4]
	s_waitcnt_depctr 0xfff
	v_fma_f64 v[10:11], -v[3:4], v[7:8], 1.0
	v_fma_f64 v[7:8], v[7:8], v[10:11], v[7:8]
	s_delay_alu instid0(VALU_DEP_1) | instskip(NEXT) | instid1(VALU_DEP_1)
	v_fma_f64 v[10:11], -v[3:4], v[7:8], 1.0
	v_fma_f64 v[7:8], v[7:8], v[10:11], v[7:8]
	s_delay_alu instid0(VALU_DEP_1) | instskip(NEXT) | instid1(VALU_DEP_1)
	v_mul_f64 v[10:11], v[12:13], v[7:8]
	v_fma_f64 v[3:4], -v[3:4], v[10:11], v[12:13]
	s_delay_alu instid0(VALU_DEP_1) | instskip(SKIP_1) | instid1(VALU_DEP_2)
	v_div_fmas_f64 v[3:4], v[3:4], v[7:8], v[10:11]
	v_fma_f64 v[7:8], v[5:6], 0, 1.0
	v_div_fixup_f64 v[1:2], v[3:4], v[1:2], 1.0
	v_add_f64 v[3:4], -v[5:6], 0
	s_delay_alu instid0(VALU_DEP_2) | instskip(NEXT) | instid1(VALU_DEP_2)
	v_mul_f64 v[5:6], v[7:8], v[1:2]
	v_mul_f64 v[7:8], v[3:4], v[1:2]
.LBB221_12:
	s_or_b32 exec_lo, exec_lo, s2
	s_branch .LBB221_14
.LBB221_13:
	v_mov_b32_e32 v5, 0
	v_dual_mov_b32 v6, 0x3ff00000 :: v_dual_mov_b32 v7, 0
	v_mov_b32_e32 v8, 0
.LBB221_14:
	ds_store_b128 v9, v[5:8]
.LBB221_15:
	s_or_b32 exec_lo, exec_lo, s30
	s_load_b32 s17, s[0:1], 0x58
	s_lshl_b64 s[0:1], s[22:23], 4
	s_mul_i32 s3, s14, 0xffffffec
	s_mul_i32 s2, s14, 20
	s_waitcnt lgkmcnt(0)
	s_ashr_i32 s20, s17, 31
	s_add_u32 s10, s12, s0
	s_addc_u32 s11, s13, s1
	s_add_i32 s29, s29, -1
	s_add_i32 s3, s3, s19
	s_mul_hi_i32 s9, s17, s2
	s_cmp_ge_u32 s14, s29
	s_mul_i32 s8, s17, s2
	s_cselect_b32 s21, s3, 20
	s_lshl_b64 s[8:9], s[8:9], 4
	s_ashr_i32 s3, s2, 31
	s_add_u32 s14, s10, s8
	s_addc_u32 s19, s11, s9
	v_cmp_gt_i32_e32 vcc_lo, s21, v0
	s_cmp_gt_i32 s18, 0
	s_mov_b32 s8, 0
	s_cselect_b32 s9, -1, 0
	s_delay_alu instid0(SALU_CYCLE_1) | instskip(NEXT) | instid1(SALU_CYCLE_1)
	s_and_b32 s21, vcc_lo, s9
	s_and_saveexec_b32 s22, s21
	s_cbranch_execz .LBB221_22
; %bb.16:
	s_cmp_lt_i32 s18, 8
	s_cbranch_scc1 .LBB221_19
; %bb.17:
	v_mad_i64_i32 v[1:2], null, s17, v0, 0
	v_lshl_add_u32 v3, v0, 4, 0x1900
	s_lshl_b32 s8, s15, 4
	s_mov_b64 s[10:11], 0
	s_and_b32 s9, s8, 0x180
	s_mov_b32 s8, 0
	s_delay_alu instid0(VALU_DEP_2) | instskip(NEXT) | instid1(VALU_DEP_1)
	v_lshlrev_b64 v[1:2], 4, v[1:2]
	v_add_co_u32 v1, vcc_lo, s14, v1
	s_delay_alu instid0(VALU_DEP_2)
	v_add_co_ci_u32_e32 v2, vcc_lo, s19, v2, vcc_lo
.LBB221_18:                             ; =>This Inner Loop Header: Depth=1
	s_delay_alu instid0(VALU_DEP_2) | instskip(NEXT) | instid1(VALU_DEP_2)
	v_add_co_u32 v32, vcc_lo, v1, s10
	v_add_co_ci_u32_e32 v33, vcc_lo, s11, v2, vcc_lo
	s_add_i32 s8, s8, 8
	s_add_u32 s10, s10, 0x80
	s_addc_u32 s11, s11, 0
	s_clause 0x7
	global_load_b128 v[4:7], v[32:33], off
	global_load_b128 v[8:11], v[32:33], off offset:16
	global_load_b128 v[12:15], v[32:33], off offset:32
	;; [unrolled: 1-line block ×7, first 2 shown]
	s_cmp_lg_u32 s9, s10
	s_waitcnt vmcnt(7)
	v_mul_f64 v[36:37], s[6:7], v[6:7]
	v_mul_f64 v[6:7], s[4:5], v[6:7]
	s_waitcnt vmcnt(6)
	v_mul_f64 v[38:39], s[6:7], v[10:11]
	v_mul_f64 v[10:11], s[4:5], v[10:11]
	;; [unrolled: 3-line block ×8, first 2 shown]
	v_fma_f64 v[34:35], s[4:5], v[4:5], -v[36:37]
	v_fma_f64 v[36:37], s[6:7], v[4:5], v[6:7]
	v_fma_f64 v[4:5], s[4:5], v[8:9], -v[38:39]
	v_fma_f64 v[6:7], s[6:7], v[8:9], v[10:11]
	;; [unrolled: 2-line block ×8, first 2 shown]
	ds_store_b128 v3, v[34:37]
	ds_store_b128 v3, v[4:7] offset:320
	ds_store_b128 v3, v[8:11] offset:640
	;; [unrolled: 1-line block ×7, first 2 shown]
	v_add_nc_u32_e32 v3, 0xa00, v3
	s_cbranch_scc1 .LBB221_18
.LBB221_19:
	s_and_b32 s10, s15, 7
	s_mov_b32 s9, 0
	s_cmp_eq_u32 s10, 0
	s_cbranch_scc1 .LBB221_22
; %bb.20:
	v_lshlrev_b32_e32 v3, 4, v0
	s_lshl_b64 s[24:25], s[2:3], 4
	s_lshl_b64 s[26:27], s[8:9], 4
	s_mulk_i32 s8, 0x140
	s_delay_alu instid0(VALU_DEP_1) | instskip(NEXT) | instid1(VALU_DEP_1)
	v_add_co_u32 v4, s9, s24, v3
	v_add_co_ci_u32_e64 v5, null, s25, 0, s9
	s_add_u32 s9, s12, s26
	s_addc_u32 s11, s13, s27
	s_add_u32 s24, s9, s0
	s_addc_u32 s25, s11, s1
	v_mul_lo_u32 v5, v5, s17
	v_mad_u64_u32 v[1:2], null, v4, s17, s[24:25]
	v_mul_lo_u32 v4, v4, s20
	v_add3_u32 v3, s8, v3, 0x1900
	s_delay_alu instid0(VALU_DEP_3) | instskip(NEXT) | instid1(VALU_DEP_3)
	v_add_co_u32 v1, vcc_lo, v1, 8
	v_add3_u32 v2, v5, v2, v4
	s_delay_alu instid0(VALU_DEP_1)
	v_add_co_ci_u32_e32 v2, vcc_lo, 0, v2, vcc_lo
	.p2align	6
.LBB221_21:                             ; =>This Inner Loop Header: Depth=1
	global_load_b128 v[4:7], v[1:2], off offset:-8
	v_add_co_u32 v1, vcc_lo, v1, 16
	v_add_co_ci_u32_e32 v2, vcc_lo, 0, v2, vcc_lo
	s_add_i32 s10, s10, -1
	s_delay_alu instid0(SALU_CYCLE_1) | instskip(SKIP_3) | instid1(VALU_DEP_2)
	s_cmp_lg_u32 s10, 0
	s_waitcnt vmcnt(0)
	v_mul_f64 v[8:9], s[6:7], v[6:7]
	v_mul_f64 v[10:11], s[4:5], v[6:7]
	v_fma_f64 v[6:7], s[4:5], v[4:5], -v[8:9]
	s_delay_alu instid0(VALU_DEP_2)
	v_fma_f64 v[8:9], s[6:7], v[4:5], v[10:11]
	ds_store_b128 v3, v[6:9]
	v_add_nc_u32_e32 v3, 0x140, v3
	s_cbranch_scc1 .LBB221_21
.LBB221_22:
	s_or_b32 exec_lo, exec_lo, s22
	s_or_b32 s6, 0, 8
	s_cmpk_eq_i32 s16, 0x6f
	s_mov_b32 s4, -1
	s_waitcnt vmcnt(0) lgkmcnt(0)
	s_waitcnt_vscnt null, 0x0
	; wave barrier
	s_waitcnt lgkmcnt(0)
	buffer_gl0_inv
	s_cbranch_scc1 .LBB221_43
; %bb.23:
	v_lshl_add_u32 v5, v0, 4, 0x1900
	s_lshl_b32 s7, s15, 4
	s_mov_b32 s5, 0
	s_add_i32 s7, s7, -16
	s_mov_b32 s4, s5
	s_mov_b32 s8, s28
	s_branch .LBB221_25
.LBB221_24:                             ;   in Loop: Header=BB221_25 Depth=1
	s_cmp_lt_i32 s8, 0
	s_cselect_b32 s9, -1, 0
	s_add_i32 s4, s4, 1
	s_delay_alu instid0(SALU_CYCLE_1) | instskip(SKIP_1) | instid1(SALU_CYCLE_1)
	s_cmp_eq_u32 s4, 3
	s_cselect_b32 s10, -1, 0
	s_or_b32 s9, s9, s10
	s_delay_alu instid0(SALU_CYCLE_1)
	s_and_not1_b32 vcc_lo, exec_lo, s9
	s_cbranch_vccz .LBB221_42
.LBB221_25:                             ; =>This Loop Header: Depth=1
                                        ;     Child Loop BB221_28 Depth 2
                                        ;       Child Loop BB221_29 Depth 3
                                        ;       Child Loop BB221_31 Depth 3
                                        ;         Child Loop BB221_32 Depth 4
                                        ;       Child Loop BB221_36 Depth 3
                                        ;         Child Loop BB221_38 Depth 4
	s_getpc_b64 s[10:11]
	s_add_u32 s10, s10, __const._ZL38rocblas_trsm_small_left_device_sharedBILi20ELi20ELb1E19rocblas_complex_numIdES1_PKPKS1_PKPS1_Ev13rocblas_fill_18rocblas_operation_17rocblas_diagonal_iiT3_T4_lilT5_lili.step_sizes@rel32@lo+4
	s_addc_u32 s11, s11, __const._ZL38rocblas_trsm_small_left_device_sharedBILi20ELi20ELb1E19rocblas_complex_numIdES1_PKPKS1_PKPS1_Ev13rocblas_fill_18rocblas_operation_17rocblas_diagonal_iiT3_T4_lilT5_lili.step_sizes@rel32@hi+12
	s_lshl_b64 s[22:23], s[4:5], 2
	s_delay_alu instid0(SALU_CYCLE_1) | instskip(SKIP_4) | instid1(SALU_CYCLE_1)
	s_add_u32 s10, s22, s10
	s_addc_u32 s11, s23, s11
	s_load_b32 s9, s[10:11], 0x0
	s_waitcnt lgkmcnt(0)
	s_add_i32 s10, s9, -1
	s_cmp_lt_i32 s8, s10
	s_cbranch_scc1 .LBB221_24
; %bb.26:                               ;   in Loop: Header=BB221_25 Depth=1
	s_mul_i32 s22, s8, 0x140
	s_max_i32 s11, s9, 1
	v_add_nc_u32_e32 v6, s22, v5
	s_mul_i32 s16, s9, 0xfffffec0
	s_add_i32 s22, s7, s22
	s_mul_i32 s23, s8, 0x150
	s_mul_i32 s24, s9, 0xfffffeb0
	s_branch .LBB221_28
.LBB221_27:                             ;   in Loop: Header=BB221_28 Depth=2
	v_add_nc_u32_e32 v6, s16, v6
	s_sub_i32 s8, s8, s9
	s_add_i32 s22, s22, s16
	s_add_i32 s23, s23, s24
	s_cmp_lt_i32 s8, s10
	s_cbranch_scc1 .LBB221_24
.LBB221_28:                             ;   Parent Loop BB221_25 Depth=1
                                        ; =>  This Loop Header: Depth=2
                                        ;       Child Loop BB221_29 Depth 3
                                        ;       Child Loop BB221_31 Depth 3
                                        ;         Child Loop BB221_32 Depth 4
                                        ;       Child Loop BB221_36 Depth 3
                                        ;         Child Loop BB221_38 Depth 4
	v_dual_mov_b32 v1, 0 :: v_dual_mov_b32 v2, v6
	s_mov_b32 s25, s11
.LBB221_29:                             ;   Parent Loop BB221_25 Depth=1
                                        ;     Parent Loop BB221_28 Depth=2
                                        ; =>    This Inner Loop Header: Depth=3
	ds_load_b128 v[7:10], v2
	v_add_nc_u32_e32 v2, 0xfffffec0, v2
	s_add_i32 s25, s25, -1
	s_delay_alu instid0(SALU_CYCLE_1)
	s_cmp_eq_u32 s25, 0
	s_waitcnt lgkmcnt(0)
	scratch_store_b128 v1, v[7:10], off
	v_add_nc_u32_e32 v1, 16, v1
	s_cbranch_scc0 .LBB221_29
; %bb.30:                               ;   in Loop: Header=BB221_28 Depth=2
	s_cmp_le_i32 s28, s8
	s_mov_b32 s25, s22
	s_mov_b32 s26, s28
	s_cbranch_scc1 .LBB221_34
	.p2align	6
.LBB221_31:                             ;   Parent Loop BB221_25 Depth=1
                                        ;     Parent Loop BB221_28 Depth=2
                                        ; =>    This Loop Header: Depth=3
                                        ;         Child Loop BB221_32 Depth 4
	s_mul_i32 s27, s26, 20
	s_mov_b32 s29, s25
	v_add_lshl_u32 v1, s27, v0, 4
	s_mov_b32 s27, s6
	s_mov_b32 s30, s11
	ds_load_b128 v[1:4], v1 offset:6400
	.p2align	6
.LBB221_32:                             ;   Parent Loop BB221_25 Depth=1
                                        ;     Parent Loop BB221_28 Depth=2
                                        ;       Parent Loop BB221_31 Depth=3
                                        ; =>      This Inner Loop Header: Depth=4
	scratch_load_b128 v[7:10], off, s27 offset:-8
	v_mov_b32_e32 v11, s29
	s_add_i32 s30, s30, -1
	s_addk_i32 s29, 0xfec0
	ds_load_b128 v[11:14], v11
	s_waitcnt lgkmcnt(0)
	v_mul_f64 v[15:16], v[3:4], v[13:14]
	v_mul_f64 v[13:14], v[1:2], v[13:14]
	s_delay_alu instid0(VALU_DEP_2) | instskip(NEXT) | instid1(VALU_DEP_2)
	v_fma_f64 v[15:16], v[1:2], v[11:12], -v[15:16]
	v_fma_f64 v[11:12], v[3:4], v[11:12], v[13:14]
	s_waitcnt vmcnt(0)
	s_delay_alu instid0(VALU_DEP_2) | instskip(NEXT) | instid1(VALU_DEP_2)
	v_add_f64 v[7:8], v[7:8], -v[15:16]
	v_add_f64 v[9:10], v[9:10], -v[11:12]
	scratch_store_b128 off, v[7:10], s27 offset:-8
	s_add_i32 s27, s27, 16
	s_cmp_eq_u32 s30, 0
	s_cbranch_scc0 .LBB221_32
; %bb.33:                               ;   in Loop: Header=BB221_31 Depth=3
	s_add_i32 s26, s26, -1
	s_add_i32 s25, s25, -16
	s_cmp_le_i32 s26, s8
	s_cbranch_scc0 .LBB221_31
.LBB221_34:                             ;   in Loop: Header=BB221_28 Depth=2
	s_mul_i32 s25, s8, 20
	s_mov_b32 s26, 0
	s_mov_b32 s27, s23
	s_branch .LBB221_36
.LBB221_35:                             ;   in Loop: Header=BB221_36 Depth=3
	s_mulk_i32 s30, 0x150
	s_addk_i32 s27, 0xfec0
	v_mov_b32_e32 v7, s30
	s_lshl_b32 s30, s26, 4
	s_add_i32 s26, s26, 1
	ds_load_b128 v[7:10], v7
	s_waitcnt vmcnt(0) lgkmcnt(0)
	v_mul_f64 v[11:12], v[9:10], v[3:4]
	v_mul_f64 v[3:4], v[7:8], v[3:4]
	s_delay_alu instid0(VALU_DEP_2) | instskip(NEXT) | instid1(VALU_DEP_2)
	v_fma_f64 v[7:8], v[7:8], v[1:2], -v[11:12]
	v_fma_f64 v[9:10], v[9:10], v[1:2], v[3:4]
	v_add_lshl_u32 v1, s29, v0, 4
	s_add_i32 s29, s30, 0
	s_cmp_eq_u32 s26, s11
	scratch_store_b128 off, v[7:10], s29
	ds_store_b128 v1, v[7:10] offset:6400
	s_cbranch_scc1 .LBB221_27
.LBB221_36:                             ;   Parent Loop BB221_25 Depth=1
                                        ;     Parent Loop BB221_28 Depth=2
                                        ; =>    This Loop Header: Depth=3
                                        ;         Child Loop BB221_38 Depth 4
	s_cmp_lg_u32 s26, 0
	s_cbranch_scc0 .LBB221_40
; %bb.37:                               ;   in Loop: Header=BB221_36 Depth=3
	s_lshl_b32 s31, s26, 4
	s_sub_i32 s30, s8, s26
	s_add_i32 s29, s31, 0
	v_add_nc_u32_e64 v7, s31, 0
	scratch_load_b128 v[1:4], off, s29
	s_mul_i32 s29, s30, 20
	s_mov_b32 s31, 0
	s_mov_b32 s33, s6
	;; [unrolled: 1-line block ×3, first 2 shown]
	.p2align	6
.LBB221_38:                             ;   Parent Loop BB221_25 Depth=1
                                        ;     Parent Loop BB221_28 Depth=2
                                        ;       Parent Loop BB221_36 Depth=3
                                        ; =>      This Inner Loop Header: Depth=4
	scratch_load_b128 v[8:11], off, s33 offset:-8
	v_mov_b32_e32 v12, s34
	s_add_i32 s31, s31, 1
	s_add_i32 s34, s34, -16
	s_add_i32 s33, s33, 16
	s_cmp_ge_u32 s31, s26
	ds_load_b128 v[12:15], v12
	s_waitcnt vmcnt(0) lgkmcnt(0)
	v_mul_f64 v[16:17], v[14:15], v[10:11]
	v_mul_f64 v[10:11], v[12:13], v[10:11]
	s_delay_alu instid0(VALU_DEP_2) | instskip(NEXT) | instid1(VALU_DEP_2)
	v_fma_f64 v[12:13], v[12:13], v[8:9], -v[16:17]
	v_fma_f64 v[8:9], v[14:15], v[8:9], v[10:11]
	s_delay_alu instid0(VALU_DEP_2) | instskip(NEXT) | instid1(VALU_DEP_2)
	v_add_f64 v[1:2], v[1:2], -v[12:13]
	v_add_f64 v[3:4], v[3:4], -v[8:9]
	scratch_store_b128 v7, v[1:4], off
	s_cbranch_scc0 .LBB221_38
; %bb.39:                               ;   in Loop: Header=BB221_36 Depth=3
	s_branch .LBB221_35
.LBB221_40:                             ;   in Loop: Header=BB221_36 Depth=3
                                        ; implicit-def: $vgpr1_vgpr2
                                        ; implicit-def: $sgpr30
                                        ; implicit-def: $sgpr29
	s_cbranch_execz .LBB221_35
; %bb.41:                               ;   in Loop: Header=BB221_36 Depth=3
	scratch_load_b128 v[1:4], off, off
	s_mov_b32 s29, s25
	s_mov_b32 s30, s8
	s_branch .LBB221_35
.LBB221_42:
	s_mov_b32 s4, 0
.LBB221_43:
	s_delay_alu instid0(SALU_CYCLE_1)
	s_and_b32 vcc_lo, exec_lo, s4
	s_cbranch_vccz .LBB221_64
; %bb.44:
	v_lshl_add_u32 v5, v0, 4, 0x1900
	s_mov_b32 s5, 0
	s_delay_alu instid0(SALU_CYCLE_1)
	s_mov_b32 s4, s5
	s_mov_b32 s7, s5
	s_branch .LBB221_46
.LBB221_45:                             ;   in Loop: Header=BB221_46 Depth=1
	s_cmp_ge_i32 s7, s15
	s_cselect_b32 s8, -1, 0
	s_add_i32 s4, s4, 1
	s_delay_alu instid0(SALU_CYCLE_1) | instskip(SKIP_1) | instid1(SALU_CYCLE_1)
	s_cmp_eq_u32 s4, 3
	s_cselect_b32 s9, -1, 0
	s_or_b32 s8, s8, s9
	s_delay_alu instid0(SALU_CYCLE_1)
	s_and_b32 vcc_lo, exec_lo, s8
	s_cbranch_vccnz .LBB221_64
.LBB221_46:                             ; =>This Loop Header: Depth=1
                                        ;     Child Loop BB221_49 Depth 2
                                        ;       Child Loop BB221_50 Depth 3
                                        ;       Child Loop BB221_53 Depth 3
                                        ;         Child Loop BB221_54 Depth 4
                                        ;       Child Loop BB221_58 Depth 3
                                        ;         Child Loop BB221_60 Depth 4
	s_getpc_b64 s[8:9]
	s_add_u32 s8, s8, __const._ZL38rocblas_trsm_small_left_device_sharedBILi20ELi20ELb1E19rocblas_complex_numIdES1_PKPKS1_PKPS1_Ev13rocblas_fill_18rocblas_operation_17rocblas_diagonal_iiT3_T4_lilT5_lili.step_sizes@rel32@lo+4
	s_addc_u32 s9, s9, __const._ZL38rocblas_trsm_small_left_device_sharedBILi20ELi20ELb1E19rocblas_complex_numIdES1_PKPKS1_PKPS1_Ev13rocblas_fill_18rocblas_operation_17rocblas_diagonal_iiT3_T4_lilT5_lili.step_sizes@rel32@hi+12
	s_lshl_b64 s[10:11], s[4:5], 2
	s_delay_alu instid0(SALU_CYCLE_1) | instskip(SKIP_4) | instid1(SALU_CYCLE_1)
	s_add_u32 s8, s10, s8
	s_addc_u32 s9, s11, s9
	s_load_b32 s8, s[8:9], 0x0
	s_waitcnt lgkmcnt(0)
	s_add_i32 s9, s8, -1
	s_add_i32 s10, s9, s7
	s_delay_alu instid0(SALU_CYCLE_1)
	s_cmp_ge_i32 s10, s15
	s_cbranch_scc1 .LBB221_45
; %bb.47:                               ;   in Loop: Header=BB221_46 Depth=1
	v_mad_u64_u32 v[6:7], null, 0x140, s7, v[5:6]
	s_max_i32 s10, s8, 1
	s_mul_i32 s11, s8, 0x140
	s_lshl_b32 s16, s7, 4
	s_lshl_b32 s22, s8, 4
	s_mul_i32 s23, s7, 0x150
	s_mul_i32 s24, s8, 0x150
	s_branch .LBB221_49
.LBB221_48:                             ;   in Loop: Header=BB221_49 Depth=2
	s_add_i32 s7, s7, s8
	v_add_nc_u32_e32 v6, s11, v6
	s_add_i32 s25, s9, s7
	s_add_i32 s16, s16, s22
	;; [unrolled: 1-line block ×3, first 2 shown]
	s_cmp_ge_i32 s25, s15
	s_cbranch_scc1 .LBB221_45
.LBB221_49:                             ;   Parent Loop BB221_46 Depth=1
                                        ; =>  This Loop Header: Depth=2
                                        ;       Child Loop BB221_50 Depth 3
                                        ;       Child Loop BB221_53 Depth 3
                                        ;         Child Loop BB221_54 Depth 4
                                        ;       Child Loop BB221_58 Depth 3
                                        ;         Child Loop BB221_60 Depth 4
	v_dual_mov_b32 v1, 0 :: v_dual_mov_b32 v2, v6
	s_mov_b32 s25, s10
.LBB221_50:                             ;   Parent Loop BB221_46 Depth=1
                                        ;     Parent Loop BB221_49 Depth=2
                                        ; =>    This Inner Loop Header: Depth=3
	ds_load_b128 v[7:10], v2
	v_add_nc_u32_e32 v2, 0x140, v2
	s_add_i32 s25, s25, -1
	s_delay_alu instid0(SALU_CYCLE_1)
	s_cmp_eq_u32 s25, 0
	s_waitcnt lgkmcnt(0)
	scratch_store_b128 v1, v[7:10], off
	v_add_nc_u32_e32 v1, 16, v1
	s_cbranch_scc0 .LBB221_50
; %bb.51:                               ;   in Loop: Header=BB221_49 Depth=2
	s_cmp_lt_i32 s7, 1
	s_cbranch_scc1 .LBB221_56
; %bb.52:                               ;   in Loop: Header=BB221_49 Depth=2
	s_mov_b32 s25, 0
	s_mov_b32 s26, s16
	s_set_inst_prefetch_distance 0x1
	.p2align	6
.LBB221_53:                             ;   Parent Loop BB221_46 Depth=1
                                        ;     Parent Loop BB221_49 Depth=2
                                        ; =>    This Loop Header: Depth=3
                                        ;         Child Loop BB221_54 Depth 4
	s_mul_i32 s27, s25, 20
	s_mov_b32 s28, s26
	v_add_lshl_u32 v1, s27, v0, 4
	s_mov_b32 s27, s6
	s_mov_b32 s29, s10
	ds_load_b128 v[1:4], v1 offset:6400
	.p2align	6
.LBB221_54:                             ;   Parent Loop BB221_46 Depth=1
                                        ;     Parent Loop BB221_49 Depth=2
                                        ;       Parent Loop BB221_53 Depth=3
                                        ; =>      This Inner Loop Header: Depth=4
	scratch_load_b128 v[7:10], off, s27 offset:-8
	v_mov_b32_e32 v11, s28
	s_add_i32 s29, s29, -1
	s_add_i32 s28, s28, 16
	ds_load_b128 v[11:14], v11
	s_waitcnt lgkmcnt(0)
	v_mul_f64 v[15:16], v[3:4], v[13:14]
	v_mul_f64 v[13:14], v[1:2], v[13:14]
	s_delay_alu instid0(VALU_DEP_2) | instskip(NEXT) | instid1(VALU_DEP_2)
	v_fma_f64 v[15:16], v[1:2], v[11:12], -v[15:16]
	v_fma_f64 v[11:12], v[3:4], v[11:12], v[13:14]
	s_waitcnt vmcnt(0)
	s_delay_alu instid0(VALU_DEP_2) | instskip(NEXT) | instid1(VALU_DEP_2)
	v_add_f64 v[7:8], v[7:8], -v[15:16]
	v_add_f64 v[9:10], v[9:10], -v[11:12]
	scratch_store_b128 off, v[7:10], s27 offset:-8
	s_add_i32 s27, s27, 16
	s_cmp_eq_u32 s29, 0
	s_cbranch_scc0 .LBB221_54
; %bb.55:                               ;   in Loop: Header=BB221_53 Depth=3
	s_add_i32 s25, s25, 1
	s_addk_i32 s26, 0x140
	s_cmp_ge_i32 s25, s7
	s_cbranch_scc0 .LBB221_53
.LBB221_56:                             ;   in Loop: Header=BB221_49 Depth=2
	s_set_inst_prefetch_distance 0x2
	s_mov_b32 s25, 0
	s_mov_b32 s26, s23
	s_branch .LBB221_58
.LBB221_57:                             ;   in Loop: Header=BB221_58 Depth=3
	s_mul_i32 s28, s27, 0x150
	s_mul_i32 s27, s27, 20
	v_mov_b32_e32 v7, s28
	s_lshl_b32 s28, s25, 4
	s_add_i32 s25, s25, 1
	s_add_i32 s26, s26, 16
	ds_load_b128 v[7:10], v7
	s_waitcnt vmcnt(0) lgkmcnt(0)
	v_mul_f64 v[11:12], v[9:10], v[3:4]
	v_mul_f64 v[3:4], v[7:8], v[3:4]
	s_delay_alu instid0(VALU_DEP_2) | instskip(NEXT) | instid1(VALU_DEP_2)
	v_fma_f64 v[7:8], v[7:8], v[1:2], -v[11:12]
	v_fma_f64 v[9:10], v[9:10], v[1:2], v[3:4]
	v_add_lshl_u32 v1, s27, v0, 4
	s_add_i32 s27, s28, 0
	s_cmp_eq_u32 s25, s10
	scratch_store_b128 off, v[7:10], s27
	ds_store_b128 v1, v[7:10] offset:6400
	s_cbranch_scc1 .LBB221_48
.LBB221_58:                             ;   Parent Loop BB221_46 Depth=1
                                        ;     Parent Loop BB221_49 Depth=2
                                        ; =>    This Loop Header: Depth=3
                                        ;         Child Loop BB221_60 Depth 4
	s_cmp_lg_u32 s25, 0
	s_cbranch_scc0 .LBB221_62
; %bb.59:                               ;   in Loop: Header=BB221_58 Depth=3
	s_lshl_b32 s28, s25, 4
	s_mov_b32 s29, s6
	s_add_i32 s27, s28, 0
	v_add_nc_u32_e64 v7, s28, 0
	scratch_load_b128 v[1:4], off, s27
	s_add_i32 s27, s25, s7
	s_mov_b32 s28, 0
	s_mov_b32 s30, s26
	.p2align	6
.LBB221_60:                             ;   Parent Loop BB221_46 Depth=1
                                        ;     Parent Loop BB221_49 Depth=2
                                        ;       Parent Loop BB221_58 Depth=3
                                        ; =>      This Inner Loop Header: Depth=4
	scratch_load_b128 v[8:11], off, s29 offset:-8
	v_mov_b32_e32 v12, s30
	s_add_i32 s28, s28, 1
	s_addk_i32 s30, 0x140
	s_add_i32 s29, s29, 16
	s_cmp_ge_u32 s28, s25
	ds_load_b128 v[12:15], v12
	s_waitcnt vmcnt(0) lgkmcnt(0)
	v_mul_f64 v[16:17], v[14:15], v[10:11]
	v_mul_f64 v[10:11], v[12:13], v[10:11]
	s_delay_alu instid0(VALU_DEP_2) | instskip(NEXT) | instid1(VALU_DEP_2)
	v_fma_f64 v[12:13], v[12:13], v[8:9], -v[16:17]
	v_fma_f64 v[8:9], v[14:15], v[8:9], v[10:11]
	s_delay_alu instid0(VALU_DEP_2) | instskip(NEXT) | instid1(VALU_DEP_2)
	v_add_f64 v[1:2], v[1:2], -v[12:13]
	v_add_f64 v[3:4], v[3:4], -v[8:9]
	scratch_store_b128 v7, v[1:4], off
	s_cbranch_scc0 .LBB221_60
; %bb.61:                               ;   in Loop: Header=BB221_58 Depth=3
	s_branch .LBB221_57
.LBB221_62:                             ;   in Loop: Header=BB221_58 Depth=3
                                        ; implicit-def: $vgpr1_vgpr2
                                        ; implicit-def: $sgpr27
	s_cbranch_execz .LBB221_57
; %bb.63:                               ;   in Loop: Header=BB221_58 Depth=3
	scratch_load_b128 v[1:4], off, off
	s_mov_b32 s27, s7
	s_branch .LBB221_57
.LBB221_64:
	s_waitcnt vmcnt(0) lgkmcnt(0)
	s_waitcnt_vscnt null, 0x0
	; wave barrier
	s_waitcnt lgkmcnt(0)
	s_waitcnt_vscnt null, 0x0
	buffer_gl0_inv
	s_and_saveexec_b32 s4, s21
	s_cbranch_execz .LBB221_71
; %bb.65:
	s_cmp_lt_i32 s18, 8
	s_mov_b32 s4, 0
	s_cbranch_scc1 .LBB221_68
; %bb.66:
	v_mad_i64_i32 v[1:2], null, s17, v0, 0
	v_lshl_add_u32 v3, v0, 4, 0x1900
	s_lshl_b32 s4, s15, 4
	s_mov_b64 s[6:7], 0
	s_and_b32 s5, s4, 0x180
	s_mov_b32 s4, 0
	s_delay_alu instid0(VALU_DEP_2) | instskip(NEXT) | instid1(VALU_DEP_1)
	v_lshlrev_b64 v[1:2], 4, v[1:2]
	v_add_co_u32 v1, vcc_lo, s14, v1
	s_delay_alu instid0(VALU_DEP_2)
	v_add_co_ci_u32_e32 v2, vcc_lo, s19, v2, vcc_lo
	s_set_inst_prefetch_distance 0x1
	.p2align	6
.LBB221_67:                             ; =>This Inner Loop Header: Depth=1
	v_add_nc_u32_e32 v32, 0x8c0, v3
	ds_load_2addr_b64 v[4:7], v3 offset1:1
	ds_load_2addr_b64 v[8:11], v3 offset0:40 offset1:41
	ds_load_2addr_b64 v[12:15], v3 offset0:80 offset1:81
	;; [unrolled: 1-line block ×6, first 2 shown]
	ds_load_2addr_b64 v[32:35], v32 offset1:1
	v_add_co_u32 v36, vcc_lo, v1, s6
	v_add_co_ci_u32_e32 v37, vcc_lo, s7, v2, vcc_lo
	s_add_i32 s4, s4, 8
	v_add_nc_u32_e32 v3, 0xa00, v3
	s_add_u32 s6, s6, 0x80
	s_addc_u32 s7, s7, 0
	s_cmp_lg_u32 s5, s6
	s_waitcnt lgkmcnt(7)
	global_store_b128 v[36:37], v[4:7], off
	s_waitcnt lgkmcnt(6)
	global_store_b128 v[36:37], v[8:11], off offset:16
	s_waitcnt lgkmcnt(5)
	global_store_b128 v[36:37], v[12:15], off offset:32
	;; [unrolled: 2-line block ×7, first 2 shown]
	s_cbranch_scc1 .LBB221_67
.LBB221_68:
	s_set_inst_prefetch_distance 0x2
	s_and_b32 s6, s15, 7
	s_mov_b32 s5, 0
	s_cmp_eq_u32 s6, 0
	s_cbranch_scc1 .LBB221_71
; %bb.69:
	v_lshlrev_b32_e32 v2, 4, v0
	s_lshl_b64 s[2:3], s[2:3], 4
	s_lshl_b64 s[8:9], s[4:5], 4
	s_delay_alu instid0(VALU_DEP_1) | instskip(NEXT) | instid1(VALU_DEP_1)
	v_add_co_u32 v3, s2, s2, v2
	v_add_co_ci_u32_e64 v4, null, s3, 0, s2
	s_add_u32 s2, s12, s8
	s_addc_u32 s3, s13, s9
	s_add_u32 s0, s2, s0
	s_addc_u32 s1, s3, s1
	v_mul_lo_u32 v4, v4, s17
	v_mad_u64_u32 v[0:1], null, v3, s17, s[0:1]
	v_mul_lo_u32 v3, v3, s20
	s_mul_i32 s0, s4, 0x140
	s_delay_alu instid0(SALU_CYCLE_1) | instskip(NEXT) | instid1(VALU_DEP_2)
	v_add3_u32 v2, s0, v2, 0x1900
	v_add3_u32 v1, v4, v1, v3
.LBB221_70:                             ; =>This Inner Loop Header: Depth=1
	ds_load_2addr_b64 v[3:6], v2 offset1:1
	v_add_nc_u32_e32 v2, 0x140, v2
	s_add_i32 s6, s6, -1
	s_delay_alu instid0(SALU_CYCLE_1)
	s_cmp_lg_u32 s6, 0
	s_waitcnt lgkmcnt(0)
	global_store_b128 v[0:1], v[3:6], off
	v_add_co_u32 v0, vcc_lo, v0, 16
	v_add_co_ci_u32_e32 v1, vcc_lo, 0, v1, vcc_lo
	s_cbranch_scc1 .LBB221_70
.LBB221_71:
	s_nop 0
	s_sendmsg sendmsg(MSG_DEALLOC_VGPRS)
	s_endpgm
	.section	.rodata,"a",@progbits
	.p2align	6, 0x0
	.amdhsa_kernel _ZL38rocblas_trsm_small_left_device_sharedBILi20ELi20ELb1E19rocblas_complex_numIdES1_PKPKS1_PKPS1_Ev13rocblas_fill_18rocblas_operation_17rocblas_diagonal_iiT3_T4_lilT5_lili
		.amdhsa_group_segment_fixed_size 12800
		.amdhsa_private_segment_fixed_size 336
		.amdhsa_kernarg_size 368
		.amdhsa_user_sgpr_count 14
		.amdhsa_user_sgpr_dispatch_ptr 0
		.amdhsa_user_sgpr_queue_ptr 0
		.amdhsa_user_sgpr_kernarg_segment_ptr 1
		.amdhsa_user_sgpr_dispatch_id 0
		.amdhsa_user_sgpr_private_segment_size 0
		.amdhsa_wavefront_size32 1
		.amdhsa_uses_dynamic_stack 0
		.amdhsa_enable_private_segment 1
		.amdhsa_system_sgpr_workgroup_id_x 1
		.amdhsa_system_sgpr_workgroup_id_y 0
		.amdhsa_system_sgpr_workgroup_id_z 1
		.amdhsa_system_sgpr_workgroup_info 0
		.amdhsa_system_vgpr_workitem_id 0
		.amdhsa_next_free_vgpr 54
		.amdhsa_next_free_sgpr 35
		.amdhsa_reserve_vcc 1
		.amdhsa_float_round_mode_32 0
		.amdhsa_float_round_mode_16_64 0
		.amdhsa_float_denorm_mode_32 3
		.amdhsa_float_denorm_mode_16_64 3
		.amdhsa_dx10_clamp 1
		.amdhsa_ieee_mode 1
		.amdhsa_fp16_overflow 0
		.amdhsa_workgroup_processor_mode 1
		.amdhsa_memory_ordered 1
		.amdhsa_forward_progress 0
		.amdhsa_shared_vgpr_count 0
		.amdhsa_exception_fp_ieee_invalid_op 0
		.amdhsa_exception_fp_denorm_src 0
		.amdhsa_exception_fp_ieee_div_zero 0
		.amdhsa_exception_fp_ieee_overflow 0
		.amdhsa_exception_fp_ieee_underflow 0
		.amdhsa_exception_fp_ieee_inexact 0
		.amdhsa_exception_int_div_zero 0
	.end_amdhsa_kernel
	.section	.text._ZL38rocblas_trsm_small_left_device_sharedBILi20ELi20ELb1E19rocblas_complex_numIdES1_PKPKS1_PKPS1_Ev13rocblas_fill_18rocblas_operation_17rocblas_diagonal_iiT3_T4_lilT5_lili,"axG",@progbits,_ZL38rocblas_trsm_small_left_device_sharedBILi20ELi20ELb1E19rocblas_complex_numIdES1_PKPKS1_PKPS1_Ev13rocblas_fill_18rocblas_operation_17rocblas_diagonal_iiT3_T4_lilT5_lili,comdat
.Lfunc_end221:
	.size	_ZL38rocblas_trsm_small_left_device_sharedBILi20ELi20ELb1E19rocblas_complex_numIdES1_PKPKS1_PKPS1_Ev13rocblas_fill_18rocblas_operation_17rocblas_diagonal_iiT3_T4_lilT5_lili, .Lfunc_end221-_ZL38rocblas_trsm_small_left_device_sharedBILi20ELi20ELb1E19rocblas_complex_numIdES1_PKPKS1_PKPS1_Ev13rocblas_fill_18rocblas_operation_17rocblas_diagonal_iiT3_T4_lilT5_lili
                                        ; -- End function
	.section	.AMDGPU.csdata,"",@progbits
; Kernel info:
; codeLenInByte = 4292
; NumSgprs: 37
; NumVgprs: 54
; ScratchSize: 336
; MemoryBound: 0
; FloatMode: 240
; IeeeMode: 1
; LDSByteSize: 12800 bytes/workgroup (compile time only)
; SGPRBlocks: 4
; VGPRBlocks: 6
; NumSGPRsForWavesPerEU: 37
; NumVGPRsForWavesPerEU: 54
; Occupancy: 3
; WaveLimiterHint : 1
; COMPUTE_PGM_RSRC2:SCRATCH_EN: 1
; COMPUTE_PGM_RSRC2:USER_SGPR: 14
; COMPUTE_PGM_RSRC2:TRAP_HANDLER: 0
; COMPUTE_PGM_RSRC2:TGID_X_EN: 1
; COMPUTE_PGM_RSRC2:TGID_Y_EN: 0
; COMPUTE_PGM_RSRC2:TGID_Z_EN: 1
; COMPUTE_PGM_RSRC2:TIDIG_COMP_CNT: 0
	.section	.text._ZL30rocblas_trsm_small_left_deviceILi20ELi20ELb1E19rocblas_complex_numIdES1_PKPKS1_PKPS1_Ev13rocblas_fill_18rocblas_operation_17rocblas_diagonal_iiT3_T4_lilT5_lili,"axG",@progbits,_ZL30rocblas_trsm_small_left_deviceILi20ELi20ELb1E19rocblas_complex_numIdES1_PKPKS1_PKPS1_Ev13rocblas_fill_18rocblas_operation_17rocblas_diagonal_iiT3_T4_lilT5_lili,comdat
	.globl	_ZL30rocblas_trsm_small_left_deviceILi20ELi20ELb1E19rocblas_complex_numIdES1_PKPKS1_PKPS1_Ev13rocblas_fill_18rocblas_operation_17rocblas_diagonal_iiT3_T4_lilT5_lili ; -- Begin function _ZL30rocblas_trsm_small_left_deviceILi20ELi20ELb1E19rocblas_complex_numIdES1_PKPKS1_PKPS1_Ev13rocblas_fill_18rocblas_operation_17rocblas_diagonal_iiT3_T4_lilT5_lili
	.p2align	8
	.type	_ZL30rocblas_trsm_small_left_deviceILi20ELi20ELb1E19rocblas_complex_numIdES1_PKPKS1_PKPS1_Ev13rocblas_fill_18rocblas_operation_17rocblas_diagonal_iiT3_T4_lilT5_lili,@function
_ZL30rocblas_trsm_small_left_deviceILi20ELi20ELb1E19rocblas_complex_numIdES1_PKPKS1_PKPS1_Ev13rocblas_fill_18rocblas_operation_17rocblas_diagonal_iiT3_T4_lilT5_lili: ; @_ZL30rocblas_trsm_small_left_deviceILi20ELi20ELb1E19rocblas_complex_numIdES1_PKPKS1_PKPS1_Ev13rocblas_fill_18rocblas_operation_17rocblas_diagonal_iiT3_T4_lilT5_lili
; %bb.0:
	s_clause 0x1
	s_load_b128 s[20:23], s[0:1], 0x48
	s_load_b128 s[16:19], s[0:1], 0x4
	s_mov_b32 s2, s15
	s_mov_b32 s3, 0
	s_load_b32 s15, s[0:1], 0x70
	s_lshl_b64 s[24:25], s[2:3], 3
	s_mov_b32 s29, exec_lo
	s_waitcnt lgkmcnt(0)
	s_add_u32 s12, s20, s24
	s_addc_u32 s13, s21, s25
	s_load_b256 s[4:11], s[0:1], 0x18
	s_load_b64 s[12:13], s[12:13], 0x0
	s_min_i32 s18, s18, 20
	s_delay_alu instid0(SALU_CYCLE_1)
	s_add_i32 s28, s18, -1
	v_cmpx_gt_i32_e64 s18, v0
	s_cbranch_execz .LBB222_15
; %bb.1:
	s_load_b32 s20, s[0:1], 0x38
	v_lshlrev_b32_e32 v3, 4, v0
	s_waitcnt lgkmcnt(0)
	s_ashr_i32 s21, s20, 31
	s_cmpk_eq_i32 s16, 0x71
	s_cselect_b32 vcc_lo, -1, 0
	s_add_u32 s8, s8, s24
	s_addc_u32 s9, s9, s25
	s_cmp_lt_u32 s28, 3
	s_load_b64 s[8:9], s[8:9], 0x0
	s_cbranch_scc1 .LBB222_4
; %bb.2:
	v_dual_mov_b32 v4, v3 :: v_dual_lshlrev_b32 v1, 4, v0
	s_lshl_b64 s[24:25], s[10:11], 4
	s_and_b32 s3, s18, -4
	s_waitcnt lgkmcnt(0)
	s_add_u32 s2, s8, s24
	s_addc_u32 s24, s9, s25
	v_add_co_u32 v1, s2, s2, v1
	s_delay_alu instid0(VALU_DEP_1) | instskip(SKIP_1) | instid1(VALU_DEP_2)
	v_add_co_ci_u32_e64 v2, null, s24, 0, s2
	s_lshl_b64 s[24:25], s[20:21], 6
	v_add_co_u32 v1, s2, v1, 8
	s_delay_alu instid0(VALU_DEP_1)
	v_add_co_ci_u32_e64 v2, s2, 0, v2, s2
	s_lshl_b64 s[26:27], s[20:21], 4
	s_mov_b32 s30, 0
.LBB222_3:                              ; =>This Inner Loop Header: Depth=1
	s_delay_alu instid0(VALU_DEP_2) | instskip(NEXT) | instid1(VALU_DEP_1)
	v_add_co_u32 v9, s2, v1, s26
	v_add_co_ci_u32_e64 v10, s2, s27, v2, s2
	s_add_i32 s30, s30, 4
	s_delay_alu instid0(VALU_DEP_2) | instskip(NEXT) | instid1(VALU_DEP_1)
	v_add_co_u32 v13, s2, v9, s26
	v_add_co_ci_u32_e64 v14, s2, s27, v10, s2
	s_cmp_eq_u32 s3, s30
	s_delay_alu instid0(VALU_DEP_2) | instskip(NEXT) | instid1(VALU_DEP_1)
	v_add_co_u32 v17, s2, v13, s26
	v_add_co_ci_u32_e64 v18, s2, s27, v14, s2
	s_clause 0x3
	global_load_b128 v[5:8], v[1:2], off offset:-8
	global_load_b128 v[9:12], v[9:10], off offset:-8
	;; [unrolled: 1-line block ×4, first 2 shown]
	v_add_co_u32 v1, s2, v1, s24
	s_delay_alu instid0(VALU_DEP_1)
	v_add_co_ci_u32_e64 v2, s2, s25, v2, s2
	s_waitcnt vmcnt(3)
	v_xor_b32_e32 v21, 0x80000000, v8
	s_waitcnt vmcnt(2)
	v_xor_b32_e32 v22, 0x80000000, v12
	;; [unrolled: 2-line block ×4, first 2 shown]
	v_cndmask_b32_e32 v8, v8, v21, vcc_lo
	v_cndmask_b32_e32 v12, v12, v22, vcc_lo
	;; [unrolled: 1-line block ×3, first 2 shown]
	s_delay_alu instid0(VALU_DEP_4)
	v_cndmask_b32_e32 v20, v20, v24, vcc_lo
	ds_store_b128 v4, v[5:8]
	ds_store_b128 v4, v[9:12] offset:320
	ds_store_b128 v4, v[13:16] offset:640
	;; [unrolled: 1-line block ×3, first 2 shown]
	v_add_nc_u32_e32 v4, 0x500, v4
	s_cbranch_scc0 .LBB222_3
.LBB222_4:
	s_and_b32 s24, s18, 3
	s_delay_alu instid0(SALU_CYCLE_1)
	s_cmp_eq_u32 s24, 0
	s_cbranch_scc1 .LBB222_7
; %bb.5:
	s_mul_i32 s2, s21, s3
	s_mul_hi_u32 s25, s20, s3
	s_mul_i32 s26, s20, s3
	s_add_i32 s27, s25, s2
	s_lshl_b64 s[10:11], s[10:11], 4
	s_lshl_b64 s[26:27], s[26:27], 4
	s_mul_i32 s2, s3, 0x140
	s_add_u32 s3, s26, s10
	s_addc_u32 s10, s27, s11
	s_waitcnt lgkmcnt(0)
	s_add_u32 s3, s8, s3
	s_addc_u32 s8, s9, s10
	v_add_co_u32 v1, s3, s3, v3
	s_delay_alu instid0(VALU_DEP_1) | instskip(SKIP_1) | instid1(VALU_DEP_3)
	v_add_co_ci_u32_e64 v2, null, s8, 0, s3
	v_lshl_add_u32 v3, v0, 4, s2
	v_add_co_u32 v1, s2, v1, 8
	s_delay_alu instid0(VALU_DEP_1)
	v_add_co_ci_u32_e64 v2, s2, 0, v2, s2
	s_lshl_b64 s[8:9], s[20:21], 4
.LBB222_6:                              ; =>This Inner Loop Header: Depth=1
	global_load_b128 v[4:7], v[1:2], off offset:-8
	v_add_co_u32 v1, s2, v1, s8
	s_delay_alu instid0(VALU_DEP_1) | instskip(SKIP_1) | instid1(SALU_CYCLE_1)
	v_add_co_ci_u32_e64 v2, s2, s9, v2, s2
	s_add_i32 s24, s24, -1
	s_cmp_lg_u32 s24, 0
	s_waitcnt vmcnt(0)
	v_xor_b32_e32 v8, 0x80000000, v7
	s_delay_alu instid0(VALU_DEP_1)
	v_cndmask_b32_e32 v7, v7, v8, vcc_lo
	ds_store_b128 v3, v[4:7]
	v_add_nc_u32_e32 v3, 0x140, v3
	s_cbranch_scc1 .LBB222_6
.LBB222_7:
	v_mul_u32_u24_e32 v1, 21, v0
	s_cmpk_lg_i32 s17, 0x84
	s_delay_alu instid0(VALU_DEP_1)
	v_lshlrev_b32_e32 v9, 4, v1
	s_cbranch_scc0 .LBB222_13
; %bb.8:
	ds_load_b128 v[1:4], v9
	s_waitcnt lgkmcnt(0)
	v_cmp_gt_f64_e32 vcc_lo, 0, v[1:2]
	v_xor_b32_e32 v6, 0x80000000, v2
	v_mov_b32_e32 v5, v1
	v_xor_b32_e32 v7, 0x80000000, v4
	s_delay_alu instid0(VALU_DEP_3) | instskip(SKIP_1) | instid1(VALU_DEP_3)
	v_cndmask_b32_e32 v6, v2, v6, vcc_lo
	v_cmp_gt_f64_e32 vcc_lo, 0, v[3:4]
	v_dual_cndmask_b32 v8, v4, v7 :: v_dual_mov_b32 v7, v3
	s_delay_alu instid0(VALU_DEP_1) | instskip(SKIP_1) | instid1(SALU_CYCLE_1)
	v_cmp_ngt_f64_e32 vcc_lo, v[5:6], v[7:8]
                                        ; implicit-def: $vgpr7_vgpr8
	s_and_saveexec_b32 s2, vcc_lo
	s_xor_b32 s2, exec_lo, s2
	s_cbranch_execz .LBB222_10
; %bb.9:
	v_div_scale_f64 v[5:6], null, v[3:4], v[3:4], v[1:2]
	v_div_scale_f64 v[12:13], vcc_lo, v[1:2], v[3:4], v[1:2]
	s_delay_alu instid0(VALU_DEP_2) | instskip(SKIP_2) | instid1(VALU_DEP_1)
	v_rcp_f64_e32 v[7:8], v[5:6]
	s_waitcnt_depctr 0xfff
	v_fma_f64 v[10:11], -v[5:6], v[7:8], 1.0
	v_fma_f64 v[7:8], v[7:8], v[10:11], v[7:8]
	s_delay_alu instid0(VALU_DEP_1) | instskip(NEXT) | instid1(VALU_DEP_1)
	v_fma_f64 v[10:11], -v[5:6], v[7:8], 1.0
	v_fma_f64 v[7:8], v[7:8], v[10:11], v[7:8]
	s_delay_alu instid0(VALU_DEP_1) | instskip(NEXT) | instid1(VALU_DEP_1)
	v_mul_f64 v[10:11], v[12:13], v[7:8]
	v_fma_f64 v[5:6], -v[5:6], v[10:11], v[12:13]
	s_delay_alu instid0(VALU_DEP_1) | instskip(NEXT) | instid1(VALU_DEP_1)
	v_div_fmas_f64 v[5:6], v[5:6], v[7:8], v[10:11]
	v_div_fixup_f64 v[5:6], v[5:6], v[3:4], v[1:2]
	s_delay_alu instid0(VALU_DEP_1) | instskip(NEXT) | instid1(VALU_DEP_1)
	v_fma_f64 v[1:2], v[1:2], v[5:6], v[3:4]
	v_div_scale_f64 v[3:4], null, v[1:2], v[1:2], 1.0
	v_div_scale_f64 v[12:13], vcc_lo, 1.0, v[1:2], 1.0
	s_delay_alu instid0(VALU_DEP_2) | instskip(SKIP_2) | instid1(VALU_DEP_1)
	v_rcp_f64_e32 v[7:8], v[3:4]
	s_waitcnt_depctr 0xfff
	v_fma_f64 v[10:11], -v[3:4], v[7:8], 1.0
	v_fma_f64 v[7:8], v[7:8], v[10:11], v[7:8]
	s_delay_alu instid0(VALU_DEP_1) | instskip(NEXT) | instid1(VALU_DEP_1)
	v_fma_f64 v[10:11], -v[3:4], v[7:8], 1.0
	v_fma_f64 v[7:8], v[7:8], v[10:11], v[7:8]
	s_delay_alu instid0(VALU_DEP_1) | instskip(NEXT) | instid1(VALU_DEP_1)
	v_mul_f64 v[10:11], v[12:13], v[7:8]
	v_fma_f64 v[3:4], -v[3:4], v[10:11], v[12:13]
	s_delay_alu instid0(VALU_DEP_1) | instskip(SKIP_1) | instid1(VALU_DEP_2)
	v_div_fmas_f64 v[3:4], v[3:4], v[7:8], v[10:11]
	v_add_f64 v[7:8], v[5:6], 0
	v_div_fixup_f64 v[1:2], v[3:4], v[1:2], 1.0
	v_fma_f64 v[3:4], v[5:6], 0, -1.0
	s_delay_alu instid0(VALU_DEP_2) | instskip(NEXT) | instid1(VALU_DEP_2)
	v_mul_f64 v[5:6], v[7:8], v[1:2]
	v_mul_f64 v[7:8], v[3:4], v[1:2]
                                        ; implicit-def: $vgpr1_vgpr2
.LBB222_10:
	s_and_not1_saveexec_b32 s2, s2
	s_cbranch_execz .LBB222_12
; %bb.11:
	v_div_scale_f64 v[5:6], null, v[1:2], v[1:2], v[3:4]
	v_div_scale_f64 v[12:13], vcc_lo, v[3:4], v[1:2], v[3:4]
	s_delay_alu instid0(VALU_DEP_2) | instskip(SKIP_2) | instid1(VALU_DEP_1)
	v_rcp_f64_e32 v[7:8], v[5:6]
	s_waitcnt_depctr 0xfff
	v_fma_f64 v[10:11], -v[5:6], v[7:8], 1.0
	v_fma_f64 v[7:8], v[7:8], v[10:11], v[7:8]
	s_delay_alu instid0(VALU_DEP_1) | instskip(NEXT) | instid1(VALU_DEP_1)
	v_fma_f64 v[10:11], -v[5:6], v[7:8], 1.0
	v_fma_f64 v[7:8], v[7:8], v[10:11], v[7:8]
	s_delay_alu instid0(VALU_DEP_1) | instskip(NEXT) | instid1(VALU_DEP_1)
	v_mul_f64 v[10:11], v[12:13], v[7:8]
	v_fma_f64 v[5:6], -v[5:6], v[10:11], v[12:13]
	s_delay_alu instid0(VALU_DEP_1) | instskip(NEXT) | instid1(VALU_DEP_1)
	v_div_fmas_f64 v[5:6], v[5:6], v[7:8], v[10:11]
	v_div_fixup_f64 v[5:6], v[5:6], v[1:2], v[3:4]
	s_delay_alu instid0(VALU_DEP_1) | instskip(NEXT) | instid1(VALU_DEP_1)
	v_fma_f64 v[1:2], v[3:4], v[5:6], v[1:2]
	v_div_scale_f64 v[3:4], null, v[1:2], v[1:2], 1.0
	v_div_scale_f64 v[12:13], vcc_lo, 1.0, v[1:2], 1.0
	s_delay_alu instid0(VALU_DEP_2) | instskip(SKIP_2) | instid1(VALU_DEP_1)
	v_rcp_f64_e32 v[7:8], v[3:4]
	s_waitcnt_depctr 0xfff
	v_fma_f64 v[10:11], -v[3:4], v[7:8], 1.0
	v_fma_f64 v[7:8], v[7:8], v[10:11], v[7:8]
	s_delay_alu instid0(VALU_DEP_1) | instskip(NEXT) | instid1(VALU_DEP_1)
	v_fma_f64 v[10:11], -v[3:4], v[7:8], 1.0
	v_fma_f64 v[7:8], v[7:8], v[10:11], v[7:8]
	s_delay_alu instid0(VALU_DEP_1) | instskip(NEXT) | instid1(VALU_DEP_1)
	v_mul_f64 v[10:11], v[12:13], v[7:8]
	v_fma_f64 v[3:4], -v[3:4], v[10:11], v[12:13]
	s_delay_alu instid0(VALU_DEP_1) | instskip(SKIP_1) | instid1(VALU_DEP_2)
	v_div_fmas_f64 v[3:4], v[3:4], v[7:8], v[10:11]
	v_fma_f64 v[7:8], v[5:6], 0, 1.0
	v_div_fixup_f64 v[1:2], v[3:4], v[1:2], 1.0
	v_add_f64 v[3:4], -v[5:6], 0
	s_delay_alu instid0(VALU_DEP_2) | instskip(NEXT) | instid1(VALU_DEP_2)
	v_mul_f64 v[5:6], v[7:8], v[1:2]
	v_mul_f64 v[7:8], v[3:4], v[1:2]
.LBB222_12:
	s_or_b32 exec_lo, exec_lo, s2
	s_branch .LBB222_14
.LBB222_13:
	v_mov_b32_e32 v5, 0
	v_dual_mov_b32 v6, 0x3ff00000 :: v_dual_mov_b32 v7, 0
	v_mov_b32_e32 v8, 0
.LBB222_14:
	ds_store_b128 v9, v[5:8]
.LBB222_15:
	s_or_b32 exec_lo, exec_lo, s29
	s_mul_i32 s2, s14, 0xffffffec
	s_add_i32 s15, s15, -1
	s_add_i32 s2, s2, s19
	s_cmp_ge_u32 s14, s15
	s_waitcnt lgkmcnt(0)
	s_cselect_b32 s2, s2, 20
	; wave barrier
	buffer_gl0_inv
	v_cmp_gt_i32_e32 vcc_lo, s2, v0
	s_mov_b32 s2, -1
	s_and_saveexec_b32 s3, vcc_lo
	s_cbranch_execz .LBB222_58
; %bb.16:
	s_load_b32 s0, s[0:1], 0x58
	v_mad_u64_u32 v[1:2], null, s14, 20, v[0:1]
	s_waitcnt lgkmcnt(0)
	s_delay_alu instid0(VALU_DEP_1) | instskip(SKIP_1) | instid1(SALU_CYCLE_1)
	v_mad_i64_i32 v[2:3], null, s0, v1, 0
	s_lshl_b64 s[0:1], s[22:23], 4
	s_add_u32 s3, s12, s0
	s_addc_u32 s8, s13, s1
	s_or_b32 s17, 0, 8
	s_cmpk_eq_i32 s16, 0x6f
	s_delay_alu instid0(VALU_DEP_1) | instskip(NEXT) | instid1(VALU_DEP_1)
	v_lshlrev_b64 v[4:5], 4, v[2:3]
	v_add_co_u32 v6, vcc_lo, s3, v4
	s_delay_alu instid0(VALU_DEP_2)
	v_add_co_ci_u32_e32 v7, vcc_lo, s8, v5, vcc_lo
	s_cbranch_scc1 .LBB222_37
; %bb.17:
	s_add_u32 s2, s12, s0
	s_addc_u32 s3, s13, s1
	v_add_co_u32 v0, vcc_lo, s2, v4
	v_add_co_ci_u32_e32 v1, vcc_lo, s3, v5, vcc_lo
	s_lshl_b32 s16, s18, 4
	s_delay_alu instid0(VALU_DEP_2) | instskip(NEXT) | instid1(VALU_DEP_2)
	v_add_co_u32 v8, vcc_lo, v0, 8
	v_add_co_ci_u32_e32 v9, vcc_lo, 0, v1, vcc_lo
	s_mov_b32 s3, 0
	s_add_i32 s16, s16, -16
	s_mov_b32 s2, s3
	s_mov_b32 s8, s28
	s_branch .LBB222_19
.LBB222_18:                             ;   in Loop: Header=BB222_19 Depth=1
	s_cmp_lt_i32 s8, 0
	s_cselect_b32 s9, -1, 0
	s_add_i32 s2, s2, 1
	s_delay_alu instid0(SALU_CYCLE_1) | instskip(SKIP_1) | instid1(SALU_CYCLE_1)
	s_cmp_eq_u32 s2, 3
	s_cselect_b32 s10, -1, 0
	s_or_b32 s9, s9, s10
	s_delay_alu instid0(SALU_CYCLE_1)
	s_and_not1_b32 vcc_lo, exec_lo, s9
	s_cbranch_vccz .LBB222_36
.LBB222_19:                             ; =>This Loop Header: Depth=1
                                        ;     Child Loop BB222_22 Depth 2
                                        ;       Child Loop BB222_23 Depth 3
                                        ;       Child Loop BB222_25 Depth 3
                                        ;         Child Loop BB222_26 Depth 4
                                        ;       Child Loop BB222_30 Depth 3
                                        ;         Child Loop BB222_32 Depth 4
	s_getpc_b64 s[10:11]
	s_add_u32 s10, s10, __const._ZL30rocblas_trsm_small_left_deviceILi20ELi20ELb1E19rocblas_complex_numIdES1_PKPKS1_PKPS1_Ev13rocblas_fill_18rocblas_operation_17rocblas_diagonal_iiT3_T4_lilT5_lili.step_sizes@rel32@lo+4
	s_addc_u32 s11, s11, __const._ZL30rocblas_trsm_small_left_deviceILi20ELi20ELb1E19rocblas_complex_numIdES1_PKPKS1_PKPS1_Ev13rocblas_fill_18rocblas_operation_17rocblas_diagonal_iiT3_T4_lilT5_lili.step_sizes@rel32@hi+12
	s_lshl_b64 s[14:15], s[2:3], 2
	s_delay_alu instid0(SALU_CYCLE_1) | instskip(SKIP_4) | instid1(SALU_CYCLE_1)
	s_add_u32 s10, s14, s10
	s_addc_u32 s11, s15, s11
	s_load_b32 s19, s[10:11], 0x0
	s_waitcnt lgkmcnt(0)
	s_add_i32 s20, s19, -1
	s_cmp_lt_i32 s8, s20
	s_cbranch_scc1 .LBB222_18
; %bb.20:                               ;   in Loop: Header=BB222_19 Depth=1
	s_mul_i32 s9, s8, 0x140
	s_max_i32 s21, s19, 1
	s_add_i32 s22, s16, s9
	s_mul_i32 s23, s19, 0xfffffec0
	s_mul_i32 s24, s8, 0x150
	;; [unrolled: 1-line block ×3, first 2 shown]
	s_branch .LBB222_22
.LBB222_21:                             ;   in Loop: Header=BB222_22 Depth=2
	s_sub_i32 s8, s8, s19
	s_add_i32 s22, s22, s23
	s_add_i32 s24, s24, s25
	s_cmp_lt_i32 s8, s20
	s_cbranch_scc1 .LBB222_18
.LBB222_22:                             ;   Parent Loop BB222_19 Depth=1
                                        ; =>  This Loop Header: Depth=2
                                        ;       Child Loop BB222_23 Depth 3
                                        ;       Child Loop BB222_25 Depth 3
                                        ;         Child Loop BB222_26 Depth 4
                                        ;       Child Loop BB222_30 Depth 3
                                        ;         Child Loop BB222_32 Depth 4
	s_ashr_i32 s9, s8, 31
	s_delay_alu instid0(SALU_CYCLE_1) | instskip(NEXT) | instid1(SALU_CYCLE_1)
	s_lshl_b64 s[10:11], s[8:9], 4
	v_add_co_u32 v0, vcc_lo, v8, s10
	v_add_co_ci_u32_e32 v1, vcc_lo, s11, v9, vcc_lo
	s_mov_b32 s10, 8
	s_mov_b32 s11, s21
	.p2align	6
.LBB222_23:                             ;   Parent Loop BB222_19 Depth=1
                                        ;     Parent Loop BB222_22 Depth=2
                                        ; =>    This Inner Loop Header: Depth=3
	global_load_b128 v[10:13], v[0:1], off offset:-8
	v_add_co_u32 v0, vcc_lo, v0, -16
	v_add_co_ci_u32_e32 v1, vcc_lo, -1, v1, vcc_lo
	s_add_i32 s11, s11, -1
	s_add_i32 s14, s10, 0
	s_add_i32 s10, s10, 16
	s_cmp_eq_u32 s11, 0
	s_waitcnt vmcnt(0)
	v_mul_f64 v[2:3], s[6:7], v[12:13]
	v_mul_f64 v[14:15], s[4:5], v[12:13]
	s_delay_alu instid0(VALU_DEP_2) | instskip(NEXT) | instid1(VALU_DEP_2)
	v_fma_f64 v[12:13], s[4:5], v[10:11], -v[2:3]
	v_fma_f64 v[14:15], s[6:7], v[10:11], v[14:15]
	scratch_store_b128 off, v[12:15], s14 offset:-8
	s_cbranch_scc0 .LBB222_23
; %bb.24:                               ;   in Loop: Header=BB222_22 Depth=2
	s_cmp_le_i32 s28, s8
	s_mov_b32 s14, s22
	s_mov_b32 s10, s28
	s_cbranch_scc1 .LBB222_28
	.p2align	6
.LBB222_25:                             ;   Parent Loop BB222_19 Depth=1
                                        ;     Parent Loop BB222_22 Depth=2
                                        ; =>    This Loop Header: Depth=3
                                        ;         Child Loop BB222_26 Depth 4
	s_ashr_i32 s11, s10, 31
	s_mov_b32 s15, s14
	s_lshl_b64 s[26:27], s[10:11], 4
	s_mov_b32 s11, s17
	v_add_co_u32 v0, vcc_lo, v6, s26
	v_add_co_ci_u32_e32 v1, vcc_lo, s27, v7, vcc_lo
	s_mov_b32 s26, s21
	global_load_b128 v[0:3], v[0:1], off
	.p2align	6
.LBB222_26:                             ;   Parent Loop BB222_19 Depth=1
                                        ;     Parent Loop BB222_22 Depth=2
                                        ;       Parent Loop BB222_25 Depth=3
                                        ; =>      This Inner Loop Header: Depth=4
	scratch_load_b128 v[10:13], off, s11 offset:-8
	v_mov_b32_e32 v14, s15
	s_add_i32 s26, s26, -1
	s_addk_i32 s15, 0xfec0
	ds_load_b128 v[14:17], v14
	s_waitcnt vmcnt(1) lgkmcnt(0)
	v_mul_f64 v[18:19], v[2:3], v[16:17]
	v_mul_f64 v[16:17], v[0:1], v[16:17]
	s_delay_alu instid0(VALU_DEP_2) | instskip(NEXT) | instid1(VALU_DEP_2)
	v_fma_f64 v[18:19], v[0:1], v[14:15], -v[18:19]
	v_fma_f64 v[14:15], v[2:3], v[14:15], v[16:17]
	s_waitcnt vmcnt(0)
	s_delay_alu instid0(VALU_DEP_2) | instskip(NEXT) | instid1(VALU_DEP_2)
	v_add_f64 v[10:11], v[10:11], -v[18:19]
	v_add_f64 v[12:13], v[12:13], -v[14:15]
	scratch_store_b128 off, v[10:13], s11 offset:-8
	s_add_i32 s11, s11, 16
	s_cmp_eq_u32 s26, 0
	s_cbranch_scc0 .LBB222_26
; %bb.27:                               ;   in Loop: Header=BB222_25 Depth=3
	s_add_i32 s10, s10, -1
	s_add_i32 s14, s14, -16
	s_cmp_le_i32 s10, s8
	s_cbranch_scc0 .LBB222_25
.LBB222_28:                             ;   in Loop: Header=BB222_22 Depth=2
	s_mov_b32 s26, 0
	s_mov_b32 s27, s24
	s_branch .LBB222_30
.LBB222_29:                             ;   in Loop: Header=BB222_30 Depth=3
	s_mulk_i32 s14, 0x150
	s_lshl_b64 s[10:11], s[10:11], 4
	v_mov_b32_e32 v10, s14
	s_lshl_b32 s14, s26, 4
	s_add_i32 s26, s26, 1
	s_addk_i32 s27, 0xfec0
	ds_load_b128 v[10:13], v10
	s_waitcnt vmcnt(0) lgkmcnt(0)
	v_mul_f64 v[14:15], v[12:13], v[2:3]
	v_mul_f64 v[2:3], v[10:11], v[2:3]
	s_delay_alu instid0(VALU_DEP_2) | instskip(NEXT) | instid1(VALU_DEP_2)
	v_fma_f64 v[10:11], v[10:11], v[0:1], -v[14:15]
	v_fma_f64 v[12:13], v[12:13], v[0:1], v[2:3]
	v_add_co_u32 v0, vcc_lo, v6, s10
	v_add_co_ci_u32_e32 v1, vcc_lo, s11, v7, vcc_lo
	s_add_i32 s10, s14, 0
	s_cmp_eq_u32 s26, s21
	scratch_store_b128 off, v[10:13], s10
	global_store_b128 v[0:1], v[10:13], off
	s_cbranch_scc1 .LBB222_21
.LBB222_30:                             ;   Parent Loop BB222_19 Depth=1
                                        ;     Parent Loop BB222_22 Depth=2
                                        ; =>    This Loop Header: Depth=3
                                        ;         Child Loop BB222_32 Depth 4
	s_cmp_lg_u32 s26, 0
	s_cbranch_scc0 .LBB222_34
; %bb.31:                               ;   in Loop: Header=BB222_30 Depth=3
	s_lshl_b32 s10, s26, 4
	s_mov_b32 s14, s27
	s_add_i32 s11, s10, 0
	v_add_nc_u32_e64 v10, s10, 0
	scratch_load_b128 v[0:3], off, s11
	s_mov_b32 s10, 0
	s_mov_b32 s11, s17
	.p2align	6
.LBB222_32:                             ;   Parent Loop BB222_19 Depth=1
                                        ;     Parent Loop BB222_22 Depth=2
                                        ;       Parent Loop BB222_30 Depth=3
                                        ; =>      This Inner Loop Header: Depth=4
	scratch_load_b128 v[11:14], off, s11 offset:-8
	v_mov_b32_e32 v15, s14
	s_add_i32 s10, s10, 1
	s_add_i32 s14, s14, -16
	s_add_i32 s11, s11, 16
	s_cmp_ge_u32 s10, s26
	ds_load_b128 v[15:18], v15
	s_waitcnt vmcnt(0) lgkmcnt(0)
	v_mul_f64 v[19:20], v[17:18], v[13:14]
	v_mul_f64 v[13:14], v[15:16], v[13:14]
	s_delay_alu instid0(VALU_DEP_2) | instskip(NEXT) | instid1(VALU_DEP_2)
	v_fma_f64 v[15:16], v[15:16], v[11:12], -v[19:20]
	v_fma_f64 v[11:12], v[17:18], v[11:12], v[13:14]
	s_delay_alu instid0(VALU_DEP_2) | instskip(NEXT) | instid1(VALU_DEP_2)
	v_add_f64 v[0:1], v[0:1], -v[15:16]
	v_add_f64 v[2:3], v[2:3], -v[11:12]
	scratch_store_b128 v10, v[0:3], off
	s_cbranch_scc0 .LBB222_32
; %bb.33:                               ;   in Loop: Header=BB222_30 Depth=3
	s_sub_i32 s14, s8, s26
	s_delay_alu instid0(SALU_CYCLE_1) | instskip(NEXT) | instid1(SALU_CYCLE_1)
	s_ashr_i32 s15, s14, 31
	s_mov_b64 s[10:11], s[14:15]
	s_branch .LBB222_29
.LBB222_34:                             ;   in Loop: Header=BB222_30 Depth=3
                                        ; implicit-def: $vgpr0_vgpr1
                                        ; implicit-def: $sgpr14
                                        ; implicit-def: $sgpr10_sgpr11
	s_cbranch_execz .LBB222_29
; %bb.35:                               ;   in Loop: Header=BB222_30 Depth=3
	scratch_load_b128 v[0:3], off, off
	s_mov_b64 s[10:11], s[8:9]
	s_mov_b32 s14, s8
	s_branch .LBB222_29
.LBB222_36:
	s_mov_b32 s2, 0
.LBB222_37:
	s_delay_alu instid0(SALU_CYCLE_1)
	s_and_b32 vcc_lo, exec_lo, s2
	s_cbranch_vccz .LBB222_58
; %bb.38:
	s_add_u32 s0, s12, s0
	s_addc_u32 s1, s13, s1
	v_add_co_u32 v0, vcc_lo, s0, v4
	v_add_co_ci_u32_e32 v1, vcc_lo, s1, v5, vcc_lo
	s_mov_b32 s1, 0
	s_delay_alu instid0(VALU_DEP_2) | instskip(NEXT) | instid1(VALU_DEP_2)
	v_add_co_u32 v8, vcc_lo, v0, 8
	v_add_co_ci_u32_e32 v9, vcc_lo, 0, v1, vcc_lo
	s_mov_b32 s2, s1
	s_mov_b32 s8, s1
	s_branch .LBB222_40
.LBB222_39:                             ;   in Loop: Header=BB222_40 Depth=1
	s_cmp_ge_i32 s2, s18
	s_cselect_b32 s0, -1, 0
	s_add_i32 s8, s8, 1
	s_delay_alu instid0(SALU_CYCLE_1) | instskip(SKIP_1) | instid1(SALU_CYCLE_1)
	s_cmp_eq_u32 s8, 3
	s_cselect_b32 s3, -1, 0
	s_or_b32 s0, s0, s3
	s_delay_alu instid0(SALU_CYCLE_1)
	s_and_b32 vcc_lo, exec_lo, s0
	s_cbranch_vccnz .LBB222_58
.LBB222_40:                             ; =>This Loop Header: Depth=1
                                        ;     Child Loop BB222_43 Depth 2
                                        ;       Child Loop BB222_44 Depth 3
                                        ;       Child Loop BB222_47 Depth 3
                                        ;         Child Loop BB222_48 Depth 4
                                        ;       Child Loop BB222_52 Depth 3
                                        ;         Child Loop BB222_54 Depth 4
	s_mov_b32 s9, s1
	s_getpc_b64 s[10:11]
	s_add_u32 s10, s10, __const._ZL30rocblas_trsm_small_left_deviceILi20ELi20ELb1E19rocblas_complex_numIdES1_PKPKS1_PKPS1_Ev13rocblas_fill_18rocblas_operation_17rocblas_diagonal_iiT3_T4_lilT5_lili.step_sizes@rel32@lo+4
	s_addc_u32 s11, s11, __const._ZL30rocblas_trsm_small_left_deviceILi20ELi20ELb1E19rocblas_complex_numIdES1_PKPKS1_PKPS1_Ev13rocblas_fill_18rocblas_operation_17rocblas_diagonal_iiT3_T4_lilT5_lili.step_sizes@rel32@hi+12
	s_lshl_b64 s[12:13], s[8:9], 2
	s_delay_alu instid0(SALU_CYCLE_1) | instskip(SKIP_4) | instid1(SALU_CYCLE_1)
	s_add_u32 s10, s12, s10
	s_addc_u32 s11, s13, s11
	s_load_b32 s10, s[10:11], 0x0
	s_waitcnt lgkmcnt(0)
	s_add_i32 s9, s10, -1
	s_add_i32 s0, s9, s2
	s_delay_alu instid0(SALU_CYCLE_1)
	s_cmp_ge_i32 s0, s18
	s_cbranch_scc1 .LBB222_39
; %bb.41:                               ;   in Loop: Header=BB222_40 Depth=1
	s_ashr_i32 s3, s2, 31
	s_ashr_i32 s11, s10, 31
	s_lshl_b64 s[12:13], s[2:3], 4
	s_max_i32 s16, s10, 1
	v_add_co_u32 v4, vcc_lo, v8, s12
	v_add_co_ci_u32_e32 v5, vcc_lo, s13, v9, vcc_lo
	s_lshl_b64 s[12:13], s[10:11], 4
	s_lshl_b32 s3, s2, 4
	s_lshl_b32 s11, s10, 4
	s_mul_i32 s19, s2, 0x150
	s_mul_i32 s20, s10, 0x150
	s_branch .LBB222_43
.LBB222_42:                             ;   in Loop: Header=BB222_43 Depth=2
	v_add_co_u32 v4, vcc_lo, v4, s12
	s_add_i32 s2, s2, s10
	v_add_co_ci_u32_e32 v5, vcc_lo, s13, v5, vcc_lo
	s_add_i32 s0, s9, s2
	s_add_i32 s3, s3, s11
	;; [unrolled: 1-line block ×3, first 2 shown]
	s_cmp_ge_i32 s0, s18
	s_cbranch_scc1 .LBB222_39
.LBB222_43:                             ;   Parent Loop BB222_40 Depth=1
                                        ; =>  This Loop Header: Depth=2
                                        ;       Child Loop BB222_44 Depth 3
                                        ;       Child Loop BB222_47 Depth 3
                                        ;         Child Loop BB222_48 Depth 4
                                        ;       Child Loop BB222_52 Depth 3
                                        ;         Child Loop BB222_54 Depth 4
	v_dual_mov_b32 v0, v4 :: v_dual_mov_b32 v1, v5
	s_mov_b32 s0, 8
	s_mov_b32 s14, s16
	.p2align	6
.LBB222_44:                             ;   Parent Loop BB222_40 Depth=1
                                        ;     Parent Loop BB222_43 Depth=2
                                        ; =>    This Inner Loop Header: Depth=3
	global_load_b128 v[10:13], v[0:1], off offset:-8
	v_add_co_u32 v0, vcc_lo, v0, 16
	v_add_co_ci_u32_e32 v1, vcc_lo, 0, v1, vcc_lo
	s_add_i32 s14, s14, -1
	s_add_i32 s15, s0, 0
	s_add_i32 s0, s0, 16
	s_cmp_eq_u32 s14, 0
	s_waitcnt vmcnt(0)
	v_mul_f64 v[2:3], s[6:7], v[12:13]
	v_mul_f64 v[14:15], s[4:5], v[12:13]
	s_delay_alu instid0(VALU_DEP_2) | instskip(NEXT) | instid1(VALU_DEP_2)
	v_fma_f64 v[12:13], s[4:5], v[10:11], -v[2:3]
	v_fma_f64 v[14:15], s[6:7], v[10:11], v[14:15]
	scratch_store_b128 off, v[12:15], s15 offset:-8
	s_cbranch_scc0 .LBB222_44
; %bb.45:                               ;   in Loop: Header=BB222_43 Depth=2
	s_cmp_lt_i32 s2, 1
	s_cbranch_scc1 .LBB222_50
; %bb.46:                               ;   in Loop: Header=BB222_43 Depth=2
	s_mov_b32 s0, 0
	s_mov_b32 s14, s3
	s_set_inst_prefetch_distance 0x1
	.p2align	6
.LBB222_47:                             ;   Parent Loop BB222_40 Depth=1
                                        ;     Parent Loop BB222_43 Depth=2
                                        ; =>    This Loop Header: Depth=3
                                        ;         Child Loop BB222_48 Depth 4
	s_lshl_b64 s[22:23], s[0:1], 4
	s_mov_b32 s15, s17
	v_add_co_u32 v0, vcc_lo, v6, s22
	v_add_co_ci_u32_e32 v1, vcc_lo, s23, v7, vcc_lo
	s_mov_b32 s21, s14
	s_mov_b32 s22, s16
	global_load_b128 v[0:3], v[0:1], off
	.p2align	6
.LBB222_48:                             ;   Parent Loop BB222_40 Depth=1
                                        ;     Parent Loop BB222_43 Depth=2
                                        ;       Parent Loop BB222_47 Depth=3
                                        ; =>      This Inner Loop Header: Depth=4
	scratch_load_b128 v[10:13], off, s15 offset:-8
	v_mov_b32_e32 v14, s21
	s_add_i32 s22, s22, -1
	s_add_i32 s21, s21, 16
	ds_load_b128 v[14:17], v14
	s_waitcnt vmcnt(1) lgkmcnt(0)
	v_mul_f64 v[18:19], v[2:3], v[16:17]
	v_mul_f64 v[16:17], v[0:1], v[16:17]
	s_delay_alu instid0(VALU_DEP_2) | instskip(NEXT) | instid1(VALU_DEP_2)
	v_fma_f64 v[18:19], v[0:1], v[14:15], -v[18:19]
	v_fma_f64 v[14:15], v[2:3], v[14:15], v[16:17]
	s_waitcnt vmcnt(0)
	s_delay_alu instid0(VALU_DEP_2) | instskip(NEXT) | instid1(VALU_DEP_2)
	v_add_f64 v[10:11], v[10:11], -v[18:19]
	v_add_f64 v[12:13], v[12:13], -v[14:15]
	scratch_store_b128 off, v[10:13], s15 offset:-8
	s_add_i32 s15, s15, 16
	s_cmp_eq_u32 s22, 0
	s_cbranch_scc0 .LBB222_48
; %bb.49:                               ;   in Loop: Header=BB222_47 Depth=3
	s_add_i32 s0, s0, 1
	s_addk_i32 s14, 0x140
	s_cmp_ge_i32 s0, s2
	s_cbranch_scc0 .LBB222_47
.LBB222_50:                             ;   in Loop: Header=BB222_43 Depth=2
	s_set_inst_prefetch_distance 0x2
	s_mov_b32 s0, 0
	s_mov_b32 s21, s19
	s_branch .LBB222_52
.LBB222_51:                             ;   in Loop: Header=BB222_52 Depth=3
	s_mul_i32 s15, s14, 0x150
	s_lshl_b32 s22, s0, 4
	v_mov_b32_e32 v10, s15
	s_ashr_i32 s15, s14, 31
	s_add_i32 s0, s0, 1
	s_lshl_b64 s[14:15], s[14:15], 4
	s_add_i32 s21, s21, 16
	ds_load_b128 v[10:13], v10
	s_waitcnt vmcnt(0) lgkmcnt(0)
	v_mul_f64 v[14:15], v[12:13], v[2:3]
	v_mul_f64 v[2:3], v[10:11], v[2:3]
	s_delay_alu instid0(VALU_DEP_2) | instskip(NEXT) | instid1(VALU_DEP_2)
	v_fma_f64 v[10:11], v[10:11], v[0:1], -v[14:15]
	v_fma_f64 v[12:13], v[12:13], v[0:1], v[2:3]
	v_add_co_u32 v0, vcc_lo, v6, s14
	v_add_co_ci_u32_e32 v1, vcc_lo, s15, v7, vcc_lo
	s_add_i32 s14, s22, 0
	s_cmp_eq_u32 s0, s16
	scratch_store_b128 off, v[10:13], s14
	global_store_b128 v[0:1], v[10:13], off
	s_cbranch_scc1 .LBB222_42
.LBB222_52:                             ;   Parent Loop BB222_40 Depth=1
                                        ;     Parent Loop BB222_43 Depth=2
                                        ; =>    This Loop Header: Depth=3
                                        ;         Child Loop BB222_54 Depth 4
	s_cmp_lg_u32 s0, 0
	s_cbranch_scc0 .LBB222_56
; %bb.53:                               ;   in Loop: Header=BB222_52 Depth=3
	s_lshl_b32 s15, s0, 4
	s_mov_b32 s22, s17
	s_add_i32 s14, s15, 0
	v_add_nc_u32_e64 v10, s15, 0
	scratch_load_b128 v[0:3], off, s14
	s_add_i32 s14, s0, s2
	s_mov_b32 s15, 0
	s_mov_b32 s23, s21
	.p2align	6
.LBB222_54:                             ;   Parent Loop BB222_40 Depth=1
                                        ;     Parent Loop BB222_43 Depth=2
                                        ;       Parent Loop BB222_52 Depth=3
                                        ; =>      This Inner Loop Header: Depth=4
	scratch_load_b128 v[11:14], off, s22 offset:-8
	v_mov_b32_e32 v15, s23
	s_add_i32 s15, s15, 1
	s_addk_i32 s23, 0x140
	s_add_i32 s22, s22, 16
	s_cmp_ge_u32 s15, s0
	ds_load_b128 v[15:18], v15
	s_waitcnt vmcnt(0) lgkmcnt(0)
	v_mul_f64 v[19:20], v[17:18], v[13:14]
	v_mul_f64 v[13:14], v[15:16], v[13:14]
	s_delay_alu instid0(VALU_DEP_2) | instskip(NEXT) | instid1(VALU_DEP_2)
	v_fma_f64 v[15:16], v[15:16], v[11:12], -v[19:20]
	v_fma_f64 v[11:12], v[17:18], v[11:12], v[13:14]
	s_delay_alu instid0(VALU_DEP_2) | instskip(NEXT) | instid1(VALU_DEP_2)
	v_add_f64 v[0:1], v[0:1], -v[15:16]
	v_add_f64 v[2:3], v[2:3], -v[11:12]
	scratch_store_b128 v10, v[0:3], off
	s_cbranch_scc0 .LBB222_54
; %bb.55:                               ;   in Loop: Header=BB222_52 Depth=3
	s_branch .LBB222_51
.LBB222_56:                             ;   in Loop: Header=BB222_52 Depth=3
                                        ; implicit-def: $vgpr0_vgpr1
                                        ; implicit-def: $sgpr14
	s_cbranch_execz .LBB222_51
; %bb.57:                               ;   in Loop: Header=BB222_52 Depth=3
	scratch_load_b128 v[0:3], off, off
	s_mov_b32 s14, s2
	s_branch .LBB222_51
.LBB222_58:
	s_endpgm
	.section	.rodata,"a",@progbits
	.p2align	6, 0x0
	.amdhsa_kernel _ZL30rocblas_trsm_small_left_deviceILi20ELi20ELb1E19rocblas_complex_numIdES1_PKPKS1_PKPS1_Ev13rocblas_fill_18rocblas_operation_17rocblas_diagonal_iiT3_T4_lilT5_lili
		.amdhsa_group_segment_fixed_size 6400
		.amdhsa_private_segment_fixed_size 336
		.amdhsa_kernarg_size 368
		.amdhsa_user_sgpr_count 14
		.amdhsa_user_sgpr_dispatch_ptr 0
		.amdhsa_user_sgpr_queue_ptr 0
		.amdhsa_user_sgpr_kernarg_segment_ptr 1
		.amdhsa_user_sgpr_dispatch_id 0
		.amdhsa_user_sgpr_private_segment_size 0
		.amdhsa_wavefront_size32 1
		.amdhsa_uses_dynamic_stack 0
		.amdhsa_enable_private_segment 1
		.amdhsa_system_sgpr_workgroup_id_x 1
		.amdhsa_system_sgpr_workgroup_id_y 0
		.amdhsa_system_sgpr_workgroup_id_z 1
		.amdhsa_system_sgpr_workgroup_info 0
		.amdhsa_system_vgpr_workitem_id 0
		.amdhsa_next_free_vgpr 25
		.amdhsa_next_free_sgpr 31
		.amdhsa_reserve_vcc 1
		.amdhsa_float_round_mode_32 0
		.amdhsa_float_round_mode_16_64 0
		.amdhsa_float_denorm_mode_32 3
		.amdhsa_float_denorm_mode_16_64 3
		.amdhsa_dx10_clamp 1
		.amdhsa_ieee_mode 1
		.amdhsa_fp16_overflow 0
		.amdhsa_workgroup_processor_mode 1
		.amdhsa_memory_ordered 1
		.amdhsa_forward_progress 0
		.amdhsa_shared_vgpr_count 0
		.amdhsa_exception_fp_ieee_invalid_op 0
		.amdhsa_exception_fp_denorm_src 0
		.amdhsa_exception_fp_ieee_div_zero 0
		.amdhsa_exception_fp_ieee_overflow 0
		.amdhsa_exception_fp_ieee_underflow 0
		.amdhsa_exception_fp_ieee_inexact 0
		.amdhsa_exception_int_div_zero 0
	.end_amdhsa_kernel
	.section	.text._ZL30rocblas_trsm_small_left_deviceILi20ELi20ELb1E19rocblas_complex_numIdES1_PKPKS1_PKPS1_Ev13rocblas_fill_18rocblas_operation_17rocblas_diagonal_iiT3_T4_lilT5_lili,"axG",@progbits,_ZL30rocblas_trsm_small_left_deviceILi20ELi20ELb1E19rocblas_complex_numIdES1_PKPKS1_PKPS1_Ev13rocblas_fill_18rocblas_operation_17rocblas_diagonal_iiT3_T4_lilT5_lili,comdat
.Lfunc_end222:
	.size	_ZL30rocblas_trsm_small_left_deviceILi20ELi20ELb1E19rocblas_complex_numIdES1_PKPKS1_PKPS1_Ev13rocblas_fill_18rocblas_operation_17rocblas_diagonal_iiT3_T4_lilT5_lili, .Lfunc_end222-_ZL30rocblas_trsm_small_left_deviceILi20ELi20ELb1E19rocblas_complex_numIdES1_PKPKS1_PKPS1_Ev13rocblas_fill_18rocblas_operation_17rocblas_diagonal_iiT3_T4_lilT5_lili
                                        ; -- End function
	.section	.AMDGPU.csdata,"",@progbits
; Kernel info:
; codeLenInByte = 3184
; NumSgprs: 33
; NumVgprs: 25
; ScratchSize: 336
; MemoryBound: 0
; FloatMode: 240
; IeeeMode: 1
; LDSByteSize: 6400 bytes/workgroup (compile time only)
; SGPRBlocks: 4
; VGPRBlocks: 3
; NumSGPRsForWavesPerEU: 33
; NumVGPRsForWavesPerEU: 25
; Occupancy: 5
; WaveLimiterHint : 1
; COMPUTE_PGM_RSRC2:SCRATCH_EN: 1
; COMPUTE_PGM_RSRC2:USER_SGPR: 14
; COMPUTE_PGM_RSRC2:TRAP_HANDLER: 0
; COMPUTE_PGM_RSRC2:TGID_X_EN: 1
; COMPUTE_PGM_RSRC2:TGID_Y_EN: 0
; COMPUTE_PGM_RSRC2:TGID_Z_EN: 1
; COMPUTE_PGM_RSRC2:TIDIG_COMP_CNT: 0
	.section	.text._ZL31rocblas_trsm_small_right_deviceI19rocblas_complex_numIdES1_PKPKS1_PKPS1_Li20EEv13rocblas_fill_18rocblas_operation_17rocblas_diagonal_iiT0_T1_lilT2_lili,"axG",@progbits,_ZL31rocblas_trsm_small_right_deviceI19rocblas_complex_numIdES1_PKPKS1_PKPS1_Li20EEv13rocblas_fill_18rocblas_operation_17rocblas_diagonal_iiT0_T1_lilT2_lili,comdat
	.globl	_ZL31rocblas_trsm_small_right_deviceI19rocblas_complex_numIdES1_PKPKS1_PKPS1_Li20EEv13rocblas_fill_18rocblas_operation_17rocblas_diagonal_iiT0_T1_lilT2_lili ; -- Begin function _ZL31rocblas_trsm_small_right_deviceI19rocblas_complex_numIdES1_PKPKS1_PKPS1_Li20EEv13rocblas_fill_18rocblas_operation_17rocblas_diagonal_iiT0_T1_lilT2_lili
	.p2align	8
	.type	_ZL31rocblas_trsm_small_right_deviceI19rocblas_complex_numIdES1_PKPKS1_PKPS1_Li20EEv13rocblas_fill_18rocblas_operation_17rocblas_diagonal_iiT0_T1_lilT2_lili,@function
_ZL31rocblas_trsm_small_right_deviceI19rocblas_complex_numIdES1_PKPKS1_PKPS1_Li20EEv13rocblas_fill_18rocblas_operation_17rocblas_diagonal_iiT0_T1_lilT2_lili: ; @_ZL31rocblas_trsm_small_right_deviceI19rocblas_complex_numIdES1_PKPKS1_PKPS1_Li20EEv13rocblas_fill_18rocblas_operation_17rocblas_diagonal_iiT0_T1_lilT2_lili
; %bb.0:
	s_mov_b32 s2, s15
	s_clause 0x1
	s_load_b128 s[20:23], s[0:1], 0x48
	s_load_b32 s15, s[0:1], 0x10
	s_mov_b32 s3, 0
	s_load_b128 s[16:19], s[0:1], 0x0
	s_lshl_b64 s[24:25], s[2:3], 3
	s_mov_b32 s30, exec_lo
	s_waitcnt lgkmcnt(0)
	s_add_u32 s12, s20, s24
	s_addc_u32 s13, s21, s25
	s_load_b256 s[4:11], s[0:1], 0x18
	s_load_b64 s[12:13], s[12:13], 0x0
	s_min_i32 s28, s15, 20
	s_delay_alu instid0(SALU_CYCLE_1)
	s_add_i32 s29, s28, -1
	v_cmpx_gt_i32_e64 s28, v0
	s_cbranch_execz .LBB223_9
; %bb.1:
	s_load_b32 s20, s[0:1], 0x38
	s_waitcnt lgkmcnt(0)
	s_ashr_i32 s21, s20, 31
	s_cmpk_eq_i32 s17, 0x71
	s_cselect_b32 vcc_lo, -1, 0
	s_add_u32 s8, s8, s24
	s_addc_u32 s9, s9, s25
	s_cmp_lt_u32 s29, 3
	s_load_b64 s[8:9], s[8:9], 0x0
	s_cbranch_scc1 .LBB223_4
; %bb.2:
	v_lshlrev_b32_e32 v1, 4, v0
	s_lshl_b64 s[24:25], s[10:11], 4
	s_and_b32 s3, s28, -4
	s_waitcnt lgkmcnt(0)
	s_add_u32 s2, s8, s24
	s_addc_u32 s24, s9, s25
	v_add_co_u32 v1, s2, s2, v1
	s_delay_alu instid0(VALU_DEP_1) | instskip(SKIP_1) | instid1(VALU_DEP_3)
	v_add_co_ci_u32_e64 v2, null, s24, 0, s2
	v_lshlrev_b32_e32 v3, 4, v0
	v_add_co_u32 v1, s2, v1, 8
	s_delay_alu instid0(VALU_DEP_1)
	v_add_co_ci_u32_e64 v2, s2, 0, v2, s2
	s_lshl_b64 s[24:25], s[20:21], 6
	s_lshl_b64 s[26:27], s[20:21], 4
	s_mov_b32 s31, 0
.LBB223_3:                              ; =>This Inner Loop Header: Depth=1
	v_add_co_u32 v8, s2, v1, s26
	s_delay_alu instid0(VALU_DEP_1) | instskip(SKIP_1) | instid1(VALU_DEP_2)
	v_add_co_ci_u32_e64 v9, s2, s27, v2, s2
	s_add_i32 s31, s31, 4
	v_add_co_u32 v12, s2, v8, s26
	s_delay_alu instid0(VALU_DEP_1) | instskip(SKIP_1) | instid1(VALU_DEP_2)
	v_add_co_ci_u32_e64 v13, s2, s27, v9, s2
	s_cmp_eq_u32 s3, s31
	v_add_co_u32 v16, s2, v12, s26
	s_delay_alu instid0(VALU_DEP_1)
	v_add_co_ci_u32_e64 v17, s2, s27, v13, s2
	s_clause 0x3
	global_load_b128 v[4:7], v[1:2], off offset:-8
	global_load_b128 v[8:11], v[8:9], off offset:-8
	;; [unrolled: 1-line block ×4, first 2 shown]
	v_add_co_u32 v1, s2, v1, s24
	s_delay_alu instid0(VALU_DEP_1)
	v_add_co_ci_u32_e64 v2, s2, s25, v2, s2
	s_waitcnt vmcnt(3)
	v_xor_b32_e32 v20, 0x80000000, v7
	s_waitcnt vmcnt(2)
	v_xor_b32_e32 v21, 0x80000000, v11
	s_waitcnt vmcnt(1)
	v_xor_b32_e32 v22, 0x80000000, v15
	s_waitcnt vmcnt(0)
	v_xor_b32_e32 v23, 0x80000000, v19
	v_cndmask_b32_e32 v7, v7, v20, vcc_lo
	v_cndmask_b32_e32 v11, v11, v21, vcc_lo
	;; [unrolled: 1-line block ×3, first 2 shown]
	s_delay_alu instid0(VALU_DEP_4)
	v_cndmask_b32_e32 v19, v19, v23, vcc_lo
	ds_store_b128 v3, v[4:7]
	ds_store_b128 v3, v[8:11] offset:320
	ds_store_b128 v3, v[12:15] offset:640
	;; [unrolled: 1-line block ×3, first 2 shown]
	v_add_nc_u32_e32 v3, 0x500, v3
	s_cbranch_scc0 .LBB223_3
.LBB223_4:
	s_and_b32 s24, s28, 3
	s_delay_alu instid0(SALU_CYCLE_1)
	s_cmp_eq_u32 s24, 0
	s_cbranch_scc1 .LBB223_7
; %bb.5:
	s_mul_i32 s2, s21, s3
	s_mul_hi_u32 s25, s20, s3
	s_mul_i32 s26, s20, s3
	s_add_i32 s27, s25, s2
	s_lshl_b64 s[10:11], s[10:11], 4
	s_lshl_b64 s[26:27], s[26:27], 4
	v_lshlrev_b32_e32 v1, 4, v0
	s_mul_i32 s2, s3, 0x140
	s_add_u32 s3, s26, s10
	s_addc_u32 s10, s27, s11
	s_waitcnt lgkmcnt(0)
	s_add_u32 s3, s8, s3
	s_addc_u32 s8, s9, s10
	v_add_co_u32 v1, s3, s3, v1
	s_delay_alu instid0(VALU_DEP_1) | instskip(SKIP_1) | instid1(VALU_DEP_3)
	v_add_co_ci_u32_e64 v2, null, s8, 0, s3
	v_lshl_add_u32 v3, v0, 4, s2
	v_add_co_u32 v1, s2, v1, 8
	s_delay_alu instid0(VALU_DEP_1)
	v_add_co_ci_u32_e64 v2, s2, 0, v2, s2
	s_lshl_b64 s[8:9], s[20:21], 4
.LBB223_6:                              ; =>This Inner Loop Header: Depth=1
	global_load_b128 v[4:7], v[1:2], off offset:-8
	v_add_co_u32 v1, s2, v1, s8
	s_delay_alu instid0(VALU_DEP_1) | instskip(SKIP_1) | instid1(SALU_CYCLE_1)
	v_add_co_ci_u32_e64 v2, s2, s9, v2, s2
	s_add_i32 s24, s24, -1
	s_cmp_lg_u32 s24, 0
	s_waitcnt vmcnt(0)
	v_xor_b32_e32 v8, 0x80000000, v7
	s_delay_alu instid0(VALU_DEP_1)
	v_cndmask_b32_e32 v7, v7, v8, vcc_lo
	ds_store_b128 v3, v[4:7]
	v_add_nc_u32_e32 v3, 0x140, v3
	s_cbranch_scc1 .LBB223_6
.LBB223_7:
	s_cmpk_eq_i32 s18, 0x84
	s_cbranch_scc0 .LBB223_9
; %bb.8:
	v_mul_u32_u24_e32 v3, 21, v0
	v_dual_mov_b32 v1, 0 :: v_dual_mov_b32 v2, 0x3ff00000
	s_delay_alu instid0(VALU_DEP_1)
	v_dual_mov_b32 v4, v1 :: v_dual_lshlrev_b32 v5, 4, v3
	v_mov_b32_e32 v3, v1
	ds_store_b128 v5, v[1:4]
.LBB223_9:
	s_or_b32 exec_lo, exec_lo, s30
	s_waitcnt lgkmcnt(0)
	s_clause 0x1
	s_load_b32 s8, s[0:1], 0x70
	s_load_b32 s0, s[0:1], 0x58
	s_lshl_b64 s[2:3], s[22:23], 4
	s_mul_i32 s10, s14, 0xffffffec
	s_add_u32 s1, s12, s2
	s_addc_u32 s9, s13, s3
	s_add_i32 s10, s10, s19
	s_mul_i32 s18, s14, 0x140
	s_mov_b32 s23, 0
	s_waitcnt lgkmcnt(0)
	s_add_i32 s8, s8, -1
	s_delay_alu instid0(SALU_CYCLE_1)
	s_cmp_ge_u32 s14, s8
	s_mul_hi_i32 s14, s14, 0x140
	s_cselect_b32 s8, s10, 20
	s_add_u32 s19, s1, s18
	s_addc_u32 s20, s9, s14
	v_cmp_gt_i32_e32 vcc_lo, s8, v0
	s_cmp_gt_i32 s15, 0
	s_cselect_b32 s1, -1, 0
	s_delay_alu instid0(SALU_CYCLE_1) | instskip(NEXT) | instid1(SALU_CYCLE_1)
	s_and_b32 s21, vcc_lo, s1
	s_and_saveexec_b32 s22, s21
	s_cbranch_execz .LBB223_16
; %bb.10:
	s_ashr_i32 s1, s0, 31
	s_cmp_lt_u32 s15, 4
	s_cbranch_scc1 .LBB223_13
; %bb.11:
	v_lshlrev_b32_e32 v1, 4, v0
	v_lshl_add_u32 v3, v0, 4, 0x1900
	s_and_b32 s23, s15, 0x7ffffffc
	s_lshl_b64 s[10:11], s[0:1], 4
	s_mov_b32 s24, 0
	v_add_co_u32 v1, s8, s19, v1
	s_delay_alu instid0(VALU_DEP_1)
	v_add_co_ci_u32_e64 v2, null, s20, 0, s8
	s_lshl_b64 s[8:9], s[0:1], 6
.LBB223_12:                             ; =>This Inner Loop Header: Depth=1
	s_delay_alu instid0(VALU_DEP_2) | instskip(NEXT) | instid1(VALU_DEP_2)
	v_add_co_u32 v8, vcc_lo, v1, s10
	v_add_co_ci_u32_e32 v9, vcc_lo, s11, v2, vcc_lo
	global_load_b128 v[4:7], v[1:2], off
	v_add_co_u32 v12, vcc_lo, v8, s10
	v_add_co_ci_u32_e32 v13, vcc_lo, s11, v9, vcc_lo
	global_load_b128 v[8:11], v[8:9], off
	v_add_co_u32 v16, vcc_lo, v12, s10
	v_add_co_ci_u32_e32 v17, vcc_lo, s11, v13, vcc_lo
	v_add_co_u32 v1, vcc_lo, v1, s8
	s_clause 0x1
	global_load_b128 v[12:15], v[12:13], off
	global_load_b128 v[16:19], v[16:17], off
	v_add_co_ci_u32_e32 v2, vcc_lo, s9, v2, vcc_lo
	s_add_i32 s24, s24, 4
	s_delay_alu instid0(SALU_CYCLE_1)
	s_cmp_lg_u32 s23, s24
	s_waitcnt vmcnt(3)
	v_mul_f64 v[20:21], s[6:7], v[6:7]
	v_mul_f64 v[6:7], s[4:5], v[6:7]
	s_waitcnt vmcnt(2)
	v_mul_f64 v[22:23], s[6:7], v[10:11]
	v_mul_f64 v[10:11], s[4:5], v[10:11]
	;; [unrolled: 3-line block ×4, first 2 shown]
	v_fma_f64 v[18:19], s[4:5], v[4:5], -v[20:21]
	v_fma_f64 v[20:21], s[6:7], v[4:5], v[6:7]
	v_fma_f64 v[4:5], s[4:5], v[8:9], -v[22:23]
	v_fma_f64 v[6:7], s[6:7], v[8:9], v[10:11]
	;; [unrolled: 2-line block ×4, first 2 shown]
	ds_store_b128 v3, v[18:21]
	ds_store_b128 v3, v[4:7] offset:320
	ds_store_b128 v3, v[8:11] offset:640
	;; [unrolled: 1-line block ×3, first 2 shown]
	v_add_nc_u32_e32 v3, 0x500, v3
	s_cbranch_scc1 .LBB223_12
.LBB223_13:
	s_and_b32 s10, s15, 3
	s_delay_alu instid0(SALU_CYCLE_1)
	s_cmp_eq_u32 s10, 0
	s_cbranch_scc1 .LBB223_16
; %bb.14:
	s_mul_hi_i32 s9, s0, s23
	s_mul_i32 s8, s0, s23
	v_lshlrev_b32_e32 v1, 4, v0
	s_lshl_b64 s[8:9], s[8:9], 4
	s_mul_i32 s11, s23, 0x140
	s_add_u32 s8, s8, s18
	s_addc_u32 s9, s9, s14
	s_add_u32 s8, s8, s2
	s_addc_u32 s9, s9, s3
	;; [unrolled: 2-line block ×3, first 2 shown]
	v_add_co_u32 v2, s8, s8, v1
	s_delay_alu instid0(VALU_DEP_1) | instskip(SKIP_1) | instid1(VALU_DEP_3)
	v_add_co_ci_u32_e64 v4, null, s9, 0, s8
	v_add3_u32 v3, s11, v1, 0x1900
	v_add_co_u32 v1, vcc_lo, v2, 8
	s_delay_alu instid0(VALU_DEP_3)
	v_add_co_ci_u32_e32 v2, vcc_lo, 0, v4, vcc_lo
	s_lshl_b64 s[8:9], s[0:1], 4
	.p2align	6
.LBB223_15:                             ; =>This Inner Loop Header: Depth=1
	global_load_b128 v[4:7], v[1:2], off offset:-8
	v_add_co_u32 v1, vcc_lo, v1, s8
	v_add_co_ci_u32_e32 v2, vcc_lo, s9, v2, vcc_lo
	s_add_i32 s10, s10, -1
	s_delay_alu instid0(SALU_CYCLE_1) | instskip(SKIP_3) | instid1(VALU_DEP_2)
	s_cmp_lg_u32 s10, 0
	s_waitcnt vmcnt(0)
	v_mul_f64 v[8:9], s[6:7], v[6:7]
	v_mul_f64 v[10:11], s[4:5], v[6:7]
	v_fma_f64 v[6:7], s[4:5], v[4:5], -v[8:9]
	s_delay_alu instid0(VALU_DEP_2)
	v_fma_f64 v[8:9], s[6:7], v[4:5], v[10:11]
	ds_store_b128 v3, v[6:9]
	v_add_nc_u32_e32 v3, 0x140, v3
	s_cbranch_scc1 .LBB223_15
.LBB223_16:
	s_or_b32 exec_lo, exec_lo, s22
	s_cmpk_eq_i32 s17, 0x6f
	s_waitcnt lgkmcnt(0)
	s_cselect_b32 s1, -1, 0
	s_cmpk_eq_i32 s16, 0x79
	; wave barrier
	buffer_gl0_inv
	s_cselect_b32 s5, -1, 0
	s_cmpk_lg_i32 s16, 0x79
	s_cselect_b32 s4, -1, 0
	s_and_b32 s5, s5, s1
	s_delay_alu instid0(SALU_CYCLE_1)
	s_and_not1_b32 vcc_lo, exec_lo, s5
	s_mov_b32 s5, -1
	s_cbranch_vccz .LBB223_124
; %bb.17:
	s_cmpk_lg_i32 s16, 0x7a
	s_cselect_b32 s5, -1, 0
	s_xor_b32 s1, s1, -1
	s_delay_alu instid0(SALU_CYCLE_1)
	s_or_b32 s5, s5, s1
	s_cmp_gt_i32 s15, 3
	s_cselect_b32 s1, -1, 0
	s_and_b32 vcc_lo, exec_lo, s5
	s_mov_b32 s5, -1
	s_cbranch_vccz .LBB223_91
; %bb.18:
	s_and_not1_b32 vcc_lo, exec_lo, s4
	s_mov_b32 s4, -1
	s_cbranch_vccnz .LBB223_58
; %bb.19:
	s_and_not1_b32 vcc_lo, exec_lo, s1
	s_mov_b32 s6, 0
	s_cbranch_vccnz .LBB223_42
; %bb.20:
	v_lshl_add_u32 v25, v0, 4, 0x1900
	s_mov_b32 s4, 0
	s_mov_b32 s5, 0
.LBB223_21:                             ; =>This Loop Header: Depth=1
                                        ;     Child Loop BB223_23 Depth 2
	s_delay_alu instid0(SALU_CYCLE_1) | instskip(NEXT) | instid1(SALU_CYCLE_1)
	s_mul_i32 s6, s5, 20
	s_add_i32 s7, s6, 20
	v_add_lshl_u32 v13, s6, v0, 4
	s_add_i32 s6, s6, 40
	v_add_lshl_u32 v14, s7, v0, 4
	v_add_lshl_u32 v15, s6, v0, 4
	s_cmp_eq_u32 s5, 0
	ds_load_b128 v[17:20], v13 offset:6400
	ds_load_b128 v[9:12], v14 offset:6400
	;; [unrolled: 1-line block ×4, first 2 shown]
	s_cbranch_scc1 .LBB223_24
; %bb.22:                               ;   in Loop: Header=BB223_21 Depth=1
	v_mov_b32_e32 v16, v25
	s_mov_b32 s8, 0
	s_mov_b32 s9, s4
.LBB223_23:                             ;   Parent Loop BB223_21 Depth=1
                                        ; =>  This Inner Loop Header: Depth=2
	s_delay_alu instid0(SALU_CYCLE_1)
	v_mov_b32_e32 v58, s9
	s_add_i32 s8, s8, 2
	s_addk_i32 s9, 0x280
	s_cmp_ge_u32 s8, s5
	ds_load_b128 v[21:24], v16
	ds_load_b128 v[26:29], v58
	ds_load_b128 v[30:33], v58 offset:16
	ds_load_b128 v[34:37], v58 offset:32
	;; [unrolled: 1-line block ×8, first 2 shown]
	v_add_nc_u32_e32 v16, 0x280, v16
	s_waitcnt lgkmcnt(8)
	v_mul_f64 v[62:63], v[23:24], v[28:29]
	v_mul_f64 v[28:29], v[21:22], v[28:29]
	s_waitcnt lgkmcnt(7)
	v_mul_f64 v[64:65], v[23:24], v[32:33]
	v_mul_f64 v[32:33], v[21:22], v[32:33]
	;; [unrolled: 3-line block ×8, first 2 shown]
	v_fma_f64 v[62:63], v[21:22], v[26:27], -v[62:63]
	v_fma_f64 v[26:27], v[23:24], v[26:27], v[28:29]
	v_fma_f64 v[28:29], v[21:22], v[30:31], -v[64:65]
	v_fma_f64 v[30:31], v[23:24], v[30:31], v[32:33]
	;; [unrolled: 2-line block ×8, first 2 shown]
	v_add_f64 v[17:18], v[17:18], -v[62:63]
	v_add_f64 v[19:20], v[19:20], -v[26:27]
	;; [unrolled: 1-line block ×16, first 2 shown]
	s_cbranch_scc0 .LBB223_23
.LBB223_24:                             ;   in Loop: Header=BB223_21 Depth=1
	s_mul_i32 s8, s5, 0x150
	s_delay_alu instid0(SALU_CYCLE_1)
	v_dual_mov_b32 v13, s8 :: v_dual_add_nc_u32 v28, 0x1900, v13
	ds_load_b128 v[21:24], v13
	s_waitcnt lgkmcnt(0)
	v_dual_mov_b32 v13, v21 :: v_dual_add_nc_u32 v26, 0x1900, v15
	v_cmp_gt_f64_e32 vcc_lo, 0, v[21:22]
	v_xor_b32_e32 v15, 0x80000000, v24
	v_add_nc_u32_e32 v27, 0x1900, v14
	v_xor_b32_e32 v14, 0x80000000, v22
	s_delay_alu instid0(VALU_DEP_1) | instskip(SKIP_2) | instid1(VALU_DEP_1)
	v_cndmask_b32_e32 v14, v22, v14, vcc_lo
	v_cmp_gt_f64_e32 vcc_lo, 0, v[23:24]
	v_dual_cndmask_b32 v16, v24, v15 :: v_dual_mov_b32 v15, v23
	v_cmp_ngt_f64_e32 vcc_lo, v[13:14], v[15:16]
	s_cbranch_vccz .LBB223_26
; %bb.25:                               ;   in Loop: Header=BB223_21 Depth=1
	v_div_scale_f64 v[13:14], null, v[23:24], v[23:24], v[21:22]
	v_div_scale_f64 v[31:32], vcc_lo, v[21:22], v[23:24], v[21:22]
	s_delay_alu instid0(VALU_DEP_2) | instskip(SKIP_2) | instid1(VALU_DEP_1)
	v_rcp_f64_e32 v[15:16], v[13:14]
	s_waitcnt_depctr 0xfff
	v_fma_f64 v[29:30], -v[13:14], v[15:16], 1.0
	v_fma_f64 v[15:16], v[15:16], v[29:30], v[15:16]
	s_delay_alu instid0(VALU_DEP_1) | instskip(NEXT) | instid1(VALU_DEP_1)
	v_fma_f64 v[29:30], -v[13:14], v[15:16], 1.0
	v_fma_f64 v[15:16], v[15:16], v[29:30], v[15:16]
	s_delay_alu instid0(VALU_DEP_1) | instskip(NEXT) | instid1(VALU_DEP_1)
	v_mul_f64 v[29:30], v[31:32], v[15:16]
	v_fma_f64 v[13:14], -v[13:14], v[29:30], v[31:32]
	s_delay_alu instid0(VALU_DEP_1) | instskip(NEXT) | instid1(VALU_DEP_1)
	v_div_fmas_f64 v[13:14], v[13:14], v[15:16], v[29:30]
	v_div_fixup_f64 v[13:14], v[13:14], v[23:24], v[21:22]
	s_delay_alu instid0(VALU_DEP_1) | instskip(NEXT) | instid1(VALU_DEP_1)
	v_fma_f64 v[15:16], v[21:22], v[13:14], v[23:24]
	v_div_scale_f64 v[29:30], null, v[15:16], v[15:16], 1.0
	v_div_scale_f64 v[35:36], vcc_lo, 1.0, v[15:16], 1.0
	s_delay_alu instid0(VALU_DEP_2) | instskip(SKIP_2) | instid1(VALU_DEP_1)
	v_rcp_f64_e32 v[31:32], v[29:30]
	s_waitcnt_depctr 0xfff
	v_fma_f64 v[33:34], -v[29:30], v[31:32], 1.0
	v_fma_f64 v[31:32], v[31:32], v[33:34], v[31:32]
	s_delay_alu instid0(VALU_DEP_1) | instskip(NEXT) | instid1(VALU_DEP_1)
	v_fma_f64 v[33:34], -v[29:30], v[31:32], 1.0
	v_fma_f64 v[31:32], v[31:32], v[33:34], v[31:32]
	s_delay_alu instid0(VALU_DEP_1) | instskip(NEXT) | instid1(VALU_DEP_1)
	v_mul_f64 v[33:34], v[35:36], v[31:32]
	v_fma_f64 v[29:30], -v[29:30], v[33:34], v[35:36]
	s_delay_alu instid0(VALU_DEP_1) | instskip(SKIP_1) | instid1(VALU_DEP_2)
	v_div_fmas_f64 v[29:30], v[29:30], v[31:32], v[33:34]
	v_fma_f64 v[31:32], v[17:18], v[13:14], v[19:20]
	v_div_fixup_f64 v[15:16], v[29:30], v[15:16], 1.0
	v_fma_f64 v[29:30], v[19:20], v[13:14], -v[17:18]
	s_delay_alu instid0(VALU_DEP_2) | instskip(NEXT) | instid1(VALU_DEP_2)
	v_mul_f64 v[13:14], v[31:32], v[15:16]
	v_mul_f64 v[15:16], v[29:30], v[15:16]
	s_cbranch_execz .LBB223_27
	s_branch .LBB223_28
.LBB223_26:                             ;   in Loop: Header=BB223_21 Depth=1
                                        ; implicit-def: $vgpr15_vgpr16
.LBB223_27:                             ;   in Loop: Header=BB223_21 Depth=1
	v_div_scale_f64 v[13:14], null, v[21:22], v[21:22], v[23:24]
	v_div_scale_f64 v[31:32], vcc_lo, v[23:24], v[21:22], v[23:24]
	s_delay_alu instid0(VALU_DEP_2) | instskip(SKIP_2) | instid1(VALU_DEP_1)
	v_rcp_f64_e32 v[15:16], v[13:14]
	s_waitcnt_depctr 0xfff
	v_fma_f64 v[29:30], -v[13:14], v[15:16], 1.0
	v_fma_f64 v[15:16], v[15:16], v[29:30], v[15:16]
	s_delay_alu instid0(VALU_DEP_1) | instskip(NEXT) | instid1(VALU_DEP_1)
	v_fma_f64 v[29:30], -v[13:14], v[15:16], 1.0
	v_fma_f64 v[15:16], v[15:16], v[29:30], v[15:16]
	s_delay_alu instid0(VALU_DEP_1) | instskip(NEXT) | instid1(VALU_DEP_1)
	v_mul_f64 v[29:30], v[31:32], v[15:16]
	v_fma_f64 v[13:14], -v[13:14], v[29:30], v[31:32]
	s_delay_alu instid0(VALU_DEP_1) | instskip(NEXT) | instid1(VALU_DEP_1)
	v_div_fmas_f64 v[13:14], v[13:14], v[15:16], v[29:30]
	v_div_fixup_f64 v[13:14], v[13:14], v[21:22], v[23:24]
	s_delay_alu instid0(VALU_DEP_1) | instskip(NEXT) | instid1(VALU_DEP_1)
	v_fma_f64 v[15:16], v[23:24], v[13:14], v[21:22]
	v_div_scale_f64 v[21:22], null, v[15:16], v[15:16], 1.0
	v_div_scale_f64 v[31:32], vcc_lo, 1.0, v[15:16], 1.0
	s_delay_alu instid0(VALU_DEP_2) | instskip(SKIP_2) | instid1(VALU_DEP_1)
	v_rcp_f64_e32 v[23:24], v[21:22]
	s_waitcnt_depctr 0xfff
	v_fma_f64 v[29:30], -v[21:22], v[23:24], 1.0
	v_fma_f64 v[23:24], v[23:24], v[29:30], v[23:24]
	s_delay_alu instid0(VALU_DEP_1) | instskip(NEXT) | instid1(VALU_DEP_1)
	v_fma_f64 v[29:30], -v[21:22], v[23:24], 1.0
	v_fma_f64 v[23:24], v[23:24], v[29:30], v[23:24]
	s_delay_alu instid0(VALU_DEP_1) | instskip(NEXT) | instid1(VALU_DEP_1)
	v_mul_f64 v[29:30], v[31:32], v[23:24]
	v_fma_f64 v[21:22], -v[21:22], v[29:30], v[31:32]
	s_delay_alu instid0(VALU_DEP_1) | instskip(SKIP_2) | instid1(VALU_DEP_3)
	v_div_fmas_f64 v[21:22], v[21:22], v[23:24], v[29:30]
	v_fma_f64 v[23:24], v[19:20], v[13:14], v[17:18]
	v_fma_f64 v[17:18], -v[17:18], v[13:14], v[19:20]
	v_div_fixup_f64 v[15:16], v[21:22], v[15:16], 1.0
	s_delay_alu instid0(VALU_DEP_1) | instskip(NEXT) | instid1(VALU_DEP_3)
	v_mul_f64 v[13:14], v[23:24], v[15:16]
	v_mul_f64 v[15:16], v[17:18], v[15:16]
.LBB223_28:                             ;   in Loop: Header=BB223_21 Depth=1
	v_mov_b32_e32 v17, s8
	ds_load_b128 v[21:24], v17 offset:16
	ds_load_b128 v[17:20], v17 offset:336
	ds_store_b128 v28, v[13:16]
	s_waitcnt lgkmcnt(2)
	v_mul_f64 v[29:30], v[15:16], v[23:24]
	v_mul_f64 v[23:24], v[13:14], v[23:24]
	s_waitcnt lgkmcnt(1)
	v_cmp_gt_f64_e32 vcc_lo, 0, v[17:18]
	v_xor_b32_e32 v32, 0x80000000, v20
	v_mov_b32_e32 v31, v19
	v_fma_f64 v[29:30], v[13:14], v[21:22], -v[29:30]
	v_fma_f64 v[23:24], v[15:16], v[21:22], v[23:24]
	v_xor_b32_e32 v22, 0x80000000, v18
	s_delay_alu instid0(VALU_DEP_1) | instskip(SKIP_4) | instid1(VALU_DEP_1)
	v_cndmask_b32_e32 v22, v18, v22, vcc_lo
	v_cmp_gt_f64_e32 vcc_lo, 0, v[19:20]
	v_mov_b32_e32 v21, v17
	v_add_f64 v[23:24], v[11:12], -v[23:24]
	v_cndmask_b32_e32 v32, v20, v32, vcc_lo
	v_cmp_ngt_f64_e32 vcc_lo, v[21:22], v[31:32]
	v_add_f64 v[21:22], v[9:10], -v[29:30]
	s_cbranch_vccz .LBB223_30
; %bb.29:                               ;   in Loop: Header=BB223_21 Depth=1
	v_div_scale_f64 v[9:10], null, v[19:20], v[19:20], v[17:18]
	v_div_scale_f64 v[30:31], vcc_lo, v[17:18], v[19:20], v[17:18]
	s_delay_alu instid0(VALU_DEP_2) | instskip(SKIP_2) | instid1(VALU_DEP_1)
	v_rcp_f64_e32 v[11:12], v[9:10]
	s_waitcnt_depctr 0xfff
	v_fma_f64 v[28:29], -v[9:10], v[11:12], 1.0
	v_fma_f64 v[11:12], v[11:12], v[28:29], v[11:12]
	s_delay_alu instid0(VALU_DEP_1) | instskip(NEXT) | instid1(VALU_DEP_1)
	v_fma_f64 v[28:29], -v[9:10], v[11:12], 1.0
	v_fma_f64 v[11:12], v[11:12], v[28:29], v[11:12]
	s_delay_alu instid0(VALU_DEP_1) | instskip(NEXT) | instid1(VALU_DEP_1)
	v_mul_f64 v[28:29], v[30:31], v[11:12]
	v_fma_f64 v[9:10], -v[9:10], v[28:29], v[30:31]
	s_delay_alu instid0(VALU_DEP_1) | instskip(NEXT) | instid1(VALU_DEP_1)
	v_div_fmas_f64 v[9:10], v[9:10], v[11:12], v[28:29]
	v_div_fixup_f64 v[9:10], v[9:10], v[19:20], v[17:18]
	s_delay_alu instid0(VALU_DEP_1) | instskip(NEXT) | instid1(VALU_DEP_1)
	v_fma_f64 v[11:12], v[17:18], v[9:10], v[19:20]
	v_div_scale_f64 v[28:29], null, v[11:12], v[11:12], 1.0
	v_div_scale_f64 v[34:35], vcc_lo, 1.0, v[11:12], 1.0
	s_delay_alu instid0(VALU_DEP_2) | instskip(SKIP_2) | instid1(VALU_DEP_1)
	v_rcp_f64_e32 v[30:31], v[28:29]
	s_waitcnt_depctr 0xfff
	v_fma_f64 v[32:33], -v[28:29], v[30:31], 1.0
	v_fma_f64 v[30:31], v[30:31], v[32:33], v[30:31]
	s_delay_alu instid0(VALU_DEP_1) | instskip(NEXT) | instid1(VALU_DEP_1)
	v_fma_f64 v[32:33], -v[28:29], v[30:31], 1.0
	v_fma_f64 v[30:31], v[30:31], v[32:33], v[30:31]
	s_delay_alu instid0(VALU_DEP_1) | instskip(NEXT) | instid1(VALU_DEP_1)
	v_mul_f64 v[32:33], v[34:35], v[30:31]
	v_fma_f64 v[28:29], -v[28:29], v[32:33], v[34:35]
	s_delay_alu instid0(VALU_DEP_1) | instskip(SKIP_1) | instid1(VALU_DEP_2)
	v_div_fmas_f64 v[28:29], v[28:29], v[30:31], v[32:33]
	v_fma_f64 v[30:31], v[9:10], v[21:22], v[23:24]
	v_div_fixup_f64 v[11:12], v[28:29], v[11:12], 1.0
	v_fma_f64 v[28:29], v[9:10], v[23:24], -v[21:22]
	s_delay_alu instid0(VALU_DEP_2) | instskip(NEXT) | instid1(VALU_DEP_2)
	v_mul_f64 v[9:10], v[30:31], v[11:12]
	v_mul_f64 v[11:12], v[28:29], v[11:12]
	s_cbranch_execz .LBB223_31
	s_branch .LBB223_32
.LBB223_30:                             ;   in Loop: Header=BB223_21 Depth=1
                                        ; implicit-def: $vgpr11_vgpr12
.LBB223_31:                             ;   in Loop: Header=BB223_21 Depth=1
	v_div_scale_f64 v[9:10], null, v[17:18], v[17:18], v[19:20]
	v_div_scale_f64 v[30:31], vcc_lo, v[19:20], v[17:18], v[19:20]
	s_delay_alu instid0(VALU_DEP_2) | instskip(SKIP_2) | instid1(VALU_DEP_1)
	v_rcp_f64_e32 v[11:12], v[9:10]
	s_waitcnt_depctr 0xfff
	v_fma_f64 v[28:29], -v[9:10], v[11:12], 1.0
	v_fma_f64 v[11:12], v[11:12], v[28:29], v[11:12]
	s_delay_alu instid0(VALU_DEP_1) | instskip(NEXT) | instid1(VALU_DEP_1)
	v_fma_f64 v[28:29], -v[9:10], v[11:12], 1.0
	v_fma_f64 v[11:12], v[11:12], v[28:29], v[11:12]
	s_delay_alu instid0(VALU_DEP_1) | instskip(NEXT) | instid1(VALU_DEP_1)
	v_mul_f64 v[28:29], v[30:31], v[11:12]
	v_fma_f64 v[9:10], -v[9:10], v[28:29], v[30:31]
	s_delay_alu instid0(VALU_DEP_1) | instskip(NEXT) | instid1(VALU_DEP_1)
	v_div_fmas_f64 v[9:10], v[9:10], v[11:12], v[28:29]
	v_div_fixup_f64 v[9:10], v[9:10], v[17:18], v[19:20]
	s_delay_alu instid0(VALU_DEP_1) | instskip(NEXT) | instid1(VALU_DEP_1)
	v_fma_f64 v[11:12], v[19:20], v[9:10], v[17:18]
	v_div_scale_f64 v[17:18], null, v[11:12], v[11:12], 1.0
	v_div_scale_f64 v[30:31], vcc_lo, 1.0, v[11:12], 1.0
	s_delay_alu instid0(VALU_DEP_2) | instskip(SKIP_2) | instid1(VALU_DEP_1)
	v_rcp_f64_e32 v[19:20], v[17:18]
	s_waitcnt_depctr 0xfff
	v_fma_f64 v[28:29], -v[17:18], v[19:20], 1.0
	v_fma_f64 v[19:20], v[19:20], v[28:29], v[19:20]
	s_delay_alu instid0(VALU_DEP_1) | instskip(NEXT) | instid1(VALU_DEP_1)
	v_fma_f64 v[28:29], -v[17:18], v[19:20], 1.0
	v_fma_f64 v[19:20], v[19:20], v[28:29], v[19:20]
	s_delay_alu instid0(VALU_DEP_1) | instskip(NEXT) | instid1(VALU_DEP_1)
	v_mul_f64 v[28:29], v[30:31], v[19:20]
	v_fma_f64 v[17:18], -v[17:18], v[28:29], v[30:31]
	s_delay_alu instid0(VALU_DEP_1) | instskip(SKIP_1) | instid1(VALU_DEP_2)
	v_div_fmas_f64 v[17:18], v[17:18], v[19:20], v[28:29]
	v_fma_f64 v[19:20], v[9:10], v[23:24], v[21:22]
	v_div_fixup_f64 v[11:12], v[17:18], v[11:12], 1.0
	v_fma_f64 v[17:18], -v[9:10], v[21:22], v[23:24]
	s_delay_alu instid0(VALU_DEP_2) | instskip(NEXT) | instid1(VALU_DEP_2)
	v_mul_f64 v[9:10], v[19:20], v[11:12]
	v_mul_f64 v[11:12], v[17:18], v[11:12]
.LBB223_32:                             ;   in Loop: Header=BB223_21 Depth=1
	s_add_i32 s7, s7, s5
	s_delay_alu instid0(SALU_CYCLE_1) | instskip(NEXT) | instid1(SALU_CYCLE_1)
	s_lshl_b32 s7, s7, 4
	v_dual_mov_b32 v17, s8 :: v_dual_mov_b32 v28, s7
	ds_load_b128 v[21:24], v17 offset:32
	ds_load_b128 v[17:20], v17 offset:672
	;; [unrolled: 1-line block ×3, first 2 shown]
	ds_store_b128 v27, v[9:12]
	s_waitcnt lgkmcnt(3)
	v_mul_f64 v[32:33], v[15:16], v[23:24]
	v_mul_f64 v[23:24], v[13:14], v[23:24]
	s_waitcnt lgkmcnt(1)
	v_mul_f64 v[34:35], v[11:12], v[30:31]
	v_mul_f64 v[30:31], v[9:10], v[30:31]
	v_cmp_gt_f64_e32 vcc_lo, 0, v[17:18]
	v_fma_f64 v[32:33], v[13:14], v[21:22], -v[32:33]
	v_fma_f64 v[21:22], v[15:16], v[21:22], v[23:24]
	v_fma_f64 v[23:24], v[9:10], v[28:29], -v[34:35]
	v_fma_f64 v[28:29], v[11:12], v[28:29], v[30:31]
	v_xor_b32_e32 v31, 0x80000000, v20
	v_mov_b32_e32 v30, v19
	v_add_f64 v[5:6], v[5:6], -v[32:33]
	v_add_f64 v[7:8], v[7:8], -v[21:22]
	v_xor_b32_e32 v22, 0x80000000, v18
	s_delay_alu instid0(VALU_DEP_1) | instskip(SKIP_2) | instid1(VALU_DEP_1)
	v_dual_mov_b32 v21, v17 :: v_dual_cndmask_b32 v22, v18, v22
	v_cmp_gt_f64_e32 vcc_lo, 0, v[19:20]
	v_cndmask_b32_e32 v31, v20, v31, vcc_lo
	v_cmp_ngt_f64_e32 vcc_lo, v[21:22], v[30:31]
	v_add_f64 v[21:22], v[5:6], -v[23:24]
	v_add_f64 v[23:24], v[7:8], -v[28:29]
	s_cbranch_vccz .LBB223_34
; %bb.33:                               ;   in Loop: Header=BB223_21 Depth=1
	v_div_scale_f64 v[5:6], null, v[19:20], v[19:20], v[17:18]
	v_div_scale_f64 v[29:30], vcc_lo, v[17:18], v[19:20], v[17:18]
	s_delay_alu instid0(VALU_DEP_2) | instskip(SKIP_2) | instid1(VALU_DEP_1)
	v_rcp_f64_e32 v[7:8], v[5:6]
	s_waitcnt_depctr 0xfff
	v_fma_f64 v[27:28], -v[5:6], v[7:8], 1.0
	v_fma_f64 v[7:8], v[7:8], v[27:28], v[7:8]
	s_delay_alu instid0(VALU_DEP_1) | instskip(NEXT) | instid1(VALU_DEP_1)
	v_fma_f64 v[27:28], -v[5:6], v[7:8], 1.0
	v_fma_f64 v[7:8], v[7:8], v[27:28], v[7:8]
	s_delay_alu instid0(VALU_DEP_1) | instskip(NEXT) | instid1(VALU_DEP_1)
	v_mul_f64 v[27:28], v[29:30], v[7:8]
	v_fma_f64 v[5:6], -v[5:6], v[27:28], v[29:30]
	s_delay_alu instid0(VALU_DEP_1) | instskip(NEXT) | instid1(VALU_DEP_1)
	v_div_fmas_f64 v[5:6], v[5:6], v[7:8], v[27:28]
	v_div_fixup_f64 v[5:6], v[5:6], v[19:20], v[17:18]
	s_delay_alu instid0(VALU_DEP_1) | instskip(NEXT) | instid1(VALU_DEP_1)
	v_fma_f64 v[7:8], v[17:18], v[5:6], v[19:20]
	v_div_scale_f64 v[27:28], null, v[7:8], v[7:8], 1.0
	v_div_scale_f64 v[33:34], vcc_lo, 1.0, v[7:8], 1.0
	s_delay_alu instid0(VALU_DEP_2) | instskip(SKIP_2) | instid1(VALU_DEP_1)
	v_rcp_f64_e32 v[29:30], v[27:28]
	s_waitcnt_depctr 0xfff
	v_fma_f64 v[31:32], -v[27:28], v[29:30], 1.0
	v_fma_f64 v[29:30], v[29:30], v[31:32], v[29:30]
	s_delay_alu instid0(VALU_DEP_1) | instskip(NEXT) | instid1(VALU_DEP_1)
	v_fma_f64 v[31:32], -v[27:28], v[29:30], 1.0
	v_fma_f64 v[29:30], v[29:30], v[31:32], v[29:30]
	s_delay_alu instid0(VALU_DEP_1) | instskip(NEXT) | instid1(VALU_DEP_1)
	v_mul_f64 v[31:32], v[33:34], v[29:30]
	v_fma_f64 v[27:28], -v[27:28], v[31:32], v[33:34]
	s_delay_alu instid0(VALU_DEP_1) | instskip(SKIP_1) | instid1(VALU_DEP_2)
	v_div_fmas_f64 v[27:28], v[27:28], v[29:30], v[31:32]
	v_fma_f64 v[29:30], v[5:6], v[21:22], v[23:24]
	v_div_fixup_f64 v[7:8], v[27:28], v[7:8], 1.0
	v_fma_f64 v[27:28], v[5:6], v[23:24], -v[21:22]
	s_delay_alu instid0(VALU_DEP_2) | instskip(NEXT) | instid1(VALU_DEP_2)
	v_mul_f64 v[5:6], v[29:30], v[7:8]
	v_mul_f64 v[7:8], v[27:28], v[7:8]
	s_cbranch_execz .LBB223_35
	s_branch .LBB223_36
.LBB223_34:                             ;   in Loop: Header=BB223_21 Depth=1
                                        ; implicit-def: $vgpr7_vgpr8
.LBB223_35:                             ;   in Loop: Header=BB223_21 Depth=1
	v_div_scale_f64 v[5:6], null, v[17:18], v[17:18], v[19:20]
	v_div_scale_f64 v[29:30], vcc_lo, v[19:20], v[17:18], v[19:20]
	s_delay_alu instid0(VALU_DEP_2) | instskip(SKIP_2) | instid1(VALU_DEP_1)
	v_rcp_f64_e32 v[7:8], v[5:6]
	s_waitcnt_depctr 0xfff
	v_fma_f64 v[27:28], -v[5:6], v[7:8], 1.0
	v_fma_f64 v[7:8], v[7:8], v[27:28], v[7:8]
	s_delay_alu instid0(VALU_DEP_1) | instskip(NEXT) | instid1(VALU_DEP_1)
	v_fma_f64 v[27:28], -v[5:6], v[7:8], 1.0
	v_fma_f64 v[7:8], v[7:8], v[27:28], v[7:8]
	s_delay_alu instid0(VALU_DEP_1) | instskip(NEXT) | instid1(VALU_DEP_1)
	v_mul_f64 v[27:28], v[29:30], v[7:8]
	v_fma_f64 v[5:6], -v[5:6], v[27:28], v[29:30]
	s_delay_alu instid0(VALU_DEP_1) | instskip(NEXT) | instid1(VALU_DEP_1)
	v_div_fmas_f64 v[5:6], v[5:6], v[7:8], v[27:28]
	v_div_fixup_f64 v[5:6], v[5:6], v[17:18], v[19:20]
	s_delay_alu instid0(VALU_DEP_1) | instskip(NEXT) | instid1(VALU_DEP_1)
	v_fma_f64 v[7:8], v[19:20], v[5:6], v[17:18]
	v_div_scale_f64 v[17:18], null, v[7:8], v[7:8], 1.0
	v_div_scale_f64 v[29:30], vcc_lo, 1.0, v[7:8], 1.0
	s_delay_alu instid0(VALU_DEP_2) | instskip(SKIP_2) | instid1(VALU_DEP_1)
	v_rcp_f64_e32 v[19:20], v[17:18]
	s_waitcnt_depctr 0xfff
	v_fma_f64 v[27:28], -v[17:18], v[19:20], 1.0
	v_fma_f64 v[19:20], v[19:20], v[27:28], v[19:20]
	s_delay_alu instid0(VALU_DEP_1) | instskip(NEXT) | instid1(VALU_DEP_1)
	v_fma_f64 v[27:28], -v[17:18], v[19:20], 1.0
	v_fma_f64 v[19:20], v[19:20], v[27:28], v[19:20]
	s_delay_alu instid0(VALU_DEP_1) | instskip(NEXT) | instid1(VALU_DEP_1)
	v_mul_f64 v[27:28], v[29:30], v[19:20]
	v_fma_f64 v[17:18], -v[17:18], v[27:28], v[29:30]
	s_delay_alu instid0(VALU_DEP_1) | instskip(SKIP_1) | instid1(VALU_DEP_2)
	v_div_fmas_f64 v[17:18], v[17:18], v[19:20], v[27:28]
	v_fma_f64 v[19:20], v[5:6], v[23:24], v[21:22]
	v_div_fixup_f64 v[7:8], v[17:18], v[7:8], 1.0
	v_fma_f64 v[17:18], -v[5:6], v[21:22], v[23:24]
	s_delay_alu instid0(VALU_DEP_2) | instskip(NEXT) | instid1(VALU_DEP_2)
	v_mul_f64 v[5:6], v[19:20], v[7:8]
	v_mul_f64 v[7:8], v[17:18], v[7:8]
.LBB223_36:                             ;   in Loop: Header=BB223_21 Depth=1
	v_mov_b32_e32 v17, s8
	s_add_i32 s6, s6, s5
	ds_load_b128 v[21:24], v17 offset:48
	ds_load_b128 v[17:20], v17 offset:1008
	v_mov_b32_e32 v27, s7
	s_lshl_b32 s6, s6, 4
	ds_store_b128 v26, v[5:8]
	v_mov_b32_e32 v31, s6
	ds_load_b128 v[27:30], v27 offset:48
	ds_load_b128 v[31:34], v31 offset:48
	s_waitcnt lgkmcnt(4)
	v_mul_f64 v[35:36], v[15:16], v[23:24]
	v_mul_f64 v[23:24], v[13:14], v[23:24]
	s_waitcnt lgkmcnt(3)
	v_cmp_gt_f64_e32 vcc_lo, 0, v[17:18]
	s_waitcnt lgkmcnt(1)
	v_mul_f64 v[37:38], v[11:12], v[29:30]
	v_mul_f64 v[29:30], v[9:10], v[29:30]
	v_fma_f64 v[13:14], v[13:14], v[21:22], -v[35:36]
	v_fma_f64 v[15:16], v[15:16], v[21:22], v[23:24]
	s_waitcnt lgkmcnt(0)
	v_mul_f64 v[21:22], v[7:8], v[33:34]
	v_mul_f64 v[23:24], v[5:6], v[33:34]
	v_fma_f64 v[9:10], v[9:10], v[27:28], -v[37:38]
	v_fma_f64 v[11:12], v[11:12], v[27:28], v[29:30]
	v_add_f64 v[1:2], v[1:2], -v[13:14]
	v_add_f64 v[3:4], v[3:4], -v[15:16]
	v_fma_f64 v[13:14], v[5:6], v[31:32], -v[21:22]
	v_fma_f64 v[15:16], v[7:8], v[31:32], v[23:24]
	s_delay_alu instid0(VALU_DEP_4) | instskip(SKIP_4) | instid1(VALU_DEP_4)
	v_add_f64 v[1:2], v[1:2], -v[9:10]
	v_xor_b32_e32 v10, 0x80000000, v18
	v_add_f64 v[3:4], v[3:4], -v[11:12]
	v_xor_b32_e32 v12, 0x80000000, v20
	v_mov_b32_e32 v9, v17
	v_dual_mov_b32 v11, v19 :: v_dual_cndmask_b32 v10, v18, v10
	v_cmp_gt_f64_e32 vcc_lo, 0, v[19:20]
	s_delay_alu instid0(VALU_DEP_4) | instskip(NEXT) | instid1(VALU_DEP_1)
	v_cndmask_b32_e32 v12, v20, v12, vcc_lo
	v_cmp_ngt_f64_e32 vcc_lo, v[9:10], v[11:12]
	v_add_f64 v[9:10], v[1:2], -v[13:14]
	v_add_f64 v[11:12], v[3:4], -v[15:16]
	s_cbranch_vccz .LBB223_38
; %bb.37:                               ;   in Loop: Header=BB223_21 Depth=1
	v_div_scale_f64 v[1:2], null, v[19:20], v[19:20], v[17:18]
	v_div_scale_f64 v[7:8], vcc_lo, v[17:18], v[19:20], v[17:18]
	s_delay_alu instid0(VALU_DEP_2) | instskip(SKIP_2) | instid1(VALU_DEP_1)
	v_rcp_f64_e32 v[3:4], v[1:2]
	s_waitcnt_depctr 0xfff
	v_fma_f64 v[5:6], -v[1:2], v[3:4], 1.0
	v_fma_f64 v[3:4], v[3:4], v[5:6], v[3:4]
	s_delay_alu instid0(VALU_DEP_1) | instskip(NEXT) | instid1(VALU_DEP_1)
	v_fma_f64 v[5:6], -v[1:2], v[3:4], 1.0
	v_fma_f64 v[3:4], v[3:4], v[5:6], v[3:4]
	s_delay_alu instid0(VALU_DEP_1) | instskip(NEXT) | instid1(VALU_DEP_1)
	v_mul_f64 v[5:6], v[7:8], v[3:4]
	v_fma_f64 v[1:2], -v[1:2], v[5:6], v[7:8]
	s_delay_alu instid0(VALU_DEP_1) | instskip(NEXT) | instid1(VALU_DEP_1)
	v_div_fmas_f64 v[1:2], v[1:2], v[3:4], v[5:6]
	v_div_fixup_f64 v[1:2], v[1:2], v[19:20], v[17:18]
	s_delay_alu instid0(VALU_DEP_1) | instskip(NEXT) | instid1(VALU_DEP_1)
	v_fma_f64 v[3:4], v[17:18], v[1:2], v[19:20]
	v_div_scale_f64 v[5:6], null, v[3:4], v[3:4], 1.0
	v_div_scale_f64 v[15:16], vcc_lo, 1.0, v[3:4], 1.0
	s_delay_alu instid0(VALU_DEP_2) | instskip(SKIP_2) | instid1(VALU_DEP_1)
	v_rcp_f64_e32 v[7:8], v[5:6]
	s_waitcnt_depctr 0xfff
	v_fma_f64 v[13:14], -v[5:6], v[7:8], 1.0
	v_fma_f64 v[7:8], v[7:8], v[13:14], v[7:8]
	s_delay_alu instid0(VALU_DEP_1) | instskip(NEXT) | instid1(VALU_DEP_1)
	v_fma_f64 v[13:14], -v[5:6], v[7:8], 1.0
	v_fma_f64 v[7:8], v[7:8], v[13:14], v[7:8]
	s_delay_alu instid0(VALU_DEP_1) | instskip(NEXT) | instid1(VALU_DEP_1)
	v_mul_f64 v[13:14], v[15:16], v[7:8]
	v_fma_f64 v[5:6], -v[5:6], v[13:14], v[15:16]
	s_delay_alu instid0(VALU_DEP_1) | instskip(SKIP_1) | instid1(VALU_DEP_2)
	v_div_fmas_f64 v[5:6], v[5:6], v[7:8], v[13:14]
	v_fma_f64 v[7:8], v[1:2], v[9:10], v[11:12]
	v_div_fixup_f64 v[3:4], v[5:6], v[3:4], 1.0
	v_fma_f64 v[5:6], v[1:2], v[11:12], -v[9:10]
	s_delay_alu instid0(VALU_DEP_2) | instskip(NEXT) | instid1(VALU_DEP_2)
	v_mul_f64 v[1:2], v[7:8], v[3:4]
	v_mul_f64 v[3:4], v[5:6], v[3:4]
	s_cbranch_execz .LBB223_39
	s_branch .LBB223_40
.LBB223_38:                             ;   in Loop: Header=BB223_21 Depth=1
                                        ; implicit-def: $vgpr3_vgpr4
.LBB223_39:                             ;   in Loop: Header=BB223_21 Depth=1
	v_div_scale_f64 v[1:2], null, v[17:18], v[17:18], v[19:20]
	v_div_scale_f64 v[7:8], vcc_lo, v[19:20], v[17:18], v[19:20]
	s_delay_alu instid0(VALU_DEP_2) | instskip(SKIP_2) | instid1(VALU_DEP_1)
	v_rcp_f64_e32 v[3:4], v[1:2]
	s_waitcnt_depctr 0xfff
	v_fma_f64 v[5:6], -v[1:2], v[3:4], 1.0
	v_fma_f64 v[3:4], v[3:4], v[5:6], v[3:4]
	s_delay_alu instid0(VALU_DEP_1) | instskip(NEXT) | instid1(VALU_DEP_1)
	v_fma_f64 v[5:6], -v[1:2], v[3:4], 1.0
	v_fma_f64 v[3:4], v[3:4], v[5:6], v[3:4]
	s_delay_alu instid0(VALU_DEP_1) | instskip(NEXT) | instid1(VALU_DEP_1)
	v_mul_f64 v[5:6], v[7:8], v[3:4]
	v_fma_f64 v[1:2], -v[1:2], v[5:6], v[7:8]
	s_delay_alu instid0(VALU_DEP_1) | instskip(NEXT) | instid1(VALU_DEP_1)
	v_div_fmas_f64 v[1:2], v[1:2], v[3:4], v[5:6]
	v_div_fixup_f64 v[1:2], v[1:2], v[17:18], v[19:20]
	s_delay_alu instid0(VALU_DEP_1) | instskip(NEXT) | instid1(VALU_DEP_1)
	v_fma_f64 v[3:4], v[19:20], v[1:2], v[17:18]
	v_div_scale_f64 v[5:6], null, v[3:4], v[3:4], 1.0
	v_div_scale_f64 v[15:16], vcc_lo, 1.0, v[3:4], 1.0
	s_delay_alu instid0(VALU_DEP_2) | instskip(SKIP_2) | instid1(VALU_DEP_1)
	v_rcp_f64_e32 v[7:8], v[5:6]
	s_waitcnt_depctr 0xfff
	v_fma_f64 v[13:14], -v[5:6], v[7:8], 1.0
	v_fma_f64 v[7:8], v[7:8], v[13:14], v[7:8]
	s_delay_alu instid0(VALU_DEP_1) | instskip(NEXT) | instid1(VALU_DEP_1)
	v_fma_f64 v[13:14], -v[5:6], v[7:8], 1.0
	v_fma_f64 v[7:8], v[7:8], v[13:14], v[7:8]
	s_delay_alu instid0(VALU_DEP_1) | instskip(NEXT) | instid1(VALU_DEP_1)
	v_mul_f64 v[13:14], v[15:16], v[7:8]
	v_fma_f64 v[5:6], -v[5:6], v[13:14], v[15:16]
	s_delay_alu instid0(VALU_DEP_1) | instskip(SKIP_1) | instid1(VALU_DEP_2)
	v_div_fmas_f64 v[5:6], v[5:6], v[7:8], v[13:14]
	v_fma_f64 v[7:8], v[1:2], v[11:12], v[9:10]
	v_div_fixup_f64 v[3:4], v[5:6], v[3:4], 1.0
	v_fma_f64 v[5:6], -v[1:2], v[9:10], v[11:12]
	s_delay_alu instid0(VALU_DEP_2) | instskip(NEXT) | instid1(VALU_DEP_2)
	v_mul_f64 v[1:2], v[7:8], v[3:4]
	v_mul_f64 v[3:4], v[5:6], v[3:4]
.LBB223_40:                             ;   in Loop: Header=BB223_21 Depth=1
	s_add_i32 s6, s5, 4
	s_add_i32 s5, s5, 7
	;; [unrolled: 1-line block ×3, first 2 shown]
	s_cmp_ge_i32 s5, s28
	ds_store_b128 v26, v[1:4] offset:320
	s_cbranch_scc1 .LBB223_42
; %bb.41:                               ;   in Loop: Header=BB223_21 Depth=1
	s_mov_b32 s5, s6
	s_branch .LBB223_21
.LBB223_42:
	s_cmp_ge_i32 s6, s28
	s_cbranch_scc1 .LBB223_57
; %bb.43:
	v_lshl_add_u32 v13, v0, 4, 0x1900
	s_add_i32 s4, s6, -1
	s_lshl_b32 s5, s6, 4
	s_mov_b32 s7, 0
	s_mov_b32 s8, s6
	s_branch .LBB223_45
.LBB223_44:                             ;   in Loop: Header=BB223_45 Depth=1
	v_add_nc_u16 v1, s8, 1
	s_add_i32 s6, s6, 1
	s_add_i32 s7, s7, 1
	s_add_i32 s5, s5, 16
	s_cmp_ge_i32 s6, s28
	v_readfirstlane_b32 s8, v1
	ds_store_b128 v14, v[9:12]
	s_cbranch_scc1 .LBB223_57
.LBB223_45:                             ; =>This Loop Header: Depth=1
                                        ;     Child Loop BB223_48 Depth 2
                                        ;     Child Loop BB223_52 Depth 2
	s_mul_i32 s9, s6, 20
	s_cmp_eq_u32 s6, 0
	v_add_lshl_u32 v5, s9, v0, 4
	ds_load_b128 v[1:4], v5 offset:6400
	s_cbranch_scc1 .LBB223_53
; %bb.46:                               ;   in Loop: Header=BB223_45 Depth=1
	s_add_i32 s9, s4, s7
	s_delay_alu instid0(SALU_CYCLE_1)
	s_cmp_lt_u32 s9, 3
	s_cbranch_scc1 .LBB223_50
; %bb.47:                               ;   in Loop: Header=BB223_45 Depth=1
	v_mov_b32_e32 v6, v13
	s_and_b32 s9, s6, -4
	s_mov_b32 s10, 0
	s_mov_b32 s11, s5
.LBB223_48:                             ;   Parent Loop BB223_45 Depth=1
                                        ; =>  This Inner Loop Header: Depth=2
	s_delay_alu instid0(SALU_CYCLE_1)
	v_mov_b32_e32 v30, s11
	s_add_i32 s10, s10, 4
	s_addk_i32 s11, 0x500
	s_cmp_eq_u32 s9, s10
	ds_load_b128 v[7:10], v6
	ds_load_b128 v[14:17], v30
	ds_load_b128 v[18:21], v6 offset:320
	ds_load_b128 v[22:25], v30 offset:320
	s_waitcnt lgkmcnt(2)
	v_mul_f64 v[11:12], v[16:17], v[9:10]
	v_mul_f64 v[9:10], v[14:15], v[9:10]
	s_waitcnt lgkmcnt(0)
	v_mul_f64 v[34:35], v[24:25], v[20:21]
	v_mul_f64 v[20:21], v[22:23], v[20:21]
	s_delay_alu instid0(VALU_DEP_4) | instskip(NEXT) | instid1(VALU_DEP_4)
	v_fma_f64 v[11:12], v[14:15], v[7:8], -v[11:12]
	v_fma_f64 v[36:37], v[16:17], v[7:8], v[9:10]
	ds_load_b128 v[7:10], v6 offset:640
	ds_load_b128 v[14:17], v30 offset:640
	;; [unrolled: 1-line block ×4, first 2 shown]
	v_fma_f64 v[22:23], v[22:23], v[18:19], -v[34:35]
	v_fma_f64 v[18:19], v[24:25], v[18:19], v[20:21]
	v_add_nc_u32_e32 v6, 0x500, v6
	s_waitcnt lgkmcnt(2)
	v_mul_f64 v[38:39], v[16:17], v[9:10]
	v_mul_f64 v[9:10], v[14:15], v[9:10]
	s_waitcnt lgkmcnt(0)
	v_mul_f64 v[20:21], v[30:31], v[28:29]
	v_add_f64 v[1:2], v[1:2], -v[11:12]
	v_add_f64 v[3:4], v[3:4], -v[36:37]
	v_mul_f64 v[11:12], v[32:33], v[28:29]
	v_fma_f64 v[14:15], v[14:15], v[7:8], -v[38:39]
	v_fma_f64 v[7:8], v[16:17], v[7:8], v[9:10]
	v_add_f64 v[1:2], v[1:2], -v[22:23]
	v_add_f64 v[3:4], v[3:4], -v[18:19]
	v_fma_f64 v[9:10], v[30:31], v[26:27], -v[11:12]
	v_fma_f64 v[11:12], v[32:33], v[26:27], v[20:21]
	s_delay_alu instid0(VALU_DEP_4) | instskip(NEXT) | instid1(VALU_DEP_4)
	v_add_f64 v[1:2], v[1:2], -v[14:15]
	v_add_f64 v[3:4], v[3:4], -v[7:8]
	s_delay_alu instid0(VALU_DEP_2) | instskip(NEXT) | instid1(VALU_DEP_2)
	v_add_f64 v[1:2], v[1:2], -v[9:10]
	v_add_f64 v[3:4], v[3:4], -v[11:12]
	s_cbranch_scc0 .LBB223_48
; %bb.49:                               ;   in Loop: Header=BB223_45 Depth=1
	s_and_b32 s10, s6, 3
	s_delay_alu instid0(SALU_CYCLE_1)
	s_cmp_eq_u32 s10, 0
	s_cbranch_scc0 .LBB223_51
	s_branch .LBB223_53
.LBB223_50:                             ;   in Loop: Header=BB223_45 Depth=1
	s_mov_b32 s9, 0
	s_and_b32 s10, s6, 3
	s_delay_alu instid0(SALU_CYCLE_1)
	s_cmp_eq_u32 s10, 0
	s_cbranch_scc1 .LBB223_53
.LBB223_51:                             ;   in Loop: Header=BB223_45 Depth=1
	s_and_b32 s10, s8, 3
	s_mulk_i32 s9, 0x140
	.p2align	6
.LBB223_52:                             ;   Parent Loop BB223_45 Depth=1
                                        ; =>  This Inner Loop Header: Depth=2
	s_delay_alu instid0(SALU_CYCLE_1)
	s_add_i32 s11, s5, s9
	v_add_nc_u32_e32 v6, s9, v13
	v_mov_b32_e32 v10, s11
	s_add_i32 s10, s10, -1
	s_addk_i32 s9, 0x140
	s_cmp_lg_u32 s10, 0
	ds_load_b128 v[6:9], v6
	ds_load_b128 v[14:17], v10
	s_waitcnt lgkmcnt(0)
	v_mul_f64 v[10:11], v[16:17], v[8:9]
	v_mul_f64 v[8:9], v[14:15], v[8:9]
	s_delay_alu instid0(VALU_DEP_2) | instskip(NEXT) | instid1(VALU_DEP_2)
	v_fma_f64 v[10:11], v[14:15], v[6:7], -v[10:11]
	v_fma_f64 v[6:7], v[16:17], v[6:7], v[8:9]
	s_delay_alu instid0(VALU_DEP_2) | instskip(NEXT) | instid1(VALU_DEP_2)
	v_add_f64 v[1:2], v[1:2], -v[10:11]
	v_add_f64 v[3:4], v[3:4], -v[6:7]
	s_cbranch_scc1 .LBB223_52
.LBB223_53:                             ;   in Loop: Header=BB223_45 Depth=1
	s_mul_i32 s9, s6, 0x150
	s_delay_alu instid0(SALU_CYCLE_1)
	v_dual_mov_b32 v5, s9 :: v_dual_add_nc_u32 v14, 0x1900, v5
	ds_load_b128 v[5:8], v5
	s_waitcnt lgkmcnt(0)
	v_cmp_gt_f64_e32 vcc_lo, 0, v[5:6]
	v_xor_b32_e32 v10, 0x80000000, v6
	v_mov_b32_e32 v9, v5
	v_xor_b32_e32 v11, 0x80000000, v8
	s_delay_alu instid0(VALU_DEP_3) | instskip(SKIP_1) | instid1(VALU_DEP_3)
	v_cndmask_b32_e32 v10, v6, v10, vcc_lo
	v_cmp_gt_f64_e32 vcc_lo, 0, v[7:8]
	v_dual_cndmask_b32 v12, v8, v11 :: v_dual_mov_b32 v11, v7
	s_delay_alu instid0(VALU_DEP_1)
	v_cmp_ngt_f64_e32 vcc_lo, v[9:10], v[11:12]
	s_cbranch_vccz .LBB223_55
; %bb.54:                               ;   in Loop: Header=BB223_45 Depth=1
	v_div_scale_f64 v[9:10], null, v[7:8], v[7:8], v[5:6]
	v_div_scale_f64 v[17:18], vcc_lo, v[5:6], v[7:8], v[5:6]
	s_delay_alu instid0(VALU_DEP_2) | instskip(SKIP_2) | instid1(VALU_DEP_1)
	v_rcp_f64_e32 v[11:12], v[9:10]
	s_waitcnt_depctr 0xfff
	v_fma_f64 v[15:16], -v[9:10], v[11:12], 1.0
	v_fma_f64 v[11:12], v[11:12], v[15:16], v[11:12]
	s_delay_alu instid0(VALU_DEP_1) | instskip(NEXT) | instid1(VALU_DEP_1)
	v_fma_f64 v[15:16], -v[9:10], v[11:12], 1.0
	v_fma_f64 v[11:12], v[11:12], v[15:16], v[11:12]
	s_delay_alu instid0(VALU_DEP_1) | instskip(NEXT) | instid1(VALU_DEP_1)
	v_mul_f64 v[15:16], v[17:18], v[11:12]
	v_fma_f64 v[9:10], -v[9:10], v[15:16], v[17:18]
	s_delay_alu instid0(VALU_DEP_1) | instskip(NEXT) | instid1(VALU_DEP_1)
	v_div_fmas_f64 v[9:10], v[9:10], v[11:12], v[15:16]
	v_div_fixup_f64 v[9:10], v[9:10], v[7:8], v[5:6]
	s_delay_alu instid0(VALU_DEP_1) | instskip(NEXT) | instid1(VALU_DEP_1)
	v_fma_f64 v[11:12], v[5:6], v[9:10], v[7:8]
	v_div_scale_f64 v[15:16], null, v[11:12], v[11:12], 1.0
	v_div_scale_f64 v[21:22], vcc_lo, 1.0, v[11:12], 1.0
	s_delay_alu instid0(VALU_DEP_2) | instskip(SKIP_2) | instid1(VALU_DEP_1)
	v_rcp_f64_e32 v[17:18], v[15:16]
	s_waitcnt_depctr 0xfff
	v_fma_f64 v[19:20], -v[15:16], v[17:18], 1.0
	v_fma_f64 v[17:18], v[17:18], v[19:20], v[17:18]
	s_delay_alu instid0(VALU_DEP_1) | instskip(NEXT) | instid1(VALU_DEP_1)
	v_fma_f64 v[19:20], -v[15:16], v[17:18], 1.0
	v_fma_f64 v[17:18], v[17:18], v[19:20], v[17:18]
	s_delay_alu instid0(VALU_DEP_1) | instskip(NEXT) | instid1(VALU_DEP_1)
	v_mul_f64 v[19:20], v[21:22], v[17:18]
	v_fma_f64 v[15:16], -v[15:16], v[19:20], v[21:22]
	s_delay_alu instid0(VALU_DEP_1) | instskip(SKIP_1) | instid1(VALU_DEP_2)
	v_div_fmas_f64 v[15:16], v[15:16], v[17:18], v[19:20]
	v_fma_f64 v[17:18], v[1:2], v[9:10], v[3:4]
	v_div_fixup_f64 v[11:12], v[15:16], v[11:12], 1.0
	v_fma_f64 v[15:16], v[3:4], v[9:10], -v[1:2]
	s_delay_alu instid0(VALU_DEP_2) | instskip(NEXT) | instid1(VALU_DEP_2)
	v_mul_f64 v[9:10], v[17:18], v[11:12]
	v_mul_f64 v[11:12], v[15:16], v[11:12]
	s_cbranch_execnz .LBB223_44
	s_branch .LBB223_56
.LBB223_55:                             ;   in Loop: Header=BB223_45 Depth=1
                                        ; implicit-def: $vgpr9_vgpr10
.LBB223_56:                             ;   in Loop: Header=BB223_45 Depth=1
	v_div_scale_f64 v[9:10], null, v[5:6], v[5:6], v[7:8]
	v_div_scale_f64 v[17:18], vcc_lo, v[7:8], v[5:6], v[7:8]
	s_delay_alu instid0(VALU_DEP_2) | instskip(SKIP_2) | instid1(VALU_DEP_1)
	v_rcp_f64_e32 v[11:12], v[9:10]
	s_waitcnt_depctr 0xfff
	v_fma_f64 v[15:16], -v[9:10], v[11:12], 1.0
	v_fma_f64 v[11:12], v[11:12], v[15:16], v[11:12]
	s_delay_alu instid0(VALU_DEP_1) | instskip(NEXT) | instid1(VALU_DEP_1)
	v_fma_f64 v[15:16], -v[9:10], v[11:12], 1.0
	v_fma_f64 v[11:12], v[11:12], v[15:16], v[11:12]
	s_delay_alu instid0(VALU_DEP_1) | instskip(NEXT) | instid1(VALU_DEP_1)
	v_mul_f64 v[15:16], v[17:18], v[11:12]
	v_fma_f64 v[9:10], -v[9:10], v[15:16], v[17:18]
	s_delay_alu instid0(VALU_DEP_1) | instskip(NEXT) | instid1(VALU_DEP_1)
	v_div_fmas_f64 v[9:10], v[9:10], v[11:12], v[15:16]
	v_div_fixup_f64 v[9:10], v[9:10], v[5:6], v[7:8]
	s_delay_alu instid0(VALU_DEP_1) | instskip(NEXT) | instid1(VALU_DEP_1)
	v_fma_f64 v[5:6], v[7:8], v[9:10], v[5:6]
	v_div_scale_f64 v[7:8], null, v[5:6], v[5:6], 1.0
	v_div_scale_f64 v[17:18], vcc_lo, 1.0, v[5:6], 1.0
	s_delay_alu instid0(VALU_DEP_2) | instskip(SKIP_2) | instid1(VALU_DEP_1)
	v_rcp_f64_e32 v[11:12], v[7:8]
	s_waitcnt_depctr 0xfff
	v_fma_f64 v[15:16], -v[7:8], v[11:12], 1.0
	v_fma_f64 v[11:12], v[11:12], v[15:16], v[11:12]
	s_delay_alu instid0(VALU_DEP_1) | instskip(NEXT) | instid1(VALU_DEP_1)
	v_fma_f64 v[15:16], -v[7:8], v[11:12], 1.0
	v_fma_f64 v[11:12], v[11:12], v[15:16], v[11:12]
	s_delay_alu instid0(VALU_DEP_1) | instskip(NEXT) | instid1(VALU_DEP_1)
	v_mul_f64 v[15:16], v[17:18], v[11:12]
	v_fma_f64 v[7:8], -v[7:8], v[15:16], v[17:18]
	s_delay_alu instid0(VALU_DEP_1) | instskip(SKIP_2) | instid1(VALU_DEP_3)
	v_div_fmas_f64 v[7:8], v[7:8], v[11:12], v[15:16]
	v_fma_f64 v[11:12], v[3:4], v[9:10], v[1:2]
	v_fma_f64 v[1:2], -v[1:2], v[9:10], v[3:4]
	v_div_fixup_f64 v[5:6], v[7:8], v[5:6], 1.0
	s_delay_alu instid0(VALU_DEP_1) | instskip(NEXT) | instid1(VALU_DEP_3)
	v_mul_f64 v[9:10], v[11:12], v[5:6]
	v_mul_f64 v[11:12], v[1:2], v[5:6]
	s_branch .LBB223_44
.LBB223_57:
	s_mov_b32 s4, 0
.LBB223_58:
	s_delay_alu instid0(SALU_CYCLE_1)
	s_and_b32 vcc_lo, exec_lo, s4
	s_cbranch_vccz .LBB223_90
; %bb.59:
	s_and_not1_b32 vcc_lo, exec_lo, s1
	s_mov_b32 s6, s29
	s_cbranch_vccnz .LBB223_81
; %bb.60:
	v_lshlrev_b32_e32 v1, 4, v0
	s_mul_i32 s4, s28, 0x140
	s_mov_b32 s5, s29
	s_delay_alu instid0(VALU_DEP_1) | instskip(SKIP_1) | instid1(SALU_CYCLE_1)
	v_add3_u32 v25, s4, v1, 0x1680
	s_mul_i32 s4, s28, 0x150
	s_addk_i32 s4, 0xfd40
.LBB223_61:                             ; =>This Loop Header: Depth=1
                                        ;     Child Loop BB223_62 Depth 2
	s_mul_i32 s8, s5, 20
	s_delay_alu instid0(VALU_DEP_1)
	v_mov_b32_e32 v16, v25
	s_sub_i32 s7, s8, 20
	v_add_lshl_u32 v13, s8, v0, 4
	s_sub_i32 s6, s8, 40
	v_add_lshl_u32 v15, s7, v0, 4
	v_add_lshl_u32 v14, s6, v0, 4
	s_cmp_le_i32 s29, s5
	ds_load_b128 v[17:20], v13 offset:6400
	ds_load_b128 v[9:12], v15 offset:6400
	;; [unrolled: 1-line block ×4, first 2 shown]
	s_mov_b32 s9, s4
	s_mov_b32 s10, s29
	s_cbranch_scc1 .LBB223_63
.LBB223_62:                             ;   Parent Loop BB223_61 Depth=1
                                        ; =>  This Inner Loop Header: Depth=2
	v_mov_b32_e32 v58, s9
	s_add_i32 s10, s10, -2
	s_addk_i32 s9, 0xfd80
	s_cmp_le_i32 s10, s5
	ds_load_b128 v[21:24], v16 offset:320
	ds_load_b128 v[26:29], v58 offset:368
	ds_load_b128 v[30:33], v58 offset:352
	ds_load_b128 v[34:37], v58 offset:336
	ds_load_b128 v[38:41], v58 offset:320
	ds_load_b128 v[42:45], v16
	ds_load_b128 v[46:49], v58 offset:48
	ds_load_b128 v[50:53], v58 offset:32
	;; [unrolled: 1-line block ×3, first 2 shown]
	ds_load_b128 v[58:61], v58
	v_add_nc_u32_e32 v16, 0xfffffd80, v16
	s_waitcnt lgkmcnt(8)
	v_mul_f64 v[62:63], v[23:24], v[28:29]
	v_mul_f64 v[28:29], v[21:22], v[28:29]
	s_waitcnt lgkmcnt(7)
	v_mul_f64 v[64:65], v[23:24], v[32:33]
	v_mul_f64 v[32:33], v[21:22], v[32:33]
	;; [unrolled: 3-line block ×8, first 2 shown]
	v_fma_f64 v[62:63], v[21:22], v[26:27], -v[62:63]
	v_fma_f64 v[26:27], v[23:24], v[26:27], v[28:29]
	v_fma_f64 v[28:29], v[21:22], v[30:31], -v[64:65]
	v_fma_f64 v[30:31], v[23:24], v[30:31], v[32:33]
	;; [unrolled: 2-line block ×8, first 2 shown]
	v_add_f64 v[17:18], v[17:18], -v[62:63]
	v_add_f64 v[19:20], v[19:20], -v[26:27]
	;; [unrolled: 1-line block ×16, first 2 shown]
	s_cbranch_scc0 .LBB223_62
.LBB223_63:                             ;   in Loop: Header=BB223_61 Depth=1
	s_mul_i32 s9, s5, 0x150
	v_add_nc_u32_e32 v29, 0x1900, v13
	v_dual_mov_b32 v13, s9 :: v_dual_add_nc_u32 v28, 0x1900, v15
	ds_load_b128 v[21:24], v13
	s_waitcnt lgkmcnt(0)
	v_dual_mov_b32 v13, v21 :: v_dual_add_nc_u32 v26, 0x17c0, v14
	v_cmp_gt_f64_e32 vcc_lo, 0, v[21:22]
	v_xor_b32_e32 v15, 0x80000000, v24
	v_add_nc_u32_e32 v27, 0x1900, v14
	v_xor_b32_e32 v14, 0x80000000, v22
	s_delay_alu instid0(VALU_DEP_1) | instskip(SKIP_2) | instid1(VALU_DEP_1)
	v_cndmask_b32_e32 v14, v22, v14, vcc_lo
	v_cmp_gt_f64_e32 vcc_lo, 0, v[23:24]
	v_dual_cndmask_b32 v16, v24, v15 :: v_dual_mov_b32 v15, v23
	v_cmp_ngt_f64_e32 vcc_lo, v[13:14], v[15:16]
	s_cbranch_vccz .LBB223_65
; %bb.64:                               ;   in Loop: Header=BB223_61 Depth=1
	v_div_scale_f64 v[13:14], null, v[23:24], v[23:24], v[21:22]
	v_div_scale_f64 v[32:33], vcc_lo, v[21:22], v[23:24], v[21:22]
	s_delay_alu instid0(VALU_DEP_2) | instskip(SKIP_2) | instid1(VALU_DEP_1)
	v_rcp_f64_e32 v[15:16], v[13:14]
	s_waitcnt_depctr 0xfff
	v_fma_f64 v[30:31], -v[13:14], v[15:16], 1.0
	v_fma_f64 v[15:16], v[15:16], v[30:31], v[15:16]
	s_delay_alu instid0(VALU_DEP_1) | instskip(NEXT) | instid1(VALU_DEP_1)
	v_fma_f64 v[30:31], -v[13:14], v[15:16], 1.0
	v_fma_f64 v[15:16], v[15:16], v[30:31], v[15:16]
	s_delay_alu instid0(VALU_DEP_1) | instskip(NEXT) | instid1(VALU_DEP_1)
	v_mul_f64 v[30:31], v[32:33], v[15:16]
	v_fma_f64 v[13:14], -v[13:14], v[30:31], v[32:33]
	s_delay_alu instid0(VALU_DEP_1) | instskip(NEXT) | instid1(VALU_DEP_1)
	v_div_fmas_f64 v[13:14], v[13:14], v[15:16], v[30:31]
	v_div_fixup_f64 v[13:14], v[13:14], v[23:24], v[21:22]
	s_delay_alu instid0(VALU_DEP_1) | instskip(NEXT) | instid1(VALU_DEP_1)
	v_fma_f64 v[15:16], v[21:22], v[13:14], v[23:24]
	v_div_scale_f64 v[30:31], null, v[15:16], v[15:16], 1.0
	v_div_scale_f64 v[36:37], vcc_lo, 1.0, v[15:16], 1.0
	s_delay_alu instid0(VALU_DEP_2) | instskip(SKIP_2) | instid1(VALU_DEP_1)
	v_rcp_f64_e32 v[32:33], v[30:31]
	s_waitcnt_depctr 0xfff
	v_fma_f64 v[34:35], -v[30:31], v[32:33], 1.0
	v_fma_f64 v[32:33], v[32:33], v[34:35], v[32:33]
	s_delay_alu instid0(VALU_DEP_1) | instskip(NEXT) | instid1(VALU_DEP_1)
	v_fma_f64 v[34:35], -v[30:31], v[32:33], 1.0
	v_fma_f64 v[32:33], v[32:33], v[34:35], v[32:33]
	s_delay_alu instid0(VALU_DEP_1) | instskip(NEXT) | instid1(VALU_DEP_1)
	v_mul_f64 v[34:35], v[36:37], v[32:33]
	v_fma_f64 v[30:31], -v[30:31], v[34:35], v[36:37]
	s_delay_alu instid0(VALU_DEP_1) | instskip(SKIP_1) | instid1(VALU_DEP_2)
	v_div_fmas_f64 v[30:31], v[30:31], v[32:33], v[34:35]
	v_fma_f64 v[32:33], v[17:18], v[13:14], v[19:20]
	v_div_fixup_f64 v[15:16], v[30:31], v[15:16], 1.0
	v_fma_f64 v[30:31], v[19:20], v[13:14], -v[17:18]
	s_delay_alu instid0(VALU_DEP_2) | instskip(NEXT) | instid1(VALU_DEP_2)
	v_mul_f64 v[13:14], v[32:33], v[15:16]
	v_mul_f64 v[15:16], v[30:31], v[15:16]
	s_cbranch_execz .LBB223_66
	s_branch .LBB223_67
.LBB223_65:                             ;   in Loop: Header=BB223_61 Depth=1
                                        ; implicit-def: $vgpr15_vgpr16
.LBB223_66:                             ;   in Loop: Header=BB223_61 Depth=1
	v_div_scale_f64 v[13:14], null, v[21:22], v[21:22], v[23:24]
	v_div_scale_f64 v[32:33], vcc_lo, v[23:24], v[21:22], v[23:24]
	s_delay_alu instid0(VALU_DEP_2) | instskip(SKIP_2) | instid1(VALU_DEP_1)
	v_rcp_f64_e32 v[15:16], v[13:14]
	s_waitcnt_depctr 0xfff
	v_fma_f64 v[30:31], -v[13:14], v[15:16], 1.0
	v_fma_f64 v[15:16], v[15:16], v[30:31], v[15:16]
	s_delay_alu instid0(VALU_DEP_1) | instskip(NEXT) | instid1(VALU_DEP_1)
	v_fma_f64 v[30:31], -v[13:14], v[15:16], 1.0
	v_fma_f64 v[15:16], v[15:16], v[30:31], v[15:16]
	s_delay_alu instid0(VALU_DEP_1) | instskip(NEXT) | instid1(VALU_DEP_1)
	v_mul_f64 v[30:31], v[32:33], v[15:16]
	v_fma_f64 v[13:14], -v[13:14], v[30:31], v[32:33]
	s_delay_alu instid0(VALU_DEP_1) | instskip(NEXT) | instid1(VALU_DEP_1)
	v_div_fmas_f64 v[13:14], v[13:14], v[15:16], v[30:31]
	v_div_fixup_f64 v[13:14], v[13:14], v[21:22], v[23:24]
	s_delay_alu instid0(VALU_DEP_1) | instskip(NEXT) | instid1(VALU_DEP_1)
	v_fma_f64 v[15:16], v[23:24], v[13:14], v[21:22]
	v_div_scale_f64 v[21:22], null, v[15:16], v[15:16], 1.0
	v_div_scale_f64 v[32:33], vcc_lo, 1.0, v[15:16], 1.0
	s_delay_alu instid0(VALU_DEP_2) | instskip(SKIP_2) | instid1(VALU_DEP_1)
	v_rcp_f64_e32 v[23:24], v[21:22]
	s_waitcnt_depctr 0xfff
	v_fma_f64 v[30:31], -v[21:22], v[23:24], 1.0
	v_fma_f64 v[23:24], v[23:24], v[30:31], v[23:24]
	s_delay_alu instid0(VALU_DEP_1) | instskip(NEXT) | instid1(VALU_DEP_1)
	v_fma_f64 v[30:31], -v[21:22], v[23:24], 1.0
	v_fma_f64 v[23:24], v[23:24], v[30:31], v[23:24]
	s_delay_alu instid0(VALU_DEP_1) | instskip(NEXT) | instid1(VALU_DEP_1)
	v_mul_f64 v[30:31], v[32:33], v[23:24]
	v_fma_f64 v[21:22], -v[21:22], v[30:31], v[32:33]
	s_delay_alu instid0(VALU_DEP_1) | instskip(SKIP_2) | instid1(VALU_DEP_3)
	v_div_fmas_f64 v[21:22], v[21:22], v[23:24], v[30:31]
	v_fma_f64 v[23:24], v[19:20], v[13:14], v[17:18]
	v_fma_f64 v[17:18], -v[17:18], v[13:14], v[19:20]
	v_div_fixup_f64 v[15:16], v[21:22], v[15:16], 1.0
	s_delay_alu instid0(VALU_DEP_1) | instskip(NEXT) | instid1(VALU_DEP_3)
	v_mul_f64 v[13:14], v[23:24], v[15:16]
	v_mul_f64 v[15:16], v[17:18], v[15:16]
.LBB223_67:                             ;   in Loop: Header=BB223_61 Depth=1
	s_add_i32 s10, s5, s8
	s_addk_i32 s9, 0xfeb0
	s_lshl_b32 s10, s10, 4
	ds_store_b128 v29, v[13:16]
	s_add_i32 s10, s10, -16
	s_delay_alu instid0(SALU_CYCLE_1)
	v_mov_b32_e32 v17, s10
	ds_load_b128 v[21:24], v17
	v_mov_b32_e32 v17, s9
	ds_load_b128 v[17:20], v17
	s_waitcnt lgkmcnt(1)
	v_mul_f64 v[30:31], v[15:16], v[23:24]
	v_mul_f64 v[23:24], v[13:14], v[23:24]
	s_waitcnt lgkmcnt(0)
	v_cmp_gt_f64_e32 vcc_lo, 0, v[17:18]
	v_xor_b32_e32 v33, 0x80000000, v20
	v_mov_b32_e32 v32, v19
	v_fma_f64 v[30:31], v[13:14], v[21:22], -v[30:31]
	v_fma_f64 v[23:24], v[15:16], v[21:22], v[23:24]
	v_xor_b32_e32 v22, 0x80000000, v18
	s_delay_alu instid0(VALU_DEP_1) | instskip(SKIP_1) | instid1(VALU_DEP_4)
	v_dual_mov_b32 v21, v17 :: v_dual_cndmask_b32 v22, v18, v22
	v_cmp_gt_f64_e32 vcc_lo, 0, v[19:20]
	v_add_f64 v[23:24], v[11:12], -v[23:24]
	v_cndmask_b32_e32 v33, v20, v33, vcc_lo
	s_delay_alu instid0(VALU_DEP_1)
	v_cmp_ngt_f64_e32 vcc_lo, v[21:22], v[32:33]
	v_add_f64 v[21:22], v[9:10], -v[30:31]
	s_cbranch_vccz .LBB223_69
; %bb.68:                               ;   in Loop: Header=BB223_61 Depth=1
	v_div_scale_f64 v[9:10], null, v[19:20], v[19:20], v[17:18]
	v_div_scale_f64 v[31:32], vcc_lo, v[17:18], v[19:20], v[17:18]
	s_delay_alu instid0(VALU_DEP_2) | instskip(SKIP_2) | instid1(VALU_DEP_1)
	v_rcp_f64_e32 v[11:12], v[9:10]
	s_waitcnt_depctr 0xfff
	v_fma_f64 v[29:30], -v[9:10], v[11:12], 1.0
	v_fma_f64 v[11:12], v[11:12], v[29:30], v[11:12]
	s_delay_alu instid0(VALU_DEP_1) | instskip(NEXT) | instid1(VALU_DEP_1)
	v_fma_f64 v[29:30], -v[9:10], v[11:12], 1.0
	v_fma_f64 v[11:12], v[11:12], v[29:30], v[11:12]
	s_delay_alu instid0(VALU_DEP_1) | instskip(NEXT) | instid1(VALU_DEP_1)
	v_mul_f64 v[29:30], v[31:32], v[11:12]
	v_fma_f64 v[9:10], -v[9:10], v[29:30], v[31:32]
	s_delay_alu instid0(VALU_DEP_1) | instskip(NEXT) | instid1(VALU_DEP_1)
	v_div_fmas_f64 v[9:10], v[9:10], v[11:12], v[29:30]
	v_div_fixup_f64 v[9:10], v[9:10], v[19:20], v[17:18]
	s_delay_alu instid0(VALU_DEP_1) | instskip(NEXT) | instid1(VALU_DEP_1)
	v_fma_f64 v[11:12], v[17:18], v[9:10], v[19:20]
	v_div_scale_f64 v[29:30], null, v[11:12], v[11:12], 1.0
	v_div_scale_f64 v[35:36], vcc_lo, 1.0, v[11:12], 1.0
	s_delay_alu instid0(VALU_DEP_2) | instskip(SKIP_2) | instid1(VALU_DEP_1)
	v_rcp_f64_e32 v[31:32], v[29:30]
	s_waitcnt_depctr 0xfff
	v_fma_f64 v[33:34], -v[29:30], v[31:32], 1.0
	v_fma_f64 v[31:32], v[31:32], v[33:34], v[31:32]
	s_delay_alu instid0(VALU_DEP_1) | instskip(NEXT) | instid1(VALU_DEP_1)
	v_fma_f64 v[33:34], -v[29:30], v[31:32], 1.0
	v_fma_f64 v[31:32], v[31:32], v[33:34], v[31:32]
	s_delay_alu instid0(VALU_DEP_1) | instskip(NEXT) | instid1(VALU_DEP_1)
	v_mul_f64 v[33:34], v[35:36], v[31:32]
	v_fma_f64 v[29:30], -v[29:30], v[33:34], v[35:36]
	s_delay_alu instid0(VALU_DEP_1) | instskip(SKIP_1) | instid1(VALU_DEP_2)
	v_div_fmas_f64 v[29:30], v[29:30], v[31:32], v[33:34]
	v_fma_f64 v[31:32], v[9:10], v[21:22], v[23:24]
	v_div_fixup_f64 v[11:12], v[29:30], v[11:12], 1.0
	v_fma_f64 v[29:30], v[9:10], v[23:24], -v[21:22]
	s_delay_alu instid0(VALU_DEP_2) | instskip(NEXT) | instid1(VALU_DEP_2)
	v_mul_f64 v[9:10], v[31:32], v[11:12]
	v_mul_f64 v[11:12], v[29:30], v[11:12]
	s_cbranch_execz .LBB223_70
	s_branch .LBB223_71
.LBB223_69:                             ;   in Loop: Header=BB223_61 Depth=1
                                        ; implicit-def: $vgpr11_vgpr12
.LBB223_70:                             ;   in Loop: Header=BB223_61 Depth=1
	v_div_scale_f64 v[9:10], null, v[17:18], v[17:18], v[19:20]
	v_div_scale_f64 v[31:32], vcc_lo, v[19:20], v[17:18], v[19:20]
	s_delay_alu instid0(VALU_DEP_2) | instskip(SKIP_2) | instid1(VALU_DEP_1)
	v_rcp_f64_e32 v[11:12], v[9:10]
	s_waitcnt_depctr 0xfff
	v_fma_f64 v[29:30], -v[9:10], v[11:12], 1.0
	v_fma_f64 v[11:12], v[11:12], v[29:30], v[11:12]
	s_delay_alu instid0(VALU_DEP_1) | instskip(NEXT) | instid1(VALU_DEP_1)
	v_fma_f64 v[29:30], -v[9:10], v[11:12], 1.0
	v_fma_f64 v[11:12], v[11:12], v[29:30], v[11:12]
	s_delay_alu instid0(VALU_DEP_1) | instskip(NEXT) | instid1(VALU_DEP_1)
	v_mul_f64 v[29:30], v[31:32], v[11:12]
	v_fma_f64 v[9:10], -v[9:10], v[29:30], v[31:32]
	s_delay_alu instid0(VALU_DEP_1) | instskip(NEXT) | instid1(VALU_DEP_1)
	v_div_fmas_f64 v[9:10], v[9:10], v[11:12], v[29:30]
	v_div_fixup_f64 v[9:10], v[9:10], v[17:18], v[19:20]
	s_delay_alu instid0(VALU_DEP_1) | instskip(NEXT) | instid1(VALU_DEP_1)
	v_fma_f64 v[11:12], v[19:20], v[9:10], v[17:18]
	v_div_scale_f64 v[17:18], null, v[11:12], v[11:12], 1.0
	v_div_scale_f64 v[31:32], vcc_lo, 1.0, v[11:12], 1.0
	s_delay_alu instid0(VALU_DEP_2) | instskip(SKIP_2) | instid1(VALU_DEP_1)
	v_rcp_f64_e32 v[19:20], v[17:18]
	s_waitcnt_depctr 0xfff
	v_fma_f64 v[29:30], -v[17:18], v[19:20], 1.0
	v_fma_f64 v[19:20], v[19:20], v[29:30], v[19:20]
	s_delay_alu instid0(VALU_DEP_1) | instskip(NEXT) | instid1(VALU_DEP_1)
	v_fma_f64 v[29:30], -v[17:18], v[19:20], 1.0
	v_fma_f64 v[19:20], v[19:20], v[29:30], v[19:20]
	s_delay_alu instid0(VALU_DEP_1) | instskip(NEXT) | instid1(VALU_DEP_1)
	v_mul_f64 v[29:30], v[31:32], v[19:20]
	v_fma_f64 v[17:18], -v[17:18], v[29:30], v[31:32]
	s_delay_alu instid0(VALU_DEP_1) | instskip(SKIP_1) | instid1(VALU_DEP_2)
	v_div_fmas_f64 v[17:18], v[17:18], v[19:20], v[29:30]
	v_fma_f64 v[19:20], v[9:10], v[23:24], v[21:22]
	v_div_fixup_f64 v[11:12], v[17:18], v[11:12], 1.0
	v_fma_f64 v[17:18], -v[9:10], v[21:22], v[23:24]
	s_delay_alu instid0(VALU_DEP_2) | instskip(NEXT) | instid1(VALU_DEP_2)
	v_mul_f64 v[9:10], v[19:20], v[11:12]
	v_mul_f64 v[11:12], v[17:18], v[11:12]
.LBB223_71:                             ;   in Loop: Header=BB223_61 Depth=1
	s_add_i32 s10, s5, -2
	s_addk_i32 s9, 0xfeb0
	s_add_i32 s11, s8, s10
	s_add_i32 s10, s7, s10
	s_lshl_b32 s11, s11, 4
	s_lshl_b32 s10, s10, 4
	v_mov_b32_e32 v17, s11
	v_mov_b32_e32 v21, s10
	ds_store_b128 v28, v[9:12]
	ds_load_b128 v[17:20], v17
	ds_load_b128 v[21:24], v21
	s_waitcnt lgkmcnt(1)
	v_mul_f64 v[29:30], v[15:16], v[19:20]
	v_mul_f64 v[19:20], v[13:14], v[19:20]
	s_waitcnt lgkmcnt(0)
	v_mul_f64 v[31:32], v[11:12], v[23:24]
	v_mul_f64 v[23:24], v[9:10], v[23:24]
	s_delay_alu instid0(VALU_DEP_4) | instskip(NEXT) | instid1(VALU_DEP_4)
	v_fma_f64 v[29:30], v[13:14], v[17:18], -v[29:30]
	v_fma_f64 v[17:18], v[15:16], v[17:18], v[19:20]
	v_mov_b32_e32 v19, s9
	v_fma_f64 v[31:32], v[9:10], v[21:22], -v[31:32]
	v_fma_f64 v[23:24], v[11:12], v[21:22], v[23:24]
	v_add_f64 v[5:6], v[5:6], -v[29:30]
	v_add_f64 v[7:8], v[7:8], -v[17:18]
	ds_load_b128 v[17:20], v19
	s_waitcnt lgkmcnt(0)
	v_cmp_gt_f64_e32 vcc_lo, 0, v[17:18]
	v_xor_b32_e32 v22, 0x80000000, v18
	v_xor_b32_e32 v30, 0x80000000, v20
	v_mov_b32_e32 v21, v17
	v_mov_b32_e32 v29, v19
	v_add_f64 v[23:24], v[7:8], -v[23:24]
	v_cndmask_b32_e32 v22, v18, v22, vcc_lo
	v_cmp_gt_f64_e32 vcc_lo, 0, v[19:20]
	v_cndmask_b32_e32 v30, v20, v30, vcc_lo
	s_delay_alu instid0(VALU_DEP_1)
	v_cmp_ngt_f64_e32 vcc_lo, v[21:22], v[29:30]
	v_add_f64 v[21:22], v[5:6], -v[31:32]
	s_cbranch_vccz .LBB223_73
; %bb.72:                               ;   in Loop: Header=BB223_61 Depth=1
	v_div_scale_f64 v[5:6], null, v[19:20], v[19:20], v[17:18]
	v_div_scale_f64 v[30:31], vcc_lo, v[17:18], v[19:20], v[17:18]
	s_delay_alu instid0(VALU_DEP_2) | instskip(SKIP_2) | instid1(VALU_DEP_1)
	v_rcp_f64_e32 v[7:8], v[5:6]
	s_waitcnt_depctr 0xfff
	v_fma_f64 v[28:29], -v[5:6], v[7:8], 1.0
	v_fma_f64 v[7:8], v[7:8], v[28:29], v[7:8]
	s_delay_alu instid0(VALU_DEP_1) | instskip(NEXT) | instid1(VALU_DEP_1)
	v_fma_f64 v[28:29], -v[5:6], v[7:8], 1.0
	v_fma_f64 v[7:8], v[7:8], v[28:29], v[7:8]
	s_delay_alu instid0(VALU_DEP_1) | instskip(NEXT) | instid1(VALU_DEP_1)
	v_mul_f64 v[28:29], v[30:31], v[7:8]
	v_fma_f64 v[5:6], -v[5:6], v[28:29], v[30:31]
	s_delay_alu instid0(VALU_DEP_1) | instskip(NEXT) | instid1(VALU_DEP_1)
	v_div_fmas_f64 v[5:6], v[5:6], v[7:8], v[28:29]
	v_div_fixup_f64 v[5:6], v[5:6], v[19:20], v[17:18]
	s_delay_alu instid0(VALU_DEP_1) | instskip(NEXT) | instid1(VALU_DEP_1)
	v_fma_f64 v[7:8], v[17:18], v[5:6], v[19:20]
	v_div_scale_f64 v[28:29], null, v[7:8], v[7:8], 1.0
	v_div_scale_f64 v[34:35], vcc_lo, 1.0, v[7:8], 1.0
	s_delay_alu instid0(VALU_DEP_2) | instskip(SKIP_2) | instid1(VALU_DEP_1)
	v_rcp_f64_e32 v[30:31], v[28:29]
	s_waitcnt_depctr 0xfff
	v_fma_f64 v[32:33], -v[28:29], v[30:31], 1.0
	v_fma_f64 v[30:31], v[30:31], v[32:33], v[30:31]
	s_delay_alu instid0(VALU_DEP_1) | instskip(NEXT) | instid1(VALU_DEP_1)
	v_fma_f64 v[32:33], -v[28:29], v[30:31], 1.0
	v_fma_f64 v[30:31], v[30:31], v[32:33], v[30:31]
	s_delay_alu instid0(VALU_DEP_1) | instskip(NEXT) | instid1(VALU_DEP_1)
	v_mul_f64 v[32:33], v[34:35], v[30:31]
	v_fma_f64 v[28:29], -v[28:29], v[32:33], v[34:35]
	s_delay_alu instid0(VALU_DEP_1) | instskip(SKIP_1) | instid1(VALU_DEP_2)
	v_div_fmas_f64 v[28:29], v[28:29], v[30:31], v[32:33]
	v_fma_f64 v[30:31], v[5:6], v[21:22], v[23:24]
	v_div_fixup_f64 v[7:8], v[28:29], v[7:8], 1.0
	v_fma_f64 v[28:29], v[5:6], v[23:24], -v[21:22]
	s_delay_alu instid0(VALU_DEP_2) | instskip(NEXT) | instid1(VALU_DEP_2)
	v_mul_f64 v[5:6], v[30:31], v[7:8]
	v_mul_f64 v[7:8], v[28:29], v[7:8]
	s_cbranch_execz .LBB223_74
	s_branch .LBB223_75
.LBB223_73:                             ;   in Loop: Header=BB223_61 Depth=1
                                        ; implicit-def: $vgpr7_vgpr8
.LBB223_74:                             ;   in Loop: Header=BB223_61 Depth=1
	v_div_scale_f64 v[5:6], null, v[17:18], v[17:18], v[19:20]
	v_div_scale_f64 v[30:31], vcc_lo, v[19:20], v[17:18], v[19:20]
	s_delay_alu instid0(VALU_DEP_2) | instskip(SKIP_2) | instid1(VALU_DEP_1)
	v_rcp_f64_e32 v[7:8], v[5:6]
	s_waitcnt_depctr 0xfff
	v_fma_f64 v[28:29], -v[5:6], v[7:8], 1.0
	v_fma_f64 v[7:8], v[7:8], v[28:29], v[7:8]
	s_delay_alu instid0(VALU_DEP_1) | instskip(NEXT) | instid1(VALU_DEP_1)
	v_fma_f64 v[28:29], -v[5:6], v[7:8], 1.0
	v_fma_f64 v[7:8], v[7:8], v[28:29], v[7:8]
	s_delay_alu instid0(VALU_DEP_1) | instskip(NEXT) | instid1(VALU_DEP_1)
	v_mul_f64 v[28:29], v[30:31], v[7:8]
	v_fma_f64 v[5:6], -v[5:6], v[28:29], v[30:31]
	s_delay_alu instid0(VALU_DEP_1) | instskip(NEXT) | instid1(VALU_DEP_1)
	v_div_fmas_f64 v[5:6], v[5:6], v[7:8], v[28:29]
	v_div_fixup_f64 v[5:6], v[5:6], v[17:18], v[19:20]
	s_delay_alu instid0(VALU_DEP_1) | instskip(NEXT) | instid1(VALU_DEP_1)
	v_fma_f64 v[7:8], v[19:20], v[5:6], v[17:18]
	v_div_scale_f64 v[17:18], null, v[7:8], v[7:8], 1.0
	v_div_scale_f64 v[30:31], vcc_lo, 1.0, v[7:8], 1.0
	s_delay_alu instid0(VALU_DEP_2) | instskip(SKIP_2) | instid1(VALU_DEP_1)
	v_rcp_f64_e32 v[19:20], v[17:18]
	s_waitcnt_depctr 0xfff
	v_fma_f64 v[28:29], -v[17:18], v[19:20], 1.0
	v_fma_f64 v[19:20], v[19:20], v[28:29], v[19:20]
	s_delay_alu instid0(VALU_DEP_1) | instskip(NEXT) | instid1(VALU_DEP_1)
	v_fma_f64 v[28:29], -v[17:18], v[19:20], 1.0
	v_fma_f64 v[19:20], v[19:20], v[28:29], v[19:20]
	s_delay_alu instid0(VALU_DEP_1) | instskip(NEXT) | instid1(VALU_DEP_1)
	v_mul_f64 v[28:29], v[30:31], v[19:20]
	v_fma_f64 v[17:18], -v[17:18], v[28:29], v[30:31]
	s_delay_alu instid0(VALU_DEP_1) | instskip(SKIP_1) | instid1(VALU_DEP_2)
	v_div_fmas_f64 v[17:18], v[17:18], v[19:20], v[28:29]
	v_fma_f64 v[19:20], v[5:6], v[23:24], v[21:22]
	v_div_fixup_f64 v[7:8], v[17:18], v[7:8], 1.0
	v_fma_f64 v[17:18], -v[5:6], v[21:22], v[23:24]
	s_delay_alu instid0(VALU_DEP_2) | instskip(NEXT) | instid1(VALU_DEP_2)
	v_mul_f64 v[5:6], v[19:20], v[7:8]
	v_mul_f64 v[7:8], v[17:18], v[7:8]
.LBB223_75:                             ;   in Loop: Header=BB223_61 Depth=1
	s_add_i32 s10, s5, -3
	ds_store_b128 v27, v[5:8]
	s_add_i32 s8, s8, s10
	s_add_i32 s7, s7, s10
	s_lshl_b32 s8, s8, 4
	s_lshl_b32 s7, s7, 4
	v_mov_b32_e32 v17, s8
	v_mov_b32_e32 v21, s7
	s_add_i32 s6, s6, s10
	s_delay_alu instid0(SALU_CYCLE_1)
	s_lshl_b32 s6, s6, 4
	ds_load_b128 v[17:20], v17
	ds_load_b128 v[21:24], v21
	s_waitcnt lgkmcnt(1)
	v_mul_f64 v[28:29], v[15:16], v[19:20]
	v_mul_f64 v[19:20], v[13:14], v[19:20]
	s_delay_alu instid0(VALU_DEP_2) | instskip(SKIP_1) | instid1(VALU_DEP_3)
	v_fma_f64 v[28:29], v[13:14], v[17:18], -v[28:29]
	v_mov_b32_e32 v13, s6
	v_fma_f64 v[32:33], v[15:16], v[17:18], v[19:20]
	s_add_i32 s6, s9, 0xfffffeb0
	ds_load_b128 v[17:20], v13
	s_waitcnt lgkmcnt(1)
	v_mul_f64 v[30:31], v[11:12], v[23:24]
	v_mul_f64 v[23:24], v[9:10], v[23:24]
	v_mov_b32_e32 v13, s6
	ds_load_b128 v[13:16], v13
	s_waitcnt lgkmcnt(1)
	v_mul_f64 v[34:35], v[7:8], v[19:20]
	v_mul_f64 v[19:20], v[5:6], v[19:20]
	s_waitcnt lgkmcnt(0)
	v_cmp_gt_f64_e32 vcc_lo, 0, v[13:14]
	v_add_f64 v[1:2], v[1:2], -v[28:29]
	v_add_f64 v[3:4], v[3:4], -v[32:33]
	v_fma_f64 v[9:10], v[9:10], v[21:22], -v[30:31]
	v_fma_f64 v[11:12], v[11:12], v[21:22], v[23:24]
	v_fma_f64 v[21:22], v[5:6], v[17:18], -v[34:35]
	v_fma_f64 v[17:18], v[7:8], v[17:18], v[19:20]
	s_delay_alu instid0(VALU_DEP_4) | instskip(SKIP_4) | instid1(VALU_DEP_4)
	v_add_f64 v[1:2], v[1:2], -v[9:10]
	v_xor_b32_e32 v10, 0x80000000, v14
	v_add_f64 v[3:4], v[3:4], -v[11:12]
	v_xor_b32_e32 v12, 0x80000000, v16
	v_mov_b32_e32 v9, v13
	v_dual_mov_b32 v11, v15 :: v_dual_cndmask_b32 v10, v14, v10
	v_cmp_gt_f64_e32 vcc_lo, 0, v[15:16]
	s_delay_alu instid0(VALU_DEP_4) | instskip(NEXT) | instid1(VALU_DEP_1)
	v_cndmask_b32_e32 v12, v16, v12, vcc_lo
	v_cmp_ngt_f64_e32 vcc_lo, v[9:10], v[11:12]
	v_add_f64 v[9:10], v[1:2], -v[21:22]
	v_add_f64 v[11:12], v[3:4], -v[17:18]
	s_cbranch_vccz .LBB223_77
; %bb.76:                               ;   in Loop: Header=BB223_61 Depth=1
	v_div_scale_f64 v[1:2], null, v[15:16], v[15:16], v[13:14]
	v_div_scale_f64 v[7:8], vcc_lo, v[13:14], v[15:16], v[13:14]
	s_delay_alu instid0(VALU_DEP_2) | instskip(SKIP_2) | instid1(VALU_DEP_1)
	v_rcp_f64_e32 v[3:4], v[1:2]
	s_waitcnt_depctr 0xfff
	v_fma_f64 v[5:6], -v[1:2], v[3:4], 1.0
	v_fma_f64 v[3:4], v[3:4], v[5:6], v[3:4]
	s_delay_alu instid0(VALU_DEP_1) | instskip(NEXT) | instid1(VALU_DEP_1)
	v_fma_f64 v[5:6], -v[1:2], v[3:4], 1.0
	v_fma_f64 v[3:4], v[3:4], v[5:6], v[3:4]
	s_delay_alu instid0(VALU_DEP_1) | instskip(NEXT) | instid1(VALU_DEP_1)
	v_mul_f64 v[5:6], v[7:8], v[3:4]
	v_fma_f64 v[1:2], -v[1:2], v[5:6], v[7:8]
	s_delay_alu instid0(VALU_DEP_1) | instskip(NEXT) | instid1(VALU_DEP_1)
	v_div_fmas_f64 v[1:2], v[1:2], v[3:4], v[5:6]
	v_div_fixup_f64 v[1:2], v[1:2], v[15:16], v[13:14]
	s_delay_alu instid0(VALU_DEP_1) | instskip(NEXT) | instid1(VALU_DEP_1)
	v_fma_f64 v[3:4], v[13:14], v[1:2], v[15:16]
	v_div_scale_f64 v[5:6], null, v[3:4], v[3:4], 1.0
	v_div_scale_f64 v[19:20], vcc_lo, 1.0, v[3:4], 1.0
	s_delay_alu instid0(VALU_DEP_2) | instskip(SKIP_2) | instid1(VALU_DEP_1)
	v_rcp_f64_e32 v[7:8], v[5:6]
	s_waitcnt_depctr 0xfff
	v_fma_f64 v[17:18], -v[5:6], v[7:8], 1.0
	v_fma_f64 v[7:8], v[7:8], v[17:18], v[7:8]
	s_delay_alu instid0(VALU_DEP_1) | instskip(NEXT) | instid1(VALU_DEP_1)
	v_fma_f64 v[17:18], -v[5:6], v[7:8], 1.0
	v_fma_f64 v[7:8], v[7:8], v[17:18], v[7:8]
	s_delay_alu instid0(VALU_DEP_1) | instskip(NEXT) | instid1(VALU_DEP_1)
	v_mul_f64 v[17:18], v[19:20], v[7:8]
	v_fma_f64 v[5:6], -v[5:6], v[17:18], v[19:20]
	s_delay_alu instid0(VALU_DEP_1) | instskip(SKIP_1) | instid1(VALU_DEP_2)
	v_div_fmas_f64 v[5:6], v[5:6], v[7:8], v[17:18]
	v_fma_f64 v[7:8], v[1:2], v[9:10], v[11:12]
	v_div_fixup_f64 v[3:4], v[5:6], v[3:4], 1.0
	v_fma_f64 v[5:6], v[1:2], v[11:12], -v[9:10]
	s_delay_alu instid0(VALU_DEP_2) | instskip(NEXT) | instid1(VALU_DEP_2)
	v_mul_f64 v[1:2], v[7:8], v[3:4]
	v_mul_f64 v[3:4], v[5:6], v[3:4]
	s_cbranch_execz .LBB223_78
	s_branch .LBB223_79
.LBB223_77:                             ;   in Loop: Header=BB223_61 Depth=1
                                        ; implicit-def: $vgpr3_vgpr4
.LBB223_78:                             ;   in Loop: Header=BB223_61 Depth=1
	v_div_scale_f64 v[1:2], null, v[13:14], v[13:14], v[15:16]
	v_div_scale_f64 v[7:8], vcc_lo, v[15:16], v[13:14], v[15:16]
	s_delay_alu instid0(VALU_DEP_2) | instskip(SKIP_2) | instid1(VALU_DEP_1)
	v_rcp_f64_e32 v[3:4], v[1:2]
	s_waitcnt_depctr 0xfff
	v_fma_f64 v[5:6], -v[1:2], v[3:4], 1.0
	v_fma_f64 v[3:4], v[3:4], v[5:6], v[3:4]
	s_delay_alu instid0(VALU_DEP_1) | instskip(NEXT) | instid1(VALU_DEP_1)
	v_fma_f64 v[5:6], -v[1:2], v[3:4], 1.0
	v_fma_f64 v[3:4], v[3:4], v[5:6], v[3:4]
	s_delay_alu instid0(VALU_DEP_1) | instskip(NEXT) | instid1(VALU_DEP_1)
	v_mul_f64 v[5:6], v[7:8], v[3:4]
	v_fma_f64 v[1:2], -v[1:2], v[5:6], v[7:8]
	s_delay_alu instid0(VALU_DEP_1) | instskip(NEXT) | instid1(VALU_DEP_1)
	v_div_fmas_f64 v[1:2], v[1:2], v[3:4], v[5:6]
	v_div_fixup_f64 v[1:2], v[1:2], v[13:14], v[15:16]
	s_delay_alu instid0(VALU_DEP_1) | instskip(NEXT) | instid1(VALU_DEP_1)
	v_fma_f64 v[3:4], v[15:16], v[1:2], v[13:14]
	v_div_scale_f64 v[5:6], null, v[3:4], v[3:4], 1.0
	v_div_scale_f64 v[15:16], vcc_lo, 1.0, v[3:4], 1.0
	s_delay_alu instid0(VALU_DEP_2) | instskip(SKIP_2) | instid1(VALU_DEP_1)
	v_rcp_f64_e32 v[7:8], v[5:6]
	s_waitcnt_depctr 0xfff
	v_fma_f64 v[13:14], -v[5:6], v[7:8], 1.0
	v_fma_f64 v[7:8], v[7:8], v[13:14], v[7:8]
	s_delay_alu instid0(VALU_DEP_1) | instskip(NEXT) | instid1(VALU_DEP_1)
	v_fma_f64 v[13:14], -v[5:6], v[7:8], 1.0
	v_fma_f64 v[7:8], v[7:8], v[13:14], v[7:8]
	s_delay_alu instid0(VALU_DEP_1) | instskip(NEXT) | instid1(VALU_DEP_1)
	v_mul_f64 v[13:14], v[15:16], v[7:8]
	v_fma_f64 v[5:6], -v[5:6], v[13:14], v[15:16]
	s_delay_alu instid0(VALU_DEP_1) | instskip(SKIP_1) | instid1(VALU_DEP_2)
	v_div_fmas_f64 v[5:6], v[5:6], v[7:8], v[13:14]
	v_fma_f64 v[7:8], v[1:2], v[11:12], v[9:10]
	v_div_fixup_f64 v[3:4], v[5:6], v[3:4], 1.0
	v_fma_f64 v[5:6], -v[1:2], v[9:10], v[11:12]
	s_delay_alu instid0(VALU_DEP_2) | instskip(NEXT) | instid1(VALU_DEP_2)
	v_mul_f64 v[1:2], v[7:8], v[3:4]
	v_mul_f64 v[3:4], v[5:6], v[3:4]
.LBB223_79:                             ;   in Loop: Header=BB223_61 Depth=1
	s_add_i32 s6, s5, -4
	s_sub_i32 s4, s4, 64
	s_cmp_lt_i32 s5, 7
	ds_store_b128 v26, v[1:4]
	s_cbranch_scc1 .LBB223_81
; %bb.80:                               ;   in Loop: Header=BB223_61 Depth=1
	s_mov_b32 s5, s6
	s_branch .LBB223_61
.LBB223_81:
	s_cmp_lt_i32 s6, 0
	s_cbranch_scc1 .LBB223_90
; %bb.82:
	v_lshlrev_b32_e32 v1, 4, v0
	s_mul_i32 s4, s28, 0x140
	s_lshl_b32 s5, s6, 4
	s_delay_alu instid0(VALU_DEP_1) | instskip(SKIP_1) | instid1(SALU_CYCLE_1)
	v_add3_u32 v13, s4, v1, 0x17c0
	s_add_i32 s4, s4, s5
	s_addk_i32 s4, 0xfec0
	s_branch .LBB223_84
.LBB223_83:                             ;   in Loop: Header=BB223_84 Depth=1
	s_add_i32 s5, s6, -1
	s_add_i32 s4, s4, -16
	s_cmp_lt_i32 s6, 1
	s_mov_b32 s6, s5
	ds_store_b128 v14, v[9:12]
	s_cbranch_scc1 .LBB223_90
.LBB223_84:                             ; =>This Loop Header: Depth=1
                                        ;     Child Loop BB223_85 Depth 2
	s_mul_i32 s5, s6, 20
	v_mov_b32_e32 v6, v13
	v_add_lshl_u32 v5, s5, v0, 4
	s_cmp_le_i32 s29, s6
	s_mov_b32 s5, s4
	s_mov_b32 s7, s29
	ds_load_b128 v[1:4], v5 offset:6400
	s_cbranch_scc1 .LBB223_86
	.p2align	6
.LBB223_85:                             ;   Parent Loop BB223_84 Depth=1
                                        ; =>  This Inner Loop Header: Depth=2
	v_mov_b32_e32 v11, s5
	s_add_i32 s7, s7, -1
	s_addk_i32 s5, 0xfec0
	s_cmp_le_i32 s7, s6
	ds_load_b128 v[7:10], v6
	ds_load_b128 v[14:17], v11
	v_add_nc_u32_e32 v6, 0xfffffec0, v6
	s_waitcnt lgkmcnt(0)
	v_mul_f64 v[11:12], v[16:17], v[9:10]
	v_mul_f64 v[9:10], v[14:15], v[9:10]
	s_delay_alu instid0(VALU_DEP_2) | instskip(NEXT) | instid1(VALU_DEP_2)
	v_fma_f64 v[11:12], v[14:15], v[7:8], -v[11:12]
	v_fma_f64 v[7:8], v[16:17], v[7:8], v[9:10]
	s_delay_alu instid0(VALU_DEP_2) | instskip(NEXT) | instid1(VALU_DEP_2)
	v_add_f64 v[1:2], v[1:2], -v[11:12]
	v_add_f64 v[3:4], v[3:4], -v[7:8]
	s_cbranch_scc0 .LBB223_85
.LBB223_86:                             ;   in Loop: Header=BB223_84 Depth=1
	s_mul_i32 s5, s6, 0x150
	s_delay_alu instid0(SALU_CYCLE_1)
	v_dual_mov_b32 v5, s5 :: v_dual_add_nc_u32 v14, 0x1900, v5
	ds_load_b128 v[5:8], v5
	s_waitcnt lgkmcnt(0)
	v_cmp_gt_f64_e32 vcc_lo, 0, v[5:6]
	v_xor_b32_e32 v10, 0x80000000, v6
	v_mov_b32_e32 v9, v5
	v_xor_b32_e32 v11, 0x80000000, v8
	s_delay_alu instid0(VALU_DEP_3) | instskip(SKIP_1) | instid1(VALU_DEP_3)
	v_cndmask_b32_e32 v10, v6, v10, vcc_lo
	v_cmp_gt_f64_e32 vcc_lo, 0, v[7:8]
	v_dual_cndmask_b32 v12, v8, v11 :: v_dual_mov_b32 v11, v7
	s_delay_alu instid0(VALU_DEP_1)
	v_cmp_ngt_f64_e32 vcc_lo, v[9:10], v[11:12]
	s_cbranch_vccz .LBB223_88
; %bb.87:                               ;   in Loop: Header=BB223_84 Depth=1
	v_div_scale_f64 v[9:10], null, v[7:8], v[7:8], v[5:6]
	v_div_scale_f64 v[17:18], vcc_lo, v[5:6], v[7:8], v[5:6]
	s_delay_alu instid0(VALU_DEP_2) | instskip(SKIP_2) | instid1(VALU_DEP_1)
	v_rcp_f64_e32 v[11:12], v[9:10]
	s_waitcnt_depctr 0xfff
	v_fma_f64 v[15:16], -v[9:10], v[11:12], 1.0
	v_fma_f64 v[11:12], v[11:12], v[15:16], v[11:12]
	s_delay_alu instid0(VALU_DEP_1) | instskip(NEXT) | instid1(VALU_DEP_1)
	v_fma_f64 v[15:16], -v[9:10], v[11:12], 1.0
	v_fma_f64 v[11:12], v[11:12], v[15:16], v[11:12]
	s_delay_alu instid0(VALU_DEP_1) | instskip(NEXT) | instid1(VALU_DEP_1)
	v_mul_f64 v[15:16], v[17:18], v[11:12]
	v_fma_f64 v[9:10], -v[9:10], v[15:16], v[17:18]
	s_delay_alu instid0(VALU_DEP_1) | instskip(NEXT) | instid1(VALU_DEP_1)
	v_div_fmas_f64 v[9:10], v[9:10], v[11:12], v[15:16]
	v_div_fixup_f64 v[9:10], v[9:10], v[7:8], v[5:6]
	s_delay_alu instid0(VALU_DEP_1) | instskip(NEXT) | instid1(VALU_DEP_1)
	v_fma_f64 v[11:12], v[5:6], v[9:10], v[7:8]
	v_div_scale_f64 v[15:16], null, v[11:12], v[11:12], 1.0
	v_div_scale_f64 v[21:22], vcc_lo, 1.0, v[11:12], 1.0
	s_delay_alu instid0(VALU_DEP_2) | instskip(SKIP_2) | instid1(VALU_DEP_1)
	v_rcp_f64_e32 v[17:18], v[15:16]
	s_waitcnt_depctr 0xfff
	v_fma_f64 v[19:20], -v[15:16], v[17:18], 1.0
	v_fma_f64 v[17:18], v[17:18], v[19:20], v[17:18]
	s_delay_alu instid0(VALU_DEP_1) | instskip(NEXT) | instid1(VALU_DEP_1)
	v_fma_f64 v[19:20], -v[15:16], v[17:18], 1.0
	v_fma_f64 v[17:18], v[17:18], v[19:20], v[17:18]
	s_delay_alu instid0(VALU_DEP_1) | instskip(NEXT) | instid1(VALU_DEP_1)
	v_mul_f64 v[19:20], v[21:22], v[17:18]
	v_fma_f64 v[15:16], -v[15:16], v[19:20], v[21:22]
	s_delay_alu instid0(VALU_DEP_1) | instskip(SKIP_1) | instid1(VALU_DEP_2)
	v_div_fmas_f64 v[15:16], v[15:16], v[17:18], v[19:20]
	v_fma_f64 v[17:18], v[1:2], v[9:10], v[3:4]
	v_div_fixup_f64 v[11:12], v[15:16], v[11:12], 1.0
	v_fma_f64 v[15:16], v[3:4], v[9:10], -v[1:2]
	s_delay_alu instid0(VALU_DEP_2) | instskip(NEXT) | instid1(VALU_DEP_2)
	v_mul_f64 v[9:10], v[17:18], v[11:12]
	v_mul_f64 v[11:12], v[15:16], v[11:12]
	s_cbranch_execnz .LBB223_83
	s_branch .LBB223_89
.LBB223_88:                             ;   in Loop: Header=BB223_84 Depth=1
                                        ; implicit-def: $vgpr9_vgpr10
.LBB223_89:                             ;   in Loop: Header=BB223_84 Depth=1
	v_div_scale_f64 v[9:10], null, v[5:6], v[5:6], v[7:8]
	v_div_scale_f64 v[17:18], vcc_lo, v[7:8], v[5:6], v[7:8]
	s_delay_alu instid0(VALU_DEP_2) | instskip(SKIP_2) | instid1(VALU_DEP_1)
	v_rcp_f64_e32 v[11:12], v[9:10]
	s_waitcnt_depctr 0xfff
	v_fma_f64 v[15:16], -v[9:10], v[11:12], 1.0
	v_fma_f64 v[11:12], v[11:12], v[15:16], v[11:12]
	s_delay_alu instid0(VALU_DEP_1) | instskip(NEXT) | instid1(VALU_DEP_1)
	v_fma_f64 v[15:16], -v[9:10], v[11:12], 1.0
	v_fma_f64 v[11:12], v[11:12], v[15:16], v[11:12]
	s_delay_alu instid0(VALU_DEP_1) | instskip(NEXT) | instid1(VALU_DEP_1)
	v_mul_f64 v[15:16], v[17:18], v[11:12]
	v_fma_f64 v[9:10], -v[9:10], v[15:16], v[17:18]
	s_delay_alu instid0(VALU_DEP_1) | instskip(NEXT) | instid1(VALU_DEP_1)
	v_div_fmas_f64 v[9:10], v[9:10], v[11:12], v[15:16]
	v_div_fixup_f64 v[9:10], v[9:10], v[5:6], v[7:8]
	s_delay_alu instid0(VALU_DEP_1) | instskip(NEXT) | instid1(VALU_DEP_1)
	v_fma_f64 v[5:6], v[7:8], v[9:10], v[5:6]
	v_div_scale_f64 v[7:8], null, v[5:6], v[5:6], 1.0
	v_div_scale_f64 v[17:18], vcc_lo, 1.0, v[5:6], 1.0
	s_delay_alu instid0(VALU_DEP_2) | instskip(SKIP_2) | instid1(VALU_DEP_1)
	v_rcp_f64_e32 v[11:12], v[7:8]
	s_waitcnt_depctr 0xfff
	v_fma_f64 v[15:16], -v[7:8], v[11:12], 1.0
	v_fma_f64 v[11:12], v[11:12], v[15:16], v[11:12]
	s_delay_alu instid0(VALU_DEP_1) | instskip(NEXT) | instid1(VALU_DEP_1)
	v_fma_f64 v[15:16], -v[7:8], v[11:12], 1.0
	v_fma_f64 v[11:12], v[11:12], v[15:16], v[11:12]
	s_delay_alu instid0(VALU_DEP_1) | instskip(NEXT) | instid1(VALU_DEP_1)
	v_mul_f64 v[15:16], v[17:18], v[11:12]
	v_fma_f64 v[7:8], -v[7:8], v[15:16], v[17:18]
	s_delay_alu instid0(VALU_DEP_1) | instskip(SKIP_2) | instid1(VALU_DEP_3)
	v_div_fmas_f64 v[7:8], v[7:8], v[11:12], v[15:16]
	v_fma_f64 v[11:12], v[3:4], v[9:10], v[1:2]
	v_fma_f64 v[1:2], -v[1:2], v[9:10], v[3:4]
	v_div_fixup_f64 v[5:6], v[7:8], v[5:6], 1.0
	s_delay_alu instid0(VALU_DEP_1) | instskip(NEXT) | instid1(VALU_DEP_3)
	v_mul_f64 v[9:10], v[11:12], v[5:6]
	v_mul_f64 v[11:12], v[1:2], v[5:6]
	s_branch .LBB223_83
.LBB223_90:
	s_mov_b32 s5, 0
.LBB223_91:
	s_delay_alu instid0(SALU_CYCLE_1)
	s_and_not1_b32 vcc_lo, exec_lo, s5
	s_cbranch_vccnz .LBB223_123
; %bb.92:
	s_and_not1_b32 vcc_lo, exec_lo, s1
	s_mul_i32 s1, s28, 0x140
	s_mov_b32 s6, s29
	s_cbranch_vccnz .LBB223_114
; %bb.93:
	v_lshlrev_b32_e32 v1, 4, v0
	s_mul_i32 s4, s28, 0x150
	s_mov_b32 s5, s29
	s_addk_i32 s4, 0xfae0
	s_delay_alu instid0(VALU_DEP_1)
	v_add3_u32 v25, s1, v1, 0x1680
.LBB223_94:                             ; =>This Loop Header: Depth=1
                                        ;     Child Loop BB223_95 Depth 2
	s_mul_i32 s6, s5, 20
	s_delay_alu instid0(VALU_DEP_1)
	v_mov_b32_e32 v21, v25
	s_sub_i32 s8, s6, 20
	v_add_lshl_u32 v13, s6, v0, 4
	s_sub_i32 s7, s6, 40
	v_add_lshl_u32 v14, s8, v0, 4
	;; [unrolled: 2-line block ×3, first 2 shown]
	v_add_lshl_u32 v16, s6, v0, 4
	ds_load_b128 v[17:20], v13 offset:6400
	ds_load_b128 v[9:12], v14 offset:6400
	;; [unrolled: 1-line block ×4, first 2 shown]
	s_cmp_le_i32 s29, s5
	s_mov_b32 s9, s4
	s_mov_b32 s10, s29
	s_cbranch_scc1 .LBB223_96
.LBB223_95:                             ;   Parent Loop BB223_94 Depth=1
                                        ; =>  This Inner Loop Header: Depth=2
	v_mov_b32_e32 v22, s9
	s_add_i32 s10, s10, -2
	s_sub_i32 s9, s9, 32
	s_cmp_le_i32 s10, s5
	ds_load_b128 v[26:29], v21 offset:320
	ds_load_b128 v[30:33], v22 offset:976
	;; [unrolled: 1-line block ×5, first 2 shown]
	ds_load_b128 v[46:49], v22
	ds_load_b128 v[50:53], v21
	ds_load_b128 v[54:57], v22 offset:960
	ds_load_b128 v[58:61], v22 offset:640
	;; [unrolled: 1-line block ×3, first 2 shown]
	v_add_nc_u32_e32 v21, 0xfffffd80, v21
	s_waitcnt lgkmcnt(8)
	v_mul_f64 v[22:23], v[28:29], v[32:33]
	v_mul_f64 v[32:33], v[26:27], v[32:33]
	s_waitcnt lgkmcnt(7)
	v_mul_f64 v[66:67], v[28:29], v[36:37]
	v_mul_f64 v[36:37], v[26:27], v[36:37]
	;; [unrolled: 3-line block ×7, first 2 shown]
	v_mul_f64 v[78:79], v[52:53], v[48:49]
	v_mul_f64 v[48:49], v[50:51], v[48:49]
	v_fma_f64 v[22:23], v[26:27], v[30:31], -v[22:23]
	v_fma_f64 v[30:31], v[28:29], v[30:31], v[32:33]
	v_fma_f64 v[32:33], v[26:27], v[34:35], -v[66:67]
	v_fma_f64 v[34:35], v[28:29], v[34:35], v[36:37]
	;; [unrolled: 2-line block ×8, first 2 shown]
	v_add_f64 v[17:18], v[17:18], -v[22:23]
	v_add_f64 v[19:20], v[19:20], -v[30:31]
	;; [unrolled: 1-line block ×16, first 2 shown]
	s_cbranch_scc0 .LBB223_95
.LBB223_96:                             ;   in Loop: Header=BB223_94 Depth=1
	s_mul_i32 s9, s5, 0x150
	v_add_nc_u32_e32 v29, 0x1900, v13
	v_dual_mov_b32 v13, s9 :: v_dual_add_nc_u32 v28, 0x1900, v14
	v_add_nc_u32_e32 v27, 0x1900, v15
	ds_load_b128 v[21:24], v13
	s_waitcnt lgkmcnt(0)
	v_dual_mov_b32 v13, v21 :: v_dual_add_nc_u32 v26, 0x1900, v16
	v_cmp_gt_f64_e32 vcc_lo, 0, v[21:22]
	v_xor_b32_e32 v14, 0x80000000, v22
	v_xor_b32_e32 v15, 0x80000000, v24
	s_delay_alu instid0(VALU_DEP_2) | instskip(SKIP_1) | instid1(VALU_DEP_3)
	v_cndmask_b32_e32 v14, v22, v14, vcc_lo
	v_cmp_gt_f64_e32 vcc_lo, 0, v[23:24]
	v_dual_cndmask_b32 v16, v24, v15 :: v_dual_mov_b32 v15, v23
	s_delay_alu instid0(VALU_DEP_1)
	v_cmp_ngt_f64_e32 vcc_lo, v[13:14], v[15:16]
	s_cbranch_vccz .LBB223_98
; %bb.97:                               ;   in Loop: Header=BB223_94 Depth=1
	v_div_scale_f64 v[13:14], null, v[23:24], v[23:24], v[21:22]
	v_div_scale_f64 v[32:33], vcc_lo, v[21:22], v[23:24], v[21:22]
	s_delay_alu instid0(VALU_DEP_2) | instskip(SKIP_2) | instid1(VALU_DEP_1)
	v_rcp_f64_e32 v[15:16], v[13:14]
	s_waitcnt_depctr 0xfff
	v_fma_f64 v[30:31], -v[13:14], v[15:16], 1.0
	v_fma_f64 v[15:16], v[15:16], v[30:31], v[15:16]
	s_delay_alu instid0(VALU_DEP_1) | instskip(NEXT) | instid1(VALU_DEP_1)
	v_fma_f64 v[30:31], -v[13:14], v[15:16], 1.0
	v_fma_f64 v[15:16], v[15:16], v[30:31], v[15:16]
	s_delay_alu instid0(VALU_DEP_1) | instskip(NEXT) | instid1(VALU_DEP_1)
	v_mul_f64 v[30:31], v[32:33], v[15:16]
	v_fma_f64 v[13:14], -v[13:14], v[30:31], v[32:33]
	s_delay_alu instid0(VALU_DEP_1) | instskip(NEXT) | instid1(VALU_DEP_1)
	v_div_fmas_f64 v[13:14], v[13:14], v[15:16], v[30:31]
	v_div_fixup_f64 v[13:14], v[13:14], v[23:24], v[21:22]
	s_delay_alu instid0(VALU_DEP_1) | instskip(NEXT) | instid1(VALU_DEP_1)
	v_fma_f64 v[15:16], v[21:22], v[13:14], v[23:24]
	v_div_scale_f64 v[30:31], null, v[15:16], v[15:16], 1.0
	v_div_scale_f64 v[36:37], vcc_lo, 1.0, v[15:16], 1.0
	s_delay_alu instid0(VALU_DEP_2) | instskip(SKIP_2) | instid1(VALU_DEP_1)
	v_rcp_f64_e32 v[32:33], v[30:31]
	s_waitcnt_depctr 0xfff
	v_fma_f64 v[34:35], -v[30:31], v[32:33], 1.0
	v_fma_f64 v[32:33], v[32:33], v[34:35], v[32:33]
	s_delay_alu instid0(VALU_DEP_1) | instskip(NEXT) | instid1(VALU_DEP_1)
	v_fma_f64 v[34:35], -v[30:31], v[32:33], 1.0
	v_fma_f64 v[32:33], v[32:33], v[34:35], v[32:33]
	s_delay_alu instid0(VALU_DEP_1) | instskip(NEXT) | instid1(VALU_DEP_1)
	v_mul_f64 v[34:35], v[36:37], v[32:33]
	v_fma_f64 v[30:31], -v[30:31], v[34:35], v[36:37]
	s_delay_alu instid0(VALU_DEP_1) | instskip(SKIP_1) | instid1(VALU_DEP_2)
	v_div_fmas_f64 v[30:31], v[30:31], v[32:33], v[34:35]
	v_fma_f64 v[32:33], v[17:18], v[13:14], v[19:20]
	v_div_fixup_f64 v[15:16], v[30:31], v[15:16], 1.0
	v_fma_f64 v[30:31], v[19:20], v[13:14], -v[17:18]
	s_delay_alu instid0(VALU_DEP_2) | instskip(NEXT) | instid1(VALU_DEP_2)
	v_mul_f64 v[13:14], v[32:33], v[15:16]
	v_mul_f64 v[15:16], v[30:31], v[15:16]
	s_cbranch_execz .LBB223_99
	s_branch .LBB223_100
.LBB223_98:                             ;   in Loop: Header=BB223_94 Depth=1
                                        ; implicit-def: $vgpr15_vgpr16
.LBB223_99:                             ;   in Loop: Header=BB223_94 Depth=1
	v_div_scale_f64 v[13:14], null, v[21:22], v[21:22], v[23:24]
	v_div_scale_f64 v[32:33], vcc_lo, v[23:24], v[21:22], v[23:24]
	s_delay_alu instid0(VALU_DEP_2) | instskip(SKIP_2) | instid1(VALU_DEP_1)
	v_rcp_f64_e32 v[15:16], v[13:14]
	s_waitcnt_depctr 0xfff
	v_fma_f64 v[30:31], -v[13:14], v[15:16], 1.0
	v_fma_f64 v[15:16], v[15:16], v[30:31], v[15:16]
	s_delay_alu instid0(VALU_DEP_1) | instskip(NEXT) | instid1(VALU_DEP_1)
	v_fma_f64 v[30:31], -v[13:14], v[15:16], 1.0
	v_fma_f64 v[15:16], v[15:16], v[30:31], v[15:16]
	s_delay_alu instid0(VALU_DEP_1) | instskip(NEXT) | instid1(VALU_DEP_1)
	v_mul_f64 v[30:31], v[32:33], v[15:16]
	v_fma_f64 v[13:14], -v[13:14], v[30:31], v[32:33]
	s_delay_alu instid0(VALU_DEP_1) | instskip(NEXT) | instid1(VALU_DEP_1)
	v_div_fmas_f64 v[13:14], v[13:14], v[15:16], v[30:31]
	v_div_fixup_f64 v[13:14], v[13:14], v[21:22], v[23:24]
	s_delay_alu instid0(VALU_DEP_1) | instskip(NEXT) | instid1(VALU_DEP_1)
	v_fma_f64 v[15:16], v[23:24], v[13:14], v[21:22]
	v_div_scale_f64 v[21:22], null, v[15:16], v[15:16], 1.0
	v_div_scale_f64 v[32:33], vcc_lo, 1.0, v[15:16], 1.0
	s_delay_alu instid0(VALU_DEP_2) | instskip(SKIP_2) | instid1(VALU_DEP_1)
	v_rcp_f64_e32 v[23:24], v[21:22]
	s_waitcnt_depctr 0xfff
	v_fma_f64 v[30:31], -v[21:22], v[23:24], 1.0
	v_fma_f64 v[23:24], v[23:24], v[30:31], v[23:24]
	s_delay_alu instid0(VALU_DEP_1) | instskip(NEXT) | instid1(VALU_DEP_1)
	v_fma_f64 v[30:31], -v[21:22], v[23:24], 1.0
	v_fma_f64 v[23:24], v[23:24], v[30:31], v[23:24]
	s_delay_alu instid0(VALU_DEP_1) | instskip(NEXT) | instid1(VALU_DEP_1)
	v_mul_f64 v[30:31], v[32:33], v[23:24]
	v_fma_f64 v[21:22], -v[21:22], v[30:31], v[32:33]
	s_delay_alu instid0(VALU_DEP_1) | instskip(SKIP_2) | instid1(VALU_DEP_3)
	v_div_fmas_f64 v[21:22], v[21:22], v[23:24], v[30:31]
	v_fma_f64 v[23:24], v[19:20], v[13:14], v[17:18]
	v_fma_f64 v[17:18], -v[17:18], v[13:14], v[19:20]
	v_div_fixup_f64 v[15:16], v[21:22], v[15:16], 1.0
	s_delay_alu instid0(VALU_DEP_1) | instskip(NEXT) | instid1(VALU_DEP_3)
	v_mul_f64 v[13:14], v[23:24], v[15:16]
	v_mul_f64 v[15:16], v[17:18], v[15:16]
.LBB223_100:                            ;   in Loop: Header=BB223_94 Depth=1
	s_add_i32 s8, s8, s5
	s_addk_i32 s9, 0xfeb0
	s_lshl_b32 s8, s8, 4
	ds_store_b128 v29, v[13:16]
	v_mov_b32_e32 v17, s8
	ds_load_b128 v[21:24], v17
	v_mov_b32_e32 v17, s9
	ds_load_b128 v[17:20], v17
	s_waitcnt lgkmcnt(1)
	v_mul_f64 v[30:31], v[15:16], v[23:24]
	v_mul_f64 v[23:24], v[13:14], v[23:24]
	s_waitcnt lgkmcnt(0)
	v_cmp_gt_f64_e32 vcc_lo, 0, v[17:18]
	v_xor_b32_e32 v33, 0x80000000, v20
	v_mov_b32_e32 v32, v19
	v_fma_f64 v[30:31], v[13:14], v[21:22], -v[30:31]
	v_fma_f64 v[23:24], v[15:16], v[21:22], v[23:24]
	v_xor_b32_e32 v22, 0x80000000, v18
	s_delay_alu instid0(VALU_DEP_1) | instskip(SKIP_1) | instid1(VALU_DEP_4)
	v_dual_mov_b32 v21, v17 :: v_dual_cndmask_b32 v22, v18, v22
	v_cmp_gt_f64_e32 vcc_lo, 0, v[19:20]
	v_add_f64 v[23:24], v[11:12], -v[23:24]
	v_cndmask_b32_e32 v33, v20, v33, vcc_lo
	s_delay_alu instid0(VALU_DEP_1)
	v_cmp_ngt_f64_e32 vcc_lo, v[21:22], v[32:33]
	v_add_f64 v[21:22], v[9:10], -v[30:31]
	s_cbranch_vccz .LBB223_102
; %bb.101:                              ;   in Loop: Header=BB223_94 Depth=1
	v_div_scale_f64 v[9:10], null, v[19:20], v[19:20], v[17:18]
	v_div_scale_f64 v[31:32], vcc_lo, v[17:18], v[19:20], v[17:18]
	s_delay_alu instid0(VALU_DEP_2) | instskip(SKIP_2) | instid1(VALU_DEP_1)
	v_rcp_f64_e32 v[11:12], v[9:10]
	s_waitcnt_depctr 0xfff
	v_fma_f64 v[29:30], -v[9:10], v[11:12], 1.0
	v_fma_f64 v[11:12], v[11:12], v[29:30], v[11:12]
	s_delay_alu instid0(VALU_DEP_1) | instskip(NEXT) | instid1(VALU_DEP_1)
	v_fma_f64 v[29:30], -v[9:10], v[11:12], 1.0
	v_fma_f64 v[11:12], v[11:12], v[29:30], v[11:12]
	s_delay_alu instid0(VALU_DEP_1) | instskip(NEXT) | instid1(VALU_DEP_1)
	v_mul_f64 v[29:30], v[31:32], v[11:12]
	v_fma_f64 v[9:10], -v[9:10], v[29:30], v[31:32]
	s_delay_alu instid0(VALU_DEP_1) | instskip(NEXT) | instid1(VALU_DEP_1)
	v_div_fmas_f64 v[9:10], v[9:10], v[11:12], v[29:30]
	v_div_fixup_f64 v[9:10], v[9:10], v[19:20], v[17:18]
	s_delay_alu instid0(VALU_DEP_1) | instskip(NEXT) | instid1(VALU_DEP_1)
	v_fma_f64 v[11:12], v[17:18], v[9:10], v[19:20]
	v_div_scale_f64 v[29:30], null, v[11:12], v[11:12], 1.0
	v_div_scale_f64 v[35:36], vcc_lo, 1.0, v[11:12], 1.0
	s_delay_alu instid0(VALU_DEP_2) | instskip(SKIP_2) | instid1(VALU_DEP_1)
	v_rcp_f64_e32 v[31:32], v[29:30]
	s_waitcnt_depctr 0xfff
	v_fma_f64 v[33:34], -v[29:30], v[31:32], 1.0
	v_fma_f64 v[31:32], v[31:32], v[33:34], v[31:32]
	s_delay_alu instid0(VALU_DEP_1) | instskip(NEXT) | instid1(VALU_DEP_1)
	v_fma_f64 v[33:34], -v[29:30], v[31:32], 1.0
	v_fma_f64 v[31:32], v[31:32], v[33:34], v[31:32]
	s_delay_alu instid0(VALU_DEP_1) | instskip(NEXT) | instid1(VALU_DEP_1)
	v_mul_f64 v[33:34], v[35:36], v[31:32]
	v_fma_f64 v[29:30], -v[29:30], v[33:34], v[35:36]
	s_delay_alu instid0(VALU_DEP_1) | instskip(SKIP_1) | instid1(VALU_DEP_2)
	v_div_fmas_f64 v[29:30], v[29:30], v[31:32], v[33:34]
	v_fma_f64 v[31:32], v[9:10], v[21:22], v[23:24]
	v_div_fixup_f64 v[11:12], v[29:30], v[11:12], 1.0
	v_fma_f64 v[29:30], v[9:10], v[23:24], -v[21:22]
	s_delay_alu instid0(VALU_DEP_2) | instskip(NEXT) | instid1(VALU_DEP_2)
	v_mul_f64 v[9:10], v[31:32], v[11:12]
	v_mul_f64 v[11:12], v[29:30], v[11:12]
	s_cbranch_execz .LBB223_103
	s_branch .LBB223_104
.LBB223_102:                            ;   in Loop: Header=BB223_94 Depth=1
                                        ; implicit-def: $vgpr11_vgpr12
.LBB223_103:                            ;   in Loop: Header=BB223_94 Depth=1
	v_div_scale_f64 v[9:10], null, v[17:18], v[17:18], v[19:20]
	v_div_scale_f64 v[31:32], vcc_lo, v[19:20], v[17:18], v[19:20]
	s_delay_alu instid0(VALU_DEP_2) | instskip(SKIP_2) | instid1(VALU_DEP_1)
	v_rcp_f64_e32 v[11:12], v[9:10]
	s_waitcnt_depctr 0xfff
	v_fma_f64 v[29:30], -v[9:10], v[11:12], 1.0
	v_fma_f64 v[11:12], v[11:12], v[29:30], v[11:12]
	s_delay_alu instid0(VALU_DEP_1) | instskip(NEXT) | instid1(VALU_DEP_1)
	v_fma_f64 v[29:30], -v[9:10], v[11:12], 1.0
	v_fma_f64 v[11:12], v[11:12], v[29:30], v[11:12]
	s_delay_alu instid0(VALU_DEP_1) | instskip(NEXT) | instid1(VALU_DEP_1)
	v_mul_f64 v[29:30], v[31:32], v[11:12]
	v_fma_f64 v[9:10], -v[9:10], v[29:30], v[31:32]
	s_delay_alu instid0(VALU_DEP_1) | instskip(NEXT) | instid1(VALU_DEP_1)
	v_div_fmas_f64 v[9:10], v[9:10], v[11:12], v[29:30]
	v_div_fixup_f64 v[9:10], v[9:10], v[17:18], v[19:20]
	s_delay_alu instid0(VALU_DEP_1) | instskip(NEXT) | instid1(VALU_DEP_1)
	v_fma_f64 v[11:12], v[19:20], v[9:10], v[17:18]
	v_div_scale_f64 v[17:18], null, v[11:12], v[11:12], 1.0
	v_div_scale_f64 v[31:32], vcc_lo, 1.0, v[11:12], 1.0
	s_delay_alu instid0(VALU_DEP_2) | instskip(SKIP_2) | instid1(VALU_DEP_1)
	v_rcp_f64_e32 v[19:20], v[17:18]
	s_waitcnt_depctr 0xfff
	v_fma_f64 v[29:30], -v[17:18], v[19:20], 1.0
	v_fma_f64 v[19:20], v[19:20], v[29:30], v[19:20]
	s_delay_alu instid0(VALU_DEP_1) | instskip(NEXT) | instid1(VALU_DEP_1)
	v_fma_f64 v[29:30], -v[17:18], v[19:20], 1.0
	v_fma_f64 v[19:20], v[19:20], v[29:30], v[19:20]
	s_delay_alu instid0(VALU_DEP_1) | instskip(NEXT) | instid1(VALU_DEP_1)
	v_mul_f64 v[29:30], v[31:32], v[19:20]
	v_fma_f64 v[17:18], -v[17:18], v[29:30], v[31:32]
	s_delay_alu instid0(VALU_DEP_1) | instskip(SKIP_1) | instid1(VALU_DEP_2)
	v_div_fmas_f64 v[17:18], v[17:18], v[19:20], v[29:30]
	v_fma_f64 v[19:20], v[9:10], v[23:24], v[21:22]
	v_div_fixup_f64 v[11:12], v[17:18], v[11:12], 1.0
	v_fma_f64 v[17:18], -v[9:10], v[21:22], v[23:24]
	s_delay_alu instid0(VALU_DEP_2) | instskip(NEXT) | instid1(VALU_DEP_2)
	v_mul_f64 v[9:10], v[19:20], v[11:12]
	v_mul_f64 v[11:12], v[17:18], v[11:12]
.LBB223_104:                            ;   in Loop: Header=BB223_94 Depth=1
	s_add_i32 s8, s7, s5
	ds_store_b128 v28, v[9:12]
	s_lshl_b32 s8, s8, 4
	s_delay_alu instid0(SALU_CYCLE_1) | instskip(SKIP_1) | instid1(SALU_CYCLE_1)
	v_mov_b32_e32 v17, s8
	s_add_i32 s8, s5, -1
	s_add_i32 s7, s7, s8
	s_delay_alu instid0(SALU_CYCLE_1)
	s_lshl_b32 s7, s7, 4
	ds_load_b128 v[17:20], v17
	v_mov_b32_e32 v21, s7
	s_add_i32 s7, s9, 0xfffffeb0
	ds_load_b128 v[21:24], v21
	s_waitcnt lgkmcnt(1)
	v_mul_f64 v[29:30], v[15:16], v[19:20]
	v_mul_f64 v[19:20], v[13:14], v[19:20]
	s_waitcnt lgkmcnt(0)
	v_mul_f64 v[31:32], v[11:12], v[23:24]
	v_mul_f64 v[23:24], v[9:10], v[23:24]
	s_delay_alu instid0(VALU_DEP_4) | instskip(NEXT) | instid1(VALU_DEP_4)
	v_fma_f64 v[29:30], v[13:14], v[17:18], -v[29:30]
	v_fma_f64 v[17:18], v[15:16], v[17:18], v[19:20]
	v_mov_b32_e32 v19, s7
	v_fma_f64 v[31:32], v[9:10], v[21:22], -v[31:32]
	v_fma_f64 v[23:24], v[11:12], v[21:22], v[23:24]
	v_add_f64 v[5:6], v[5:6], -v[29:30]
	v_add_f64 v[7:8], v[7:8], -v[17:18]
	ds_load_b128 v[17:20], v19
	s_waitcnt lgkmcnt(0)
	v_cmp_gt_f64_e32 vcc_lo, 0, v[17:18]
	v_xor_b32_e32 v22, 0x80000000, v18
	v_xor_b32_e32 v30, 0x80000000, v20
	v_mov_b32_e32 v21, v17
	v_mov_b32_e32 v29, v19
	v_add_f64 v[23:24], v[7:8], -v[23:24]
	v_cndmask_b32_e32 v22, v18, v22, vcc_lo
	v_cmp_gt_f64_e32 vcc_lo, 0, v[19:20]
	v_cndmask_b32_e32 v30, v20, v30, vcc_lo
	s_delay_alu instid0(VALU_DEP_1)
	v_cmp_ngt_f64_e32 vcc_lo, v[21:22], v[29:30]
	v_add_f64 v[21:22], v[5:6], -v[31:32]
	s_cbranch_vccz .LBB223_106
; %bb.105:                              ;   in Loop: Header=BB223_94 Depth=1
	v_div_scale_f64 v[5:6], null, v[19:20], v[19:20], v[17:18]
	v_div_scale_f64 v[30:31], vcc_lo, v[17:18], v[19:20], v[17:18]
	s_delay_alu instid0(VALU_DEP_2) | instskip(SKIP_2) | instid1(VALU_DEP_1)
	v_rcp_f64_e32 v[7:8], v[5:6]
	s_waitcnt_depctr 0xfff
	v_fma_f64 v[28:29], -v[5:6], v[7:8], 1.0
	v_fma_f64 v[7:8], v[7:8], v[28:29], v[7:8]
	s_delay_alu instid0(VALU_DEP_1) | instskip(NEXT) | instid1(VALU_DEP_1)
	v_fma_f64 v[28:29], -v[5:6], v[7:8], 1.0
	v_fma_f64 v[7:8], v[7:8], v[28:29], v[7:8]
	s_delay_alu instid0(VALU_DEP_1) | instskip(NEXT) | instid1(VALU_DEP_1)
	v_mul_f64 v[28:29], v[30:31], v[7:8]
	v_fma_f64 v[5:6], -v[5:6], v[28:29], v[30:31]
	s_delay_alu instid0(VALU_DEP_1) | instskip(NEXT) | instid1(VALU_DEP_1)
	v_div_fmas_f64 v[5:6], v[5:6], v[7:8], v[28:29]
	v_div_fixup_f64 v[5:6], v[5:6], v[19:20], v[17:18]
	s_delay_alu instid0(VALU_DEP_1) | instskip(NEXT) | instid1(VALU_DEP_1)
	v_fma_f64 v[7:8], v[17:18], v[5:6], v[19:20]
	v_div_scale_f64 v[28:29], null, v[7:8], v[7:8], 1.0
	v_div_scale_f64 v[34:35], vcc_lo, 1.0, v[7:8], 1.0
	s_delay_alu instid0(VALU_DEP_2) | instskip(SKIP_2) | instid1(VALU_DEP_1)
	v_rcp_f64_e32 v[30:31], v[28:29]
	s_waitcnt_depctr 0xfff
	v_fma_f64 v[32:33], -v[28:29], v[30:31], 1.0
	v_fma_f64 v[30:31], v[30:31], v[32:33], v[30:31]
	s_delay_alu instid0(VALU_DEP_1) | instskip(NEXT) | instid1(VALU_DEP_1)
	v_fma_f64 v[32:33], -v[28:29], v[30:31], 1.0
	v_fma_f64 v[30:31], v[30:31], v[32:33], v[30:31]
	s_delay_alu instid0(VALU_DEP_1) | instskip(NEXT) | instid1(VALU_DEP_1)
	v_mul_f64 v[32:33], v[34:35], v[30:31]
	v_fma_f64 v[28:29], -v[28:29], v[32:33], v[34:35]
	s_delay_alu instid0(VALU_DEP_1) | instskip(SKIP_1) | instid1(VALU_DEP_2)
	v_div_fmas_f64 v[28:29], v[28:29], v[30:31], v[32:33]
	v_fma_f64 v[30:31], v[5:6], v[21:22], v[23:24]
	v_div_fixup_f64 v[7:8], v[28:29], v[7:8], 1.0
	v_fma_f64 v[28:29], v[5:6], v[23:24], -v[21:22]
	s_delay_alu instid0(VALU_DEP_2) | instskip(NEXT) | instid1(VALU_DEP_2)
	v_mul_f64 v[5:6], v[30:31], v[7:8]
	v_mul_f64 v[7:8], v[28:29], v[7:8]
	s_cbranch_execz .LBB223_107
	s_branch .LBB223_108
.LBB223_106:                            ;   in Loop: Header=BB223_94 Depth=1
                                        ; implicit-def: $vgpr7_vgpr8
.LBB223_107:                            ;   in Loop: Header=BB223_94 Depth=1
	v_div_scale_f64 v[5:6], null, v[17:18], v[17:18], v[19:20]
	v_div_scale_f64 v[30:31], vcc_lo, v[19:20], v[17:18], v[19:20]
	s_delay_alu instid0(VALU_DEP_2) | instskip(SKIP_2) | instid1(VALU_DEP_1)
	v_rcp_f64_e32 v[7:8], v[5:6]
	s_waitcnt_depctr 0xfff
	v_fma_f64 v[28:29], -v[5:6], v[7:8], 1.0
	v_fma_f64 v[7:8], v[7:8], v[28:29], v[7:8]
	s_delay_alu instid0(VALU_DEP_1) | instskip(NEXT) | instid1(VALU_DEP_1)
	v_fma_f64 v[28:29], -v[5:6], v[7:8], 1.0
	v_fma_f64 v[7:8], v[7:8], v[28:29], v[7:8]
	s_delay_alu instid0(VALU_DEP_1) | instskip(NEXT) | instid1(VALU_DEP_1)
	v_mul_f64 v[28:29], v[30:31], v[7:8]
	v_fma_f64 v[5:6], -v[5:6], v[28:29], v[30:31]
	s_delay_alu instid0(VALU_DEP_1) | instskip(NEXT) | instid1(VALU_DEP_1)
	v_div_fmas_f64 v[5:6], v[5:6], v[7:8], v[28:29]
	v_div_fixup_f64 v[5:6], v[5:6], v[17:18], v[19:20]
	s_delay_alu instid0(VALU_DEP_1) | instskip(NEXT) | instid1(VALU_DEP_1)
	v_fma_f64 v[7:8], v[19:20], v[5:6], v[17:18]
	v_div_scale_f64 v[17:18], null, v[7:8], v[7:8], 1.0
	v_div_scale_f64 v[30:31], vcc_lo, 1.0, v[7:8], 1.0
	s_delay_alu instid0(VALU_DEP_2) | instskip(SKIP_2) | instid1(VALU_DEP_1)
	v_rcp_f64_e32 v[19:20], v[17:18]
	s_waitcnt_depctr 0xfff
	v_fma_f64 v[28:29], -v[17:18], v[19:20], 1.0
	v_fma_f64 v[19:20], v[19:20], v[28:29], v[19:20]
	s_delay_alu instid0(VALU_DEP_1) | instskip(NEXT) | instid1(VALU_DEP_1)
	v_fma_f64 v[28:29], -v[17:18], v[19:20], 1.0
	v_fma_f64 v[19:20], v[19:20], v[28:29], v[19:20]
	s_delay_alu instid0(VALU_DEP_1) | instskip(NEXT) | instid1(VALU_DEP_1)
	v_mul_f64 v[28:29], v[30:31], v[19:20]
	v_fma_f64 v[17:18], -v[17:18], v[28:29], v[30:31]
	s_delay_alu instid0(VALU_DEP_1) | instskip(SKIP_1) | instid1(VALU_DEP_2)
	v_div_fmas_f64 v[17:18], v[17:18], v[19:20], v[28:29]
	v_fma_f64 v[19:20], v[5:6], v[23:24], v[21:22]
	v_div_fixup_f64 v[7:8], v[17:18], v[7:8], 1.0
	v_fma_f64 v[17:18], -v[5:6], v[21:22], v[23:24]
	s_delay_alu instid0(VALU_DEP_2) | instskip(NEXT) | instid1(VALU_DEP_2)
	v_mul_f64 v[5:6], v[19:20], v[7:8]
	v_mul_f64 v[7:8], v[17:18], v[7:8]
.LBB223_108:                            ;   in Loop: Header=BB223_94 Depth=1
	s_add_i32 s9, s6, s5
	s_add_i32 s6, s6, s8
	s_lshl_b32 s9, s9, 4
	s_lshl_b32 s6, s6, 4
	v_mov_b32_e32 v17, s9
	v_mov_b32_e32 v21, s6
	s_sub_i32 s6, s9, 32
	ds_store_b128 v27, v[5:8]
	ds_load_b128 v[17:20], v17
	ds_load_b128 v[21:24], v21
	s_waitcnt lgkmcnt(1)
	v_mul_f64 v[28:29], v[15:16], v[19:20]
	v_mul_f64 v[19:20], v[13:14], v[19:20]
	s_delay_alu instid0(VALU_DEP_2) | instskip(SKIP_1) | instid1(VALU_DEP_3)
	v_fma_f64 v[28:29], v[13:14], v[17:18], -v[28:29]
	v_mov_b32_e32 v13, s6
	v_fma_f64 v[32:33], v[15:16], v[17:18], v[19:20]
	s_add_i32 s6, s7, 0xfffffeb0
	ds_load_b128 v[17:20], v13
	s_waitcnt lgkmcnt(1)
	v_mul_f64 v[30:31], v[11:12], v[23:24]
	v_mul_f64 v[23:24], v[9:10], v[23:24]
	v_mov_b32_e32 v13, s6
	ds_load_b128 v[13:16], v13
	s_waitcnt lgkmcnt(1)
	v_mul_f64 v[34:35], v[7:8], v[19:20]
	v_mul_f64 v[19:20], v[5:6], v[19:20]
	s_waitcnt lgkmcnt(0)
	v_cmp_gt_f64_e32 vcc_lo, 0, v[13:14]
	v_add_f64 v[1:2], v[1:2], -v[28:29]
	v_add_f64 v[3:4], v[3:4], -v[32:33]
	v_fma_f64 v[9:10], v[9:10], v[21:22], -v[30:31]
	v_fma_f64 v[11:12], v[11:12], v[21:22], v[23:24]
	v_fma_f64 v[21:22], v[5:6], v[17:18], -v[34:35]
	v_fma_f64 v[17:18], v[7:8], v[17:18], v[19:20]
	s_delay_alu instid0(VALU_DEP_4) | instskip(SKIP_4) | instid1(VALU_DEP_4)
	v_add_f64 v[1:2], v[1:2], -v[9:10]
	v_xor_b32_e32 v10, 0x80000000, v14
	v_add_f64 v[3:4], v[3:4], -v[11:12]
	v_xor_b32_e32 v12, 0x80000000, v16
	v_mov_b32_e32 v9, v13
	v_dual_mov_b32 v11, v15 :: v_dual_cndmask_b32 v10, v14, v10
	v_cmp_gt_f64_e32 vcc_lo, 0, v[15:16]
	s_delay_alu instid0(VALU_DEP_4) | instskip(NEXT) | instid1(VALU_DEP_1)
	v_cndmask_b32_e32 v12, v16, v12, vcc_lo
	v_cmp_ngt_f64_e32 vcc_lo, v[9:10], v[11:12]
	v_add_f64 v[9:10], v[1:2], -v[21:22]
	v_add_f64 v[11:12], v[3:4], -v[17:18]
	s_cbranch_vccz .LBB223_110
; %bb.109:                              ;   in Loop: Header=BB223_94 Depth=1
	v_div_scale_f64 v[1:2], null, v[15:16], v[15:16], v[13:14]
	v_div_scale_f64 v[7:8], vcc_lo, v[13:14], v[15:16], v[13:14]
	s_delay_alu instid0(VALU_DEP_2) | instskip(SKIP_2) | instid1(VALU_DEP_1)
	v_rcp_f64_e32 v[3:4], v[1:2]
	s_waitcnt_depctr 0xfff
	v_fma_f64 v[5:6], -v[1:2], v[3:4], 1.0
	v_fma_f64 v[3:4], v[3:4], v[5:6], v[3:4]
	s_delay_alu instid0(VALU_DEP_1) | instskip(NEXT) | instid1(VALU_DEP_1)
	v_fma_f64 v[5:6], -v[1:2], v[3:4], 1.0
	v_fma_f64 v[3:4], v[3:4], v[5:6], v[3:4]
	s_delay_alu instid0(VALU_DEP_1) | instskip(NEXT) | instid1(VALU_DEP_1)
	v_mul_f64 v[5:6], v[7:8], v[3:4]
	v_fma_f64 v[1:2], -v[1:2], v[5:6], v[7:8]
	s_delay_alu instid0(VALU_DEP_1) | instskip(NEXT) | instid1(VALU_DEP_1)
	v_div_fmas_f64 v[1:2], v[1:2], v[3:4], v[5:6]
	v_div_fixup_f64 v[1:2], v[1:2], v[15:16], v[13:14]
	s_delay_alu instid0(VALU_DEP_1) | instskip(NEXT) | instid1(VALU_DEP_1)
	v_fma_f64 v[3:4], v[13:14], v[1:2], v[15:16]
	v_div_scale_f64 v[5:6], null, v[3:4], v[3:4], 1.0
	v_div_scale_f64 v[19:20], vcc_lo, 1.0, v[3:4], 1.0
	s_delay_alu instid0(VALU_DEP_2) | instskip(SKIP_2) | instid1(VALU_DEP_1)
	v_rcp_f64_e32 v[7:8], v[5:6]
	s_waitcnt_depctr 0xfff
	v_fma_f64 v[17:18], -v[5:6], v[7:8], 1.0
	v_fma_f64 v[7:8], v[7:8], v[17:18], v[7:8]
	s_delay_alu instid0(VALU_DEP_1) | instskip(NEXT) | instid1(VALU_DEP_1)
	v_fma_f64 v[17:18], -v[5:6], v[7:8], 1.0
	v_fma_f64 v[7:8], v[7:8], v[17:18], v[7:8]
	s_delay_alu instid0(VALU_DEP_1) | instskip(NEXT) | instid1(VALU_DEP_1)
	v_mul_f64 v[17:18], v[19:20], v[7:8]
	v_fma_f64 v[5:6], -v[5:6], v[17:18], v[19:20]
	s_delay_alu instid0(VALU_DEP_1) | instskip(SKIP_1) | instid1(VALU_DEP_2)
	v_div_fmas_f64 v[5:6], v[5:6], v[7:8], v[17:18]
	v_fma_f64 v[7:8], v[1:2], v[9:10], v[11:12]
	v_div_fixup_f64 v[3:4], v[5:6], v[3:4], 1.0
	v_fma_f64 v[5:6], v[1:2], v[11:12], -v[9:10]
	s_delay_alu instid0(VALU_DEP_2) | instskip(NEXT) | instid1(VALU_DEP_2)
	v_mul_f64 v[1:2], v[7:8], v[3:4]
	v_mul_f64 v[3:4], v[5:6], v[3:4]
	s_cbranch_execz .LBB223_111
	s_branch .LBB223_112
.LBB223_110:                            ;   in Loop: Header=BB223_94 Depth=1
                                        ; implicit-def: $vgpr3_vgpr4
.LBB223_111:                            ;   in Loop: Header=BB223_94 Depth=1
	v_div_scale_f64 v[1:2], null, v[13:14], v[13:14], v[15:16]
	v_div_scale_f64 v[7:8], vcc_lo, v[15:16], v[13:14], v[15:16]
	s_delay_alu instid0(VALU_DEP_2) | instskip(SKIP_2) | instid1(VALU_DEP_1)
	v_rcp_f64_e32 v[3:4], v[1:2]
	s_waitcnt_depctr 0xfff
	v_fma_f64 v[5:6], -v[1:2], v[3:4], 1.0
	v_fma_f64 v[3:4], v[3:4], v[5:6], v[3:4]
	s_delay_alu instid0(VALU_DEP_1) | instskip(NEXT) | instid1(VALU_DEP_1)
	v_fma_f64 v[5:6], -v[1:2], v[3:4], 1.0
	v_fma_f64 v[3:4], v[3:4], v[5:6], v[3:4]
	s_delay_alu instid0(VALU_DEP_1) | instskip(NEXT) | instid1(VALU_DEP_1)
	v_mul_f64 v[5:6], v[7:8], v[3:4]
	v_fma_f64 v[1:2], -v[1:2], v[5:6], v[7:8]
	s_delay_alu instid0(VALU_DEP_1) | instskip(NEXT) | instid1(VALU_DEP_1)
	v_div_fmas_f64 v[1:2], v[1:2], v[3:4], v[5:6]
	v_div_fixup_f64 v[1:2], v[1:2], v[13:14], v[15:16]
	s_delay_alu instid0(VALU_DEP_1) | instskip(NEXT) | instid1(VALU_DEP_1)
	v_fma_f64 v[3:4], v[15:16], v[1:2], v[13:14]
	v_div_scale_f64 v[5:6], null, v[3:4], v[3:4], 1.0
	v_div_scale_f64 v[15:16], vcc_lo, 1.0, v[3:4], 1.0
	s_delay_alu instid0(VALU_DEP_2) | instskip(SKIP_2) | instid1(VALU_DEP_1)
	v_rcp_f64_e32 v[7:8], v[5:6]
	s_waitcnt_depctr 0xfff
	v_fma_f64 v[13:14], -v[5:6], v[7:8], 1.0
	v_fma_f64 v[7:8], v[7:8], v[13:14], v[7:8]
	s_delay_alu instid0(VALU_DEP_1) | instskip(NEXT) | instid1(VALU_DEP_1)
	v_fma_f64 v[13:14], -v[5:6], v[7:8], 1.0
	v_fma_f64 v[7:8], v[7:8], v[13:14], v[7:8]
	s_delay_alu instid0(VALU_DEP_1) | instskip(NEXT) | instid1(VALU_DEP_1)
	v_mul_f64 v[13:14], v[15:16], v[7:8]
	v_fma_f64 v[5:6], -v[5:6], v[13:14], v[15:16]
	s_delay_alu instid0(VALU_DEP_1) | instskip(SKIP_1) | instid1(VALU_DEP_2)
	v_div_fmas_f64 v[5:6], v[5:6], v[7:8], v[13:14]
	v_fma_f64 v[7:8], v[1:2], v[11:12], v[9:10]
	v_div_fixup_f64 v[3:4], v[5:6], v[3:4], 1.0
	v_fma_f64 v[5:6], -v[1:2], v[9:10], v[11:12]
	s_delay_alu instid0(VALU_DEP_2) | instskip(NEXT) | instid1(VALU_DEP_2)
	v_mul_f64 v[1:2], v[7:8], v[3:4]
	v_mul_f64 v[3:4], v[5:6], v[3:4]
.LBB223_112:                            ;   in Loop: Header=BB223_94 Depth=1
	s_add_i32 s6, s5, -4
	s_addk_i32 s4, 0xfb00
	s_cmp_lt_i32 s5, 7
	ds_store_b128 v26, v[1:4]
	s_cbranch_scc1 .LBB223_114
; %bb.113:                              ;   in Loop: Header=BB223_94 Depth=1
	s_mov_b32 s5, s6
	s_branch .LBB223_94
.LBB223_114:
	s_cmp_lt_i32 s6, 0
	s_cbranch_scc1 .LBB223_123
; %bb.115:
	v_lshlrev_b32_e32 v1, 4, v0
	s_mul_i32 s4, s6, 0x140
	s_lshl_b32 s5, s28, 4
	s_delay_alu instid0(VALU_DEP_1) | instskip(SKIP_1) | instid1(SALU_CYCLE_1)
	v_add3_u32 v13, s1, v1, 0x17c0
	s_add_i32 s1, s4, s5
	s_add_i32 s1, s1, -16
	s_branch .LBB223_117
.LBB223_116:                            ;   in Loop: Header=BB223_117 Depth=1
	s_add_i32 s4, s6, -1
	s_addk_i32 s1, 0xfec0
	s_cmp_lt_i32 s6, 1
	s_mov_b32 s6, s4
	ds_store_b128 v14, v[9:12]
	s_cbranch_scc1 .LBB223_123
.LBB223_117:                            ; =>This Loop Header: Depth=1
                                        ;     Child Loop BB223_118 Depth 2
	s_mul_i32 s4, s6, 20
	v_mov_b32_e32 v6, v13
	v_add_lshl_u32 v5, s4, v0, 4
	s_cmp_le_i32 s29, s6
	s_mov_b32 s4, s1
	s_mov_b32 s5, s29
	ds_load_b128 v[1:4], v5 offset:6400
	s_cbranch_scc1 .LBB223_119
	.p2align	6
.LBB223_118:                            ;   Parent Loop BB223_117 Depth=1
                                        ; =>  This Inner Loop Header: Depth=2
	v_mov_b32_e32 v11, s4
	s_add_i32 s5, s5, -1
	s_add_i32 s4, s4, -16
	s_cmp_le_i32 s5, s6
	ds_load_b128 v[7:10], v6
	ds_load_b128 v[14:17], v11
	v_add_nc_u32_e32 v6, 0xfffffec0, v6
	s_waitcnt lgkmcnt(0)
	v_mul_f64 v[11:12], v[16:17], v[9:10]
	v_mul_f64 v[9:10], v[14:15], v[9:10]
	s_delay_alu instid0(VALU_DEP_2) | instskip(NEXT) | instid1(VALU_DEP_2)
	v_fma_f64 v[11:12], v[14:15], v[7:8], -v[11:12]
	v_fma_f64 v[7:8], v[16:17], v[7:8], v[9:10]
	s_delay_alu instid0(VALU_DEP_2) | instskip(NEXT) | instid1(VALU_DEP_2)
	v_add_f64 v[1:2], v[1:2], -v[11:12]
	v_add_f64 v[3:4], v[3:4], -v[7:8]
	s_cbranch_scc0 .LBB223_118
.LBB223_119:                            ;   in Loop: Header=BB223_117 Depth=1
	s_mul_i32 s4, s6, 0x150
	s_delay_alu instid0(SALU_CYCLE_1)
	v_dual_mov_b32 v5, s4 :: v_dual_add_nc_u32 v14, 0x1900, v5
	ds_load_b128 v[5:8], v5
	s_waitcnt lgkmcnt(0)
	v_cmp_gt_f64_e32 vcc_lo, 0, v[5:6]
	v_xor_b32_e32 v10, 0x80000000, v6
	v_mov_b32_e32 v9, v5
	v_xor_b32_e32 v11, 0x80000000, v8
	s_delay_alu instid0(VALU_DEP_3) | instskip(SKIP_1) | instid1(VALU_DEP_3)
	v_cndmask_b32_e32 v10, v6, v10, vcc_lo
	v_cmp_gt_f64_e32 vcc_lo, 0, v[7:8]
	v_dual_cndmask_b32 v12, v8, v11 :: v_dual_mov_b32 v11, v7
	s_delay_alu instid0(VALU_DEP_1)
	v_cmp_ngt_f64_e32 vcc_lo, v[9:10], v[11:12]
	s_cbranch_vccz .LBB223_121
; %bb.120:                              ;   in Loop: Header=BB223_117 Depth=1
	v_div_scale_f64 v[9:10], null, v[7:8], v[7:8], v[5:6]
	v_div_scale_f64 v[17:18], vcc_lo, v[5:6], v[7:8], v[5:6]
	s_delay_alu instid0(VALU_DEP_2) | instskip(SKIP_2) | instid1(VALU_DEP_1)
	v_rcp_f64_e32 v[11:12], v[9:10]
	s_waitcnt_depctr 0xfff
	v_fma_f64 v[15:16], -v[9:10], v[11:12], 1.0
	v_fma_f64 v[11:12], v[11:12], v[15:16], v[11:12]
	s_delay_alu instid0(VALU_DEP_1) | instskip(NEXT) | instid1(VALU_DEP_1)
	v_fma_f64 v[15:16], -v[9:10], v[11:12], 1.0
	v_fma_f64 v[11:12], v[11:12], v[15:16], v[11:12]
	s_delay_alu instid0(VALU_DEP_1) | instskip(NEXT) | instid1(VALU_DEP_1)
	v_mul_f64 v[15:16], v[17:18], v[11:12]
	v_fma_f64 v[9:10], -v[9:10], v[15:16], v[17:18]
	s_delay_alu instid0(VALU_DEP_1) | instskip(NEXT) | instid1(VALU_DEP_1)
	v_div_fmas_f64 v[9:10], v[9:10], v[11:12], v[15:16]
	v_div_fixup_f64 v[9:10], v[9:10], v[7:8], v[5:6]
	s_delay_alu instid0(VALU_DEP_1) | instskip(NEXT) | instid1(VALU_DEP_1)
	v_fma_f64 v[11:12], v[5:6], v[9:10], v[7:8]
	v_div_scale_f64 v[15:16], null, v[11:12], v[11:12], 1.0
	v_div_scale_f64 v[21:22], vcc_lo, 1.0, v[11:12], 1.0
	s_delay_alu instid0(VALU_DEP_2) | instskip(SKIP_2) | instid1(VALU_DEP_1)
	v_rcp_f64_e32 v[17:18], v[15:16]
	s_waitcnt_depctr 0xfff
	v_fma_f64 v[19:20], -v[15:16], v[17:18], 1.0
	v_fma_f64 v[17:18], v[17:18], v[19:20], v[17:18]
	s_delay_alu instid0(VALU_DEP_1) | instskip(NEXT) | instid1(VALU_DEP_1)
	v_fma_f64 v[19:20], -v[15:16], v[17:18], 1.0
	v_fma_f64 v[17:18], v[17:18], v[19:20], v[17:18]
	s_delay_alu instid0(VALU_DEP_1) | instskip(NEXT) | instid1(VALU_DEP_1)
	v_mul_f64 v[19:20], v[21:22], v[17:18]
	v_fma_f64 v[15:16], -v[15:16], v[19:20], v[21:22]
	s_delay_alu instid0(VALU_DEP_1) | instskip(SKIP_1) | instid1(VALU_DEP_2)
	v_div_fmas_f64 v[15:16], v[15:16], v[17:18], v[19:20]
	v_fma_f64 v[17:18], v[1:2], v[9:10], v[3:4]
	v_div_fixup_f64 v[11:12], v[15:16], v[11:12], 1.0
	v_fma_f64 v[15:16], v[3:4], v[9:10], -v[1:2]
	s_delay_alu instid0(VALU_DEP_2) | instskip(NEXT) | instid1(VALU_DEP_2)
	v_mul_f64 v[9:10], v[17:18], v[11:12]
	v_mul_f64 v[11:12], v[15:16], v[11:12]
	s_cbranch_execnz .LBB223_116
	s_branch .LBB223_122
.LBB223_121:                            ;   in Loop: Header=BB223_117 Depth=1
                                        ; implicit-def: $vgpr9_vgpr10
.LBB223_122:                            ;   in Loop: Header=BB223_117 Depth=1
	v_div_scale_f64 v[9:10], null, v[5:6], v[5:6], v[7:8]
	v_div_scale_f64 v[17:18], vcc_lo, v[7:8], v[5:6], v[7:8]
	s_delay_alu instid0(VALU_DEP_2) | instskip(SKIP_2) | instid1(VALU_DEP_1)
	v_rcp_f64_e32 v[11:12], v[9:10]
	s_waitcnt_depctr 0xfff
	v_fma_f64 v[15:16], -v[9:10], v[11:12], 1.0
	v_fma_f64 v[11:12], v[11:12], v[15:16], v[11:12]
	s_delay_alu instid0(VALU_DEP_1) | instskip(NEXT) | instid1(VALU_DEP_1)
	v_fma_f64 v[15:16], -v[9:10], v[11:12], 1.0
	v_fma_f64 v[11:12], v[11:12], v[15:16], v[11:12]
	s_delay_alu instid0(VALU_DEP_1) | instskip(NEXT) | instid1(VALU_DEP_1)
	v_mul_f64 v[15:16], v[17:18], v[11:12]
	v_fma_f64 v[9:10], -v[9:10], v[15:16], v[17:18]
	s_delay_alu instid0(VALU_DEP_1) | instskip(NEXT) | instid1(VALU_DEP_1)
	v_div_fmas_f64 v[9:10], v[9:10], v[11:12], v[15:16]
	v_div_fixup_f64 v[9:10], v[9:10], v[5:6], v[7:8]
	s_delay_alu instid0(VALU_DEP_1) | instskip(NEXT) | instid1(VALU_DEP_1)
	v_fma_f64 v[5:6], v[7:8], v[9:10], v[5:6]
	v_div_scale_f64 v[7:8], null, v[5:6], v[5:6], 1.0
	v_div_scale_f64 v[17:18], vcc_lo, 1.0, v[5:6], 1.0
	s_delay_alu instid0(VALU_DEP_2) | instskip(SKIP_2) | instid1(VALU_DEP_1)
	v_rcp_f64_e32 v[11:12], v[7:8]
	s_waitcnt_depctr 0xfff
	v_fma_f64 v[15:16], -v[7:8], v[11:12], 1.0
	v_fma_f64 v[11:12], v[11:12], v[15:16], v[11:12]
	s_delay_alu instid0(VALU_DEP_1) | instskip(NEXT) | instid1(VALU_DEP_1)
	v_fma_f64 v[15:16], -v[7:8], v[11:12], 1.0
	v_fma_f64 v[11:12], v[11:12], v[15:16], v[11:12]
	s_delay_alu instid0(VALU_DEP_1) | instskip(NEXT) | instid1(VALU_DEP_1)
	v_mul_f64 v[15:16], v[17:18], v[11:12]
	v_fma_f64 v[7:8], -v[7:8], v[15:16], v[17:18]
	s_delay_alu instid0(VALU_DEP_1) | instskip(SKIP_2) | instid1(VALU_DEP_3)
	v_div_fmas_f64 v[7:8], v[7:8], v[11:12], v[15:16]
	v_fma_f64 v[11:12], v[3:4], v[9:10], v[1:2]
	v_fma_f64 v[1:2], -v[1:2], v[9:10], v[3:4]
	v_div_fixup_f64 v[5:6], v[7:8], v[5:6], 1.0
	s_delay_alu instid0(VALU_DEP_1) | instskip(NEXT) | instid1(VALU_DEP_3)
	v_mul_f64 v[9:10], v[11:12], v[5:6]
	v_mul_f64 v[11:12], v[1:2], v[5:6]
	s_branch .LBB223_116
.LBB223_123:
	s_mov_b32 s5, 0
.LBB223_124:
	s_delay_alu instid0(SALU_CYCLE_1)
	s_and_not1_b32 vcc_lo, exec_lo, s5
	s_cbranch_vccnz .LBB223_163
; %bb.125:
	s_cmp_lt_i32 s15, 4
	s_mov_b32 s5, 0
	s_cbranch_scc1 .LBB223_148
; %bb.126:
	v_lshl_add_u32 v25, v0, 4, 0x1900
	s_mov_b32 s1, 0
	s_mov_b32 s4, 0
.LBB223_127:                            ; =>This Loop Header: Depth=1
                                        ;     Child Loop BB223_129 Depth 2
	s_delay_alu instid0(SALU_CYCLE_1) | instskip(NEXT) | instid1(SALU_CYCLE_1)
	s_mul_i32 s5, s4, 20
	s_add_i32 s8, s5, 20
	v_add_lshl_u32 v13, s5, v0, 4
	s_add_i32 s6, s5, 40
	v_add_lshl_u32 v14, s8, v0, 4
	;; [unrolled: 2-line block ×3, first 2 shown]
	v_add_lshl_u32 v16, s5, v0, 4
	ds_load_b128 v[17:20], v13 offset:6400
	ds_load_b128 v[9:12], v14 offset:6400
	;; [unrolled: 1-line block ×4, first 2 shown]
	s_cmp_eq_u32 s4, 0
	s_cbranch_scc1 .LBB223_130
; %bb.128:                              ;   in Loop: Header=BB223_127 Depth=1
	v_mov_b32_e32 v21, v25
	s_mov_b32 s7, 0
	s_mov_b32 s9, s1
.LBB223_129:                            ;   Parent Loop BB223_127 Depth=1
                                        ; =>  This Inner Loop Header: Depth=2
	s_delay_alu instid0(SALU_CYCLE_1)
	v_mov_b32_e32 v22, s9
	s_add_i32 s7, s7, 2
	s_add_i32 s9, s9, 32
	s_cmp_ge_u32 s7, s4
	ds_load_b128 v[26:29], v21
	ds_load_b128 v[30:33], v22
	ds_load_b128 v[34:37], v22 offset:320
	ds_load_b128 v[38:41], v22 offset:640
	;; [unrolled: 1-line block ×8, first 2 shown]
	v_add_nc_u32_e32 v21, 0x280, v21
	s_waitcnt lgkmcnt(8)
	v_mul_f64 v[22:23], v[28:29], v[32:33]
	v_mul_f64 v[32:33], v[26:27], v[32:33]
	s_waitcnt lgkmcnt(7)
	v_mul_f64 v[66:67], v[28:29], v[36:37]
	v_mul_f64 v[36:37], v[26:27], v[36:37]
	s_waitcnt lgkmcnt(6)
	v_mul_f64 v[68:69], v[28:29], v[40:41]
	v_mul_f64 v[40:41], v[26:27], v[40:41]
	s_waitcnt lgkmcnt(5)
	v_mul_f64 v[70:71], v[28:29], v[44:45]
	v_mul_f64 v[44:45], v[26:27], v[44:45]
	s_waitcnt lgkmcnt(3)
	v_mul_f64 v[72:73], v[48:49], v[52:53]
	v_mul_f64 v[52:53], v[46:47], v[52:53]
	s_waitcnt lgkmcnt(2)
	v_mul_f64 v[74:75], v[48:49], v[56:57]
	v_mul_f64 v[56:57], v[46:47], v[56:57]
	s_waitcnt lgkmcnt(1)
	v_mul_f64 v[76:77], v[48:49], v[60:61]
	v_mul_f64 v[60:61], v[46:47], v[60:61]
	s_waitcnt lgkmcnt(0)
	v_mul_f64 v[78:79], v[48:49], v[64:65]
	v_mul_f64 v[64:65], v[46:47], v[64:65]
	v_fma_f64 v[22:23], v[26:27], v[30:31], -v[22:23]
	v_fma_f64 v[30:31], v[28:29], v[30:31], v[32:33]
	v_fma_f64 v[32:33], v[26:27], v[34:35], -v[66:67]
	v_fma_f64 v[34:35], v[28:29], v[34:35], v[36:37]
	;; [unrolled: 2-line block ×8, first 2 shown]
	v_add_f64 v[17:18], v[17:18], -v[22:23]
	v_add_f64 v[19:20], v[19:20], -v[30:31]
	;; [unrolled: 1-line block ×16, first 2 shown]
	s_cbranch_scc0 .LBB223_129
.LBB223_130:                            ;   in Loop: Header=BB223_127 Depth=1
	s_mul_i32 s7, s4, 0x150
	v_add_nc_u32_e32 v29, 0x1900, v13
	v_dual_mov_b32 v13, s7 :: v_dual_add_nc_u32 v28, 0x1900, v14
	v_add_nc_u32_e32 v27, 0x1900, v15
	ds_load_b128 v[21:24], v13
	s_waitcnt lgkmcnt(0)
	v_dual_mov_b32 v13, v21 :: v_dual_add_nc_u32 v26, 0x1900, v16
	v_cmp_gt_f64_e32 vcc_lo, 0, v[21:22]
	v_xor_b32_e32 v14, 0x80000000, v22
	v_xor_b32_e32 v15, 0x80000000, v24
	s_delay_alu instid0(VALU_DEP_2) | instskip(SKIP_1) | instid1(VALU_DEP_3)
	v_cndmask_b32_e32 v14, v22, v14, vcc_lo
	v_cmp_gt_f64_e32 vcc_lo, 0, v[23:24]
	v_dual_cndmask_b32 v16, v24, v15 :: v_dual_mov_b32 v15, v23
	s_delay_alu instid0(VALU_DEP_1)
	v_cmp_ngt_f64_e32 vcc_lo, v[13:14], v[15:16]
	s_cbranch_vccz .LBB223_132
; %bb.131:                              ;   in Loop: Header=BB223_127 Depth=1
	v_div_scale_f64 v[13:14], null, v[23:24], v[23:24], v[21:22]
	v_div_scale_f64 v[32:33], vcc_lo, v[21:22], v[23:24], v[21:22]
	s_delay_alu instid0(VALU_DEP_2) | instskip(SKIP_2) | instid1(VALU_DEP_1)
	v_rcp_f64_e32 v[15:16], v[13:14]
	s_waitcnt_depctr 0xfff
	v_fma_f64 v[30:31], -v[13:14], v[15:16], 1.0
	v_fma_f64 v[15:16], v[15:16], v[30:31], v[15:16]
	s_delay_alu instid0(VALU_DEP_1) | instskip(NEXT) | instid1(VALU_DEP_1)
	v_fma_f64 v[30:31], -v[13:14], v[15:16], 1.0
	v_fma_f64 v[15:16], v[15:16], v[30:31], v[15:16]
	s_delay_alu instid0(VALU_DEP_1) | instskip(NEXT) | instid1(VALU_DEP_1)
	v_mul_f64 v[30:31], v[32:33], v[15:16]
	v_fma_f64 v[13:14], -v[13:14], v[30:31], v[32:33]
	s_delay_alu instid0(VALU_DEP_1) | instskip(NEXT) | instid1(VALU_DEP_1)
	v_div_fmas_f64 v[13:14], v[13:14], v[15:16], v[30:31]
	v_div_fixup_f64 v[13:14], v[13:14], v[23:24], v[21:22]
	s_delay_alu instid0(VALU_DEP_1) | instskip(NEXT) | instid1(VALU_DEP_1)
	v_fma_f64 v[15:16], v[21:22], v[13:14], v[23:24]
	v_div_scale_f64 v[30:31], null, v[15:16], v[15:16], 1.0
	v_div_scale_f64 v[36:37], vcc_lo, 1.0, v[15:16], 1.0
	s_delay_alu instid0(VALU_DEP_2) | instskip(SKIP_2) | instid1(VALU_DEP_1)
	v_rcp_f64_e32 v[32:33], v[30:31]
	s_waitcnt_depctr 0xfff
	v_fma_f64 v[34:35], -v[30:31], v[32:33], 1.0
	v_fma_f64 v[32:33], v[32:33], v[34:35], v[32:33]
	s_delay_alu instid0(VALU_DEP_1) | instskip(NEXT) | instid1(VALU_DEP_1)
	v_fma_f64 v[34:35], -v[30:31], v[32:33], 1.0
	v_fma_f64 v[32:33], v[32:33], v[34:35], v[32:33]
	s_delay_alu instid0(VALU_DEP_1) | instskip(NEXT) | instid1(VALU_DEP_1)
	v_mul_f64 v[34:35], v[36:37], v[32:33]
	v_fma_f64 v[30:31], -v[30:31], v[34:35], v[36:37]
	s_delay_alu instid0(VALU_DEP_1) | instskip(SKIP_1) | instid1(VALU_DEP_2)
	v_div_fmas_f64 v[30:31], v[30:31], v[32:33], v[34:35]
	v_fma_f64 v[32:33], v[17:18], v[13:14], v[19:20]
	v_div_fixup_f64 v[15:16], v[30:31], v[15:16], 1.0
	v_fma_f64 v[30:31], v[19:20], v[13:14], -v[17:18]
	s_delay_alu instid0(VALU_DEP_2) | instskip(NEXT) | instid1(VALU_DEP_2)
	v_mul_f64 v[13:14], v[32:33], v[15:16]
	v_mul_f64 v[15:16], v[30:31], v[15:16]
	s_cbranch_execz .LBB223_133
	s_branch .LBB223_134
.LBB223_132:                            ;   in Loop: Header=BB223_127 Depth=1
                                        ; implicit-def: $vgpr15_vgpr16
.LBB223_133:                            ;   in Loop: Header=BB223_127 Depth=1
	v_div_scale_f64 v[13:14], null, v[21:22], v[21:22], v[23:24]
	v_div_scale_f64 v[32:33], vcc_lo, v[23:24], v[21:22], v[23:24]
	s_delay_alu instid0(VALU_DEP_2) | instskip(SKIP_2) | instid1(VALU_DEP_1)
	v_rcp_f64_e32 v[15:16], v[13:14]
	s_waitcnt_depctr 0xfff
	v_fma_f64 v[30:31], -v[13:14], v[15:16], 1.0
	v_fma_f64 v[15:16], v[15:16], v[30:31], v[15:16]
	s_delay_alu instid0(VALU_DEP_1) | instskip(NEXT) | instid1(VALU_DEP_1)
	v_fma_f64 v[30:31], -v[13:14], v[15:16], 1.0
	v_fma_f64 v[15:16], v[15:16], v[30:31], v[15:16]
	s_delay_alu instid0(VALU_DEP_1) | instskip(NEXT) | instid1(VALU_DEP_1)
	v_mul_f64 v[30:31], v[32:33], v[15:16]
	v_fma_f64 v[13:14], -v[13:14], v[30:31], v[32:33]
	s_delay_alu instid0(VALU_DEP_1) | instskip(NEXT) | instid1(VALU_DEP_1)
	v_div_fmas_f64 v[13:14], v[13:14], v[15:16], v[30:31]
	v_div_fixup_f64 v[13:14], v[13:14], v[21:22], v[23:24]
	s_delay_alu instid0(VALU_DEP_1) | instskip(NEXT) | instid1(VALU_DEP_1)
	v_fma_f64 v[15:16], v[23:24], v[13:14], v[21:22]
	v_div_scale_f64 v[21:22], null, v[15:16], v[15:16], 1.0
	v_div_scale_f64 v[32:33], vcc_lo, 1.0, v[15:16], 1.0
	s_delay_alu instid0(VALU_DEP_2) | instskip(SKIP_2) | instid1(VALU_DEP_1)
	v_rcp_f64_e32 v[23:24], v[21:22]
	s_waitcnt_depctr 0xfff
	v_fma_f64 v[30:31], -v[21:22], v[23:24], 1.0
	v_fma_f64 v[23:24], v[23:24], v[30:31], v[23:24]
	s_delay_alu instid0(VALU_DEP_1) | instskip(NEXT) | instid1(VALU_DEP_1)
	v_fma_f64 v[30:31], -v[21:22], v[23:24], 1.0
	v_fma_f64 v[23:24], v[23:24], v[30:31], v[23:24]
	s_delay_alu instid0(VALU_DEP_1) | instskip(NEXT) | instid1(VALU_DEP_1)
	v_mul_f64 v[30:31], v[32:33], v[23:24]
	v_fma_f64 v[21:22], -v[21:22], v[30:31], v[32:33]
	s_delay_alu instid0(VALU_DEP_1) | instskip(SKIP_2) | instid1(VALU_DEP_3)
	v_div_fmas_f64 v[21:22], v[21:22], v[23:24], v[30:31]
	v_fma_f64 v[23:24], v[19:20], v[13:14], v[17:18]
	v_fma_f64 v[17:18], -v[17:18], v[13:14], v[19:20]
	v_div_fixup_f64 v[15:16], v[21:22], v[15:16], 1.0
	s_delay_alu instid0(VALU_DEP_1) | instskip(NEXT) | instid1(VALU_DEP_3)
	v_mul_f64 v[13:14], v[23:24], v[15:16]
	v_mul_f64 v[15:16], v[17:18], v[15:16]
.LBB223_134:                            ;   in Loop: Header=BB223_127 Depth=1
	s_add_i32 s8, s8, s4
	ds_store_b128 v29, v[13:16]
	s_lshl_b32 s8, s8, 4
	s_delay_alu instid0(SALU_CYCLE_1)
	v_mov_b32_e32 v17, s8
	ds_load_b128 v[21:24], v17
	v_mov_b32_e32 v17, s7
	ds_load_b128 v[17:20], v17 offset:336
	s_waitcnt lgkmcnt(1)
	v_mul_f64 v[30:31], v[15:16], v[23:24]
	v_mul_f64 v[23:24], v[13:14], v[23:24]
	s_waitcnt lgkmcnt(0)
	v_cmp_gt_f64_e32 vcc_lo, 0, v[17:18]
	v_xor_b32_e32 v33, 0x80000000, v20
	v_mov_b32_e32 v32, v19
	v_fma_f64 v[30:31], v[13:14], v[21:22], -v[30:31]
	v_fma_f64 v[23:24], v[15:16], v[21:22], v[23:24]
	v_xor_b32_e32 v22, 0x80000000, v18
	s_delay_alu instid0(VALU_DEP_1) | instskip(SKIP_1) | instid1(VALU_DEP_4)
	v_dual_mov_b32 v21, v17 :: v_dual_cndmask_b32 v22, v18, v22
	v_cmp_gt_f64_e32 vcc_lo, 0, v[19:20]
	v_add_f64 v[23:24], v[11:12], -v[23:24]
	v_cndmask_b32_e32 v33, v20, v33, vcc_lo
	s_delay_alu instid0(VALU_DEP_1)
	v_cmp_ngt_f64_e32 vcc_lo, v[21:22], v[32:33]
	v_add_f64 v[21:22], v[9:10], -v[30:31]
	s_cbranch_vccz .LBB223_136
; %bb.135:                              ;   in Loop: Header=BB223_127 Depth=1
	v_div_scale_f64 v[9:10], null, v[19:20], v[19:20], v[17:18]
	v_div_scale_f64 v[31:32], vcc_lo, v[17:18], v[19:20], v[17:18]
	s_delay_alu instid0(VALU_DEP_2) | instskip(SKIP_2) | instid1(VALU_DEP_1)
	v_rcp_f64_e32 v[11:12], v[9:10]
	s_waitcnt_depctr 0xfff
	v_fma_f64 v[29:30], -v[9:10], v[11:12], 1.0
	v_fma_f64 v[11:12], v[11:12], v[29:30], v[11:12]
	s_delay_alu instid0(VALU_DEP_1) | instskip(NEXT) | instid1(VALU_DEP_1)
	v_fma_f64 v[29:30], -v[9:10], v[11:12], 1.0
	v_fma_f64 v[11:12], v[11:12], v[29:30], v[11:12]
	s_delay_alu instid0(VALU_DEP_1) | instskip(NEXT) | instid1(VALU_DEP_1)
	v_mul_f64 v[29:30], v[31:32], v[11:12]
	v_fma_f64 v[9:10], -v[9:10], v[29:30], v[31:32]
	s_delay_alu instid0(VALU_DEP_1) | instskip(NEXT) | instid1(VALU_DEP_1)
	v_div_fmas_f64 v[9:10], v[9:10], v[11:12], v[29:30]
	v_div_fixup_f64 v[9:10], v[9:10], v[19:20], v[17:18]
	s_delay_alu instid0(VALU_DEP_1) | instskip(NEXT) | instid1(VALU_DEP_1)
	v_fma_f64 v[11:12], v[17:18], v[9:10], v[19:20]
	v_div_scale_f64 v[29:30], null, v[11:12], v[11:12], 1.0
	v_div_scale_f64 v[35:36], vcc_lo, 1.0, v[11:12], 1.0
	s_delay_alu instid0(VALU_DEP_2) | instskip(SKIP_2) | instid1(VALU_DEP_1)
	v_rcp_f64_e32 v[31:32], v[29:30]
	s_waitcnt_depctr 0xfff
	v_fma_f64 v[33:34], -v[29:30], v[31:32], 1.0
	v_fma_f64 v[31:32], v[31:32], v[33:34], v[31:32]
	s_delay_alu instid0(VALU_DEP_1) | instskip(NEXT) | instid1(VALU_DEP_1)
	v_fma_f64 v[33:34], -v[29:30], v[31:32], 1.0
	v_fma_f64 v[31:32], v[31:32], v[33:34], v[31:32]
	s_delay_alu instid0(VALU_DEP_1) | instskip(NEXT) | instid1(VALU_DEP_1)
	v_mul_f64 v[33:34], v[35:36], v[31:32]
	v_fma_f64 v[29:30], -v[29:30], v[33:34], v[35:36]
	s_delay_alu instid0(VALU_DEP_1) | instskip(SKIP_1) | instid1(VALU_DEP_2)
	v_div_fmas_f64 v[29:30], v[29:30], v[31:32], v[33:34]
	v_fma_f64 v[31:32], v[9:10], v[21:22], v[23:24]
	v_div_fixup_f64 v[11:12], v[29:30], v[11:12], 1.0
	v_fma_f64 v[29:30], v[9:10], v[23:24], -v[21:22]
	s_delay_alu instid0(VALU_DEP_2) | instskip(NEXT) | instid1(VALU_DEP_2)
	v_mul_f64 v[9:10], v[31:32], v[11:12]
	v_mul_f64 v[11:12], v[29:30], v[11:12]
	s_cbranch_execz .LBB223_137
	s_branch .LBB223_138
.LBB223_136:                            ;   in Loop: Header=BB223_127 Depth=1
                                        ; implicit-def: $vgpr11_vgpr12
.LBB223_137:                            ;   in Loop: Header=BB223_127 Depth=1
	v_div_scale_f64 v[9:10], null, v[17:18], v[17:18], v[19:20]
	v_div_scale_f64 v[31:32], vcc_lo, v[19:20], v[17:18], v[19:20]
	s_delay_alu instid0(VALU_DEP_2) | instskip(SKIP_2) | instid1(VALU_DEP_1)
	v_rcp_f64_e32 v[11:12], v[9:10]
	s_waitcnt_depctr 0xfff
	v_fma_f64 v[29:30], -v[9:10], v[11:12], 1.0
	v_fma_f64 v[11:12], v[11:12], v[29:30], v[11:12]
	s_delay_alu instid0(VALU_DEP_1) | instskip(NEXT) | instid1(VALU_DEP_1)
	v_fma_f64 v[29:30], -v[9:10], v[11:12], 1.0
	v_fma_f64 v[11:12], v[11:12], v[29:30], v[11:12]
	s_delay_alu instid0(VALU_DEP_1) | instskip(NEXT) | instid1(VALU_DEP_1)
	v_mul_f64 v[29:30], v[31:32], v[11:12]
	v_fma_f64 v[9:10], -v[9:10], v[29:30], v[31:32]
	s_delay_alu instid0(VALU_DEP_1) | instskip(NEXT) | instid1(VALU_DEP_1)
	v_div_fmas_f64 v[9:10], v[9:10], v[11:12], v[29:30]
	v_div_fixup_f64 v[9:10], v[9:10], v[17:18], v[19:20]
	s_delay_alu instid0(VALU_DEP_1) | instskip(NEXT) | instid1(VALU_DEP_1)
	v_fma_f64 v[11:12], v[19:20], v[9:10], v[17:18]
	v_div_scale_f64 v[17:18], null, v[11:12], v[11:12], 1.0
	v_div_scale_f64 v[31:32], vcc_lo, 1.0, v[11:12], 1.0
	s_delay_alu instid0(VALU_DEP_2) | instskip(SKIP_2) | instid1(VALU_DEP_1)
	v_rcp_f64_e32 v[19:20], v[17:18]
	s_waitcnt_depctr 0xfff
	v_fma_f64 v[29:30], -v[17:18], v[19:20], 1.0
	v_fma_f64 v[19:20], v[19:20], v[29:30], v[19:20]
	s_delay_alu instid0(VALU_DEP_1) | instskip(NEXT) | instid1(VALU_DEP_1)
	v_fma_f64 v[29:30], -v[17:18], v[19:20], 1.0
	v_fma_f64 v[19:20], v[19:20], v[29:30], v[19:20]
	s_delay_alu instid0(VALU_DEP_1) | instskip(NEXT) | instid1(VALU_DEP_1)
	v_mul_f64 v[29:30], v[31:32], v[19:20]
	v_fma_f64 v[17:18], -v[17:18], v[29:30], v[31:32]
	s_delay_alu instid0(VALU_DEP_1) | instskip(SKIP_1) | instid1(VALU_DEP_2)
	v_div_fmas_f64 v[17:18], v[17:18], v[19:20], v[29:30]
	v_fma_f64 v[19:20], v[9:10], v[23:24], v[21:22]
	v_div_fixup_f64 v[11:12], v[17:18], v[11:12], 1.0
	v_fma_f64 v[17:18], -v[9:10], v[21:22], v[23:24]
	s_delay_alu instid0(VALU_DEP_2) | instskip(NEXT) | instid1(VALU_DEP_2)
	v_mul_f64 v[9:10], v[19:20], v[11:12]
	v_mul_f64 v[11:12], v[17:18], v[11:12]
.LBB223_138:                            ;   in Loop: Header=BB223_127 Depth=1
	s_add_i32 s6, s6, s4
	s_delay_alu instid0(SALU_CYCLE_1) | instskip(NEXT) | instid1(SALU_CYCLE_1)
	s_lshl_b32 s6, s6, 4
	v_mov_b32_e32 v21, s6
	ds_load_b128 v[17:20], v21
	ds_load_b128 v[21:24], v21 offset:16
	ds_store_b128 v28, v[9:12]
	s_waitcnt lgkmcnt(2)
	v_mul_f64 v[29:30], v[15:16], v[19:20]
	v_mul_f64 v[19:20], v[13:14], v[19:20]
	s_waitcnt lgkmcnt(1)
	v_mul_f64 v[31:32], v[11:12], v[23:24]
	v_mul_f64 v[23:24], v[9:10], v[23:24]
	s_delay_alu instid0(VALU_DEP_4) | instskip(NEXT) | instid1(VALU_DEP_4)
	v_fma_f64 v[29:30], v[13:14], v[17:18], -v[29:30]
	v_fma_f64 v[17:18], v[15:16], v[17:18], v[19:20]
	v_mov_b32_e32 v19, s7
	v_fma_f64 v[31:32], v[9:10], v[21:22], -v[31:32]
	v_fma_f64 v[23:24], v[11:12], v[21:22], v[23:24]
	v_add_f64 v[5:6], v[5:6], -v[29:30]
	v_add_f64 v[7:8], v[7:8], -v[17:18]
	ds_load_b128 v[17:20], v19 offset:672
	s_waitcnt lgkmcnt(0)
	v_cmp_gt_f64_e32 vcc_lo, 0, v[17:18]
	v_xor_b32_e32 v22, 0x80000000, v18
	v_xor_b32_e32 v30, 0x80000000, v20
	v_mov_b32_e32 v21, v17
	v_mov_b32_e32 v29, v19
	v_add_f64 v[23:24], v[7:8], -v[23:24]
	v_cndmask_b32_e32 v22, v18, v22, vcc_lo
	v_cmp_gt_f64_e32 vcc_lo, 0, v[19:20]
	v_cndmask_b32_e32 v30, v20, v30, vcc_lo
	s_delay_alu instid0(VALU_DEP_1)
	v_cmp_ngt_f64_e32 vcc_lo, v[21:22], v[29:30]
	v_add_f64 v[21:22], v[5:6], -v[31:32]
	s_cbranch_vccz .LBB223_140
; %bb.139:                              ;   in Loop: Header=BB223_127 Depth=1
	v_div_scale_f64 v[5:6], null, v[19:20], v[19:20], v[17:18]
	v_div_scale_f64 v[30:31], vcc_lo, v[17:18], v[19:20], v[17:18]
	s_delay_alu instid0(VALU_DEP_2) | instskip(SKIP_2) | instid1(VALU_DEP_1)
	v_rcp_f64_e32 v[7:8], v[5:6]
	s_waitcnt_depctr 0xfff
	v_fma_f64 v[28:29], -v[5:6], v[7:8], 1.0
	v_fma_f64 v[7:8], v[7:8], v[28:29], v[7:8]
	s_delay_alu instid0(VALU_DEP_1) | instskip(NEXT) | instid1(VALU_DEP_1)
	v_fma_f64 v[28:29], -v[5:6], v[7:8], 1.0
	v_fma_f64 v[7:8], v[7:8], v[28:29], v[7:8]
	s_delay_alu instid0(VALU_DEP_1) | instskip(NEXT) | instid1(VALU_DEP_1)
	v_mul_f64 v[28:29], v[30:31], v[7:8]
	v_fma_f64 v[5:6], -v[5:6], v[28:29], v[30:31]
	s_delay_alu instid0(VALU_DEP_1) | instskip(NEXT) | instid1(VALU_DEP_1)
	v_div_fmas_f64 v[5:6], v[5:6], v[7:8], v[28:29]
	v_div_fixup_f64 v[5:6], v[5:6], v[19:20], v[17:18]
	s_delay_alu instid0(VALU_DEP_1) | instskip(NEXT) | instid1(VALU_DEP_1)
	v_fma_f64 v[7:8], v[17:18], v[5:6], v[19:20]
	v_div_scale_f64 v[28:29], null, v[7:8], v[7:8], 1.0
	v_div_scale_f64 v[34:35], vcc_lo, 1.0, v[7:8], 1.0
	s_delay_alu instid0(VALU_DEP_2) | instskip(SKIP_2) | instid1(VALU_DEP_1)
	v_rcp_f64_e32 v[30:31], v[28:29]
	s_waitcnt_depctr 0xfff
	v_fma_f64 v[32:33], -v[28:29], v[30:31], 1.0
	v_fma_f64 v[30:31], v[30:31], v[32:33], v[30:31]
	s_delay_alu instid0(VALU_DEP_1) | instskip(NEXT) | instid1(VALU_DEP_1)
	v_fma_f64 v[32:33], -v[28:29], v[30:31], 1.0
	v_fma_f64 v[30:31], v[30:31], v[32:33], v[30:31]
	s_delay_alu instid0(VALU_DEP_1) | instskip(NEXT) | instid1(VALU_DEP_1)
	v_mul_f64 v[32:33], v[34:35], v[30:31]
	v_fma_f64 v[28:29], -v[28:29], v[32:33], v[34:35]
	s_delay_alu instid0(VALU_DEP_1) | instskip(SKIP_1) | instid1(VALU_DEP_2)
	v_div_fmas_f64 v[28:29], v[28:29], v[30:31], v[32:33]
	v_fma_f64 v[30:31], v[5:6], v[21:22], v[23:24]
	v_div_fixup_f64 v[7:8], v[28:29], v[7:8], 1.0
	v_fma_f64 v[28:29], v[5:6], v[23:24], -v[21:22]
	s_delay_alu instid0(VALU_DEP_2) | instskip(NEXT) | instid1(VALU_DEP_2)
	v_mul_f64 v[5:6], v[30:31], v[7:8]
	v_mul_f64 v[7:8], v[28:29], v[7:8]
	s_cbranch_execz .LBB223_141
	s_branch .LBB223_142
.LBB223_140:                            ;   in Loop: Header=BB223_127 Depth=1
                                        ; implicit-def: $vgpr7_vgpr8
.LBB223_141:                            ;   in Loop: Header=BB223_127 Depth=1
	v_div_scale_f64 v[5:6], null, v[17:18], v[17:18], v[19:20]
	v_div_scale_f64 v[30:31], vcc_lo, v[19:20], v[17:18], v[19:20]
	s_delay_alu instid0(VALU_DEP_2) | instskip(SKIP_2) | instid1(VALU_DEP_1)
	v_rcp_f64_e32 v[7:8], v[5:6]
	s_waitcnt_depctr 0xfff
	v_fma_f64 v[28:29], -v[5:6], v[7:8], 1.0
	v_fma_f64 v[7:8], v[7:8], v[28:29], v[7:8]
	s_delay_alu instid0(VALU_DEP_1) | instskip(NEXT) | instid1(VALU_DEP_1)
	v_fma_f64 v[28:29], -v[5:6], v[7:8], 1.0
	v_fma_f64 v[7:8], v[7:8], v[28:29], v[7:8]
	s_delay_alu instid0(VALU_DEP_1) | instskip(NEXT) | instid1(VALU_DEP_1)
	v_mul_f64 v[28:29], v[30:31], v[7:8]
	v_fma_f64 v[5:6], -v[5:6], v[28:29], v[30:31]
	s_delay_alu instid0(VALU_DEP_1) | instskip(NEXT) | instid1(VALU_DEP_1)
	v_div_fmas_f64 v[5:6], v[5:6], v[7:8], v[28:29]
	v_div_fixup_f64 v[5:6], v[5:6], v[17:18], v[19:20]
	s_delay_alu instid0(VALU_DEP_1) | instskip(NEXT) | instid1(VALU_DEP_1)
	v_fma_f64 v[7:8], v[19:20], v[5:6], v[17:18]
	v_div_scale_f64 v[17:18], null, v[7:8], v[7:8], 1.0
	v_div_scale_f64 v[30:31], vcc_lo, 1.0, v[7:8], 1.0
	s_delay_alu instid0(VALU_DEP_2) | instskip(SKIP_2) | instid1(VALU_DEP_1)
	v_rcp_f64_e32 v[19:20], v[17:18]
	s_waitcnt_depctr 0xfff
	v_fma_f64 v[28:29], -v[17:18], v[19:20], 1.0
	v_fma_f64 v[19:20], v[19:20], v[28:29], v[19:20]
	s_delay_alu instid0(VALU_DEP_1) | instskip(NEXT) | instid1(VALU_DEP_1)
	v_fma_f64 v[28:29], -v[17:18], v[19:20], 1.0
	v_fma_f64 v[19:20], v[19:20], v[28:29], v[19:20]
	s_delay_alu instid0(VALU_DEP_1) | instskip(NEXT) | instid1(VALU_DEP_1)
	v_mul_f64 v[28:29], v[30:31], v[19:20]
	v_fma_f64 v[17:18], -v[17:18], v[28:29], v[30:31]
	s_delay_alu instid0(VALU_DEP_1) | instskip(SKIP_1) | instid1(VALU_DEP_2)
	v_div_fmas_f64 v[17:18], v[17:18], v[19:20], v[28:29]
	v_fma_f64 v[19:20], v[5:6], v[23:24], v[21:22]
	v_div_fixup_f64 v[7:8], v[17:18], v[7:8], 1.0
	v_fma_f64 v[17:18], -v[5:6], v[21:22], v[23:24]
	s_delay_alu instid0(VALU_DEP_2) | instskip(NEXT) | instid1(VALU_DEP_2)
	v_mul_f64 v[5:6], v[19:20], v[7:8]
	v_mul_f64 v[7:8], v[17:18], v[7:8]
.LBB223_142:                            ;   in Loop: Header=BB223_127 Depth=1
	s_add_i32 s5, s5, s4
	s_delay_alu instid0(SALU_CYCLE_1) | instskip(NEXT) | instid1(SALU_CYCLE_1)
	s_lshl_b32 s5, s5, 4
	v_mov_b32_e32 v34, s5
	ds_load_b128 v[17:20], v34
	ds_load_b128 v[21:24], v34 offset:16
	ds_store_b128 v27, v[5:8]
	s_waitcnt lgkmcnt(2)
	v_mul_f64 v[28:29], v[15:16], v[19:20]
	v_mul_f64 v[19:20], v[13:14], v[19:20]
	s_waitcnt lgkmcnt(1)
	v_mul_f64 v[30:31], v[11:12], v[23:24]
	v_mul_f64 v[23:24], v[9:10], v[23:24]
	s_delay_alu instid0(VALU_DEP_4)
	v_fma_f64 v[28:29], v[13:14], v[17:18], -v[28:29]
	v_mov_b32_e32 v13, s7
	v_fma_f64 v[32:33], v[15:16], v[17:18], v[19:20]
	ds_load_b128 v[17:20], v34 offset:32
	v_fma_f64 v[9:10], v[9:10], v[21:22], -v[30:31]
	v_fma_f64 v[11:12], v[11:12], v[21:22], v[23:24]
	ds_load_b128 v[13:16], v13 offset:1008
	s_waitcnt lgkmcnt(1)
	v_mul_f64 v[34:35], v[7:8], v[19:20]
	v_mul_f64 v[19:20], v[5:6], v[19:20]
	s_waitcnt lgkmcnt(0)
	v_cmp_gt_f64_e32 vcc_lo, 0, v[13:14]
	v_add_f64 v[1:2], v[1:2], -v[28:29]
	v_add_f64 v[3:4], v[3:4], -v[32:33]
	v_fma_f64 v[21:22], v[5:6], v[17:18], -v[34:35]
	v_fma_f64 v[17:18], v[7:8], v[17:18], v[19:20]
	s_delay_alu instid0(VALU_DEP_4) | instskip(SKIP_4) | instid1(VALU_DEP_4)
	v_add_f64 v[1:2], v[1:2], -v[9:10]
	v_xor_b32_e32 v10, 0x80000000, v14
	v_mov_b32_e32 v9, v13
	v_add_f64 v[3:4], v[3:4], -v[11:12]
	v_xor_b32_e32 v12, 0x80000000, v16
	v_cndmask_b32_e32 v10, v14, v10, vcc_lo
	v_cmp_gt_f64_e32 vcc_lo, 0, v[15:16]
	s_delay_alu instid0(VALU_DEP_3) | instskip(NEXT) | instid1(VALU_DEP_1)
	v_dual_mov_b32 v11, v15 :: v_dual_cndmask_b32 v12, v16, v12
	v_cmp_ngt_f64_e32 vcc_lo, v[9:10], v[11:12]
	v_add_f64 v[9:10], v[1:2], -v[21:22]
	v_add_f64 v[11:12], v[3:4], -v[17:18]
	s_cbranch_vccz .LBB223_144
; %bb.143:                              ;   in Loop: Header=BB223_127 Depth=1
	v_div_scale_f64 v[1:2], null, v[15:16], v[15:16], v[13:14]
	v_div_scale_f64 v[7:8], vcc_lo, v[13:14], v[15:16], v[13:14]
	s_delay_alu instid0(VALU_DEP_2) | instskip(SKIP_2) | instid1(VALU_DEP_1)
	v_rcp_f64_e32 v[3:4], v[1:2]
	s_waitcnt_depctr 0xfff
	v_fma_f64 v[5:6], -v[1:2], v[3:4], 1.0
	v_fma_f64 v[3:4], v[3:4], v[5:6], v[3:4]
	s_delay_alu instid0(VALU_DEP_1) | instskip(NEXT) | instid1(VALU_DEP_1)
	v_fma_f64 v[5:6], -v[1:2], v[3:4], 1.0
	v_fma_f64 v[3:4], v[3:4], v[5:6], v[3:4]
	s_delay_alu instid0(VALU_DEP_1) | instskip(NEXT) | instid1(VALU_DEP_1)
	v_mul_f64 v[5:6], v[7:8], v[3:4]
	v_fma_f64 v[1:2], -v[1:2], v[5:6], v[7:8]
	s_delay_alu instid0(VALU_DEP_1) | instskip(NEXT) | instid1(VALU_DEP_1)
	v_div_fmas_f64 v[1:2], v[1:2], v[3:4], v[5:6]
	v_div_fixup_f64 v[1:2], v[1:2], v[15:16], v[13:14]
	s_delay_alu instid0(VALU_DEP_1) | instskip(NEXT) | instid1(VALU_DEP_1)
	v_fma_f64 v[3:4], v[13:14], v[1:2], v[15:16]
	v_div_scale_f64 v[5:6], null, v[3:4], v[3:4], 1.0
	v_div_scale_f64 v[19:20], vcc_lo, 1.0, v[3:4], 1.0
	s_delay_alu instid0(VALU_DEP_2) | instskip(SKIP_2) | instid1(VALU_DEP_1)
	v_rcp_f64_e32 v[7:8], v[5:6]
	s_waitcnt_depctr 0xfff
	v_fma_f64 v[17:18], -v[5:6], v[7:8], 1.0
	v_fma_f64 v[7:8], v[7:8], v[17:18], v[7:8]
	s_delay_alu instid0(VALU_DEP_1) | instskip(NEXT) | instid1(VALU_DEP_1)
	v_fma_f64 v[17:18], -v[5:6], v[7:8], 1.0
	v_fma_f64 v[7:8], v[7:8], v[17:18], v[7:8]
	s_delay_alu instid0(VALU_DEP_1) | instskip(NEXT) | instid1(VALU_DEP_1)
	v_mul_f64 v[17:18], v[19:20], v[7:8]
	v_fma_f64 v[5:6], -v[5:6], v[17:18], v[19:20]
	s_delay_alu instid0(VALU_DEP_1) | instskip(SKIP_1) | instid1(VALU_DEP_2)
	v_div_fmas_f64 v[5:6], v[5:6], v[7:8], v[17:18]
	v_fma_f64 v[7:8], v[1:2], v[9:10], v[11:12]
	v_div_fixup_f64 v[3:4], v[5:6], v[3:4], 1.0
	v_fma_f64 v[5:6], v[1:2], v[11:12], -v[9:10]
	s_delay_alu instid0(VALU_DEP_2) | instskip(NEXT) | instid1(VALU_DEP_2)
	v_mul_f64 v[1:2], v[7:8], v[3:4]
	v_mul_f64 v[3:4], v[5:6], v[3:4]
	s_cbranch_execz .LBB223_145
	s_branch .LBB223_146
.LBB223_144:                            ;   in Loop: Header=BB223_127 Depth=1
                                        ; implicit-def: $vgpr3_vgpr4
.LBB223_145:                            ;   in Loop: Header=BB223_127 Depth=1
	v_div_scale_f64 v[1:2], null, v[13:14], v[13:14], v[15:16]
	v_div_scale_f64 v[7:8], vcc_lo, v[15:16], v[13:14], v[15:16]
	s_delay_alu instid0(VALU_DEP_2) | instskip(SKIP_2) | instid1(VALU_DEP_1)
	v_rcp_f64_e32 v[3:4], v[1:2]
	s_waitcnt_depctr 0xfff
	v_fma_f64 v[5:6], -v[1:2], v[3:4], 1.0
	v_fma_f64 v[3:4], v[3:4], v[5:6], v[3:4]
	s_delay_alu instid0(VALU_DEP_1) | instskip(NEXT) | instid1(VALU_DEP_1)
	v_fma_f64 v[5:6], -v[1:2], v[3:4], 1.0
	v_fma_f64 v[3:4], v[3:4], v[5:6], v[3:4]
	s_delay_alu instid0(VALU_DEP_1) | instskip(NEXT) | instid1(VALU_DEP_1)
	v_mul_f64 v[5:6], v[7:8], v[3:4]
	v_fma_f64 v[1:2], -v[1:2], v[5:6], v[7:8]
	s_delay_alu instid0(VALU_DEP_1) | instskip(NEXT) | instid1(VALU_DEP_1)
	v_div_fmas_f64 v[1:2], v[1:2], v[3:4], v[5:6]
	v_div_fixup_f64 v[1:2], v[1:2], v[13:14], v[15:16]
	s_delay_alu instid0(VALU_DEP_1) | instskip(NEXT) | instid1(VALU_DEP_1)
	v_fma_f64 v[3:4], v[15:16], v[1:2], v[13:14]
	v_div_scale_f64 v[5:6], null, v[3:4], v[3:4], 1.0
	v_div_scale_f64 v[15:16], vcc_lo, 1.0, v[3:4], 1.0
	s_delay_alu instid0(VALU_DEP_2) | instskip(SKIP_2) | instid1(VALU_DEP_1)
	v_rcp_f64_e32 v[7:8], v[5:6]
	s_waitcnt_depctr 0xfff
	v_fma_f64 v[13:14], -v[5:6], v[7:8], 1.0
	v_fma_f64 v[7:8], v[7:8], v[13:14], v[7:8]
	s_delay_alu instid0(VALU_DEP_1) | instskip(NEXT) | instid1(VALU_DEP_1)
	v_fma_f64 v[13:14], -v[5:6], v[7:8], 1.0
	v_fma_f64 v[7:8], v[7:8], v[13:14], v[7:8]
	s_delay_alu instid0(VALU_DEP_1) | instskip(NEXT) | instid1(VALU_DEP_1)
	v_mul_f64 v[13:14], v[15:16], v[7:8]
	v_fma_f64 v[5:6], -v[5:6], v[13:14], v[15:16]
	s_delay_alu instid0(VALU_DEP_1) | instskip(SKIP_1) | instid1(VALU_DEP_2)
	v_div_fmas_f64 v[5:6], v[5:6], v[7:8], v[13:14]
	v_fma_f64 v[7:8], v[1:2], v[11:12], v[9:10]
	v_div_fixup_f64 v[3:4], v[5:6], v[3:4], 1.0
	v_fma_f64 v[5:6], -v[1:2], v[9:10], v[11:12]
	s_delay_alu instid0(VALU_DEP_2) | instskip(NEXT) | instid1(VALU_DEP_2)
	v_mul_f64 v[1:2], v[7:8], v[3:4]
	v_mul_f64 v[3:4], v[5:6], v[3:4]
.LBB223_146:                            ;   in Loop: Header=BB223_127 Depth=1
	s_add_i32 s5, s4, 4
	s_add_i32 s4, s4, 7
	s_addk_i32 s1, 0x500
	s_cmp_ge_i32 s4, s28
	ds_store_b128 v26, v[1:4]
	s_cbranch_scc1 .LBB223_148
; %bb.147:                              ;   in Loop: Header=BB223_127 Depth=1
	s_mov_b32 s4, s5
	s_branch .LBB223_127
.LBB223_148:
	s_cmp_ge_i32 s5, s28
	s_cbranch_scc1 .LBB223_163
; %bb.149:
	v_lshl_add_u32 v13, v0, 4, 0x1900
	s_add_i32 s1, s5, -1
	s_mul_i32 s4, s5, 0x140
	s_mov_b32 s6, 0
	s_mov_b32 s7, s5
	s_branch .LBB223_151
.LBB223_150:                            ;   in Loop: Header=BB223_151 Depth=1
	v_add_nc_u16 v1, s7, 1
	s_add_i32 s5, s5, 1
	s_add_i32 s6, s6, 1
	s_addk_i32 s4, 0x140
	s_cmp_ge_i32 s5, s28
	v_readfirstlane_b32 s7, v1
	ds_store_b128 v14, v[9:12]
	s_cbranch_scc1 .LBB223_163
.LBB223_151:                            ; =>This Loop Header: Depth=1
                                        ;     Child Loop BB223_154 Depth 2
                                        ;     Child Loop BB223_158 Depth 2
	s_mul_i32 s8, s5, 20
	s_cmp_eq_u32 s5, 0
	v_add_lshl_u32 v7, s8, v0, 4
	ds_load_b128 v[1:4], v7 offset:6400
	s_cbranch_scc1 .LBB223_159
; %bb.152:                              ;   in Loop: Header=BB223_151 Depth=1
	s_add_i32 s8, s1, s6
	s_delay_alu instid0(SALU_CYCLE_1)
	s_cmp_lt_u32 s8, 3
	s_cbranch_scc1 .LBB223_156
; %bb.153:                              ;   in Loop: Header=BB223_151 Depth=1
	v_mov_b32_e32 v5, v13
	s_and_b32 s8, s5, -4
	s_mov_b32 s9, 0
	s_mov_b32 s10, s4
.LBB223_154:                            ;   Parent Loop BB223_151 Depth=1
                                        ; =>  This Inner Loop Header: Depth=2
	s_delay_alu instid0(SALU_CYCLE_1)
	v_mov_b32_e32 v6, s10
	s_add_i32 s9, s9, 4
	s_add_i32 s10, s10, 64
	s_cmp_eq_u32 s8, s9
	ds_load_b128 v[8:11], v5
	ds_load_b128 v[14:17], v6
	ds_load_b128 v[18:21], v5 offset:320
	ds_load_b128 v[22:25], v6 offset:16
	s_waitcnt lgkmcnt(2)
	v_mul_f64 v[26:27], v[16:17], v[10:11]
	v_mul_f64 v[10:11], v[14:15], v[10:11]
	s_waitcnt lgkmcnt(0)
	v_mul_f64 v[34:35], v[24:25], v[20:21]
	v_mul_f64 v[20:21], v[22:23], v[20:21]
	s_delay_alu instid0(VALU_DEP_4) | instskip(NEXT) | instid1(VALU_DEP_4)
	v_fma_f64 v[36:37], v[14:15], v[8:9], -v[26:27]
	v_fma_f64 v[38:39], v[16:17], v[8:9], v[10:11]
	ds_load_b128 v[8:11], v5 offset:640
	ds_load_b128 v[14:17], v6 offset:32
	;; [unrolled: 1-line block ×4, first 2 shown]
	v_add_nc_u32_e32 v5, 0x500, v5
	v_fma_f64 v[22:23], v[22:23], v[18:19], -v[34:35]
	v_fma_f64 v[18:19], v[24:25], v[18:19], v[20:21]
	s_waitcnt lgkmcnt(2)
	v_mul_f64 v[40:41], v[16:17], v[10:11]
	v_mul_f64 v[10:11], v[14:15], v[10:11]
	s_waitcnt lgkmcnt(0)
	v_mul_f64 v[20:21], v[32:33], v[28:29]
	v_mul_f64 v[24:25], v[30:31], v[28:29]
	v_add_f64 v[1:2], v[1:2], -v[36:37]
	v_add_f64 v[3:4], v[3:4], -v[38:39]
	v_fma_f64 v[14:15], v[14:15], v[8:9], -v[40:41]
	v_fma_f64 v[8:9], v[16:17], v[8:9], v[10:11]
	v_fma_f64 v[10:11], v[30:31], v[26:27], -v[20:21]
	v_fma_f64 v[16:17], v[32:33], v[26:27], v[24:25]
	v_add_f64 v[1:2], v[1:2], -v[22:23]
	v_add_f64 v[3:4], v[3:4], -v[18:19]
	s_delay_alu instid0(VALU_DEP_2) | instskip(NEXT) | instid1(VALU_DEP_2)
	v_add_f64 v[1:2], v[1:2], -v[14:15]
	v_add_f64 v[3:4], v[3:4], -v[8:9]
	s_delay_alu instid0(VALU_DEP_2) | instskip(NEXT) | instid1(VALU_DEP_2)
	v_add_f64 v[1:2], v[1:2], -v[10:11]
	v_add_f64 v[3:4], v[3:4], -v[16:17]
	s_cbranch_scc0 .LBB223_154
; %bb.155:                              ;   in Loop: Header=BB223_151 Depth=1
	s_and_b32 s9, s5, 3
	s_delay_alu instid0(SALU_CYCLE_1)
	s_cmp_eq_u32 s9, 0
	s_cbranch_scc0 .LBB223_157
	s_branch .LBB223_159
.LBB223_156:                            ;   in Loop: Header=BB223_151 Depth=1
	s_mov_b32 s8, 0
	s_and_b32 s9, s5, 3
	s_delay_alu instid0(SALU_CYCLE_1)
	s_cmp_eq_u32 s9, 0
	s_cbranch_scc1 .LBB223_159
.LBB223_157:                            ;   in Loop: Header=BB223_151 Depth=1
	v_mad_u64_u32 v[5:6], null, 0x140, s8, v[13:14]
	s_and_b32 s9, s7, 3
	s_lshl_b32 s8, s8, 4
	.p2align	6
.LBB223_158:                            ;   Parent Loop BB223_151 Depth=1
                                        ; =>  This Inner Loop Header: Depth=2
	s_delay_alu instid0(SALU_CYCLE_1)
	s_add_i32 s10, s4, s8
	s_add_i32 s9, s9, -1
	v_mov_b32_e32 v6, s10
	s_add_i32 s8, s8, 16
	s_cmp_lg_u32 s9, 0
	ds_load_b128 v[8:11], v5
	ds_load_b128 v[14:17], v6
	v_add_nc_u32_e32 v5, 0x140, v5
	s_waitcnt lgkmcnt(0)
	v_mul_f64 v[18:19], v[16:17], v[10:11]
	v_mul_f64 v[10:11], v[14:15], v[10:11]
	s_delay_alu instid0(VALU_DEP_2) | instskip(NEXT) | instid1(VALU_DEP_2)
	v_fma_f64 v[14:15], v[14:15], v[8:9], -v[18:19]
	v_fma_f64 v[8:9], v[16:17], v[8:9], v[10:11]
	s_delay_alu instid0(VALU_DEP_2) | instskip(NEXT) | instid1(VALU_DEP_2)
	v_add_f64 v[1:2], v[1:2], -v[14:15]
	v_add_f64 v[3:4], v[3:4], -v[8:9]
	s_cbranch_scc1 .LBB223_158
.LBB223_159:                            ;   in Loop: Header=BB223_151 Depth=1
	s_mul_i32 s8, s5, 0x150
	s_delay_alu instid0(SALU_CYCLE_1)
	v_dual_mov_b32 v5, s8 :: v_dual_add_nc_u32 v14, 0x1900, v7
	ds_load_b128 v[5:8], v5
	s_waitcnt lgkmcnt(0)
	v_cmp_gt_f64_e32 vcc_lo, 0, v[5:6]
	v_xor_b32_e32 v10, 0x80000000, v6
	v_mov_b32_e32 v9, v5
	v_xor_b32_e32 v11, 0x80000000, v8
	s_delay_alu instid0(VALU_DEP_3) | instskip(SKIP_1) | instid1(VALU_DEP_3)
	v_cndmask_b32_e32 v10, v6, v10, vcc_lo
	v_cmp_gt_f64_e32 vcc_lo, 0, v[7:8]
	v_dual_cndmask_b32 v12, v8, v11 :: v_dual_mov_b32 v11, v7
	s_delay_alu instid0(VALU_DEP_1)
	v_cmp_ngt_f64_e32 vcc_lo, v[9:10], v[11:12]
	s_cbranch_vccz .LBB223_161
; %bb.160:                              ;   in Loop: Header=BB223_151 Depth=1
	v_div_scale_f64 v[9:10], null, v[7:8], v[7:8], v[5:6]
	v_div_scale_f64 v[17:18], vcc_lo, v[5:6], v[7:8], v[5:6]
	s_delay_alu instid0(VALU_DEP_2) | instskip(SKIP_2) | instid1(VALU_DEP_1)
	v_rcp_f64_e32 v[11:12], v[9:10]
	s_waitcnt_depctr 0xfff
	v_fma_f64 v[15:16], -v[9:10], v[11:12], 1.0
	v_fma_f64 v[11:12], v[11:12], v[15:16], v[11:12]
	s_delay_alu instid0(VALU_DEP_1) | instskip(NEXT) | instid1(VALU_DEP_1)
	v_fma_f64 v[15:16], -v[9:10], v[11:12], 1.0
	v_fma_f64 v[11:12], v[11:12], v[15:16], v[11:12]
	s_delay_alu instid0(VALU_DEP_1) | instskip(NEXT) | instid1(VALU_DEP_1)
	v_mul_f64 v[15:16], v[17:18], v[11:12]
	v_fma_f64 v[9:10], -v[9:10], v[15:16], v[17:18]
	s_delay_alu instid0(VALU_DEP_1) | instskip(NEXT) | instid1(VALU_DEP_1)
	v_div_fmas_f64 v[9:10], v[9:10], v[11:12], v[15:16]
	v_div_fixup_f64 v[9:10], v[9:10], v[7:8], v[5:6]
	s_delay_alu instid0(VALU_DEP_1) | instskip(NEXT) | instid1(VALU_DEP_1)
	v_fma_f64 v[11:12], v[5:6], v[9:10], v[7:8]
	v_div_scale_f64 v[15:16], null, v[11:12], v[11:12], 1.0
	v_div_scale_f64 v[21:22], vcc_lo, 1.0, v[11:12], 1.0
	s_delay_alu instid0(VALU_DEP_2) | instskip(SKIP_2) | instid1(VALU_DEP_1)
	v_rcp_f64_e32 v[17:18], v[15:16]
	s_waitcnt_depctr 0xfff
	v_fma_f64 v[19:20], -v[15:16], v[17:18], 1.0
	v_fma_f64 v[17:18], v[17:18], v[19:20], v[17:18]
	s_delay_alu instid0(VALU_DEP_1) | instskip(NEXT) | instid1(VALU_DEP_1)
	v_fma_f64 v[19:20], -v[15:16], v[17:18], 1.0
	v_fma_f64 v[17:18], v[17:18], v[19:20], v[17:18]
	s_delay_alu instid0(VALU_DEP_1) | instskip(NEXT) | instid1(VALU_DEP_1)
	v_mul_f64 v[19:20], v[21:22], v[17:18]
	v_fma_f64 v[15:16], -v[15:16], v[19:20], v[21:22]
	s_delay_alu instid0(VALU_DEP_1) | instskip(SKIP_1) | instid1(VALU_DEP_2)
	v_div_fmas_f64 v[15:16], v[15:16], v[17:18], v[19:20]
	v_fma_f64 v[17:18], v[1:2], v[9:10], v[3:4]
	v_div_fixup_f64 v[11:12], v[15:16], v[11:12], 1.0
	v_fma_f64 v[15:16], v[3:4], v[9:10], -v[1:2]
	s_delay_alu instid0(VALU_DEP_2) | instskip(NEXT) | instid1(VALU_DEP_2)
	v_mul_f64 v[9:10], v[17:18], v[11:12]
	v_mul_f64 v[11:12], v[15:16], v[11:12]
	s_cbranch_execnz .LBB223_150
	s_branch .LBB223_162
.LBB223_161:                            ;   in Loop: Header=BB223_151 Depth=1
                                        ; implicit-def: $vgpr9_vgpr10
.LBB223_162:                            ;   in Loop: Header=BB223_151 Depth=1
	v_div_scale_f64 v[9:10], null, v[5:6], v[5:6], v[7:8]
	v_div_scale_f64 v[17:18], vcc_lo, v[7:8], v[5:6], v[7:8]
	s_delay_alu instid0(VALU_DEP_2) | instskip(SKIP_2) | instid1(VALU_DEP_1)
	v_rcp_f64_e32 v[11:12], v[9:10]
	s_waitcnt_depctr 0xfff
	v_fma_f64 v[15:16], -v[9:10], v[11:12], 1.0
	v_fma_f64 v[11:12], v[11:12], v[15:16], v[11:12]
	s_delay_alu instid0(VALU_DEP_1) | instskip(NEXT) | instid1(VALU_DEP_1)
	v_fma_f64 v[15:16], -v[9:10], v[11:12], 1.0
	v_fma_f64 v[11:12], v[11:12], v[15:16], v[11:12]
	s_delay_alu instid0(VALU_DEP_1) | instskip(NEXT) | instid1(VALU_DEP_1)
	v_mul_f64 v[15:16], v[17:18], v[11:12]
	v_fma_f64 v[9:10], -v[9:10], v[15:16], v[17:18]
	s_delay_alu instid0(VALU_DEP_1) | instskip(NEXT) | instid1(VALU_DEP_1)
	v_div_fmas_f64 v[9:10], v[9:10], v[11:12], v[15:16]
	v_div_fixup_f64 v[9:10], v[9:10], v[5:6], v[7:8]
	s_delay_alu instid0(VALU_DEP_1) | instskip(NEXT) | instid1(VALU_DEP_1)
	v_fma_f64 v[5:6], v[7:8], v[9:10], v[5:6]
	v_div_scale_f64 v[7:8], null, v[5:6], v[5:6], 1.0
	v_div_scale_f64 v[17:18], vcc_lo, 1.0, v[5:6], 1.0
	s_delay_alu instid0(VALU_DEP_2) | instskip(SKIP_2) | instid1(VALU_DEP_1)
	v_rcp_f64_e32 v[11:12], v[7:8]
	s_waitcnt_depctr 0xfff
	v_fma_f64 v[15:16], -v[7:8], v[11:12], 1.0
	v_fma_f64 v[11:12], v[11:12], v[15:16], v[11:12]
	s_delay_alu instid0(VALU_DEP_1) | instskip(NEXT) | instid1(VALU_DEP_1)
	v_fma_f64 v[15:16], -v[7:8], v[11:12], 1.0
	v_fma_f64 v[11:12], v[11:12], v[15:16], v[11:12]
	s_delay_alu instid0(VALU_DEP_1) | instskip(NEXT) | instid1(VALU_DEP_1)
	v_mul_f64 v[15:16], v[17:18], v[11:12]
	v_fma_f64 v[7:8], -v[7:8], v[15:16], v[17:18]
	s_delay_alu instid0(VALU_DEP_1) | instskip(SKIP_2) | instid1(VALU_DEP_3)
	v_div_fmas_f64 v[7:8], v[7:8], v[11:12], v[15:16]
	v_fma_f64 v[11:12], v[3:4], v[9:10], v[1:2]
	v_fma_f64 v[1:2], -v[1:2], v[9:10], v[3:4]
	v_div_fixup_f64 v[5:6], v[7:8], v[5:6], 1.0
	s_delay_alu instid0(VALU_DEP_1) | instskip(NEXT) | instid1(VALU_DEP_3)
	v_mul_f64 v[9:10], v[11:12], v[5:6]
	v_mul_f64 v[11:12], v[1:2], v[5:6]
	s_branch .LBB223_150
.LBB223_163:
	s_and_saveexec_b32 s1, s21
	s_cbranch_execz .LBB223_170
; %bb.164:
	v_lshlrev_b32_e32 v3, 4, v0
	s_ashr_i32 s1, s0, 31
	s_cmp_lt_u32 s15, 4
	s_mov_b32 s10, 0
	s_cbranch_scc1 .LBB223_167
; %bb.165:
	v_add_co_u32 v1, s4, s19, v3
	s_delay_alu instid0(VALU_DEP_1)
	v_add_co_ci_u32_e64 v2, null, s20, 0, s4
	v_lshl_add_u32 v0, v0, 4, 0x1900
	s_and_b32 s10, s15, 0x7ffffffc
	s_mul_hi_i32 s11, s0, 48
	s_mul_i32 s16, s0, 48
	s_lshl_b64 s[4:5], s[0:1], 6
	s_lshl_b64 s[6:7], s[0:1], 5
	;; [unrolled: 1-line block ×3, first 2 shown]
	s_mov_b32 s17, 0
	s_set_inst_prefetch_distance 0x1
	.p2align	6
.LBB223_166:                            ; =>This Inner Loop Header: Depth=1
	ds_load_2addr_b64 v[4:7], v0 offset1:1
	ds_load_2addr_b64 v[8:11], v0 offset0:40 offset1:41
	ds_load_2addr_b64 v[12:15], v0 offset0:80 offset1:81
	;; [unrolled: 1-line block ×3, first 2 shown]
	v_add_co_u32 v20, vcc_lo, v1, s8
	v_add_co_ci_u32_e32 v21, vcc_lo, s9, v2, vcc_lo
	v_add_co_u32 v22, vcc_lo, v1, s6
	v_add_co_ci_u32_e32 v23, vcc_lo, s7, v2, vcc_lo
	v_add_co_u32 v24, vcc_lo, v1, s16
	v_add_co_ci_u32_e32 v25, vcc_lo, s11, v2, vcc_lo
	v_add_nc_u32_e32 v0, 0x500, v0
	s_add_i32 s17, s17, 4
	s_delay_alu instid0(SALU_CYCLE_1)
	s_cmp_lg_u32 s10, s17
	s_waitcnt lgkmcnt(3)
	global_store_b128 v[1:2], v[4:7], off
	v_add_co_u32 v1, vcc_lo, v1, s4
	v_add_co_ci_u32_e32 v2, vcc_lo, s5, v2, vcc_lo
	s_waitcnt lgkmcnt(2)
	global_store_b128 v[20:21], v[8:11], off
	s_waitcnt lgkmcnt(1)
	global_store_b128 v[22:23], v[12:15], off
	;; [unrolled: 2-line block ×3, first 2 shown]
	s_cbranch_scc1 .LBB223_166
.LBB223_167:
	s_set_inst_prefetch_distance 0x2
	s_and_b32 s4, s15, 3
	s_delay_alu instid0(SALU_CYCLE_1)
	s_cmp_eq_u32 s4, 0
	s_cbranch_scc1 .LBB223_170
; %bb.168:
	s_mul_hi_i32 s7, s0, s10
	s_mul_i32 s6, s0, s10
	s_mul_i32 s5, s10, 0x140
	s_lshl_b64 s[6:7], s[6:7], 4
	v_add3_u32 v2, s5, v3, 0x1900
	s_add_u32 s6, s6, s18
	s_addc_u32 s7, s7, s14
	s_add_u32 s2, s6, s2
	s_addc_u32 s3, s7, s3
	;; [unrolled: 2-line block ×3, first 2 shown]
	v_add_co_u32 v0, s2, s2, v3
	s_delay_alu instid0(VALU_DEP_1)
	v_add_co_ci_u32_e64 v1, null, s3, 0, s2
	s_lshl_b64 s[0:1], s[0:1], 4
.LBB223_169:                            ; =>This Inner Loop Header: Depth=1
	ds_load_2addr_b64 v[3:6], v2 offset1:1
	v_add_nc_u32_e32 v2, 0x140, v2
	s_add_i32 s4, s4, -1
	s_delay_alu instid0(SALU_CYCLE_1)
	s_cmp_lg_u32 s4, 0
	s_waitcnt lgkmcnt(0)
	global_store_b128 v[0:1], v[3:6], off
	v_add_co_u32 v0, vcc_lo, v0, s0
	v_add_co_ci_u32_e32 v1, vcc_lo, s1, v1, vcc_lo
	s_cbranch_scc1 .LBB223_169
.LBB223_170:
	s_nop 0
	s_sendmsg sendmsg(MSG_DEALLOC_VGPRS)
	s_endpgm
	.section	.rodata,"a",@progbits
	.p2align	6, 0x0
	.amdhsa_kernel _ZL31rocblas_trsm_small_right_deviceI19rocblas_complex_numIdES1_PKPKS1_PKPS1_Li20EEv13rocblas_fill_18rocblas_operation_17rocblas_diagonal_iiT0_T1_lilT2_lili
		.amdhsa_group_segment_fixed_size 12800
		.amdhsa_private_segment_fixed_size 0
		.amdhsa_kernarg_size 368
		.amdhsa_user_sgpr_count 14
		.amdhsa_user_sgpr_dispatch_ptr 0
		.amdhsa_user_sgpr_queue_ptr 0
		.amdhsa_user_sgpr_kernarg_segment_ptr 1
		.amdhsa_user_sgpr_dispatch_id 0
		.amdhsa_user_sgpr_private_segment_size 0
		.amdhsa_wavefront_size32 1
		.amdhsa_uses_dynamic_stack 0
		.amdhsa_enable_private_segment 0
		.amdhsa_system_sgpr_workgroup_id_x 1
		.amdhsa_system_sgpr_workgroup_id_y 0
		.amdhsa_system_sgpr_workgroup_id_z 1
		.amdhsa_system_sgpr_workgroup_info 0
		.amdhsa_system_vgpr_workitem_id 0
		.amdhsa_next_free_vgpr 80
		.amdhsa_next_free_sgpr 32
		.amdhsa_reserve_vcc 1
		.amdhsa_float_round_mode_32 0
		.amdhsa_float_round_mode_16_64 0
		.amdhsa_float_denorm_mode_32 3
		.amdhsa_float_denorm_mode_16_64 3
		.amdhsa_dx10_clamp 1
		.amdhsa_ieee_mode 1
		.amdhsa_fp16_overflow 0
		.amdhsa_workgroup_processor_mode 1
		.amdhsa_memory_ordered 1
		.amdhsa_forward_progress 0
		.amdhsa_shared_vgpr_count 0
		.amdhsa_exception_fp_ieee_invalid_op 0
		.amdhsa_exception_fp_denorm_src 0
		.amdhsa_exception_fp_ieee_div_zero 0
		.amdhsa_exception_fp_ieee_overflow 0
		.amdhsa_exception_fp_ieee_underflow 0
		.amdhsa_exception_fp_ieee_inexact 0
		.amdhsa_exception_int_div_zero 0
	.end_amdhsa_kernel
	.section	.text._ZL31rocblas_trsm_small_right_deviceI19rocblas_complex_numIdES1_PKPKS1_PKPS1_Li20EEv13rocblas_fill_18rocblas_operation_17rocblas_diagonal_iiT0_T1_lilT2_lili,"axG",@progbits,_ZL31rocblas_trsm_small_right_deviceI19rocblas_complex_numIdES1_PKPKS1_PKPS1_Li20EEv13rocblas_fill_18rocblas_operation_17rocblas_diagonal_iiT0_T1_lilT2_lili,comdat
.Lfunc_end223:
	.size	_ZL31rocblas_trsm_small_right_deviceI19rocblas_complex_numIdES1_PKPKS1_PKPS1_Li20EEv13rocblas_fill_18rocblas_operation_17rocblas_diagonal_iiT0_T1_lilT2_lili, .Lfunc_end223-_ZL31rocblas_trsm_small_right_deviceI19rocblas_complex_numIdES1_PKPKS1_PKPS1_Li20EEv13rocblas_fill_18rocblas_operation_17rocblas_diagonal_iiT0_T1_lilT2_lili
                                        ; -- End function
	.section	.AMDGPU.csdata,"",@progbits
; Kernel info:
; codeLenInByte = 20380
; NumSgprs: 34
; NumVgprs: 80
; ScratchSize: 0
; MemoryBound: 0
; FloatMode: 240
; IeeeMode: 1
; LDSByteSize: 12800 bytes/workgroup (compile time only)
; SGPRBlocks: 4
; VGPRBlocks: 9
; NumSGPRsForWavesPerEU: 34
; NumVGPRsForWavesPerEU: 80
; Occupancy: 3
; WaveLimiterHint : 0
; COMPUTE_PGM_RSRC2:SCRATCH_EN: 0
; COMPUTE_PGM_RSRC2:USER_SGPR: 14
; COMPUTE_PGM_RSRC2:TRAP_HANDLER: 0
; COMPUTE_PGM_RSRC2:TGID_X_EN: 1
; COMPUTE_PGM_RSRC2:TGID_Y_EN: 0
; COMPUTE_PGM_RSRC2:TGID_Z_EN: 1
; COMPUTE_PGM_RSRC2:TIDIG_COMP_CNT: 0
	.section	.text._ZL38rocblas_trsm_small_left_device_sharedBILi24ELi24ELb0E19rocblas_complex_numIdES1_PKPKS1_PKPS1_Ev13rocblas_fill_18rocblas_operation_17rocblas_diagonal_iiT3_T4_lilT5_lili,"axG",@progbits,_ZL38rocblas_trsm_small_left_device_sharedBILi24ELi24ELb0E19rocblas_complex_numIdES1_PKPKS1_PKPS1_Ev13rocblas_fill_18rocblas_operation_17rocblas_diagonal_iiT3_T4_lilT5_lili,comdat
	.globl	_ZL38rocblas_trsm_small_left_device_sharedBILi24ELi24ELb0E19rocblas_complex_numIdES1_PKPKS1_PKPS1_Ev13rocblas_fill_18rocblas_operation_17rocblas_diagonal_iiT3_T4_lilT5_lili ; -- Begin function _ZL38rocblas_trsm_small_left_device_sharedBILi24ELi24ELb0E19rocblas_complex_numIdES1_PKPKS1_PKPS1_Ev13rocblas_fill_18rocblas_operation_17rocblas_diagonal_iiT3_T4_lilT5_lili
	.p2align	8
	.type	_ZL38rocblas_trsm_small_left_device_sharedBILi24ELi24ELb0E19rocblas_complex_numIdES1_PKPKS1_PKPS1_Ev13rocblas_fill_18rocblas_operation_17rocblas_diagonal_iiT3_T4_lilT5_lili,@function
_ZL38rocblas_trsm_small_left_device_sharedBILi24ELi24ELb0E19rocblas_complex_numIdES1_PKPKS1_PKPS1_Ev13rocblas_fill_18rocblas_operation_17rocblas_diagonal_iiT3_T4_lilT5_lili: ; @_ZL38rocblas_trsm_small_left_device_sharedBILi24ELi24ELb0E19rocblas_complex_numIdES1_PKPKS1_PKPS1_Ev13rocblas_fill_18rocblas_operation_17rocblas_diagonal_iiT3_T4_lilT5_lili
; %bb.0:
	s_clause 0x1
	s_load_b128 s[20:23], s[0:1], 0x48
	s_load_b128 s[16:19], s[0:1], 0x4
	s_mov_b32 s2, s15
	s_mov_b32 s3, 0
	s_load_b32 s29, s[0:1], 0x70
	s_lshl_b64 s[24:25], s[2:3], 3
	s_mov_b32 s30, exec_lo
	s_waitcnt lgkmcnt(0)
	s_add_u32 s12, s20, s24
	s_addc_u32 s13, s21, s25
	s_load_b256 s[4:11], s[0:1], 0x18
	s_load_b64 s[12:13], s[12:13], 0x0
	s_min_i32 s15, s18, 24
	s_delay_alu instid0(SALU_CYCLE_1)
	s_add_i32 s28, s15, -1
	v_cmpx_gt_i32_e64 s15, v0
	s_cbranch_execz .LBB224_15
; %bb.1:
	s_load_b32 s20, s[0:1], 0x38
	s_waitcnt lgkmcnt(0)
	s_ashr_i32 s21, s20, 31
	s_cmpk_eq_i32 s16, 0x71
	s_cselect_b32 vcc_lo, -1, 0
	s_add_u32 s8, s8, s24
	s_addc_u32 s9, s9, s25
	s_cmp_lt_u32 s28, 3
	s_load_b64 s[8:9], s[8:9], 0x0
	s_cbranch_scc1 .LBB224_4
; %bb.2:
	v_lshlrev_b32_e32 v1, 4, v0
	s_lshl_b64 s[24:25], s[10:11], 4
	s_and_b32 s3, s15, -4
	s_waitcnt lgkmcnt(0)
	s_add_u32 s2, s8, s24
	s_addc_u32 s24, s9, s25
	v_add_co_u32 v1, s2, s2, v1
	s_delay_alu instid0(VALU_DEP_1) | instskip(SKIP_1) | instid1(VALU_DEP_3)
	v_add_co_ci_u32_e64 v2, null, s24, 0, s2
	v_lshlrev_b32_e32 v3, 4, v0
	v_add_co_u32 v1, s2, v1, 8
	s_delay_alu instid0(VALU_DEP_1)
	v_add_co_ci_u32_e64 v2, s2, 0, v2, s2
	s_lshl_b64 s[24:25], s[20:21], 6
	s_lshl_b64 s[26:27], s[20:21], 4
	s_mov_b32 s31, 0
.LBB224_3:                              ; =>This Inner Loop Header: Depth=1
	v_add_co_u32 v8, s2, v1, s26
	s_delay_alu instid0(VALU_DEP_1) | instskip(SKIP_1) | instid1(VALU_DEP_2)
	v_add_co_ci_u32_e64 v9, s2, s27, v2, s2
	s_add_i32 s31, s31, 4
	v_add_co_u32 v12, s2, v8, s26
	s_delay_alu instid0(VALU_DEP_1) | instskip(SKIP_1) | instid1(VALU_DEP_2)
	v_add_co_ci_u32_e64 v13, s2, s27, v9, s2
	s_cmp_eq_u32 s3, s31
	v_add_co_u32 v16, s2, v12, s26
	s_delay_alu instid0(VALU_DEP_1)
	v_add_co_ci_u32_e64 v17, s2, s27, v13, s2
	s_clause 0x3
	global_load_b128 v[4:7], v[1:2], off offset:-8
	global_load_b128 v[8:11], v[8:9], off offset:-8
	;; [unrolled: 1-line block ×4, first 2 shown]
	v_add_co_u32 v1, s2, v1, s24
	s_delay_alu instid0(VALU_DEP_1)
	v_add_co_ci_u32_e64 v2, s2, s25, v2, s2
	s_waitcnt vmcnt(3)
	v_xor_b32_e32 v20, 0x80000000, v7
	s_waitcnt vmcnt(2)
	v_xor_b32_e32 v21, 0x80000000, v11
	;; [unrolled: 2-line block ×4, first 2 shown]
	v_cndmask_b32_e32 v7, v7, v20, vcc_lo
	v_cndmask_b32_e32 v11, v11, v21, vcc_lo
	;; [unrolled: 1-line block ×3, first 2 shown]
	s_delay_alu instid0(VALU_DEP_4)
	v_cndmask_b32_e32 v19, v19, v23, vcc_lo
	ds_store_b128 v3, v[4:7]
	ds_store_b128 v3, v[8:11] offset:384
	ds_store_b128 v3, v[12:15] offset:768
	;; [unrolled: 1-line block ×3, first 2 shown]
	v_add_nc_u32_e32 v3, 0x600, v3
	s_cbranch_scc0 .LBB224_3
.LBB224_4:
	s_and_b32 s24, s15, 3
	s_delay_alu instid0(SALU_CYCLE_1)
	s_cmp_eq_u32 s24, 0
	s_cbranch_scc1 .LBB224_7
; %bb.5:
	s_mul_i32 s2, s21, s3
	s_mul_hi_u32 s25, s20, s3
	s_mul_i32 s26, s20, s3
	s_add_i32 s27, s25, s2
	s_lshl_b64 s[10:11], s[10:11], 4
	s_lshl_b64 s[26:27], s[26:27], 4
	v_lshlrev_b32_e32 v1, 4, v0
	s_mul_i32 s2, s3, 0x180
	s_add_u32 s3, s26, s10
	s_addc_u32 s10, s27, s11
	s_waitcnt lgkmcnt(0)
	s_add_u32 s3, s8, s3
	s_addc_u32 s8, s9, s10
	v_add_co_u32 v1, s3, s3, v1
	s_delay_alu instid0(VALU_DEP_1) | instskip(SKIP_1) | instid1(VALU_DEP_3)
	v_add_co_ci_u32_e64 v2, null, s8, 0, s3
	v_lshl_add_u32 v3, v0, 4, s2
	v_add_co_u32 v1, s2, v1, 8
	s_delay_alu instid0(VALU_DEP_1)
	v_add_co_ci_u32_e64 v2, s2, 0, v2, s2
	s_lshl_b64 s[8:9], s[20:21], 4
.LBB224_6:                              ; =>This Inner Loop Header: Depth=1
	global_load_b128 v[4:7], v[1:2], off offset:-8
	v_add_co_u32 v1, s2, v1, s8
	s_delay_alu instid0(VALU_DEP_1) | instskip(SKIP_1) | instid1(SALU_CYCLE_1)
	v_add_co_ci_u32_e64 v2, s2, s9, v2, s2
	s_add_i32 s24, s24, -1
	s_cmp_lg_u32 s24, 0
	s_waitcnt vmcnt(0)
	v_xor_b32_e32 v8, 0x80000000, v7
	s_delay_alu instid0(VALU_DEP_1)
	v_cndmask_b32_e32 v7, v7, v8, vcc_lo
	ds_store_b128 v3, v[4:7]
	v_add_nc_u32_e32 v3, 0x180, v3
	s_cbranch_scc1 .LBB224_6
.LBB224_7:
	v_mul_u32_u24_e32 v1, 25, v0
	s_cmpk_lg_i32 s17, 0x84
	s_delay_alu instid0(VALU_DEP_1)
	v_lshlrev_b32_e32 v9, 4, v1
	s_cbranch_scc0 .LBB224_13
; %bb.8:
	ds_load_b128 v[1:4], v9
	s_waitcnt lgkmcnt(0)
	v_cmp_gt_f64_e32 vcc_lo, 0, v[1:2]
	v_xor_b32_e32 v6, 0x80000000, v2
	v_mov_b32_e32 v5, v1
	v_xor_b32_e32 v7, 0x80000000, v4
	s_delay_alu instid0(VALU_DEP_3) | instskip(SKIP_1) | instid1(VALU_DEP_3)
	v_cndmask_b32_e32 v6, v2, v6, vcc_lo
	v_cmp_gt_f64_e32 vcc_lo, 0, v[3:4]
	v_dual_cndmask_b32 v8, v4, v7 :: v_dual_mov_b32 v7, v3
	s_delay_alu instid0(VALU_DEP_1) | instskip(SKIP_1) | instid1(SALU_CYCLE_1)
	v_cmp_ngt_f64_e32 vcc_lo, v[5:6], v[7:8]
                                        ; implicit-def: $vgpr7_vgpr8
	s_and_saveexec_b32 s2, vcc_lo
	s_xor_b32 s2, exec_lo, s2
	s_cbranch_execz .LBB224_10
; %bb.9:
	v_div_scale_f64 v[5:6], null, v[3:4], v[3:4], v[1:2]
	v_div_scale_f64 v[12:13], vcc_lo, v[1:2], v[3:4], v[1:2]
	s_delay_alu instid0(VALU_DEP_2) | instskip(SKIP_2) | instid1(VALU_DEP_1)
	v_rcp_f64_e32 v[7:8], v[5:6]
	s_waitcnt_depctr 0xfff
	v_fma_f64 v[10:11], -v[5:6], v[7:8], 1.0
	v_fma_f64 v[7:8], v[7:8], v[10:11], v[7:8]
	s_delay_alu instid0(VALU_DEP_1) | instskip(NEXT) | instid1(VALU_DEP_1)
	v_fma_f64 v[10:11], -v[5:6], v[7:8], 1.0
	v_fma_f64 v[7:8], v[7:8], v[10:11], v[7:8]
	s_delay_alu instid0(VALU_DEP_1) | instskip(NEXT) | instid1(VALU_DEP_1)
	v_mul_f64 v[10:11], v[12:13], v[7:8]
	v_fma_f64 v[5:6], -v[5:6], v[10:11], v[12:13]
	s_delay_alu instid0(VALU_DEP_1) | instskip(NEXT) | instid1(VALU_DEP_1)
	v_div_fmas_f64 v[5:6], v[5:6], v[7:8], v[10:11]
	v_div_fixup_f64 v[5:6], v[5:6], v[3:4], v[1:2]
	s_delay_alu instid0(VALU_DEP_1) | instskip(NEXT) | instid1(VALU_DEP_1)
	v_fma_f64 v[1:2], v[1:2], v[5:6], v[3:4]
	v_div_scale_f64 v[3:4], null, v[1:2], v[1:2], 1.0
	v_div_scale_f64 v[12:13], vcc_lo, 1.0, v[1:2], 1.0
	s_delay_alu instid0(VALU_DEP_2) | instskip(SKIP_2) | instid1(VALU_DEP_1)
	v_rcp_f64_e32 v[7:8], v[3:4]
	s_waitcnt_depctr 0xfff
	v_fma_f64 v[10:11], -v[3:4], v[7:8], 1.0
	v_fma_f64 v[7:8], v[7:8], v[10:11], v[7:8]
	s_delay_alu instid0(VALU_DEP_1) | instskip(NEXT) | instid1(VALU_DEP_1)
	v_fma_f64 v[10:11], -v[3:4], v[7:8], 1.0
	v_fma_f64 v[7:8], v[7:8], v[10:11], v[7:8]
	s_delay_alu instid0(VALU_DEP_1) | instskip(NEXT) | instid1(VALU_DEP_1)
	v_mul_f64 v[10:11], v[12:13], v[7:8]
	v_fma_f64 v[3:4], -v[3:4], v[10:11], v[12:13]
	s_delay_alu instid0(VALU_DEP_1) | instskip(SKIP_1) | instid1(VALU_DEP_2)
	v_div_fmas_f64 v[3:4], v[3:4], v[7:8], v[10:11]
	v_add_f64 v[7:8], v[5:6], 0
	v_div_fixup_f64 v[1:2], v[3:4], v[1:2], 1.0
	v_fma_f64 v[3:4], v[5:6], 0, -1.0
	s_delay_alu instid0(VALU_DEP_2) | instskip(NEXT) | instid1(VALU_DEP_2)
	v_mul_f64 v[5:6], v[7:8], v[1:2]
	v_mul_f64 v[7:8], v[3:4], v[1:2]
                                        ; implicit-def: $vgpr1_vgpr2
.LBB224_10:
	s_and_not1_saveexec_b32 s2, s2
	s_cbranch_execz .LBB224_12
; %bb.11:
	v_div_scale_f64 v[5:6], null, v[1:2], v[1:2], v[3:4]
	v_div_scale_f64 v[12:13], vcc_lo, v[3:4], v[1:2], v[3:4]
	s_delay_alu instid0(VALU_DEP_2) | instskip(SKIP_2) | instid1(VALU_DEP_1)
	v_rcp_f64_e32 v[7:8], v[5:6]
	s_waitcnt_depctr 0xfff
	v_fma_f64 v[10:11], -v[5:6], v[7:8], 1.0
	v_fma_f64 v[7:8], v[7:8], v[10:11], v[7:8]
	s_delay_alu instid0(VALU_DEP_1) | instskip(NEXT) | instid1(VALU_DEP_1)
	v_fma_f64 v[10:11], -v[5:6], v[7:8], 1.0
	v_fma_f64 v[7:8], v[7:8], v[10:11], v[7:8]
	s_delay_alu instid0(VALU_DEP_1) | instskip(NEXT) | instid1(VALU_DEP_1)
	v_mul_f64 v[10:11], v[12:13], v[7:8]
	v_fma_f64 v[5:6], -v[5:6], v[10:11], v[12:13]
	s_delay_alu instid0(VALU_DEP_1) | instskip(NEXT) | instid1(VALU_DEP_1)
	v_div_fmas_f64 v[5:6], v[5:6], v[7:8], v[10:11]
	v_div_fixup_f64 v[5:6], v[5:6], v[1:2], v[3:4]
	s_delay_alu instid0(VALU_DEP_1) | instskip(NEXT) | instid1(VALU_DEP_1)
	v_fma_f64 v[1:2], v[3:4], v[5:6], v[1:2]
	v_div_scale_f64 v[3:4], null, v[1:2], v[1:2], 1.0
	v_div_scale_f64 v[12:13], vcc_lo, 1.0, v[1:2], 1.0
	s_delay_alu instid0(VALU_DEP_2) | instskip(SKIP_2) | instid1(VALU_DEP_1)
	v_rcp_f64_e32 v[7:8], v[3:4]
	s_waitcnt_depctr 0xfff
	v_fma_f64 v[10:11], -v[3:4], v[7:8], 1.0
	v_fma_f64 v[7:8], v[7:8], v[10:11], v[7:8]
	s_delay_alu instid0(VALU_DEP_1) | instskip(NEXT) | instid1(VALU_DEP_1)
	v_fma_f64 v[10:11], -v[3:4], v[7:8], 1.0
	v_fma_f64 v[7:8], v[7:8], v[10:11], v[7:8]
	s_delay_alu instid0(VALU_DEP_1) | instskip(NEXT) | instid1(VALU_DEP_1)
	v_mul_f64 v[10:11], v[12:13], v[7:8]
	v_fma_f64 v[3:4], -v[3:4], v[10:11], v[12:13]
	s_delay_alu instid0(VALU_DEP_1) | instskip(SKIP_1) | instid1(VALU_DEP_2)
	v_div_fmas_f64 v[3:4], v[3:4], v[7:8], v[10:11]
	v_fma_f64 v[7:8], v[5:6], 0, 1.0
	v_div_fixup_f64 v[1:2], v[3:4], v[1:2], 1.0
	v_add_f64 v[3:4], -v[5:6], 0
	s_delay_alu instid0(VALU_DEP_2) | instskip(NEXT) | instid1(VALU_DEP_2)
	v_mul_f64 v[5:6], v[7:8], v[1:2]
	v_mul_f64 v[7:8], v[3:4], v[1:2]
.LBB224_12:
	s_or_b32 exec_lo, exec_lo, s2
	s_branch .LBB224_14
.LBB224_13:
	v_mov_b32_e32 v5, 0
	v_dual_mov_b32 v6, 0x3ff00000 :: v_dual_mov_b32 v7, 0
	v_mov_b32_e32 v8, 0
.LBB224_14:
	ds_store_b128 v9, v[5:8]
.LBB224_15:
	s_or_b32 exec_lo, exec_lo, s30
	s_load_b32 s17, s[0:1], 0x58
	s_lshl_b64 s[0:1], s[22:23], 4
	s_mul_i32 s3, s14, 0xffffffe8
	s_mul_i32 s2, s14, 24
	s_waitcnt lgkmcnt(0)
	s_ashr_i32 s20, s17, 31
	s_add_u32 s10, s12, s0
	s_addc_u32 s11, s13, s1
	s_add_i32 s29, s29, -1
	s_add_i32 s3, s3, s19
	s_mul_hi_i32 s9, s17, s2
	s_cmp_ge_u32 s14, s29
	s_mul_i32 s8, s17, s2
	s_cselect_b32 s21, s3, 24
	s_lshl_b64 s[8:9], s[8:9], 4
	s_ashr_i32 s3, s2, 31
	s_add_u32 s14, s10, s8
	s_addc_u32 s19, s11, s9
	v_cmp_gt_i32_e32 vcc_lo, s21, v0
	s_cmp_gt_i32 s18, 0
	s_mov_b32 s8, 0
	s_cselect_b32 s9, -1, 0
	s_delay_alu instid0(SALU_CYCLE_1) | instskip(NEXT) | instid1(SALU_CYCLE_1)
	s_and_b32 s21, vcc_lo, s9
	s_and_saveexec_b32 s22, s21
	s_cbranch_execz .LBB224_22
; %bb.16:
	s_cmp_lt_i32 s18, 8
	s_cbranch_scc1 .LBB224_19
; %bb.17:
	v_mad_i64_i32 v[1:2], null, s17, v0, 0
	v_lshl_or_b32 v3, v0, 4, 0x2400
	s_lshl_b32 s8, s15, 4
	s_mov_b64 s[10:11], 0
	s_and_b32 s9, s8, 0x180
	s_mov_b32 s8, 0
	s_delay_alu instid0(VALU_DEP_2) | instskip(NEXT) | instid1(VALU_DEP_1)
	v_lshlrev_b64 v[1:2], 4, v[1:2]
	v_add_co_u32 v1, vcc_lo, s14, v1
	s_delay_alu instid0(VALU_DEP_2)
	v_add_co_ci_u32_e32 v2, vcc_lo, s19, v2, vcc_lo
.LBB224_18:                             ; =>This Inner Loop Header: Depth=1
	s_delay_alu instid0(VALU_DEP_2) | instskip(NEXT) | instid1(VALU_DEP_2)
	v_add_co_u32 v32, vcc_lo, v1, s10
	v_add_co_ci_u32_e32 v33, vcc_lo, s11, v2, vcc_lo
	s_add_i32 s8, s8, 8
	s_add_u32 s10, s10, 0x80
	s_addc_u32 s11, s11, 0
	s_clause 0x7
	global_load_b128 v[4:7], v[32:33], off
	global_load_b128 v[8:11], v[32:33], off offset:16
	global_load_b128 v[12:15], v[32:33], off offset:32
	;; [unrolled: 1-line block ×7, first 2 shown]
	s_cmp_lg_u32 s9, s10
	s_waitcnt vmcnt(7)
	v_mul_f64 v[36:37], s[6:7], v[6:7]
	v_mul_f64 v[6:7], s[4:5], v[6:7]
	s_waitcnt vmcnt(6)
	v_mul_f64 v[38:39], s[6:7], v[10:11]
	v_mul_f64 v[10:11], s[4:5], v[10:11]
	;; [unrolled: 3-line block ×8, first 2 shown]
	v_fma_f64 v[34:35], s[4:5], v[4:5], -v[36:37]
	v_fma_f64 v[36:37], s[6:7], v[4:5], v[6:7]
	v_fma_f64 v[4:5], s[4:5], v[8:9], -v[38:39]
	v_fma_f64 v[6:7], s[6:7], v[8:9], v[10:11]
	;; [unrolled: 2-line block ×8, first 2 shown]
	ds_store_b128 v3, v[34:37]
	ds_store_b128 v3, v[4:7] offset:384
	ds_store_b128 v3, v[8:11] offset:768
	;; [unrolled: 1-line block ×7, first 2 shown]
	v_add_nc_u32_e32 v3, 0xc00, v3
	s_cbranch_scc1 .LBB224_18
.LBB224_19:
	s_and_b32 s10, s15, 7
	s_mov_b32 s9, 0
	s_cmp_eq_u32 s10, 0
	s_cbranch_scc1 .LBB224_22
; %bb.20:
	v_lshlrev_b32_e32 v3, 4, v0
	s_lshl_b64 s[24:25], s[2:3], 4
	s_lshl_b64 s[26:27], s[8:9], 4
	s_mulk_i32 s8, 0x180
	s_delay_alu instid0(VALU_DEP_1) | instskip(NEXT) | instid1(VALU_DEP_1)
	v_add_co_u32 v4, s9, s24, v3
	v_add_co_ci_u32_e64 v5, null, s25, 0, s9
	s_add_u32 s9, s12, s26
	s_addc_u32 s11, s13, s27
	s_add_u32 s24, s9, s0
	s_addc_u32 s25, s11, s1
	v_mul_lo_u32 v5, v5, s17
	v_mad_u64_u32 v[1:2], null, v4, s17, s[24:25]
	v_mul_lo_u32 v4, v4, s20
	v_add3_u32 v3, s8, v3, 0x2400
	s_delay_alu instid0(VALU_DEP_3) | instskip(NEXT) | instid1(VALU_DEP_3)
	v_add_co_u32 v1, vcc_lo, v1, 8
	v_add3_u32 v2, v5, v2, v4
	s_delay_alu instid0(VALU_DEP_1)
	v_add_co_ci_u32_e32 v2, vcc_lo, 0, v2, vcc_lo
	.p2align	6
.LBB224_21:                             ; =>This Inner Loop Header: Depth=1
	global_load_b128 v[4:7], v[1:2], off offset:-8
	v_add_co_u32 v1, vcc_lo, v1, 16
	v_add_co_ci_u32_e32 v2, vcc_lo, 0, v2, vcc_lo
	s_add_i32 s10, s10, -1
	s_delay_alu instid0(SALU_CYCLE_1) | instskip(SKIP_3) | instid1(VALU_DEP_2)
	s_cmp_lg_u32 s10, 0
	s_waitcnt vmcnt(0)
	v_mul_f64 v[8:9], s[6:7], v[6:7]
	v_mul_f64 v[10:11], s[4:5], v[6:7]
	v_fma_f64 v[6:7], s[4:5], v[4:5], -v[8:9]
	s_delay_alu instid0(VALU_DEP_2)
	v_fma_f64 v[8:9], s[6:7], v[4:5], v[10:11]
	ds_store_b128 v3, v[6:9]
	v_add_nc_u32_e32 v3, 0x180, v3
	s_cbranch_scc1 .LBB224_21
.LBB224_22:
	s_or_b32 exec_lo, exec_lo, s22
	s_or_b32 s6, 0, 8
	s_cmpk_eq_i32 s16, 0x6f
	s_mov_b32 s4, -1
	s_waitcnt vmcnt(0) lgkmcnt(0)
	s_waitcnt_vscnt null, 0x0
	; wave barrier
	s_waitcnt lgkmcnt(0)
	buffer_gl0_inv
	s_cbranch_scc1 .LBB224_44
; %bb.23:
	v_lshl_or_b32 v5, v0, 4, 0x2400
	s_mov_b32 s5, 0
	s_delay_alu instid0(SALU_CYCLE_1)
	s_mov_b32 s4, s5
	s_mov_b32 s7, s5
	s_branch .LBB224_25
.LBB224_24:                             ;   in Loop: Header=BB224_25 Depth=1
	s_cmp_ge_i32 s7, s15
	s_cselect_b32 s8, -1, 0
	s_add_i32 s4, s4, 1
	s_delay_alu instid0(SALU_CYCLE_1) | instskip(SKIP_1) | instid1(SALU_CYCLE_1)
	s_cmp_eq_u32 s4, 3
	s_cselect_b32 s9, -1, 0
	s_or_b32 s8, s8, s9
	s_delay_alu instid0(SALU_CYCLE_1)
	s_and_not1_b32 vcc_lo, exec_lo, s8
	s_cbranch_vccz .LBB224_43
.LBB224_25:                             ; =>This Loop Header: Depth=1
                                        ;     Child Loop BB224_28 Depth 2
                                        ;       Child Loop BB224_29 Depth 3
                                        ;       Child Loop BB224_32 Depth 3
                                        ;         Child Loop BB224_33 Depth 4
                                        ;       Child Loop BB224_37 Depth 3
                                        ;         Child Loop BB224_39 Depth 4
	s_getpc_b64 s[8:9]
	s_add_u32 s8, s8, __const._ZL38rocblas_trsm_small_left_device_sharedBILi24ELi24ELb0E19rocblas_complex_numIdES1_PKPKS1_PKPS1_Ev13rocblas_fill_18rocblas_operation_17rocblas_diagonal_iiT3_T4_lilT5_lili.step_sizes@rel32@lo+4
	s_addc_u32 s9, s9, __const._ZL38rocblas_trsm_small_left_device_sharedBILi24ELi24ELb0E19rocblas_complex_numIdES1_PKPKS1_PKPS1_Ev13rocblas_fill_18rocblas_operation_17rocblas_diagonal_iiT3_T4_lilT5_lili.step_sizes@rel32@hi+12
	s_lshl_b64 s[10:11], s[4:5], 2
	s_delay_alu instid0(SALU_CYCLE_1) | instskip(SKIP_4) | instid1(SALU_CYCLE_1)
	s_add_u32 s8, s10, s8
	s_addc_u32 s9, s11, s9
	s_load_b32 s8, s[8:9], 0x0
	s_waitcnt lgkmcnt(0)
	s_add_i32 s9, s8, -1
	s_add_i32 s10, s9, s7
	s_delay_alu instid0(SALU_CYCLE_1)
	s_cmp_ge_i32 s10, s15
	s_cbranch_scc1 .LBB224_24
; %bb.26:                               ;   in Loop: Header=BB224_25 Depth=1
	s_mul_i32 s10, s7, 0x180
	s_max_i32 s11, s8, 1
	v_add_nc_u32_e32 v6, s10, v5
	s_mul_i32 s16, s8, 0x180
	s_mul_i32 s22, s7, 0x190
	;; [unrolled: 1-line block ×3, first 2 shown]
	s_branch .LBB224_28
.LBB224_27:                             ;   in Loop: Header=BB224_28 Depth=2
	s_add_i32 s7, s7, s8
	v_add_nc_u32_e32 v6, s16, v6
	s_add_i32 s24, s9, s7
	s_add_i32 s10, s10, s16
	;; [unrolled: 1-line block ×3, first 2 shown]
	s_cmp_ge_i32 s24, s15
	s_cbranch_scc1 .LBB224_24
.LBB224_28:                             ;   Parent Loop BB224_25 Depth=1
                                        ; =>  This Loop Header: Depth=2
                                        ;       Child Loop BB224_29 Depth 3
                                        ;       Child Loop BB224_32 Depth 3
                                        ;         Child Loop BB224_33 Depth 4
                                        ;       Child Loop BB224_37 Depth 3
                                        ;         Child Loop BB224_39 Depth 4
	v_dual_mov_b32 v1, 0 :: v_dual_mov_b32 v2, v6
	s_mov_b32 s24, s11
.LBB224_29:                             ;   Parent Loop BB224_25 Depth=1
                                        ;     Parent Loop BB224_28 Depth=2
                                        ; =>    This Inner Loop Header: Depth=3
	ds_load_b128 v[7:10], v2
	v_add_nc_u32_e32 v2, 0x180, v2
	s_add_i32 s24, s24, -1
	s_delay_alu instid0(SALU_CYCLE_1)
	s_cmp_eq_u32 s24, 0
	s_waitcnt lgkmcnt(0)
	scratch_store_b128 v1, v[7:10], off
	v_add_nc_u32_e32 v1, 16, v1
	s_cbranch_scc0 .LBB224_29
; %bb.30:                               ;   in Loop: Header=BB224_28 Depth=2
	s_cmp_lt_i32 s7, 1
	s_cbranch_scc1 .LBB224_35
; %bb.31:                               ;   in Loop: Header=BB224_28 Depth=2
	s_mov_b32 s24, 0
	s_mov_b32 s25, s10
	s_set_inst_prefetch_distance 0x1
	.p2align	6
.LBB224_32:                             ;   Parent Loop BB224_25 Depth=1
                                        ;     Parent Loop BB224_28 Depth=2
                                        ; =>    This Loop Header: Depth=3
                                        ;         Child Loop BB224_33 Depth 4
	s_mul_i32 s26, s24, 24
	s_mov_b32 s27, s25
	v_add_lshl_u32 v1, s26, v0, 4
	s_mov_b32 s26, s6
	s_mov_b32 s29, s11
	ds_load_b128 v[1:4], v1 offset:9216
	.p2align	6
.LBB224_33:                             ;   Parent Loop BB224_25 Depth=1
                                        ;     Parent Loop BB224_28 Depth=2
                                        ;       Parent Loop BB224_32 Depth=3
                                        ; =>      This Inner Loop Header: Depth=4
	scratch_load_b128 v[7:10], off, s26 offset:-8
	v_mov_b32_e32 v11, s27
	s_add_i32 s29, s29, -1
	s_addk_i32 s27, 0x180
	ds_load_b128 v[11:14], v11
	s_waitcnt lgkmcnt(0)
	v_mul_f64 v[15:16], v[3:4], v[13:14]
	v_mul_f64 v[13:14], v[1:2], v[13:14]
	s_delay_alu instid0(VALU_DEP_2) | instskip(NEXT) | instid1(VALU_DEP_2)
	v_fma_f64 v[15:16], v[1:2], v[11:12], -v[15:16]
	v_fma_f64 v[11:12], v[3:4], v[11:12], v[13:14]
	s_waitcnt vmcnt(0)
	s_delay_alu instid0(VALU_DEP_2) | instskip(NEXT) | instid1(VALU_DEP_2)
	v_add_f64 v[7:8], v[7:8], -v[15:16]
	v_add_f64 v[9:10], v[9:10], -v[11:12]
	scratch_store_b128 off, v[7:10], s26 offset:-8
	s_add_i32 s26, s26, 16
	s_cmp_eq_u32 s29, 0
	s_cbranch_scc0 .LBB224_33
; %bb.34:                               ;   in Loop: Header=BB224_32 Depth=3
	s_add_i32 s24, s24, 1
	s_add_i32 s25, s25, 16
	s_cmp_ge_i32 s24, s7
	s_cbranch_scc0 .LBB224_32
.LBB224_35:                             ;   in Loop: Header=BB224_28 Depth=2
	s_set_inst_prefetch_distance 0x2
	s_mul_i32 s24, s7, 24
	s_mov_b32 s25, 0
	s_mov_b32 s26, s22
	s_branch .LBB224_37
.LBB224_36:                             ;   in Loop: Header=BB224_37 Depth=3
	s_mulk_i32 s29, 0x190
	s_addk_i32 s26, 0x180
	v_mov_b32_e32 v7, s29
	s_lshl_b32 s29, s25, 4
	s_add_i32 s25, s25, 1
	ds_load_b128 v[7:10], v7
	s_waitcnt vmcnt(0) lgkmcnt(0)
	v_mul_f64 v[11:12], v[9:10], v[3:4]
	v_mul_f64 v[3:4], v[7:8], v[3:4]
	s_delay_alu instid0(VALU_DEP_2) | instskip(NEXT) | instid1(VALU_DEP_2)
	v_fma_f64 v[7:8], v[7:8], v[1:2], -v[11:12]
	v_fma_f64 v[9:10], v[9:10], v[1:2], v[3:4]
	v_add_lshl_u32 v1, s27, v0, 4
	s_add_i32 s27, s29, 0
	s_cmp_eq_u32 s25, s11
	scratch_store_b128 off, v[7:10], s27
	ds_store_b128 v1, v[7:10] offset:9216
	s_cbranch_scc1 .LBB224_27
.LBB224_37:                             ;   Parent Loop BB224_25 Depth=1
                                        ;     Parent Loop BB224_28 Depth=2
                                        ; =>    This Loop Header: Depth=3
                                        ;         Child Loop BB224_39 Depth 4
	s_cmp_lg_u32 s25, 0
	s_cbranch_scc0 .LBB224_41
; %bb.38:                               ;   in Loop: Header=BB224_37 Depth=3
	s_lshl_b32 s30, s25, 4
	s_add_i32 s29, s25, s7
	s_add_i32 s27, s30, 0
	v_add_nc_u32_e64 v7, s30, 0
	scratch_load_b128 v[1:4], off, s27
	s_mul_i32 s27, s29, 24
	s_mov_b32 s30, 0
	s_mov_b32 s31, s26
	;; [unrolled: 1-line block ×3, first 2 shown]
	.p2align	6
.LBB224_39:                             ;   Parent Loop BB224_25 Depth=1
                                        ;     Parent Loop BB224_28 Depth=2
                                        ;       Parent Loop BB224_37 Depth=3
                                        ; =>      This Inner Loop Header: Depth=4
	scratch_load_b128 v[8:11], off, s33 offset:-8
	v_mov_b32_e32 v12, s31
	s_add_i32 s30, s30, 1
	s_add_i32 s33, s33, 16
	;; [unrolled: 1-line block ×3, first 2 shown]
	s_cmp_ge_u32 s30, s25
	ds_load_b128 v[12:15], v12
	s_waitcnt vmcnt(0) lgkmcnt(0)
	v_mul_f64 v[16:17], v[14:15], v[10:11]
	v_mul_f64 v[10:11], v[12:13], v[10:11]
	s_delay_alu instid0(VALU_DEP_2) | instskip(NEXT) | instid1(VALU_DEP_2)
	v_fma_f64 v[12:13], v[12:13], v[8:9], -v[16:17]
	v_fma_f64 v[8:9], v[14:15], v[8:9], v[10:11]
	s_delay_alu instid0(VALU_DEP_2) | instskip(NEXT) | instid1(VALU_DEP_2)
	v_add_f64 v[1:2], v[1:2], -v[12:13]
	v_add_f64 v[3:4], v[3:4], -v[8:9]
	scratch_store_b128 v7, v[1:4], off
	s_cbranch_scc0 .LBB224_39
; %bb.40:                               ;   in Loop: Header=BB224_37 Depth=3
	s_branch .LBB224_36
.LBB224_41:                             ;   in Loop: Header=BB224_37 Depth=3
                                        ; implicit-def: $vgpr1_vgpr2
                                        ; implicit-def: $sgpr29
                                        ; implicit-def: $sgpr27
	s_cbranch_execz .LBB224_36
; %bb.42:                               ;   in Loop: Header=BB224_37 Depth=3
	scratch_load_b128 v[1:4], off, off
	s_mov_b32 s27, s24
	s_mov_b32 s29, s7
	s_branch .LBB224_36
.LBB224_43:
	s_mov_b32 s4, 0
.LBB224_44:
	s_delay_alu instid0(SALU_CYCLE_1)
	s_and_b32 vcc_lo, exec_lo, s4
	s_cbranch_vccz .LBB224_64
; %bb.45:
	v_lshl_or_b32 v5, v0, 4, 0x2400
	s_mul_i32 s7, s15, 0x180
	s_mov_b32 s5, 0
	s_addk_i32 s7, 0xfe80
	s_mov_b32 s4, s5
	s_mov_b32 s8, s28
	s_branch .LBB224_47
.LBB224_46:                             ;   in Loop: Header=BB224_47 Depth=1
	s_cmp_lt_i32 s8, 0
	s_cselect_b32 s9, -1, 0
	s_add_i32 s4, s4, 1
	s_delay_alu instid0(SALU_CYCLE_1) | instskip(SKIP_1) | instid1(SALU_CYCLE_1)
	s_cmp_eq_u32 s4, 3
	s_cselect_b32 s10, -1, 0
	s_or_b32 s9, s9, s10
	s_delay_alu instid0(SALU_CYCLE_1)
	s_and_b32 vcc_lo, exec_lo, s9
	s_cbranch_vccnz .LBB224_64
.LBB224_47:                             ; =>This Loop Header: Depth=1
                                        ;     Child Loop BB224_50 Depth 2
                                        ;       Child Loop BB224_51 Depth 3
                                        ;       Child Loop BB224_53 Depth 3
                                        ;         Child Loop BB224_54 Depth 4
                                        ;       Child Loop BB224_58 Depth 3
                                        ;         Child Loop BB224_60 Depth 4
	s_getpc_b64 s[10:11]
	s_add_u32 s10, s10, __const._ZL38rocblas_trsm_small_left_device_sharedBILi24ELi24ELb0E19rocblas_complex_numIdES1_PKPKS1_PKPS1_Ev13rocblas_fill_18rocblas_operation_17rocblas_diagonal_iiT3_T4_lilT5_lili.step_sizes@rel32@lo+4
	s_addc_u32 s11, s11, __const._ZL38rocblas_trsm_small_left_device_sharedBILi24ELi24ELb0E19rocblas_complex_numIdES1_PKPKS1_PKPS1_Ev13rocblas_fill_18rocblas_operation_17rocblas_diagonal_iiT3_T4_lilT5_lili.step_sizes@rel32@hi+12
	s_lshl_b64 s[22:23], s[4:5], 2
	s_delay_alu instid0(SALU_CYCLE_1) | instskip(SKIP_4) | instid1(SALU_CYCLE_1)
	s_add_u32 s10, s22, s10
	s_addc_u32 s11, s23, s11
	s_load_b32 s9, s[10:11], 0x0
	s_waitcnt lgkmcnt(0)
	s_add_i32 s10, s9, -1
	s_cmp_lt_i32 s8, s10
	s_cbranch_scc1 .LBB224_46
; %bb.48:                               ;   in Loop: Header=BB224_47 Depth=1
	v_mad_u64_u32 v[6:7], null, 0x180, s8, v[5:6]
	s_lshl_b32 s22, s8, 4
	s_lshl_b32 s23, s9, 4
	s_max_i32 s11, s9, 1
	s_mul_i32 s16, s9, 0xfffffe80
	s_add_i32 s22, s7, s22
	s_sub_i32 s23, 0, s23
	s_mul_i32 s24, s8, 0x190
	s_mul_i32 s25, s9, 0xfffffe70
	s_branch .LBB224_50
.LBB224_49:                             ;   in Loop: Header=BB224_50 Depth=2
	v_add_nc_u32_e32 v6, s16, v6
	s_sub_i32 s8, s8, s9
	s_add_i32 s22, s22, s23
	s_add_i32 s24, s24, s25
	s_cmp_lt_i32 s8, s10
	s_cbranch_scc1 .LBB224_46
.LBB224_50:                             ;   Parent Loop BB224_47 Depth=1
                                        ; =>  This Loop Header: Depth=2
                                        ;       Child Loop BB224_51 Depth 3
                                        ;       Child Loop BB224_53 Depth 3
                                        ;         Child Loop BB224_54 Depth 4
                                        ;       Child Loop BB224_58 Depth 3
                                        ;         Child Loop BB224_60 Depth 4
	v_dual_mov_b32 v1, 0 :: v_dual_mov_b32 v2, v6
	s_mov_b32 s26, s11
.LBB224_51:                             ;   Parent Loop BB224_47 Depth=1
                                        ;     Parent Loop BB224_50 Depth=2
                                        ; =>    This Inner Loop Header: Depth=3
	ds_load_b128 v[7:10], v2
	v_add_nc_u32_e32 v2, 0xfffffe80, v2
	s_add_i32 s26, s26, -1
	s_delay_alu instid0(SALU_CYCLE_1)
	s_cmp_eq_u32 s26, 0
	s_waitcnt lgkmcnt(0)
	scratch_store_b128 v1, v[7:10], off
	v_add_nc_u32_e32 v1, 16, v1
	s_cbranch_scc0 .LBB224_51
; %bb.52:                               ;   in Loop: Header=BB224_50 Depth=2
	s_cmp_le_i32 s28, s8
	s_mov_b32 s26, s22
	s_mov_b32 s27, s28
	s_cbranch_scc1 .LBB224_56
	.p2align	6
.LBB224_53:                             ;   Parent Loop BB224_47 Depth=1
                                        ;     Parent Loop BB224_50 Depth=2
                                        ; =>    This Loop Header: Depth=3
                                        ;         Child Loop BB224_54 Depth 4
	s_mul_i32 s29, s27, 24
	s_mov_b32 s30, s11
	v_add_lshl_u32 v1, s29, v0, 4
	s_mov_b32 s29, s6
	s_mov_b32 s31, s26
	ds_load_b128 v[1:4], v1 offset:9216
	.p2align	6
.LBB224_54:                             ;   Parent Loop BB224_47 Depth=1
                                        ;     Parent Loop BB224_50 Depth=2
                                        ;       Parent Loop BB224_53 Depth=3
                                        ; =>      This Inner Loop Header: Depth=4
	scratch_load_b128 v[7:10], off, s29 offset:-8
	v_mov_b32_e32 v11, s31
	s_add_i32 s30, s30, -1
	s_add_i32 s31, s31, -16
	ds_load_b128 v[11:14], v11
	s_waitcnt lgkmcnt(0)
	v_mul_f64 v[15:16], v[3:4], v[13:14]
	v_mul_f64 v[13:14], v[1:2], v[13:14]
	s_delay_alu instid0(VALU_DEP_2) | instskip(NEXT) | instid1(VALU_DEP_2)
	v_fma_f64 v[15:16], v[1:2], v[11:12], -v[15:16]
	v_fma_f64 v[11:12], v[3:4], v[11:12], v[13:14]
	s_waitcnt vmcnt(0)
	s_delay_alu instid0(VALU_DEP_2) | instskip(NEXT) | instid1(VALU_DEP_2)
	v_add_f64 v[7:8], v[7:8], -v[15:16]
	v_add_f64 v[9:10], v[9:10], -v[11:12]
	scratch_store_b128 off, v[7:10], s29 offset:-8
	s_add_i32 s29, s29, 16
	s_cmp_eq_u32 s30, 0
	s_cbranch_scc0 .LBB224_54
; %bb.55:                               ;   in Loop: Header=BB224_53 Depth=3
	s_add_i32 s27, s27, -1
	s_addk_i32 s26, 0xfe80
	s_cmp_le_i32 s27, s8
	s_cbranch_scc0 .LBB224_53
.LBB224_56:                             ;   in Loop: Header=BB224_50 Depth=2
	s_mov_b32 s26, 0
	s_mov_b32 s27, s24
	s_branch .LBB224_58
.LBB224_57:                             ;   in Loop: Header=BB224_58 Depth=3
	s_mul_i32 s30, s29, 0x190
	s_mul_i32 s29, s29, 24
	v_mov_b32_e32 v7, s30
	s_lshl_b32 s30, s26, 4
	s_add_i32 s26, s26, 1
	s_add_i32 s27, s27, -16
	ds_load_b128 v[7:10], v7
	s_waitcnt vmcnt(0) lgkmcnt(0)
	v_mul_f64 v[11:12], v[9:10], v[3:4]
	v_mul_f64 v[3:4], v[7:8], v[3:4]
	s_delay_alu instid0(VALU_DEP_2) | instskip(NEXT) | instid1(VALU_DEP_2)
	v_fma_f64 v[7:8], v[7:8], v[1:2], -v[11:12]
	v_fma_f64 v[9:10], v[9:10], v[1:2], v[3:4]
	v_add_lshl_u32 v1, s29, v0, 4
	s_add_i32 s29, s30, 0
	s_cmp_eq_u32 s26, s11
	scratch_store_b128 off, v[7:10], s29
	ds_store_b128 v1, v[7:10] offset:9216
	s_cbranch_scc1 .LBB224_49
.LBB224_58:                             ;   Parent Loop BB224_47 Depth=1
                                        ;     Parent Loop BB224_50 Depth=2
                                        ; =>    This Loop Header: Depth=3
                                        ;         Child Loop BB224_60 Depth 4
	s_cmp_lg_u32 s26, 0
	s_cbranch_scc0 .LBB224_62
; %bb.59:                               ;   in Loop: Header=BB224_58 Depth=3
	s_lshl_b32 s30, s26, 4
	s_mov_b32 s31, s6
	s_add_i32 s29, s30, 0
	v_add_nc_u32_e64 v7, s30, 0
	scratch_load_b128 v[1:4], off, s29
	s_sub_i32 s29, s8, s26
	s_mov_b32 s30, 0
	s_mov_b32 s33, s27
	.p2align	6
.LBB224_60:                             ;   Parent Loop BB224_47 Depth=1
                                        ;     Parent Loop BB224_50 Depth=2
                                        ;       Parent Loop BB224_58 Depth=3
                                        ; =>      This Inner Loop Header: Depth=4
	scratch_load_b128 v[8:11], off, s31 offset:-8
	v_mov_b32_e32 v12, s33
	s_add_i32 s30, s30, 1
	s_addk_i32 s33, 0xfe80
	s_add_i32 s31, s31, 16
	s_cmp_ge_u32 s30, s26
	ds_load_b128 v[12:15], v12
	s_waitcnt vmcnt(0) lgkmcnt(0)
	v_mul_f64 v[16:17], v[14:15], v[10:11]
	v_mul_f64 v[10:11], v[12:13], v[10:11]
	s_delay_alu instid0(VALU_DEP_2) | instskip(NEXT) | instid1(VALU_DEP_2)
	v_fma_f64 v[12:13], v[12:13], v[8:9], -v[16:17]
	v_fma_f64 v[8:9], v[14:15], v[8:9], v[10:11]
	s_delay_alu instid0(VALU_DEP_2) | instskip(NEXT) | instid1(VALU_DEP_2)
	v_add_f64 v[1:2], v[1:2], -v[12:13]
	v_add_f64 v[3:4], v[3:4], -v[8:9]
	scratch_store_b128 v7, v[1:4], off
	s_cbranch_scc0 .LBB224_60
; %bb.61:                               ;   in Loop: Header=BB224_58 Depth=3
	s_branch .LBB224_57
.LBB224_62:                             ;   in Loop: Header=BB224_58 Depth=3
                                        ; implicit-def: $vgpr1_vgpr2
                                        ; implicit-def: $sgpr29
	s_cbranch_execz .LBB224_57
; %bb.63:                               ;   in Loop: Header=BB224_58 Depth=3
	scratch_load_b128 v[1:4], off, off
	s_mov_b32 s29, s8
	s_branch .LBB224_57
.LBB224_64:
	s_waitcnt vmcnt(0) lgkmcnt(0)
	s_waitcnt_vscnt null, 0x0
	; wave barrier
	s_waitcnt lgkmcnt(0)
	s_waitcnt_vscnt null, 0x0
	buffer_gl0_inv
	s_and_saveexec_b32 s4, s21
	s_cbranch_execz .LBB224_71
; %bb.65:
	s_cmp_lt_i32 s18, 8
	s_mov_b32 s4, 0
	s_cbranch_scc1 .LBB224_68
; %bb.66:
	v_mad_i64_i32 v[1:2], null, s17, v0, 0
	v_lshl_or_b32 v3, v0, 4, 0x2400
	s_lshl_b32 s4, s15, 4
	s_mov_b64 s[6:7], 0
	s_and_b32 s5, s4, 0x180
	s_mov_b32 s4, 0
	s_delay_alu instid0(VALU_DEP_2) | instskip(NEXT) | instid1(VALU_DEP_1)
	v_lshlrev_b64 v[1:2], 4, v[1:2]
	v_add_co_u32 v1, vcc_lo, s14, v1
	s_delay_alu instid0(VALU_DEP_2)
	v_add_co_ci_u32_e32 v2, vcc_lo, s19, v2, vcc_lo
	s_set_inst_prefetch_distance 0x1
	.p2align	6
.LBB224_67:                             ; =>This Inner Loop Header: Depth=1
	v_add_nc_u32_e32 v28, 0x900, v3
	v_add_nc_u32_e32 v32, 0xa80, v3
	ds_load_2addr_b64 v[4:7], v3 offset1:1
	ds_load_2addr_b64 v[8:11], v3 offset0:48 offset1:49
	ds_load_2addr_b64 v[12:15], v3 offset0:96 offset1:97
	;; [unrolled: 1-line block ×5, first 2 shown]
	ds_load_2addr_b64 v[28:31], v28 offset1:1
	ds_load_2addr_b64 v[32:35], v32 offset1:1
	v_add_co_u32 v36, vcc_lo, v1, s6
	v_add_co_ci_u32_e32 v37, vcc_lo, s7, v2, vcc_lo
	s_add_i32 s4, s4, 8
	v_add_nc_u32_e32 v3, 0xc00, v3
	s_add_u32 s6, s6, 0x80
	s_addc_u32 s7, s7, 0
	s_cmp_lg_u32 s5, s6
	s_waitcnt lgkmcnt(7)
	global_store_b128 v[36:37], v[4:7], off
	s_waitcnt lgkmcnt(6)
	global_store_b128 v[36:37], v[8:11], off offset:16
	s_waitcnt lgkmcnt(5)
	global_store_b128 v[36:37], v[12:15], off offset:32
	;; [unrolled: 2-line block ×7, first 2 shown]
	s_cbranch_scc1 .LBB224_67
.LBB224_68:
	s_set_inst_prefetch_distance 0x2
	s_and_b32 s6, s15, 7
	s_mov_b32 s5, 0
	s_cmp_eq_u32 s6, 0
	s_cbranch_scc1 .LBB224_71
; %bb.69:
	v_lshlrev_b32_e32 v2, 4, v0
	s_lshl_b64 s[2:3], s[2:3], 4
	s_lshl_b64 s[8:9], s[4:5], 4
	s_delay_alu instid0(VALU_DEP_1) | instskip(NEXT) | instid1(VALU_DEP_1)
	v_add_co_u32 v3, s2, s2, v2
	v_add_co_ci_u32_e64 v4, null, s3, 0, s2
	s_add_u32 s2, s12, s8
	s_addc_u32 s3, s13, s9
	s_add_u32 s0, s2, s0
	s_addc_u32 s1, s3, s1
	v_mul_lo_u32 v4, v4, s17
	v_mad_u64_u32 v[0:1], null, v3, s17, s[0:1]
	v_mul_lo_u32 v3, v3, s20
	s_mul_i32 s0, s4, 0x180
	s_delay_alu instid0(SALU_CYCLE_1) | instskip(NEXT) | instid1(VALU_DEP_2)
	v_add3_u32 v2, s0, v2, 0x2400
	v_add3_u32 v1, v4, v1, v3
.LBB224_70:                             ; =>This Inner Loop Header: Depth=1
	ds_load_2addr_b64 v[3:6], v2 offset1:1
	v_add_nc_u32_e32 v2, 0x180, v2
	s_add_i32 s6, s6, -1
	s_delay_alu instid0(SALU_CYCLE_1)
	s_cmp_lg_u32 s6, 0
	s_waitcnt lgkmcnt(0)
	global_store_b128 v[0:1], v[3:6], off
	v_add_co_u32 v0, vcc_lo, v0, 16
	v_add_co_ci_u32_e32 v1, vcc_lo, 0, v1, vcc_lo
	s_cbranch_scc1 .LBB224_70
.LBB224_71:
	s_nop 0
	s_sendmsg sendmsg(MSG_DEALLOC_VGPRS)
	s_endpgm
	.section	.rodata,"a",@progbits
	.p2align	6, 0x0
	.amdhsa_kernel _ZL38rocblas_trsm_small_left_device_sharedBILi24ELi24ELb0E19rocblas_complex_numIdES1_PKPKS1_PKPS1_Ev13rocblas_fill_18rocblas_operation_17rocblas_diagonal_iiT3_T4_lilT5_lili
		.amdhsa_group_segment_fixed_size 18432
		.amdhsa_private_segment_fixed_size 400
		.amdhsa_kernarg_size 368
		.amdhsa_user_sgpr_count 14
		.amdhsa_user_sgpr_dispatch_ptr 0
		.amdhsa_user_sgpr_queue_ptr 0
		.amdhsa_user_sgpr_kernarg_segment_ptr 1
		.amdhsa_user_sgpr_dispatch_id 0
		.amdhsa_user_sgpr_private_segment_size 0
		.amdhsa_wavefront_size32 1
		.amdhsa_uses_dynamic_stack 0
		.amdhsa_enable_private_segment 1
		.amdhsa_system_sgpr_workgroup_id_x 1
		.amdhsa_system_sgpr_workgroup_id_y 0
		.amdhsa_system_sgpr_workgroup_id_z 1
		.amdhsa_system_sgpr_workgroup_info 0
		.amdhsa_system_vgpr_workitem_id 0
		.amdhsa_next_free_vgpr 54
		.amdhsa_next_free_sgpr 34
		.amdhsa_reserve_vcc 1
		.amdhsa_float_round_mode_32 0
		.amdhsa_float_round_mode_16_64 0
		.amdhsa_float_denorm_mode_32 3
		.amdhsa_float_denorm_mode_16_64 3
		.amdhsa_dx10_clamp 1
		.amdhsa_ieee_mode 1
		.amdhsa_fp16_overflow 0
		.amdhsa_workgroup_processor_mode 1
		.amdhsa_memory_ordered 1
		.amdhsa_forward_progress 0
		.amdhsa_shared_vgpr_count 0
		.amdhsa_exception_fp_ieee_invalid_op 0
		.amdhsa_exception_fp_denorm_src 0
		.amdhsa_exception_fp_ieee_div_zero 0
		.amdhsa_exception_fp_ieee_overflow 0
		.amdhsa_exception_fp_ieee_underflow 0
		.amdhsa_exception_fp_ieee_inexact 0
		.amdhsa_exception_int_div_zero 0
	.end_amdhsa_kernel
	.section	.text._ZL38rocblas_trsm_small_left_device_sharedBILi24ELi24ELb0E19rocblas_complex_numIdES1_PKPKS1_PKPS1_Ev13rocblas_fill_18rocblas_operation_17rocblas_diagonal_iiT3_T4_lilT5_lili,"axG",@progbits,_ZL38rocblas_trsm_small_left_device_sharedBILi24ELi24ELb0E19rocblas_complex_numIdES1_PKPKS1_PKPS1_Ev13rocblas_fill_18rocblas_operation_17rocblas_diagonal_iiT3_T4_lilT5_lili,comdat
.Lfunc_end224:
	.size	_ZL38rocblas_trsm_small_left_device_sharedBILi24ELi24ELb0E19rocblas_complex_numIdES1_PKPKS1_PKPS1_Ev13rocblas_fill_18rocblas_operation_17rocblas_diagonal_iiT3_T4_lilT5_lili, .Lfunc_end224-_ZL38rocblas_trsm_small_left_device_sharedBILi24ELi24ELb0E19rocblas_complex_numIdES1_PKPKS1_PKPS1_Ev13rocblas_fill_18rocblas_operation_17rocblas_diagonal_iiT3_T4_lilT5_lili
                                        ; -- End function
	.section	.AMDGPU.csdata,"",@progbits
; Kernel info:
; codeLenInByte = 4308
; NumSgprs: 36
; NumVgprs: 54
; ScratchSize: 400
; MemoryBound: 0
; FloatMode: 240
; IeeeMode: 1
; LDSByteSize: 18432 bytes/workgroup (compile time only)
; SGPRBlocks: 4
; VGPRBlocks: 6
; NumSGPRsForWavesPerEU: 36
; NumVGPRsForWavesPerEU: 54
; Occupancy: 2
; WaveLimiterHint : 1
; COMPUTE_PGM_RSRC2:SCRATCH_EN: 1
; COMPUTE_PGM_RSRC2:USER_SGPR: 14
; COMPUTE_PGM_RSRC2:TRAP_HANDLER: 0
; COMPUTE_PGM_RSRC2:TGID_X_EN: 1
; COMPUTE_PGM_RSRC2:TGID_Y_EN: 0
; COMPUTE_PGM_RSRC2:TGID_Z_EN: 1
; COMPUTE_PGM_RSRC2:TIDIG_COMP_CNT: 0
	.section	.text._ZL30rocblas_trsm_small_left_deviceILi24ELi24ELb0E19rocblas_complex_numIdES1_PKPKS1_PKPS1_Ev13rocblas_fill_18rocblas_operation_17rocblas_diagonal_iiT3_T4_lilT5_lili,"axG",@progbits,_ZL30rocblas_trsm_small_left_deviceILi24ELi24ELb0E19rocblas_complex_numIdES1_PKPKS1_PKPS1_Ev13rocblas_fill_18rocblas_operation_17rocblas_diagonal_iiT3_T4_lilT5_lili,comdat
	.globl	_ZL30rocblas_trsm_small_left_deviceILi24ELi24ELb0E19rocblas_complex_numIdES1_PKPKS1_PKPS1_Ev13rocblas_fill_18rocblas_operation_17rocblas_diagonal_iiT3_T4_lilT5_lili ; -- Begin function _ZL30rocblas_trsm_small_left_deviceILi24ELi24ELb0E19rocblas_complex_numIdES1_PKPKS1_PKPS1_Ev13rocblas_fill_18rocblas_operation_17rocblas_diagonal_iiT3_T4_lilT5_lili
	.p2align	8
	.type	_ZL30rocblas_trsm_small_left_deviceILi24ELi24ELb0E19rocblas_complex_numIdES1_PKPKS1_PKPS1_Ev13rocblas_fill_18rocblas_operation_17rocblas_diagonal_iiT3_T4_lilT5_lili,@function
_ZL30rocblas_trsm_small_left_deviceILi24ELi24ELb0E19rocblas_complex_numIdES1_PKPKS1_PKPS1_Ev13rocblas_fill_18rocblas_operation_17rocblas_diagonal_iiT3_T4_lilT5_lili: ; @_ZL30rocblas_trsm_small_left_deviceILi24ELi24ELb0E19rocblas_complex_numIdES1_PKPKS1_PKPS1_Ev13rocblas_fill_18rocblas_operation_17rocblas_diagonal_iiT3_T4_lilT5_lili
; %bb.0:
	s_clause 0x1
	s_load_b128 s[20:23], s[0:1], 0x48
	s_load_b128 s[16:19], s[0:1], 0x4
	s_mov_b32 s2, s15
	s_mov_b32 s3, 0
	s_load_b32 s15, s[0:1], 0x70
	s_lshl_b64 s[24:25], s[2:3], 3
	s_waitcnt lgkmcnt(0)
	s_add_u32 s12, s20, s24
	s_addc_u32 s13, s21, s25
	s_load_b256 s[4:11], s[0:1], 0x18
	s_load_b64 s[12:13], s[12:13], 0x0
	s_min_i32 s29, s18, 24
	s_mov_b32 s18, exec_lo
	s_add_i32 s28, s29, -1
	v_cmpx_gt_i32_e64 s29, v0
	s_cbranch_execz .LBB225_15
; %bb.1:
	s_load_b32 s20, s[0:1], 0x38
	v_lshlrev_b32_e32 v3, 4, v0
	s_waitcnt lgkmcnt(0)
	s_ashr_i32 s21, s20, 31
	s_cmpk_eq_i32 s16, 0x71
	s_cselect_b32 vcc_lo, -1, 0
	s_add_u32 s8, s8, s24
	s_addc_u32 s9, s9, s25
	s_cmp_lt_u32 s28, 3
	s_load_b64 s[8:9], s[8:9], 0x0
	s_cbranch_scc1 .LBB225_4
; %bb.2:
	v_dual_mov_b32 v4, v3 :: v_dual_lshlrev_b32 v1, 4, v0
	s_lshl_b64 s[24:25], s[10:11], 4
	s_and_b32 s3, s29, -4
	s_waitcnt lgkmcnt(0)
	s_add_u32 s2, s8, s24
	s_addc_u32 s24, s9, s25
	v_add_co_u32 v1, s2, s2, v1
	s_delay_alu instid0(VALU_DEP_1) | instskip(SKIP_1) | instid1(VALU_DEP_2)
	v_add_co_ci_u32_e64 v2, null, s24, 0, s2
	s_lshl_b64 s[24:25], s[20:21], 6
	v_add_co_u32 v1, s2, v1, 8
	s_delay_alu instid0(VALU_DEP_1)
	v_add_co_ci_u32_e64 v2, s2, 0, v2, s2
	s_lshl_b64 s[26:27], s[20:21], 4
	s_mov_b32 s30, 0
.LBB225_3:                              ; =>This Inner Loop Header: Depth=1
	s_delay_alu instid0(VALU_DEP_2) | instskip(NEXT) | instid1(VALU_DEP_1)
	v_add_co_u32 v9, s2, v1, s26
	v_add_co_ci_u32_e64 v10, s2, s27, v2, s2
	s_add_i32 s30, s30, 4
	s_delay_alu instid0(VALU_DEP_2) | instskip(NEXT) | instid1(VALU_DEP_1)
	v_add_co_u32 v13, s2, v9, s26
	v_add_co_ci_u32_e64 v14, s2, s27, v10, s2
	s_cmp_eq_u32 s3, s30
	s_delay_alu instid0(VALU_DEP_2) | instskip(NEXT) | instid1(VALU_DEP_1)
	v_add_co_u32 v17, s2, v13, s26
	v_add_co_ci_u32_e64 v18, s2, s27, v14, s2
	s_clause 0x3
	global_load_b128 v[5:8], v[1:2], off offset:-8
	global_load_b128 v[9:12], v[9:10], off offset:-8
	global_load_b128 v[13:16], v[13:14], off offset:-8
	global_load_b128 v[17:20], v[17:18], off offset:-8
	v_add_co_u32 v1, s2, v1, s24
	s_delay_alu instid0(VALU_DEP_1)
	v_add_co_ci_u32_e64 v2, s2, s25, v2, s2
	s_waitcnt vmcnt(3)
	v_xor_b32_e32 v21, 0x80000000, v8
	s_waitcnt vmcnt(2)
	v_xor_b32_e32 v22, 0x80000000, v12
	;; [unrolled: 2-line block ×4, first 2 shown]
	v_cndmask_b32_e32 v8, v8, v21, vcc_lo
	v_cndmask_b32_e32 v12, v12, v22, vcc_lo
	;; [unrolled: 1-line block ×3, first 2 shown]
	s_delay_alu instid0(VALU_DEP_4)
	v_cndmask_b32_e32 v20, v20, v24, vcc_lo
	ds_store_b128 v4, v[5:8]
	ds_store_b128 v4, v[9:12] offset:384
	ds_store_b128 v4, v[13:16] offset:768
	;; [unrolled: 1-line block ×3, first 2 shown]
	v_add_nc_u32_e32 v4, 0x600, v4
	s_cbranch_scc0 .LBB225_3
.LBB225_4:
	s_and_b32 s24, s29, 3
	s_delay_alu instid0(SALU_CYCLE_1)
	s_cmp_eq_u32 s24, 0
	s_cbranch_scc1 .LBB225_7
; %bb.5:
	s_mul_i32 s2, s21, s3
	s_mul_hi_u32 s25, s20, s3
	s_mul_i32 s26, s20, s3
	s_add_i32 s27, s25, s2
	s_lshl_b64 s[10:11], s[10:11], 4
	s_lshl_b64 s[26:27], s[26:27], 4
	s_mul_i32 s2, s3, 0x180
	s_add_u32 s3, s26, s10
	s_addc_u32 s10, s27, s11
	s_waitcnt lgkmcnt(0)
	s_add_u32 s3, s8, s3
	s_addc_u32 s8, s9, s10
	v_add_co_u32 v1, s3, s3, v3
	s_delay_alu instid0(VALU_DEP_1) | instskip(SKIP_1) | instid1(VALU_DEP_3)
	v_add_co_ci_u32_e64 v2, null, s8, 0, s3
	v_lshl_add_u32 v3, v0, 4, s2
	v_add_co_u32 v1, s2, v1, 8
	s_delay_alu instid0(VALU_DEP_1)
	v_add_co_ci_u32_e64 v2, s2, 0, v2, s2
	s_lshl_b64 s[8:9], s[20:21], 4
.LBB225_6:                              ; =>This Inner Loop Header: Depth=1
	global_load_b128 v[4:7], v[1:2], off offset:-8
	v_add_co_u32 v1, s2, v1, s8
	s_delay_alu instid0(VALU_DEP_1) | instskip(SKIP_1) | instid1(SALU_CYCLE_1)
	v_add_co_ci_u32_e64 v2, s2, s9, v2, s2
	s_add_i32 s24, s24, -1
	s_cmp_lg_u32 s24, 0
	s_waitcnt vmcnt(0)
	v_xor_b32_e32 v8, 0x80000000, v7
	s_delay_alu instid0(VALU_DEP_1)
	v_cndmask_b32_e32 v7, v7, v8, vcc_lo
	ds_store_b128 v3, v[4:7]
	v_add_nc_u32_e32 v3, 0x180, v3
	s_cbranch_scc1 .LBB225_6
.LBB225_7:
	v_mul_u32_u24_e32 v1, 25, v0
	s_cmpk_lg_i32 s17, 0x84
	s_delay_alu instid0(VALU_DEP_1)
	v_lshlrev_b32_e32 v9, 4, v1
	s_cbranch_scc0 .LBB225_13
; %bb.8:
	ds_load_b128 v[1:4], v9
	s_waitcnt lgkmcnt(0)
	v_cmp_gt_f64_e32 vcc_lo, 0, v[1:2]
	v_xor_b32_e32 v6, 0x80000000, v2
	v_mov_b32_e32 v5, v1
	v_xor_b32_e32 v7, 0x80000000, v4
	s_delay_alu instid0(VALU_DEP_3) | instskip(SKIP_1) | instid1(VALU_DEP_3)
	v_cndmask_b32_e32 v6, v2, v6, vcc_lo
	v_cmp_gt_f64_e32 vcc_lo, 0, v[3:4]
	v_dual_cndmask_b32 v8, v4, v7 :: v_dual_mov_b32 v7, v3
	s_delay_alu instid0(VALU_DEP_1) | instskip(SKIP_1) | instid1(SALU_CYCLE_1)
	v_cmp_ngt_f64_e32 vcc_lo, v[5:6], v[7:8]
                                        ; implicit-def: $vgpr7_vgpr8
	s_and_saveexec_b32 s2, vcc_lo
	s_xor_b32 s2, exec_lo, s2
	s_cbranch_execz .LBB225_10
; %bb.9:
	v_div_scale_f64 v[5:6], null, v[3:4], v[3:4], v[1:2]
	v_div_scale_f64 v[12:13], vcc_lo, v[1:2], v[3:4], v[1:2]
	s_delay_alu instid0(VALU_DEP_2) | instskip(SKIP_2) | instid1(VALU_DEP_1)
	v_rcp_f64_e32 v[7:8], v[5:6]
	s_waitcnt_depctr 0xfff
	v_fma_f64 v[10:11], -v[5:6], v[7:8], 1.0
	v_fma_f64 v[7:8], v[7:8], v[10:11], v[7:8]
	s_delay_alu instid0(VALU_DEP_1) | instskip(NEXT) | instid1(VALU_DEP_1)
	v_fma_f64 v[10:11], -v[5:6], v[7:8], 1.0
	v_fma_f64 v[7:8], v[7:8], v[10:11], v[7:8]
	s_delay_alu instid0(VALU_DEP_1) | instskip(NEXT) | instid1(VALU_DEP_1)
	v_mul_f64 v[10:11], v[12:13], v[7:8]
	v_fma_f64 v[5:6], -v[5:6], v[10:11], v[12:13]
	s_delay_alu instid0(VALU_DEP_1) | instskip(NEXT) | instid1(VALU_DEP_1)
	v_div_fmas_f64 v[5:6], v[5:6], v[7:8], v[10:11]
	v_div_fixup_f64 v[5:6], v[5:6], v[3:4], v[1:2]
	s_delay_alu instid0(VALU_DEP_1) | instskip(NEXT) | instid1(VALU_DEP_1)
	v_fma_f64 v[1:2], v[1:2], v[5:6], v[3:4]
	v_div_scale_f64 v[3:4], null, v[1:2], v[1:2], 1.0
	v_div_scale_f64 v[12:13], vcc_lo, 1.0, v[1:2], 1.0
	s_delay_alu instid0(VALU_DEP_2) | instskip(SKIP_2) | instid1(VALU_DEP_1)
	v_rcp_f64_e32 v[7:8], v[3:4]
	s_waitcnt_depctr 0xfff
	v_fma_f64 v[10:11], -v[3:4], v[7:8], 1.0
	v_fma_f64 v[7:8], v[7:8], v[10:11], v[7:8]
	s_delay_alu instid0(VALU_DEP_1) | instskip(NEXT) | instid1(VALU_DEP_1)
	v_fma_f64 v[10:11], -v[3:4], v[7:8], 1.0
	v_fma_f64 v[7:8], v[7:8], v[10:11], v[7:8]
	s_delay_alu instid0(VALU_DEP_1) | instskip(NEXT) | instid1(VALU_DEP_1)
	v_mul_f64 v[10:11], v[12:13], v[7:8]
	v_fma_f64 v[3:4], -v[3:4], v[10:11], v[12:13]
	s_delay_alu instid0(VALU_DEP_1) | instskip(SKIP_1) | instid1(VALU_DEP_2)
	v_div_fmas_f64 v[3:4], v[3:4], v[7:8], v[10:11]
	v_add_f64 v[7:8], v[5:6], 0
	v_div_fixup_f64 v[1:2], v[3:4], v[1:2], 1.0
	v_fma_f64 v[3:4], v[5:6], 0, -1.0
	s_delay_alu instid0(VALU_DEP_2) | instskip(NEXT) | instid1(VALU_DEP_2)
	v_mul_f64 v[5:6], v[7:8], v[1:2]
	v_mul_f64 v[7:8], v[3:4], v[1:2]
                                        ; implicit-def: $vgpr1_vgpr2
.LBB225_10:
	s_and_not1_saveexec_b32 s2, s2
	s_cbranch_execz .LBB225_12
; %bb.11:
	v_div_scale_f64 v[5:6], null, v[1:2], v[1:2], v[3:4]
	v_div_scale_f64 v[12:13], vcc_lo, v[3:4], v[1:2], v[3:4]
	s_delay_alu instid0(VALU_DEP_2) | instskip(SKIP_2) | instid1(VALU_DEP_1)
	v_rcp_f64_e32 v[7:8], v[5:6]
	s_waitcnt_depctr 0xfff
	v_fma_f64 v[10:11], -v[5:6], v[7:8], 1.0
	v_fma_f64 v[7:8], v[7:8], v[10:11], v[7:8]
	s_delay_alu instid0(VALU_DEP_1) | instskip(NEXT) | instid1(VALU_DEP_1)
	v_fma_f64 v[10:11], -v[5:6], v[7:8], 1.0
	v_fma_f64 v[7:8], v[7:8], v[10:11], v[7:8]
	s_delay_alu instid0(VALU_DEP_1) | instskip(NEXT) | instid1(VALU_DEP_1)
	v_mul_f64 v[10:11], v[12:13], v[7:8]
	v_fma_f64 v[5:6], -v[5:6], v[10:11], v[12:13]
	s_delay_alu instid0(VALU_DEP_1) | instskip(NEXT) | instid1(VALU_DEP_1)
	v_div_fmas_f64 v[5:6], v[5:6], v[7:8], v[10:11]
	v_div_fixup_f64 v[5:6], v[5:6], v[1:2], v[3:4]
	s_delay_alu instid0(VALU_DEP_1) | instskip(NEXT) | instid1(VALU_DEP_1)
	v_fma_f64 v[1:2], v[3:4], v[5:6], v[1:2]
	v_div_scale_f64 v[3:4], null, v[1:2], v[1:2], 1.0
	v_div_scale_f64 v[12:13], vcc_lo, 1.0, v[1:2], 1.0
	s_delay_alu instid0(VALU_DEP_2) | instskip(SKIP_2) | instid1(VALU_DEP_1)
	v_rcp_f64_e32 v[7:8], v[3:4]
	s_waitcnt_depctr 0xfff
	v_fma_f64 v[10:11], -v[3:4], v[7:8], 1.0
	v_fma_f64 v[7:8], v[7:8], v[10:11], v[7:8]
	s_delay_alu instid0(VALU_DEP_1) | instskip(NEXT) | instid1(VALU_DEP_1)
	v_fma_f64 v[10:11], -v[3:4], v[7:8], 1.0
	v_fma_f64 v[7:8], v[7:8], v[10:11], v[7:8]
	s_delay_alu instid0(VALU_DEP_1) | instskip(NEXT) | instid1(VALU_DEP_1)
	v_mul_f64 v[10:11], v[12:13], v[7:8]
	v_fma_f64 v[3:4], -v[3:4], v[10:11], v[12:13]
	s_delay_alu instid0(VALU_DEP_1) | instskip(SKIP_1) | instid1(VALU_DEP_2)
	v_div_fmas_f64 v[3:4], v[3:4], v[7:8], v[10:11]
	v_fma_f64 v[7:8], v[5:6], 0, 1.0
	v_div_fixup_f64 v[1:2], v[3:4], v[1:2], 1.0
	v_add_f64 v[3:4], -v[5:6], 0
	s_delay_alu instid0(VALU_DEP_2) | instskip(NEXT) | instid1(VALU_DEP_2)
	v_mul_f64 v[5:6], v[7:8], v[1:2]
	v_mul_f64 v[7:8], v[3:4], v[1:2]
.LBB225_12:
	s_or_b32 exec_lo, exec_lo, s2
	s_branch .LBB225_14
.LBB225_13:
	v_mov_b32_e32 v5, 0
	v_dual_mov_b32 v6, 0x3ff00000 :: v_dual_mov_b32 v7, 0
	v_mov_b32_e32 v8, 0
.LBB225_14:
	ds_store_b128 v9, v[5:8]
.LBB225_15:
	s_or_b32 exec_lo, exec_lo, s18
	s_mul_i32 s2, s14, 0xffffffe8
	s_add_i32 s15, s15, -1
	s_add_i32 s2, s2, s19
	s_cmp_ge_u32 s14, s15
	s_waitcnt lgkmcnt(0)
	s_cselect_b32 s2, s2, 24
	; wave barrier
	buffer_gl0_inv
	v_cmp_gt_i32_e32 vcc_lo, s2, v0
	s_mov_b32 s2, -1
	s_and_saveexec_b32 s3, vcc_lo
	s_cbranch_execz .LBB225_58
; %bb.16:
	s_load_b32 s0, s[0:1], 0x58
	v_mad_u64_u32 v[1:2], null, s14, 24, v[0:1]
	s_waitcnt lgkmcnt(0)
	s_delay_alu instid0(VALU_DEP_1) | instskip(SKIP_1) | instid1(SALU_CYCLE_1)
	v_mad_i64_i32 v[2:3], null, s0, v1, 0
	s_lshl_b64 s[0:1], s[22:23], 4
	s_add_u32 s3, s12, s0
	s_addc_u32 s8, s13, s1
	s_or_b32 s20, 0, 8
	s_cmpk_eq_i32 s16, 0x6f
	s_delay_alu instid0(VALU_DEP_1) | instskip(NEXT) | instid1(VALU_DEP_1)
	v_lshlrev_b64 v[4:5], 4, v[2:3]
	v_add_co_u32 v8, vcc_lo, s3, v4
	s_delay_alu instid0(VALU_DEP_2)
	v_add_co_ci_u32_e32 v9, vcc_lo, s8, v5, vcc_lo
	s_cbranch_scc1 .LBB225_38
; %bb.17:
	s_add_u32 s2, s12, s0
	s_addc_u32 s3, s13, s1
	v_add_co_u32 v0, vcc_lo, s2, v4
	v_add_co_ci_u32_e32 v1, vcc_lo, s3, v5, vcc_lo
	s_mov_b32 s3, 0
	s_delay_alu instid0(VALU_DEP_2) | instskip(NEXT) | instid1(VALU_DEP_2)
	v_add_co_u32 v10, vcc_lo, v0, 8
	v_add_co_ci_u32_e32 v11, vcc_lo, 0, v1, vcc_lo
	s_mov_b32 s8, s3
	s_mov_b32 s10, s3
	s_branch .LBB225_19
.LBB225_18:                             ;   in Loop: Header=BB225_19 Depth=1
	s_cmp_ge_i32 s10, s29
	s_cselect_b32 s2, -1, 0
	s_add_i32 s8, s8, 1
	s_delay_alu instid0(SALU_CYCLE_1) | instskip(SKIP_1) | instid1(SALU_CYCLE_1)
	s_cmp_eq_u32 s8, 3
	s_cselect_b32 s9, -1, 0
	s_or_b32 s2, s2, s9
	s_delay_alu instid0(SALU_CYCLE_1)
	s_and_not1_b32 vcc_lo, exec_lo, s2
	s_cbranch_vccz .LBB225_37
.LBB225_19:                             ; =>This Loop Header: Depth=1
                                        ;     Child Loop BB225_22 Depth 2
                                        ;       Child Loop BB225_23 Depth 3
                                        ;       Child Loop BB225_26 Depth 3
                                        ;         Child Loop BB225_27 Depth 4
                                        ;       Child Loop BB225_31 Depth 3
                                        ;         Child Loop BB225_33 Depth 4
	s_mov_b32 s9, s3
	s_getpc_b64 s[14:15]
	s_add_u32 s14, s14, __const._ZL30rocblas_trsm_small_left_deviceILi24ELi24ELb0E19rocblas_complex_numIdES1_PKPKS1_PKPS1_Ev13rocblas_fill_18rocblas_operation_17rocblas_diagonal_iiT3_T4_lilT5_lili.step_sizes@rel32@lo+4
	s_addc_u32 s15, s15, __const._ZL30rocblas_trsm_small_left_deviceILi24ELi24ELb0E19rocblas_complex_numIdES1_PKPKS1_PKPS1_Ev13rocblas_fill_18rocblas_operation_17rocblas_diagonal_iiT3_T4_lilT5_lili.step_sizes@rel32@hi+12
	s_lshl_b64 s[16:17], s[8:9], 2
	s_delay_alu instid0(SALU_CYCLE_1) | instskip(SKIP_4) | instid1(SALU_CYCLE_1)
	s_add_u32 s14, s16, s14
	s_addc_u32 s15, s17, s15
	s_load_b32 s14, s[14:15], 0x0
	s_waitcnt lgkmcnt(0)
	s_add_i32 s9, s14, -1
	s_add_i32 s2, s9, s10
	s_delay_alu instid0(SALU_CYCLE_1)
	s_cmp_ge_i32 s2, s29
	s_cbranch_scc1 .LBB225_18
; %bb.20:                               ;   in Loop: Header=BB225_19 Depth=1
	s_ashr_i32 s11, s10, 31
	s_ashr_i32 s15, s14, 31
	s_lshl_b64 s[16:17], s[10:11], 4
	s_max_i32 s21, s14, 1
	v_add_co_u32 v6, vcc_lo, v10, s16
	v_add_co_ci_u32_e32 v7, vcc_lo, s17, v11, vcc_lo
	s_lshl_b64 s[16:17], s[14:15], 4
	s_mul_i32 s11, s10, 0x180
	s_mul_i32 s15, s14, 0x180
	;; [unrolled: 1-line block ×4, first 2 shown]
	s_branch .LBB225_22
.LBB225_21:                             ;   in Loop: Header=BB225_22 Depth=2
	v_add_co_u32 v6, vcc_lo, v6, s16
	s_add_i32 s10, s10, s14
	v_add_co_ci_u32_e32 v7, vcc_lo, s17, v7, vcc_lo
	s_add_i32 s2, s9, s10
	s_add_i32 s11, s11, s15
	;; [unrolled: 1-line block ×3, first 2 shown]
	s_cmp_ge_i32 s2, s29
	s_cbranch_scc1 .LBB225_18
.LBB225_22:                             ;   Parent Loop BB225_19 Depth=1
                                        ; =>  This Loop Header: Depth=2
                                        ;       Child Loop BB225_23 Depth 3
                                        ;       Child Loop BB225_26 Depth 3
                                        ;         Child Loop BB225_27 Depth 4
                                        ;       Child Loop BB225_31 Depth 3
                                        ;         Child Loop BB225_33 Depth 4
	v_dual_mov_b32 v0, v6 :: v_dual_mov_b32 v1, v7
	s_mov_b32 s2, 8
	s_mov_b32 s18, s21
	.p2align	6
.LBB225_23:                             ;   Parent Loop BB225_19 Depth=1
                                        ;     Parent Loop BB225_22 Depth=2
                                        ; =>    This Inner Loop Header: Depth=3
	global_load_b128 v[12:15], v[0:1], off offset:-8
	v_add_co_u32 v0, vcc_lo, v0, 16
	v_add_co_ci_u32_e32 v1, vcc_lo, 0, v1, vcc_lo
	s_add_i32 s18, s18, -1
	s_add_i32 s19, s2, 0
	s_add_i32 s2, s2, 16
	s_cmp_eq_u32 s18, 0
	s_waitcnt vmcnt(0)
	v_mul_f64 v[2:3], s[6:7], v[14:15]
	v_mul_f64 v[16:17], s[4:5], v[14:15]
	s_delay_alu instid0(VALU_DEP_2) | instskip(NEXT) | instid1(VALU_DEP_2)
	v_fma_f64 v[14:15], s[4:5], v[12:13], -v[2:3]
	v_fma_f64 v[16:17], s[6:7], v[12:13], v[16:17]
	scratch_store_b128 off, v[14:17], s19 offset:-8
	s_cbranch_scc0 .LBB225_23
; %bb.24:                               ;   in Loop: Header=BB225_22 Depth=2
	s_cmp_lt_i32 s10, 1
	s_cbranch_scc1 .LBB225_29
; %bb.25:                               ;   in Loop: Header=BB225_22 Depth=2
	s_mov_b32 s2, 0
	s_mov_b32 s18, s11
	s_set_inst_prefetch_distance 0x1
	.p2align	6
.LBB225_26:                             ;   Parent Loop BB225_19 Depth=1
                                        ;     Parent Loop BB225_22 Depth=2
                                        ; =>    This Loop Header: Depth=3
                                        ;         Child Loop BB225_27 Depth 4
	s_lshl_b64 s[24:25], s[2:3], 4
	s_mov_b32 s19, s20
	v_add_co_u32 v0, vcc_lo, v8, s24
	v_add_co_ci_u32_e32 v1, vcc_lo, s25, v9, vcc_lo
	s_mov_b32 s24, s18
	s_mov_b32 s25, s21
	global_load_b128 v[0:3], v[0:1], off
	.p2align	6
.LBB225_27:                             ;   Parent Loop BB225_19 Depth=1
                                        ;     Parent Loop BB225_22 Depth=2
                                        ;       Parent Loop BB225_26 Depth=3
                                        ; =>      This Inner Loop Header: Depth=4
	scratch_load_b128 v[12:15], off, s19 offset:-8
	v_mov_b32_e32 v16, s24
	s_add_i32 s25, s25, -1
	s_addk_i32 s24, 0x180
	ds_load_b128 v[16:19], v16
	s_waitcnt vmcnt(1) lgkmcnt(0)
	v_mul_f64 v[20:21], v[2:3], v[18:19]
	v_mul_f64 v[18:19], v[0:1], v[18:19]
	s_delay_alu instid0(VALU_DEP_2) | instskip(NEXT) | instid1(VALU_DEP_2)
	v_fma_f64 v[20:21], v[0:1], v[16:17], -v[20:21]
	v_fma_f64 v[16:17], v[2:3], v[16:17], v[18:19]
	s_waitcnt vmcnt(0)
	s_delay_alu instid0(VALU_DEP_2) | instskip(NEXT) | instid1(VALU_DEP_2)
	v_add_f64 v[12:13], v[12:13], -v[20:21]
	v_add_f64 v[14:15], v[14:15], -v[16:17]
	scratch_store_b128 off, v[12:15], s19 offset:-8
	s_add_i32 s19, s19, 16
	s_cmp_eq_u32 s25, 0
	s_cbranch_scc0 .LBB225_27
; %bb.28:                               ;   in Loop: Header=BB225_26 Depth=3
	s_add_i32 s2, s2, 1
	s_add_i32 s18, s18, 16
	s_cmp_ge_i32 s2, s10
	s_cbranch_scc0 .LBB225_26
.LBB225_29:                             ;   in Loop: Header=BB225_22 Depth=2
	s_set_inst_prefetch_distance 0x2
	s_mov_b32 s2, 0
	s_mov_b32 s24, s22
	s_branch .LBB225_31
.LBB225_30:                             ;   in Loop: Header=BB225_31 Depth=3
	s_mul_i32 s19, s18, 0x190
	s_lshl_b32 s25, s2, 4
	v_mov_b32_e32 v12, s19
	s_ashr_i32 s19, s18, 31
	s_add_i32 s2, s2, 1
	s_lshl_b64 s[18:19], s[18:19], 4
	s_addk_i32 s24, 0x180
	ds_load_b128 v[12:15], v12
	s_waitcnt vmcnt(0) lgkmcnt(0)
	v_mul_f64 v[16:17], v[14:15], v[2:3]
	v_mul_f64 v[2:3], v[12:13], v[2:3]
	s_delay_alu instid0(VALU_DEP_2) | instskip(NEXT) | instid1(VALU_DEP_2)
	v_fma_f64 v[12:13], v[12:13], v[0:1], -v[16:17]
	v_fma_f64 v[14:15], v[14:15], v[0:1], v[2:3]
	v_add_co_u32 v0, vcc_lo, v8, s18
	v_add_co_ci_u32_e32 v1, vcc_lo, s19, v9, vcc_lo
	s_add_i32 s18, s25, 0
	s_cmp_eq_u32 s2, s21
	scratch_store_b128 off, v[12:15], s18
	global_store_b128 v[0:1], v[12:15], off
	s_cbranch_scc1 .LBB225_21
.LBB225_31:                             ;   Parent Loop BB225_19 Depth=1
                                        ;     Parent Loop BB225_22 Depth=2
                                        ; =>    This Loop Header: Depth=3
                                        ;         Child Loop BB225_33 Depth 4
	s_cmp_lg_u32 s2, 0
	s_cbranch_scc0 .LBB225_35
; %bb.32:                               ;   in Loop: Header=BB225_31 Depth=3
	s_lshl_b32 s19, s2, 4
	s_mov_b32 s25, s24
	s_add_i32 s18, s19, 0
	v_add_nc_u32_e64 v12, s19, 0
	scratch_load_b128 v[0:3], off, s18
	s_add_i32 s18, s2, s10
	s_mov_b32 s19, 0
	s_mov_b32 s26, s20
	.p2align	6
.LBB225_33:                             ;   Parent Loop BB225_19 Depth=1
                                        ;     Parent Loop BB225_22 Depth=2
                                        ;       Parent Loop BB225_31 Depth=3
                                        ; =>      This Inner Loop Header: Depth=4
	scratch_load_b128 v[13:16], off, s26 offset:-8
	v_mov_b32_e32 v17, s25
	s_add_i32 s19, s19, 1
	s_add_i32 s26, s26, 16
	;; [unrolled: 1-line block ×3, first 2 shown]
	s_cmp_ge_u32 s19, s2
	ds_load_b128 v[17:20], v17
	s_waitcnt vmcnt(0) lgkmcnt(0)
	v_mul_f64 v[21:22], v[19:20], v[15:16]
	v_mul_f64 v[15:16], v[17:18], v[15:16]
	s_delay_alu instid0(VALU_DEP_2) | instskip(NEXT) | instid1(VALU_DEP_2)
	v_fma_f64 v[17:18], v[17:18], v[13:14], -v[21:22]
	v_fma_f64 v[13:14], v[19:20], v[13:14], v[15:16]
	s_delay_alu instid0(VALU_DEP_2) | instskip(NEXT) | instid1(VALU_DEP_2)
	v_add_f64 v[0:1], v[0:1], -v[17:18]
	v_add_f64 v[2:3], v[2:3], -v[13:14]
	scratch_store_b128 v12, v[0:3], off
	s_cbranch_scc0 .LBB225_33
; %bb.34:                               ;   in Loop: Header=BB225_31 Depth=3
	s_branch .LBB225_30
.LBB225_35:                             ;   in Loop: Header=BB225_31 Depth=3
                                        ; implicit-def: $vgpr0_vgpr1
                                        ; implicit-def: $sgpr18
	s_cbranch_execz .LBB225_30
; %bb.36:                               ;   in Loop: Header=BB225_31 Depth=3
	scratch_load_b128 v[0:3], off, off
	s_mov_b32 s18, s10
	s_branch .LBB225_30
.LBB225_37:
	s_mov_b32 s2, 0
.LBB225_38:
	s_delay_alu instid0(SALU_CYCLE_1)
	s_and_b32 vcc_lo, exec_lo, s2
	s_cbranch_vccz .LBB225_58
; %bb.39:
	s_add_u32 s0, s12, s0
	s_addc_u32 s1, s13, s1
	v_add_co_u32 v0, vcc_lo, s0, v4
	v_add_co_ci_u32_e32 v1, vcc_lo, s1, v5, vcc_lo
	s_mul_i32 s12, s29, 0x180
	s_delay_alu instid0(VALU_DEP_2) | instskip(NEXT) | instid1(VALU_DEP_2)
	v_add_co_u32 v4, vcc_lo, v0, 8
	v_add_co_ci_u32_e32 v5, vcc_lo, 0, v1, vcc_lo
	s_mov_b32 s1, 0
	s_addk_i32 s12, 0xfe80
	s_mov_b32 s2, s28
	s_mov_b32 s0, s1
	s_branch .LBB225_41
.LBB225_40:                             ;   in Loop: Header=BB225_41 Depth=1
	s_cmp_lt_i32 s2, 0
	s_cselect_b32 s3, -1, 0
	s_add_i32 s0, s0, 1
	s_delay_alu instid0(SALU_CYCLE_1) | instskip(SKIP_1) | instid1(SALU_CYCLE_1)
	s_cmp_eq_u32 s0, 3
	s_cselect_b32 s8, -1, 0
	s_or_b32 s3, s3, s8
	s_delay_alu instid0(SALU_CYCLE_1)
	s_and_b32 vcc_lo, exec_lo, s3
	s_cbranch_vccnz .LBB225_58
.LBB225_41:                             ; =>This Loop Header: Depth=1
                                        ;     Child Loop BB225_44 Depth 2
                                        ;       Child Loop BB225_45 Depth 3
                                        ;       Child Loop BB225_47 Depth 3
                                        ;         Child Loop BB225_48 Depth 4
                                        ;       Child Loop BB225_52 Depth 3
                                        ;         Child Loop BB225_54 Depth 4
	s_getpc_b64 s[8:9]
	s_add_u32 s8, s8, __const._ZL30rocblas_trsm_small_left_deviceILi24ELi24ELb0E19rocblas_complex_numIdES1_PKPKS1_PKPS1_Ev13rocblas_fill_18rocblas_operation_17rocblas_diagonal_iiT3_T4_lilT5_lili.step_sizes@rel32@lo+4
	s_addc_u32 s9, s9, __const._ZL30rocblas_trsm_small_left_deviceILi24ELi24ELb0E19rocblas_complex_numIdES1_PKPKS1_PKPS1_Ev13rocblas_fill_18rocblas_operation_17rocblas_diagonal_iiT3_T4_lilT5_lili.step_sizes@rel32@hi+12
	s_lshl_b64 s[10:11], s[0:1], 2
	s_delay_alu instid0(SALU_CYCLE_1) | instskip(SKIP_4) | instid1(SALU_CYCLE_1)
	s_add_u32 s8, s10, s8
	s_addc_u32 s9, s11, s9
	s_load_b32 s13, s[8:9], 0x0
	s_waitcnt lgkmcnt(0)
	s_add_i32 s14, s13, -1
	s_cmp_lt_i32 s2, s14
	s_cbranch_scc1 .LBB225_40
; %bb.42:                               ;   in Loop: Header=BB225_41 Depth=1
	s_lshl_b32 s3, s2, 4
	s_lshl_b32 s8, s13, 4
	s_max_i32 s15, s13, 1
	s_add_i32 s16, s12, s3
	s_sub_i32 s17, 0, s8
	s_mul_i32 s18, s2, 0x190
	s_mul_i32 s19, s13, 0xfffffe70
	s_branch .LBB225_44
.LBB225_43:                             ;   in Loop: Header=BB225_44 Depth=2
	s_sub_i32 s2, s2, s13
	s_add_i32 s16, s16, s17
	s_add_i32 s18, s18, s19
	s_cmp_lt_i32 s2, s14
	s_cbranch_scc1 .LBB225_40
.LBB225_44:                             ;   Parent Loop BB225_41 Depth=1
                                        ; =>  This Loop Header: Depth=2
                                        ;       Child Loop BB225_45 Depth 3
                                        ;       Child Loop BB225_47 Depth 3
                                        ;         Child Loop BB225_48 Depth 4
                                        ;       Child Loop BB225_52 Depth 3
                                        ;         Child Loop BB225_54 Depth 4
	s_ashr_i32 s3, s2, 31
	s_delay_alu instid0(SALU_CYCLE_1) | instskip(NEXT) | instid1(SALU_CYCLE_1)
	s_lshl_b64 s[8:9], s[2:3], 4
	v_add_co_u32 v0, vcc_lo, v4, s8
	v_add_co_ci_u32_e32 v1, vcc_lo, s9, v5, vcc_lo
	s_mov_b32 s8, 8
	s_mov_b32 s9, s15
	.p2align	6
.LBB225_45:                             ;   Parent Loop BB225_41 Depth=1
                                        ;     Parent Loop BB225_44 Depth=2
                                        ; =>    This Inner Loop Header: Depth=3
	global_load_b128 v[10:13], v[0:1], off offset:-8
	v_add_co_u32 v0, vcc_lo, v0, -16
	v_add_co_ci_u32_e32 v1, vcc_lo, -1, v1, vcc_lo
	s_add_i32 s9, s9, -1
	s_add_i32 s10, s8, 0
	s_add_i32 s8, s8, 16
	s_cmp_eq_u32 s9, 0
	s_waitcnt vmcnt(0)
	v_mul_f64 v[2:3], s[6:7], v[12:13]
	v_mul_f64 v[6:7], s[4:5], v[12:13]
	s_delay_alu instid0(VALU_DEP_2) | instskip(NEXT) | instid1(VALU_DEP_2)
	v_fma_f64 v[12:13], s[4:5], v[10:11], -v[2:3]
	v_fma_f64 v[14:15], s[6:7], v[10:11], v[6:7]
	scratch_store_b128 off, v[12:15], s10 offset:-8
	s_cbranch_scc0 .LBB225_45
; %bb.46:                               ;   in Loop: Header=BB225_44 Depth=2
	s_cmp_le_i32 s28, s2
	s_mov_b32 s10, s16
	s_mov_b32 s8, s28
	s_cbranch_scc1 .LBB225_50
	.p2align	6
.LBB225_47:                             ;   Parent Loop BB225_41 Depth=1
                                        ;     Parent Loop BB225_44 Depth=2
                                        ; =>    This Loop Header: Depth=3
                                        ;         Child Loop BB225_48 Depth 4
	s_ashr_i32 s9, s8, 31
	s_mov_b32 s11, s15
	s_lshl_b64 s[22:23], s[8:9], 4
	s_mov_b32 s9, s20
	v_add_co_u32 v0, vcc_lo, v8, s22
	v_add_co_ci_u32_e32 v1, vcc_lo, s23, v9, vcc_lo
	s_mov_b32 s21, s10
	global_load_b128 v[0:3], v[0:1], off
	.p2align	6
.LBB225_48:                             ;   Parent Loop BB225_41 Depth=1
                                        ;     Parent Loop BB225_44 Depth=2
                                        ;       Parent Loop BB225_47 Depth=3
                                        ; =>      This Inner Loop Header: Depth=4
	scratch_load_b128 v[10:13], off, s9 offset:-8
	v_mov_b32_e32 v6, s21
	s_add_i32 s11, s11, -1
	s_add_i32 s21, s21, -16
	ds_load_b128 v[14:17], v6
	s_waitcnt vmcnt(1) lgkmcnt(0)
	v_mul_f64 v[6:7], v[2:3], v[16:17]
	v_mul_f64 v[16:17], v[0:1], v[16:17]
	s_delay_alu instid0(VALU_DEP_2) | instskip(NEXT) | instid1(VALU_DEP_2)
	v_fma_f64 v[6:7], v[0:1], v[14:15], -v[6:7]
	v_fma_f64 v[14:15], v[2:3], v[14:15], v[16:17]
	s_waitcnt vmcnt(0)
	s_delay_alu instid0(VALU_DEP_2) | instskip(NEXT) | instid1(VALU_DEP_2)
	v_add_f64 v[10:11], v[10:11], -v[6:7]
	v_add_f64 v[12:13], v[12:13], -v[14:15]
	scratch_store_b128 off, v[10:13], s9 offset:-8
	s_add_i32 s9, s9, 16
	s_cmp_eq_u32 s11, 0
	s_cbranch_scc0 .LBB225_48
; %bb.49:                               ;   in Loop: Header=BB225_47 Depth=3
	s_add_i32 s8, s8, -1
	s_addk_i32 s10, 0xfe80
	s_cmp_le_i32 s8, s2
	s_cbranch_scc0 .LBB225_47
.LBB225_50:                             ;   in Loop: Header=BB225_44 Depth=2
	s_mov_b32 s21, 0
	s_mov_b32 s22, s18
	s_branch .LBB225_52
.LBB225_51:                             ;   in Loop: Header=BB225_52 Depth=3
	s_mulk_i32 s10, 0x190
	s_lshl_b64 s[8:9], s[8:9], 4
	v_mov_b32_e32 v6, s10
	s_lshl_b32 s10, s21, 4
	s_add_i32 s21, s21, 1
	s_add_i32 s22, s22, -16
	ds_load_b128 v[10:13], v6
	s_waitcnt vmcnt(0) lgkmcnt(0)
	v_mul_f64 v[6:7], v[12:13], v[2:3]
	v_mul_f64 v[2:3], v[10:11], v[2:3]
	s_delay_alu instid0(VALU_DEP_2) | instskip(NEXT) | instid1(VALU_DEP_2)
	v_fma_f64 v[10:11], v[10:11], v[0:1], -v[6:7]
	v_fma_f64 v[12:13], v[12:13], v[0:1], v[2:3]
	v_add_co_u32 v0, vcc_lo, v8, s8
	v_add_co_ci_u32_e32 v1, vcc_lo, s9, v9, vcc_lo
	s_add_i32 s8, s10, 0
	s_cmp_eq_u32 s21, s15
	scratch_store_b128 off, v[10:13], s8
	global_store_b128 v[0:1], v[10:13], off
	s_cbranch_scc1 .LBB225_43
.LBB225_52:                             ;   Parent Loop BB225_41 Depth=1
                                        ;     Parent Loop BB225_44 Depth=2
                                        ; =>    This Loop Header: Depth=3
                                        ;         Child Loop BB225_54 Depth 4
	s_cmp_lg_u32 s21, 0
	s_cbranch_scc0 .LBB225_56
; %bb.53:                               ;   in Loop: Header=BB225_52 Depth=3
	s_lshl_b32 s8, s21, 4
	s_mov_b32 s10, s22
	s_add_i32 s9, s8, 0
	v_add_nc_u32_e64 v6, s8, 0
	scratch_load_b128 v[0:3], off, s9
	s_mov_b32 s8, 0
	s_mov_b32 s9, s20
	.p2align	6
.LBB225_54:                             ;   Parent Loop BB225_41 Depth=1
                                        ;     Parent Loop BB225_44 Depth=2
                                        ;       Parent Loop BB225_52 Depth=3
                                        ; =>      This Inner Loop Header: Depth=4
	scratch_load_b128 v[10:13], off, s9 offset:-8
	v_mov_b32_e32 v7, s10
	s_add_i32 s8, s8, 1
	s_addk_i32 s10, 0xfe80
	s_add_i32 s9, s9, 16
	s_cmp_ge_u32 s8, s21
	ds_load_b128 v[14:17], v7
	s_waitcnt vmcnt(0) lgkmcnt(0)
	v_mul_f64 v[18:19], v[16:17], v[12:13]
	v_mul_f64 v[12:13], v[14:15], v[12:13]
	s_delay_alu instid0(VALU_DEP_2) | instskip(NEXT) | instid1(VALU_DEP_2)
	v_fma_f64 v[14:15], v[14:15], v[10:11], -v[18:19]
	v_fma_f64 v[10:11], v[16:17], v[10:11], v[12:13]
	s_delay_alu instid0(VALU_DEP_2) | instskip(NEXT) | instid1(VALU_DEP_2)
	v_add_f64 v[0:1], v[0:1], -v[14:15]
	v_add_f64 v[2:3], v[2:3], -v[10:11]
	scratch_store_b128 v6, v[0:3], off
	s_cbranch_scc0 .LBB225_54
; %bb.55:                               ;   in Loop: Header=BB225_52 Depth=3
	s_sub_i32 s10, s2, s21
	s_delay_alu instid0(SALU_CYCLE_1) | instskip(NEXT) | instid1(SALU_CYCLE_1)
	s_ashr_i32 s11, s10, 31
	s_mov_b64 s[8:9], s[10:11]
	s_branch .LBB225_51
.LBB225_56:                             ;   in Loop: Header=BB225_52 Depth=3
                                        ; implicit-def: $vgpr0_vgpr1
                                        ; implicit-def: $sgpr10
                                        ; implicit-def: $sgpr8_sgpr9
	s_cbranch_execz .LBB225_51
; %bb.57:                               ;   in Loop: Header=BB225_52 Depth=3
	scratch_load_b128 v[0:3], off, off
	s_mov_b64 s[8:9], s[2:3]
	s_mov_b32 s10, s2
	s_branch .LBB225_51
.LBB225_58:
	s_endpgm
	.section	.rodata,"a",@progbits
	.p2align	6, 0x0
	.amdhsa_kernel _ZL30rocblas_trsm_small_left_deviceILi24ELi24ELb0E19rocblas_complex_numIdES1_PKPKS1_PKPS1_Ev13rocblas_fill_18rocblas_operation_17rocblas_diagonal_iiT3_T4_lilT5_lili
		.amdhsa_group_segment_fixed_size 9216
		.amdhsa_private_segment_fixed_size 400
		.amdhsa_kernarg_size 368
		.amdhsa_user_sgpr_count 14
		.amdhsa_user_sgpr_dispatch_ptr 0
		.amdhsa_user_sgpr_queue_ptr 0
		.amdhsa_user_sgpr_kernarg_segment_ptr 1
		.amdhsa_user_sgpr_dispatch_id 0
		.amdhsa_user_sgpr_private_segment_size 0
		.amdhsa_wavefront_size32 1
		.amdhsa_uses_dynamic_stack 0
		.amdhsa_enable_private_segment 1
		.amdhsa_system_sgpr_workgroup_id_x 1
		.amdhsa_system_sgpr_workgroup_id_y 0
		.amdhsa_system_sgpr_workgroup_id_z 1
		.amdhsa_system_sgpr_workgroup_info 0
		.amdhsa_system_vgpr_workitem_id 0
		.amdhsa_next_free_vgpr 25
		.amdhsa_next_free_sgpr 31
		.amdhsa_reserve_vcc 1
		.amdhsa_float_round_mode_32 0
		.amdhsa_float_round_mode_16_64 0
		.amdhsa_float_denorm_mode_32 3
		.amdhsa_float_denorm_mode_16_64 3
		.amdhsa_dx10_clamp 1
		.amdhsa_ieee_mode 1
		.amdhsa_fp16_overflow 0
		.amdhsa_workgroup_processor_mode 1
		.amdhsa_memory_ordered 1
		.amdhsa_forward_progress 0
		.amdhsa_shared_vgpr_count 0
		.amdhsa_exception_fp_ieee_invalid_op 0
		.amdhsa_exception_fp_denorm_src 0
		.amdhsa_exception_fp_ieee_div_zero 0
		.amdhsa_exception_fp_ieee_overflow 0
		.amdhsa_exception_fp_ieee_underflow 0
		.amdhsa_exception_fp_ieee_inexact 0
		.amdhsa_exception_int_div_zero 0
	.end_amdhsa_kernel
	.section	.text._ZL30rocblas_trsm_small_left_deviceILi24ELi24ELb0E19rocblas_complex_numIdES1_PKPKS1_PKPS1_Ev13rocblas_fill_18rocblas_operation_17rocblas_diagonal_iiT3_T4_lilT5_lili,"axG",@progbits,_ZL30rocblas_trsm_small_left_deviceILi24ELi24ELb0E19rocblas_complex_numIdES1_PKPKS1_PKPS1_Ev13rocblas_fill_18rocblas_operation_17rocblas_diagonal_iiT3_T4_lilT5_lili,comdat
.Lfunc_end225:
	.size	_ZL30rocblas_trsm_small_left_deviceILi24ELi24ELb0E19rocblas_complex_numIdES1_PKPKS1_PKPS1_Ev13rocblas_fill_18rocblas_operation_17rocblas_diagonal_iiT3_T4_lilT5_lili, .Lfunc_end225-_ZL30rocblas_trsm_small_left_deviceILi24ELi24ELb0E19rocblas_complex_numIdES1_PKPKS1_PKPS1_Ev13rocblas_fill_18rocblas_operation_17rocblas_diagonal_iiT3_T4_lilT5_lili
                                        ; -- End function
	.section	.AMDGPU.csdata,"",@progbits
; Kernel info:
; codeLenInByte = 3188
; NumSgprs: 33
; NumVgprs: 25
; ScratchSize: 400
; MemoryBound: 0
; FloatMode: 240
; IeeeMode: 1
; LDSByteSize: 9216 bytes/workgroup (compile time only)
; SGPRBlocks: 4
; VGPRBlocks: 3
; NumSGPRsForWavesPerEU: 33
; NumVGPRsForWavesPerEU: 25
; Occupancy: 4
; WaveLimiterHint : 1
; COMPUTE_PGM_RSRC2:SCRATCH_EN: 1
; COMPUTE_PGM_RSRC2:USER_SGPR: 14
; COMPUTE_PGM_RSRC2:TRAP_HANDLER: 0
; COMPUTE_PGM_RSRC2:TGID_X_EN: 1
; COMPUTE_PGM_RSRC2:TGID_Y_EN: 0
; COMPUTE_PGM_RSRC2:TGID_Z_EN: 1
; COMPUTE_PGM_RSRC2:TIDIG_COMP_CNT: 0
	.section	.text._ZL38rocblas_trsm_small_left_device_sharedBILi24ELi24ELb1E19rocblas_complex_numIdES1_PKPKS1_PKPS1_Ev13rocblas_fill_18rocblas_operation_17rocblas_diagonal_iiT3_T4_lilT5_lili,"axG",@progbits,_ZL38rocblas_trsm_small_left_device_sharedBILi24ELi24ELb1E19rocblas_complex_numIdES1_PKPKS1_PKPS1_Ev13rocblas_fill_18rocblas_operation_17rocblas_diagonal_iiT3_T4_lilT5_lili,comdat
	.globl	_ZL38rocblas_trsm_small_left_device_sharedBILi24ELi24ELb1E19rocblas_complex_numIdES1_PKPKS1_PKPS1_Ev13rocblas_fill_18rocblas_operation_17rocblas_diagonal_iiT3_T4_lilT5_lili ; -- Begin function _ZL38rocblas_trsm_small_left_device_sharedBILi24ELi24ELb1E19rocblas_complex_numIdES1_PKPKS1_PKPS1_Ev13rocblas_fill_18rocblas_operation_17rocblas_diagonal_iiT3_T4_lilT5_lili
	.p2align	8
	.type	_ZL38rocblas_trsm_small_left_device_sharedBILi24ELi24ELb1E19rocblas_complex_numIdES1_PKPKS1_PKPS1_Ev13rocblas_fill_18rocblas_operation_17rocblas_diagonal_iiT3_T4_lilT5_lili,@function
_ZL38rocblas_trsm_small_left_device_sharedBILi24ELi24ELb1E19rocblas_complex_numIdES1_PKPKS1_PKPS1_Ev13rocblas_fill_18rocblas_operation_17rocblas_diagonal_iiT3_T4_lilT5_lili: ; @_ZL38rocblas_trsm_small_left_device_sharedBILi24ELi24ELb1E19rocblas_complex_numIdES1_PKPKS1_PKPS1_Ev13rocblas_fill_18rocblas_operation_17rocblas_diagonal_iiT3_T4_lilT5_lili
; %bb.0:
	s_clause 0x1
	s_load_b128 s[20:23], s[0:1], 0x48
	s_load_b128 s[16:19], s[0:1], 0x4
	s_mov_b32 s2, s15
	s_mov_b32 s3, 0
	s_load_b32 s29, s[0:1], 0x70
	s_lshl_b64 s[24:25], s[2:3], 3
	s_mov_b32 s30, exec_lo
	s_waitcnt lgkmcnt(0)
	s_add_u32 s12, s20, s24
	s_addc_u32 s13, s21, s25
	s_load_b256 s[4:11], s[0:1], 0x18
	s_load_b64 s[12:13], s[12:13], 0x0
	s_min_i32 s15, s18, 24
	s_delay_alu instid0(SALU_CYCLE_1)
	s_add_i32 s28, s15, -1
	v_cmpx_gt_i32_e64 s15, v0
	s_cbranch_execz .LBB226_15
; %bb.1:
	s_load_b32 s20, s[0:1], 0x38
	s_waitcnt lgkmcnt(0)
	s_ashr_i32 s21, s20, 31
	s_cmpk_eq_i32 s16, 0x71
	s_cselect_b32 vcc_lo, -1, 0
	s_add_u32 s8, s8, s24
	s_addc_u32 s9, s9, s25
	s_cmp_lt_u32 s28, 3
	s_load_b64 s[8:9], s[8:9], 0x0
	s_cbranch_scc1 .LBB226_4
; %bb.2:
	v_lshlrev_b32_e32 v1, 4, v0
	s_lshl_b64 s[24:25], s[10:11], 4
	s_and_b32 s3, s15, -4
	s_waitcnt lgkmcnt(0)
	s_add_u32 s2, s8, s24
	s_addc_u32 s24, s9, s25
	v_add_co_u32 v1, s2, s2, v1
	s_delay_alu instid0(VALU_DEP_1) | instskip(SKIP_1) | instid1(VALU_DEP_3)
	v_add_co_ci_u32_e64 v2, null, s24, 0, s2
	v_lshlrev_b32_e32 v3, 4, v0
	v_add_co_u32 v1, s2, v1, 8
	s_delay_alu instid0(VALU_DEP_1)
	v_add_co_ci_u32_e64 v2, s2, 0, v2, s2
	s_lshl_b64 s[24:25], s[20:21], 6
	s_lshl_b64 s[26:27], s[20:21], 4
	s_mov_b32 s31, 0
.LBB226_3:                              ; =>This Inner Loop Header: Depth=1
	v_add_co_u32 v8, s2, v1, s26
	s_delay_alu instid0(VALU_DEP_1) | instskip(SKIP_1) | instid1(VALU_DEP_2)
	v_add_co_ci_u32_e64 v9, s2, s27, v2, s2
	s_add_i32 s31, s31, 4
	v_add_co_u32 v12, s2, v8, s26
	s_delay_alu instid0(VALU_DEP_1) | instskip(SKIP_1) | instid1(VALU_DEP_2)
	v_add_co_ci_u32_e64 v13, s2, s27, v9, s2
	s_cmp_eq_u32 s3, s31
	v_add_co_u32 v16, s2, v12, s26
	s_delay_alu instid0(VALU_DEP_1)
	v_add_co_ci_u32_e64 v17, s2, s27, v13, s2
	s_clause 0x3
	global_load_b128 v[4:7], v[1:2], off offset:-8
	global_load_b128 v[8:11], v[8:9], off offset:-8
	;; [unrolled: 1-line block ×4, first 2 shown]
	v_add_co_u32 v1, s2, v1, s24
	s_delay_alu instid0(VALU_DEP_1)
	v_add_co_ci_u32_e64 v2, s2, s25, v2, s2
	s_waitcnt vmcnt(3)
	v_xor_b32_e32 v20, 0x80000000, v7
	s_waitcnt vmcnt(2)
	v_xor_b32_e32 v21, 0x80000000, v11
	;; [unrolled: 2-line block ×4, first 2 shown]
	v_cndmask_b32_e32 v7, v7, v20, vcc_lo
	v_cndmask_b32_e32 v11, v11, v21, vcc_lo
	;; [unrolled: 1-line block ×3, first 2 shown]
	s_delay_alu instid0(VALU_DEP_4)
	v_cndmask_b32_e32 v19, v19, v23, vcc_lo
	ds_store_b128 v3, v[4:7]
	ds_store_b128 v3, v[8:11] offset:384
	ds_store_b128 v3, v[12:15] offset:768
	;; [unrolled: 1-line block ×3, first 2 shown]
	v_add_nc_u32_e32 v3, 0x600, v3
	s_cbranch_scc0 .LBB226_3
.LBB226_4:
	s_and_b32 s24, s15, 3
	s_delay_alu instid0(SALU_CYCLE_1)
	s_cmp_eq_u32 s24, 0
	s_cbranch_scc1 .LBB226_7
; %bb.5:
	s_mul_i32 s2, s21, s3
	s_mul_hi_u32 s25, s20, s3
	s_mul_i32 s26, s20, s3
	s_add_i32 s27, s25, s2
	s_lshl_b64 s[10:11], s[10:11], 4
	s_lshl_b64 s[26:27], s[26:27], 4
	v_lshlrev_b32_e32 v1, 4, v0
	s_mul_i32 s2, s3, 0x180
	s_add_u32 s3, s26, s10
	s_addc_u32 s10, s27, s11
	s_waitcnt lgkmcnt(0)
	s_add_u32 s3, s8, s3
	s_addc_u32 s8, s9, s10
	v_add_co_u32 v1, s3, s3, v1
	s_delay_alu instid0(VALU_DEP_1) | instskip(SKIP_1) | instid1(VALU_DEP_3)
	v_add_co_ci_u32_e64 v2, null, s8, 0, s3
	v_lshl_add_u32 v3, v0, 4, s2
	v_add_co_u32 v1, s2, v1, 8
	s_delay_alu instid0(VALU_DEP_1)
	v_add_co_ci_u32_e64 v2, s2, 0, v2, s2
	s_lshl_b64 s[8:9], s[20:21], 4
.LBB226_6:                              ; =>This Inner Loop Header: Depth=1
	global_load_b128 v[4:7], v[1:2], off offset:-8
	v_add_co_u32 v1, s2, v1, s8
	s_delay_alu instid0(VALU_DEP_1) | instskip(SKIP_1) | instid1(SALU_CYCLE_1)
	v_add_co_ci_u32_e64 v2, s2, s9, v2, s2
	s_add_i32 s24, s24, -1
	s_cmp_lg_u32 s24, 0
	s_waitcnt vmcnt(0)
	v_xor_b32_e32 v8, 0x80000000, v7
	s_delay_alu instid0(VALU_DEP_1)
	v_cndmask_b32_e32 v7, v7, v8, vcc_lo
	ds_store_b128 v3, v[4:7]
	v_add_nc_u32_e32 v3, 0x180, v3
	s_cbranch_scc1 .LBB226_6
.LBB226_7:
	v_mul_u32_u24_e32 v1, 25, v0
	s_cmpk_lg_i32 s17, 0x84
	s_delay_alu instid0(VALU_DEP_1)
	v_lshlrev_b32_e32 v9, 4, v1
	s_cbranch_scc0 .LBB226_13
; %bb.8:
	ds_load_b128 v[1:4], v9
	s_waitcnt lgkmcnt(0)
	v_cmp_gt_f64_e32 vcc_lo, 0, v[1:2]
	v_xor_b32_e32 v6, 0x80000000, v2
	v_mov_b32_e32 v5, v1
	v_xor_b32_e32 v7, 0x80000000, v4
	s_delay_alu instid0(VALU_DEP_3) | instskip(SKIP_1) | instid1(VALU_DEP_3)
	v_cndmask_b32_e32 v6, v2, v6, vcc_lo
	v_cmp_gt_f64_e32 vcc_lo, 0, v[3:4]
	v_dual_cndmask_b32 v8, v4, v7 :: v_dual_mov_b32 v7, v3
	s_delay_alu instid0(VALU_DEP_1) | instskip(SKIP_1) | instid1(SALU_CYCLE_1)
	v_cmp_ngt_f64_e32 vcc_lo, v[5:6], v[7:8]
                                        ; implicit-def: $vgpr7_vgpr8
	s_and_saveexec_b32 s2, vcc_lo
	s_xor_b32 s2, exec_lo, s2
	s_cbranch_execz .LBB226_10
; %bb.9:
	v_div_scale_f64 v[5:6], null, v[3:4], v[3:4], v[1:2]
	v_div_scale_f64 v[12:13], vcc_lo, v[1:2], v[3:4], v[1:2]
	s_delay_alu instid0(VALU_DEP_2) | instskip(SKIP_2) | instid1(VALU_DEP_1)
	v_rcp_f64_e32 v[7:8], v[5:6]
	s_waitcnt_depctr 0xfff
	v_fma_f64 v[10:11], -v[5:6], v[7:8], 1.0
	v_fma_f64 v[7:8], v[7:8], v[10:11], v[7:8]
	s_delay_alu instid0(VALU_DEP_1) | instskip(NEXT) | instid1(VALU_DEP_1)
	v_fma_f64 v[10:11], -v[5:6], v[7:8], 1.0
	v_fma_f64 v[7:8], v[7:8], v[10:11], v[7:8]
	s_delay_alu instid0(VALU_DEP_1) | instskip(NEXT) | instid1(VALU_DEP_1)
	v_mul_f64 v[10:11], v[12:13], v[7:8]
	v_fma_f64 v[5:6], -v[5:6], v[10:11], v[12:13]
	s_delay_alu instid0(VALU_DEP_1) | instskip(NEXT) | instid1(VALU_DEP_1)
	v_div_fmas_f64 v[5:6], v[5:6], v[7:8], v[10:11]
	v_div_fixup_f64 v[5:6], v[5:6], v[3:4], v[1:2]
	s_delay_alu instid0(VALU_DEP_1) | instskip(NEXT) | instid1(VALU_DEP_1)
	v_fma_f64 v[1:2], v[1:2], v[5:6], v[3:4]
	v_div_scale_f64 v[3:4], null, v[1:2], v[1:2], 1.0
	v_div_scale_f64 v[12:13], vcc_lo, 1.0, v[1:2], 1.0
	s_delay_alu instid0(VALU_DEP_2) | instskip(SKIP_2) | instid1(VALU_DEP_1)
	v_rcp_f64_e32 v[7:8], v[3:4]
	s_waitcnt_depctr 0xfff
	v_fma_f64 v[10:11], -v[3:4], v[7:8], 1.0
	v_fma_f64 v[7:8], v[7:8], v[10:11], v[7:8]
	s_delay_alu instid0(VALU_DEP_1) | instskip(NEXT) | instid1(VALU_DEP_1)
	v_fma_f64 v[10:11], -v[3:4], v[7:8], 1.0
	v_fma_f64 v[7:8], v[7:8], v[10:11], v[7:8]
	s_delay_alu instid0(VALU_DEP_1) | instskip(NEXT) | instid1(VALU_DEP_1)
	v_mul_f64 v[10:11], v[12:13], v[7:8]
	v_fma_f64 v[3:4], -v[3:4], v[10:11], v[12:13]
	s_delay_alu instid0(VALU_DEP_1) | instskip(SKIP_1) | instid1(VALU_DEP_2)
	v_div_fmas_f64 v[3:4], v[3:4], v[7:8], v[10:11]
	v_add_f64 v[7:8], v[5:6], 0
	v_div_fixup_f64 v[1:2], v[3:4], v[1:2], 1.0
	v_fma_f64 v[3:4], v[5:6], 0, -1.0
	s_delay_alu instid0(VALU_DEP_2) | instskip(NEXT) | instid1(VALU_DEP_2)
	v_mul_f64 v[5:6], v[7:8], v[1:2]
	v_mul_f64 v[7:8], v[3:4], v[1:2]
                                        ; implicit-def: $vgpr1_vgpr2
.LBB226_10:
	s_and_not1_saveexec_b32 s2, s2
	s_cbranch_execz .LBB226_12
; %bb.11:
	v_div_scale_f64 v[5:6], null, v[1:2], v[1:2], v[3:4]
	v_div_scale_f64 v[12:13], vcc_lo, v[3:4], v[1:2], v[3:4]
	s_delay_alu instid0(VALU_DEP_2) | instskip(SKIP_2) | instid1(VALU_DEP_1)
	v_rcp_f64_e32 v[7:8], v[5:6]
	s_waitcnt_depctr 0xfff
	v_fma_f64 v[10:11], -v[5:6], v[7:8], 1.0
	v_fma_f64 v[7:8], v[7:8], v[10:11], v[7:8]
	s_delay_alu instid0(VALU_DEP_1) | instskip(NEXT) | instid1(VALU_DEP_1)
	v_fma_f64 v[10:11], -v[5:6], v[7:8], 1.0
	v_fma_f64 v[7:8], v[7:8], v[10:11], v[7:8]
	s_delay_alu instid0(VALU_DEP_1) | instskip(NEXT) | instid1(VALU_DEP_1)
	v_mul_f64 v[10:11], v[12:13], v[7:8]
	v_fma_f64 v[5:6], -v[5:6], v[10:11], v[12:13]
	s_delay_alu instid0(VALU_DEP_1) | instskip(NEXT) | instid1(VALU_DEP_1)
	v_div_fmas_f64 v[5:6], v[5:6], v[7:8], v[10:11]
	v_div_fixup_f64 v[5:6], v[5:6], v[1:2], v[3:4]
	s_delay_alu instid0(VALU_DEP_1) | instskip(NEXT) | instid1(VALU_DEP_1)
	v_fma_f64 v[1:2], v[3:4], v[5:6], v[1:2]
	v_div_scale_f64 v[3:4], null, v[1:2], v[1:2], 1.0
	v_div_scale_f64 v[12:13], vcc_lo, 1.0, v[1:2], 1.0
	s_delay_alu instid0(VALU_DEP_2) | instskip(SKIP_2) | instid1(VALU_DEP_1)
	v_rcp_f64_e32 v[7:8], v[3:4]
	s_waitcnt_depctr 0xfff
	v_fma_f64 v[10:11], -v[3:4], v[7:8], 1.0
	v_fma_f64 v[7:8], v[7:8], v[10:11], v[7:8]
	s_delay_alu instid0(VALU_DEP_1) | instskip(NEXT) | instid1(VALU_DEP_1)
	v_fma_f64 v[10:11], -v[3:4], v[7:8], 1.0
	v_fma_f64 v[7:8], v[7:8], v[10:11], v[7:8]
	s_delay_alu instid0(VALU_DEP_1) | instskip(NEXT) | instid1(VALU_DEP_1)
	v_mul_f64 v[10:11], v[12:13], v[7:8]
	v_fma_f64 v[3:4], -v[3:4], v[10:11], v[12:13]
	s_delay_alu instid0(VALU_DEP_1) | instskip(SKIP_1) | instid1(VALU_DEP_2)
	v_div_fmas_f64 v[3:4], v[3:4], v[7:8], v[10:11]
	v_fma_f64 v[7:8], v[5:6], 0, 1.0
	v_div_fixup_f64 v[1:2], v[3:4], v[1:2], 1.0
	v_add_f64 v[3:4], -v[5:6], 0
	s_delay_alu instid0(VALU_DEP_2) | instskip(NEXT) | instid1(VALU_DEP_2)
	v_mul_f64 v[5:6], v[7:8], v[1:2]
	v_mul_f64 v[7:8], v[3:4], v[1:2]
.LBB226_12:
	s_or_b32 exec_lo, exec_lo, s2
	s_branch .LBB226_14
.LBB226_13:
	v_mov_b32_e32 v5, 0
	v_dual_mov_b32 v6, 0x3ff00000 :: v_dual_mov_b32 v7, 0
	v_mov_b32_e32 v8, 0
.LBB226_14:
	ds_store_b128 v9, v[5:8]
.LBB226_15:
	s_or_b32 exec_lo, exec_lo, s30
	s_load_b32 s17, s[0:1], 0x58
	s_lshl_b64 s[0:1], s[22:23], 4
	s_mul_i32 s3, s14, 0xffffffe8
	s_mul_i32 s2, s14, 24
	s_waitcnt lgkmcnt(0)
	s_ashr_i32 s20, s17, 31
	s_add_u32 s10, s12, s0
	s_addc_u32 s11, s13, s1
	s_add_i32 s29, s29, -1
	s_add_i32 s3, s3, s19
	s_mul_hi_i32 s9, s17, s2
	s_cmp_ge_u32 s14, s29
	s_mul_i32 s8, s17, s2
	s_cselect_b32 s21, s3, 24
	s_lshl_b64 s[8:9], s[8:9], 4
	s_ashr_i32 s3, s2, 31
	s_add_u32 s14, s10, s8
	s_addc_u32 s19, s11, s9
	v_cmp_gt_i32_e32 vcc_lo, s21, v0
	s_cmp_gt_i32 s18, 0
	s_mov_b32 s8, 0
	s_cselect_b32 s9, -1, 0
	s_delay_alu instid0(SALU_CYCLE_1) | instskip(NEXT) | instid1(SALU_CYCLE_1)
	s_and_b32 s21, vcc_lo, s9
	s_and_saveexec_b32 s22, s21
	s_cbranch_execz .LBB226_22
; %bb.16:
	s_cmp_lt_i32 s18, 8
	s_cbranch_scc1 .LBB226_19
; %bb.17:
	v_mad_i64_i32 v[1:2], null, s17, v0, 0
	v_lshl_or_b32 v3, v0, 4, 0x2400
	s_lshl_b32 s8, s15, 4
	s_mov_b64 s[10:11], 0
	s_and_b32 s9, s8, 0x180
	s_mov_b32 s8, 0
	s_delay_alu instid0(VALU_DEP_2) | instskip(NEXT) | instid1(VALU_DEP_1)
	v_lshlrev_b64 v[1:2], 4, v[1:2]
	v_add_co_u32 v1, vcc_lo, s14, v1
	s_delay_alu instid0(VALU_DEP_2)
	v_add_co_ci_u32_e32 v2, vcc_lo, s19, v2, vcc_lo
.LBB226_18:                             ; =>This Inner Loop Header: Depth=1
	s_delay_alu instid0(VALU_DEP_2) | instskip(NEXT) | instid1(VALU_DEP_2)
	v_add_co_u32 v32, vcc_lo, v1, s10
	v_add_co_ci_u32_e32 v33, vcc_lo, s11, v2, vcc_lo
	s_add_i32 s8, s8, 8
	s_add_u32 s10, s10, 0x80
	s_addc_u32 s11, s11, 0
	s_clause 0x7
	global_load_b128 v[4:7], v[32:33], off
	global_load_b128 v[8:11], v[32:33], off offset:16
	global_load_b128 v[12:15], v[32:33], off offset:32
	;; [unrolled: 1-line block ×7, first 2 shown]
	s_cmp_lg_u32 s9, s10
	s_waitcnt vmcnt(7)
	v_mul_f64 v[36:37], s[6:7], v[6:7]
	v_mul_f64 v[6:7], s[4:5], v[6:7]
	s_waitcnt vmcnt(6)
	v_mul_f64 v[38:39], s[6:7], v[10:11]
	v_mul_f64 v[10:11], s[4:5], v[10:11]
	;; [unrolled: 3-line block ×8, first 2 shown]
	v_fma_f64 v[34:35], s[4:5], v[4:5], -v[36:37]
	v_fma_f64 v[36:37], s[6:7], v[4:5], v[6:7]
	v_fma_f64 v[4:5], s[4:5], v[8:9], -v[38:39]
	v_fma_f64 v[6:7], s[6:7], v[8:9], v[10:11]
	;; [unrolled: 2-line block ×8, first 2 shown]
	ds_store_b128 v3, v[34:37]
	ds_store_b128 v3, v[4:7] offset:384
	ds_store_b128 v3, v[8:11] offset:768
	;; [unrolled: 1-line block ×7, first 2 shown]
	v_add_nc_u32_e32 v3, 0xc00, v3
	s_cbranch_scc1 .LBB226_18
.LBB226_19:
	s_and_b32 s10, s15, 7
	s_mov_b32 s9, 0
	s_cmp_eq_u32 s10, 0
	s_cbranch_scc1 .LBB226_22
; %bb.20:
	v_lshlrev_b32_e32 v3, 4, v0
	s_lshl_b64 s[24:25], s[2:3], 4
	s_lshl_b64 s[26:27], s[8:9], 4
	s_mulk_i32 s8, 0x180
	s_delay_alu instid0(VALU_DEP_1) | instskip(NEXT) | instid1(VALU_DEP_1)
	v_add_co_u32 v4, s9, s24, v3
	v_add_co_ci_u32_e64 v5, null, s25, 0, s9
	s_add_u32 s9, s12, s26
	s_addc_u32 s11, s13, s27
	s_add_u32 s24, s9, s0
	s_addc_u32 s25, s11, s1
	v_mul_lo_u32 v5, v5, s17
	v_mad_u64_u32 v[1:2], null, v4, s17, s[24:25]
	v_mul_lo_u32 v4, v4, s20
	v_add3_u32 v3, s8, v3, 0x2400
	s_delay_alu instid0(VALU_DEP_3) | instskip(NEXT) | instid1(VALU_DEP_3)
	v_add_co_u32 v1, vcc_lo, v1, 8
	v_add3_u32 v2, v5, v2, v4
	s_delay_alu instid0(VALU_DEP_1)
	v_add_co_ci_u32_e32 v2, vcc_lo, 0, v2, vcc_lo
	.p2align	6
.LBB226_21:                             ; =>This Inner Loop Header: Depth=1
	global_load_b128 v[4:7], v[1:2], off offset:-8
	v_add_co_u32 v1, vcc_lo, v1, 16
	v_add_co_ci_u32_e32 v2, vcc_lo, 0, v2, vcc_lo
	s_add_i32 s10, s10, -1
	s_delay_alu instid0(SALU_CYCLE_1) | instskip(SKIP_3) | instid1(VALU_DEP_2)
	s_cmp_lg_u32 s10, 0
	s_waitcnt vmcnt(0)
	v_mul_f64 v[8:9], s[6:7], v[6:7]
	v_mul_f64 v[10:11], s[4:5], v[6:7]
	v_fma_f64 v[6:7], s[4:5], v[4:5], -v[8:9]
	s_delay_alu instid0(VALU_DEP_2)
	v_fma_f64 v[8:9], s[6:7], v[4:5], v[10:11]
	ds_store_b128 v3, v[6:9]
	v_add_nc_u32_e32 v3, 0x180, v3
	s_cbranch_scc1 .LBB226_21
.LBB226_22:
	s_or_b32 exec_lo, exec_lo, s22
	s_or_b32 s6, 0, 8
	s_cmpk_eq_i32 s16, 0x6f
	s_mov_b32 s4, -1
	s_waitcnt vmcnt(0) lgkmcnt(0)
	s_waitcnt_vscnt null, 0x0
	; wave barrier
	s_waitcnt lgkmcnt(0)
	buffer_gl0_inv
	s_cbranch_scc1 .LBB226_43
; %bb.23:
	v_lshl_or_b32 v5, v0, 4, 0x2400
	s_lshl_b32 s7, s15, 4
	s_mov_b32 s5, 0
	s_add_i32 s7, s7, -16
	s_mov_b32 s4, s5
	s_mov_b32 s8, s28
	s_branch .LBB226_25
.LBB226_24:                             ;   in Loop: Header=BB226_25 Depth=1
	s_cmp_lt_i32 s8, 0
	s_cselect_b32 s9, -1, 0
	s_add_i32 s4, s4, 1
	s_delay_alu instid0(SALU_CYCLE_1) | instskip(SKIP_1) | instid1(SALU_CYCLE_1)
	s_cmp_eq_u32 s4, 3
	s_cselect_b32 s10, -1, 0
	s_or_b32 s9, s9, s10
	s_delay_alu instid0(SALU_CYCLE_1)
	s_and_not1_b32 vcc_lo, exec_lo, s9
	s_cbranch_vccz .LBB226_42
.LBB226_25:                             ; =>This Loop Header: Depth=1
                                        ;     Child Loop BB226_28 Depth 2
                                        ;       Child Loop BB226_29 Depth 3
                                        ;       Child Loop BB226_31 Depth 3
                                        ;         Child Loop BB226_32 Depth 4
                                        ;       Child Loop BB226_36 Depth 3
                                        ;         Child Loop BB226_38 Depth 4
	s_getpc_b64 s[10:11]
	s_add_u32 s10, s10, __const._ZL38rocblas_trsm_small_left_device_sharedBILi24ELi24ELb1E19rocblas_complex_numIdES1_PKPKS1_PKPS1_Ev13rocblas_fill_18rocblas_operation_17rocblas_diagonal_iiT3_T4_lilT5_lili.step_sizes@rel32@lo+4
	s_addc_u32 s11, s11, __const._ZL38rocblas_trsm_small_left_device_sharedBILi24ELi24ELb1E19rocblas_complex_numIdES1_PKPKS1_PKPS1_Ev13rocblas_fill_18rocblas_operation_17rocblas_diagonal_iiT3_T4_lilT5_lili.step_sizes@rel32@hi+12
	s_lshl_b64 s[22:23], s[4:5], 2
	s_delay_alu instid0(SALU_CYCLE_1) | instskip(SKIP_4) | instid1(SALU_CYCLE_1)
	s_add_u32 s10, s22, s10
	s_addc_u32 s11, s23, s11
	s_load_b32 s9, s[10:11], 0x0
	s_waitcnt lgkmcnt(0)
	s_add_i32 s10, s9, -1
	s_cmp_lt_i32 s8, s10
	s_cbranch_scc1 .LBB226_24
; %bb.26:                               ;   in Loop: Header=BB226_25 Depth=1
	s_mul_i32 s22, s8, 0x180
	s_max_i32 s11, s9, 1
	v_add_nc_u32_e32 v6, s22, v5
	s_mul_i32 s16, s9, 0xfffffe80
	s_add_i32 s22, s7, s22
	s_mul_i32 s23, s8, 0x190
	s_mul_i32 s24, s9, 0xfffffe70
	s_branch .LBB226_28
.LBB226_27:                             ;   in Loop: Header=BB226_28 Depth=2
	v_add_nc_u32_e32 v6, s16, v6
	s_sub_i32 s8, s8, s9
	s_add_i32 s22, s22, s16
	s_add_i32 s23, s23, s24
	s_cmp_lt_i32 s8, s10
	s_cbranch_scc1 .LBB226_24
.LBB226_28:                             ;   Parent Loop BB226_25 Depth=1
                                        ; =>  This Loop Header: Depth=2
                                        ;       Child Loop BB226_29 Depth 3
                                        ;       Child Loop BB226_31 Depth 3
                                        ;         Child Loop BB226_32 Depth 4
                                        ;       Child Loop BB226_36 Depth 3
                                        ;         Child Loop BB226_38 Depth 4
	v_dual_mov_b32 v1, 0 :: v_dual_mov_b32 v2, v6
	s_mov_b32 s25, s11
.LBB226_29:                             ;   Parent Loop BB226_25 Depth=1
                                        ;     Parent Loop BB226_28 Depth=2
                                        ; =>    This Inner Loop Header: Depth=3
	ds_load_b128 v[7:10], v2
	v_add_nc_u32_e32 v2, 0xfffffe80, v2
	s_add_i32 s25, s25, -1
	s_delay_alu instid0(SALU_CYCLE_1)
	s_cmp_eq_u32 s25, 0
	s_waitcnt lgkmcnt(0)
	scratch_store_b128 v1, v[7:10], off
	v_add_nc_u32_e32 v1, 16, v1
	s_cbranch_scc0 .LBB226_29
; %bb.30:                               ;   in Loop: Header=BB226_28 Depth=2
	s_cmp_le_i32 s28, s8
	s_mov_b32 s25, s22
	s_mov_b32 s26, s28
	s_cbranch_scc1 .LBB226_34
	.p2align	6
.LBB226_31:                             ;   Parent Loop BB226_25 Depth=1
                                        ;     Parent Loop BB226_28 Depth=2
                                        ; =>    This Loop Header: Depth=3
                                        ;         Child Loop BB226_32 Depth 4
	s_mul_i32 s27, s26, 24
	s_mov_b32 s29, s25
	v_add_lshl_u32 v1, s27, v0, 4
	s_mov_b32 s27, s6
	s_mov_b32 s30, s11
	ds_load_b128 v[1:4], v1 offset:9216
	.p2align	6
.LBB226_32:                             ;   Parent Loop BB226_25 Depth=1
                                        ;     Parent Loop BB226_28 Depth=2
                                        ;       Parent Loop BB226_31 Depth=3
                                        ; =>      This Inner Loop Header: Depth=4
	scratch_load_b128 v[7:10], off, s27 offset:-8
	v_mov_b32_e32 v11, s29
	s_add_i32 s30, s30, -1
	s_addk_i32 s29, 0xfe80
	ds_load_b128 v[11:14], v11
	s_waitcnt lgkmcnt(0)
	v_mul_f64 v[15:16], v[3:4], v[13:14]
	v_mul_f64 v[13:14], v[1:2], v[13:14]
	s_delay_alu instid0(VALU_DEP_2) | instskip(NEXT) | instid1(VALU_DEP_2)
	v_fma_f64 v[15:16], v[1:2], v[11:12], -v[15:16]
	v_fma_f64 v[11:12], v[3:4], v[11:12], v[13:14]
	s_waitcnt vmcnt(0)
	s_delay_alu instid0(VALU_DEP_2) | instskip(NEXT) | instid1(VALU_DEP_2)
	v_add_f64 v[7:8], v[7:8], -v[15:16]
	v_add_f64 v[9:10], v[9:10], -v[11:12]
	scratch_store_b128 off, v[7:10], s27 offset:-8
	s_add_i32 s27, s27, 16
	s_cmp_eq_u32 s30, 0
	s_cbranch_scc0 .LBB226_32
; %bb.33:                               ;   in Loop: Header=BB226_31 Depth=3
	s_add_i32 s26, s26, -1
	s_add_i32 s25, s25, -16
	s_cmp_le_i32 s26, s8
	s_cbranch_scc0 .LBB226_31
.LBB226_34:                             ;   in Loop: Header=BB226_28 Depth=2
	s_mul_i32 s25, s8, 24
	s_mov_b32 s26, 0
	s_mov_b32 s27, s23
	s_branch .LBB226_36
.LBB226_35:                             ;   in Loop: Header=BB226_36 Depth=3
	s_mulk_i32 s30, 0x190
	s_addk_i32 s27, 0xfe80
	v_mov_b32_e32 v7, s30
	s_lshl_b32 s30, s26, 4
	s_add_i32 s26, s26, 1
	ds_load_b128 v[7:10], v7
	s_waitcnt vmcnt(0) lgkmcnt(0)
	v_mul_f64 v[11:12], v[9:10], v[3:4]
	v_mul_f64 v[3:4], v[7:8], v[3:4]
	s_delay_alu instid0(VALU_DEP_2) | instskip(NEXT) | instid1(VALU_DEP_2)
	v_fma_f64 v[7:8], v[7:8], v[1:2], -v[11:12]
	v_fma_f64 v[9:10], v[9:10], v[1:2], v[3:4]
	v_add_lshl_u32 v1, s29, v0, 4
	s_add_i32 s29, s30, 0
	s_cmp_eq_u32 s26, s11
	scratch_store_b128 off, v[7:10], s29
	ds_store_b128 v1, v[7:10] offset:9216
	s_cbranch_scc1 .LBB226_27
.LBB226_36:                             ;   Parent Loop BB226_25 Depth=1
                                        ;     Parent Loop BB226_28 Depth=2
                                        ; =>    This Loop Header: Depth=3
                                        ;         Child Loop BB226_38 Depth 4
	s_cmp_lg_u32 s26, 0
	s_cbranch_scc0 .LBB226_40
; %bb.37:                               ;   in Loop: Header=BB226_36 Depth=3
	s_lshl_b32 s31, s26, 4
	s_sub_i32 s30, s8, s26
	s_add_i32 s29, s31, 0
	v_add_nc_u32_e64 v7, s31, 0
	scratch_load_b128 v[1:4], off, s29
	s_mul_i32 s29, s30, 24
	s_mov_b32 s31, 0
	s_mov_b32 s33, s6
	;; [unrolled: 1-line block ×3, first 2 shown]
	.p2align	6
.LBB226_38:                             ;   Parent Loop BB226_25 Depth=1
                                        ;     Parent Loop BB226_28 Depth=2
                                        ;       Parent Loop BB226_36 Depth=3
                                        ; =>      This Inner Loop Header: Depth=4
	scratch_load_b128 v[8:11], off, s33 offset:-8
	v_mov_b32_e32 v12, s34
	s_add_i32 s31, s31, 1
	s_add_i32 s34, s34, -16
	s_add_i32 s33, s33, 16
	s_cmp_ge_u32 s31, s26
	ds_load_b128 v[12:15], v12
	s_waitcnt vmcnt(0) lgkmcnt(0)
	v_mul_f64 v[16:17], v[14:15], v[10:11]
	v_mul_f64 v[10:11], v[12:13], v[10:11]
	s_delay_alu instid0(VALU_DEP_2) | instskip(NEXT) | instid1(VALU_DEP_2)
	v_fma_f64 v[12:13], v[12:13], v[8:9], -v[16:17]
	v_fma_f64 v[8:9], v[14:15], v[8:9], v[10:11]
	s_delay_alu instid0(VALU_DEP_2) | instskip(NEXT) | instid1(VALU_DEP_2)
	v_add_f64 v[1:2], v[1:2], -v[12:13]
	v_add_f64 v[3:4], v[3:4], -v[8:9]
	scratch_store_b128 v7, v[1:4], off
	s_cbranch_scc0 .LBB226_38
; %bb.39:                               ;   in Loop: Header=BB226_36 Depth=3
	s_branch .LBB226_35
.LBB226_40:                             ;   in Loop: Header=BB226_36 Depth=3
                                        ; implicit-def: $vgpr1_vgpr2
                                        ; implicit-def: $sgpr30
                                        ; implicit-def: $sgpr29
	s_cbranch_execz .LBB226_35
; %bb.41:                               ;   in Loop: Header=BB226_36 Depth=3
	scratch_load_b128 v[1:4], off, off
	s_mov_b32 s29, s25
	s_mov_b32 s30, s8
	s_branch .LBB226_35
.LBB226_42:
	s_mov_b32 s4, 0
.LBB226_43:
	s_delay_alu instid0(SALU_CYCLE_1)
	s_and_b32 vcc_lo, exec_lo, s4
	s_cbranch_vccz .LBB226_64
; %bb.44:
	v_lshl_or_b32 v5, v0, 4, 0x2400
	s_mov_b32 s5, 0
	s_delay_alu instid0(SALU_CYCLE_1)
	s_mov_b32 s4, s5
	s_mov_b32 s7, s5
	s_branch .LBB226_46
.LBB226_45:                             ;   in Loop: Header=BB226_46 Depth=1
	s_cmp_ge_i32 s7, s15
	s_cselect_b32 s8, -1, 0
	s_add_i32 s4, s4, 1
	s_delay_alu instid0(SALU_CYCLE_1) | instskip(SKIP_1) | instid1(SALU_CYCLE_1)
	s_cmp_eq_u32 s4, 3
	s_cselect_b32 s9, -1, 0
	s_or_b32 s8, s8, s9
	s_delay_alu instid0(SALU_CYCLE_1)
	s_and_b32 vcc_lo, exec_lo, s8
	s_cbranch_vccnz .LBB226_64
.LBB226_46:                             ; =>This Loop Header: Depth=1
                                        ;     Child Loop BB226_49 Depth 2
                                        ;       Child Loop BB226_50 Depth 3
                                        ;       Child Loop BB226_53 Depth 3
                                        ;         Child Loop BB226_54 Depth 4
                                        ;       Child Loop BB226_58 Depth 3
                                        ;         Child Loop BB226_60 Depth 4
	s_getpc_b64 s[8:9]
	s_add_u32 s8, s8, __const._ZL38rocblas_trsm_small_left_device_sharedBILi24ELi24ELb1E19rocblas_complex_numIdES1_PKPKS1_PKPS1_Ev13rocblas_fill_18rocblas_operation_17rocblas_diagonal_iiT3_T4_lilT5_lili.step_sizes@rel32@lo+4
	s_addc_u32 s9, s9, __const._ZL38rocblas_trsm_small_left_device_sharedBILi24ELi24ELb1E19rocblas_complex_numIdES1_PKPKS1_PKPS1_Ev13rocblas_fill_18rocblas_operation_17rocblas_diagonal_iiT3_T4_lilT5_lili.step_sizes@rel32@hi+12
	s_lshl_b64 s[10:11], s[4:5], 2
	s_delay_alu instid0(SALU_CYCLE_1) | instskip(SKIP_4) | instid1(SALU_CYCLE_1)
	s_add_u32 s8, s10, s8
	s_addc_u32 s9, s11, s9
	s_load_b32 s8, s[8:9], 0x0
	s_waitcnt lgkmcnt(0)
	s_add_i32 s9, s8, -1
	s_add_i32 s10, s9, s7
	s_delay_alu instid0(SALU_CYCLE_1)
	s_cmp_ge_i32 s10, s15
	s_cbranch_scc1 .LBB226_45
; %bb.47:                               ;   in Loop: Header=BB226_46 Depth=1
	v_mad_u64_u32 v[6:7], null, 0x180, s7, v[5:6]
	s_max_i32 s10, s8, 1
	s_mul_i32 s11, s8, 0x180
	s_lshl_b32 s16, s7, 4
	s_lshl_b32 s22, s8, 4
	s_mul_i32 s23, s7, 0x190
	s_mul_i32 s24, s8, 0x190
	s_branch .LBB226_49
.LBB226_48:                             ;   in Loop: Header=BB226_49 Depth=2
	s_add_i32 s7, s7, s8
	v_add_nc_u32_e32 v6, s11, v6
	s_add_i32 s25, s9, s7
	s_add_i32 s16, s16, s22
	;; [unrolled: 1-line block ×3, first 2 shown]
	s_cmp_ge_i32 s25, s15
	s_cbranch_scc1 .LBB226_45
.LBB226_49:                             ;   Parent Loop BB226_46 Depth=1
                                        ; =>  This Loop Header: Depth=2
                                        ;       Child Loop BB226_50 Depth 3
                                        ;       Child Loop BB226_53 Depth 3
                                        ;         Child Loop BB226_54 Depth 4
                                        ;       Child Loop BB226_58 Depth 3
                                        ;         Child Loop BB226_60 Depth 4
	v_dual_mov_b32 v1, 0 :: v_dual_mov_b32 v2, v6
	s_mov_b32 s25, s10
.LBB226_50:                             ;   Parent Loop BB226_46 Depth=1
                                        ;     Parent Loop BB226_49 Depth=2
                                        ; =>    This Inner Loop Header: Depth=3
	ds_load_b128 v[7:10], v2
	v_add_nc_u32_e32 v2, 0x180, v2
	s_add_i32 s25, s25, -1
	s_delay_alu instid0(SALU_CYCLE_1)
	s_cmp_eq_u32 s25, 0
	s_waitcnt lgkmcnt(0)
	scratch_store_b128 v1, v[7:10], off
	v_add_nc_u32_e32 v1, 16, v1
	s_cbranch_scc0 .LBB226_50
; %bb.51:                               ;   in Loop: Header=BB226_49 Depth=2
	s_cmp_lt_i32 s7, 1
	s_cbranch_scc1 .LBB226_56
; %bb.52:                               ;   in Loop: Header=BB226_49 Depth=2
	s_mov_b32 s25, 0
	s_mov_b32 s26, s16
	s_set_inst_prefetch_distance 0x1
	.p2align	6
.LBB226_53:                             ;   Parent Loop BB226_46 Depth=1
                                        ;     Parent Loop BB226_49 Depth=2
                                        ; =>    This Loop Header: Depth=3
                                        ;         Child Loop BB226_54 Depth 4
	s_mul_i32 s27, s25, 24
	s_mov_b32 s28, s26
	v_add_lshl_u32 v1, s27, v0, 4
	s_mov_b32 s27, s6
	s_mov_b32 s29, s10
	ds_load_b128 v[1:4], v1 offset:9216
	.p2align	6
.LBB226_54:                             ;   Parent Loop BB226_46 Depth=1
                                        ;     Parent Loop BB226_49 Depth=2
                                        ;       Parent Loop BB226_53 Depth=3
                                        ; =>      This Inner Loop Header: Depth=4
	scratch_load_b128 v[7:10], off, s27 offset:-8
	v_mov_b32_e32 v11, s28
	s_add_i32 s29, s29, -1
	s_add_i32 s28, s28, 16
	ds_load_b128 v[11:14], v11
	s_waitcnt lgkmcnt(0)
	v_mul_f64 v[15:16], v[3:4], v[13:14]
	v_mul_f64 v[13:14], v[1:2], v[13:14]
	s_delay_alu instid0(VALU_DEP_2) | instskip(NEXT) | instid1(VALU_DEP_2)
	v_fma_f64 v[15:16], v[1:2], v[11:12], -v[15:16]
	v_fma_f64 v[11:12], v[3:4], v[11:12], v[13:14]
	s_waitcnt vmcnt(0)
	s_delay_alu instid0(VALU_DEP_2) | instskip(NEXT) | instid1(VALU_DEP_2)
	v_add_f64 v[7:8], v[7:8], -v[15:16]
	v_add_f64 v[9:10], v[9:10], -v[11:12]
	scratch_store_b128 off, v[7:10], s27 offset:-8
	s_add_i32 s27, s27, 16
	s_cmp_eq_u32 s29, 0
	s_cbranch_scc0 .LBB226_54
; %bb.55:                               ;   in Loop: Header=BB226_53 Depth=3
	s_add_i32 s25, s25, 1
	s_addk_i32 s26, 0x180
	s_cmp_ge_i32 s25, s7
	s_cbranch_scc0 .LBB226_53
.LBB226_56:                             ;   in Loop: Header=BB226_49 Depth=2
	s_set_inst_prefetch_distance 0x2
	s_mov_b32 s25, 0
	s_mov_b32 s26, s23
	s_branch .LBB226_58
.LBB226_57:                             ;   in Loop: Header=BB226_58 Depth=3
	s_mul_i32 s28, s27, 0x190
	s_mul_i32 s27, s27, 24
	v_mov_b32_e32 v7, s28
	s_lshl_b32 s28, s25, 4
	s_add_i32 s25, s25, 1
	s_add_i32 s26, s26, 16
	ds_load_b128 v[7:10], v7
	s_waitcnt vmcnt(0) lgkmcnt(0)
	v_mul_f64 v[11:12], v[9:10], v[3:4]
	v_mul_f64 v[3:4], v[7:8], v[3:4]
	s_delay_alu instid0(VALU_DEP_2) | instskip(NEXT) | instid1(VALU_DEP_2)
	v_fma_f64 v[7:8], v[7:8], v[1:2], -v[11:12]
	v_fma_f64 v[9:10], v[9:10], v[1:2], v[3:4]
	v_add_lshl_u32 v1, s27, v0, 4
	s_add_i32 s27, s28, 0
	s_cmp_eq_u32 s25, s10
	scratch_store_b128 off, v[7:10], s27
	ds_store_b128 v1, v[7:10] offset:9216
	s_cbranch_scc1 .LBB226_48
.LBB226_58:                             ;   Parent Loop BB226_46 Depth=1
                                        ;     Parent Loop BB226_49 Depth=2
                                        ; =>    This Loop Header: Depth=3
                                        ;         Child Loop BB226_60 Depth 4
	s_cmp_lg_u32 s25, 0
	s_cbranch_scc0 .LBB226_62
; %bb.59:                               ;   in Loop: Header=BB226_58 Depth=3
	s_lshl_b32 s28, s25, 4
	s_mov_b32 s29, s6
	s_add_i32 s27, s28, 0
	v_add_nc_u32_e64 v7, s28, 0
	scratch_load_b128 v[1:4], off, s27
	s_add_i32 s27, s25, s7
	s_mov_b32 s28, 0
	s_mov_b32 s30, s26
	.p2align	6
.LBB226_60:                             ;   Parent Loop BB226_46 Depth=1
                                        ;     Parent Loop BB226_49 Depth=2
                                        ;       Parent Loop BB226_58 Depth=3
                                        ; =>      This Inner Loop Header: Depth=4
	scratch_load_b128 v[8:11], off, s29 offset:-8
	v_mov_b32_e32 v12, s30
	s_add_i32 s28, s28, 1
	s_addk_i32 s30, 0x180
	s_add_i32 s29, s29, 16
	s_cmp_ge_u32 s28, s25
	ds_load_b128 v[12:15], v12
	s_waitcnt vmcnt(0) lgkmcnt(0)
	v_mul_f64 v[16:17], v[14:15], v[10:11]
	v_mul_f64 v[10:11], v[12:13], v[10:11]
	s_delay_alu instid0(VALU_DEP_2) | instskip(NEXT) | instid1(VALU_DEP_2)
	v_fma_f64 v[12:13], v[12:13], v[8:9], -v[16:17]
	v_fma_f64 v[8:9], v[14:15], v[8:9], v[10:11]
	s_delay_alu instid0(VALU_DEP_2) | instskip(NEXT) | instid1(VALU_DEP_2)
	v_add_f64 v[1:2], v[1:2], -v[12:13]
	v_add_f64 v[3:4], v[3:4], -v[8:9]
	scratch_store_b128 v7, v[1:4], off
	s_cbranch_scc0 .LBB226_60
; %bb.61:                               ;   in Loop: Header=BB226_58 Depth=3
	s_branch .LBB226_57
.LBB226_62:                             ;   in Loop: Header=BB226_58 Depth=3
                                        ; implicit-def: $vgpr1_vgpr2
                                        ; implicit-def: $sgpr27
	s_cbranch_execz .LBB226_57
; %bb.63:                               ;   in Loop: Header=BB226_58 Depth=3
	scratch_load_b128 v[1:4], off, off
	s_mov_b32 s27, s7
	s_branch .LBB226_57
.LBB226_64:
	s_waitcnt vmcnt(0) lgkmcnt(0)
	s_waitcnt_vscnt null, 0x0
	; wave barrier
	s_waitcnt lgkmcnt(0)
	s_waitcnt_vscnt null, 0x0
	buffer_gl0_inv
	s_and_saveexec_b32 s4, s21
	s_cbranch_execz .LBB226_71
; %bb.65:
	s_cmp_lt_i32 s18, 8
	s_mov_b32 s4, 0
	s_cbranch_scc1 .LBB226_68
; %bb.66:
	v_mad_i64_i32 v[1:2], null, s17, v0, 0
	v_lshl_or_b32 v3, v0, 4, 0x2400
	s_lshl_b32 s4, s15, 4
	s_mov_b64 s[6:7], 0
	s_and_b32 s5, s4, 0x180
	s_mov_b32 s4, 0
	s_delay_alu instid0(VALU_DEP_2) | instskip(NEXT) | instid1(VALU_DEP_1)
	v_lshlrev_b64 v[1:2], 4, v[1:2]
	v_add_co_u32 v1, vcc_lo, s14, v1
	s_delay_alu instid0(VALU_DEP_2)
	v_add_co_ci_u32_e32 v2, vcc_lo, s19, v2, vcc_lo
	s_set_inst_prefetch_distance 0x1
	.p2align	6
.LBB226_67:                             ; =>This Inner Loop Header: Depth=1
	v_add_nc_u32_e32 v28, 0x900, v3
	v_add_nc_u32_e32 v32, 0xa80, v3
	ds_load_2addr_b64 v[4:7], v3 offset1:1
	ds_load_2addr_b64 v[8:11], v3 offset0:48 offset1:49
	ds_load_2addr_b64 v[12:15], v3 offset0:96 offset1:97
	ds_load_2addr_b64 v[16:19], v3 offset0:144 offset1:145
	ds_load_2addr_b64 v[20:23], v3 offset0:192 offset1:193
	ds_load_2addr_b64 v[24:27], v3 offset0:240 offset1:241
	ds_load_2addr_b64 v[28:31], v28 offset1:1
	ds_load_2addr_b64 v[32:35], v32 offset1:1
	v_add_co_u32 v36, vcc_lo, v1, s6
	v_add_co_ci_u32_e32 v37, vcc_lo, s7, v2, vcc_lo
	s_add_i32 s4, s4, 8
	v_add_nc_u32_e32 v3, 0xc00, v3
	s_add_u32 s6, s6, 0x80
	s_addc_u32 s7, s7, 0
	s_cmp_lg_u32 s5, s6
	s_waitcnt lgkmcnt(7)
	global_store_b128 v[36:37], v[4:7], off
	s_waitcnt lgkmcnt(6)
	global_store_b128 v[36:37], v[8:11], off offset:16
	s_waitcnt lgkmcnt(5)
	global_store_b128 v[36:37], v[12:15], off offset:32
	;; [unrolled: 2-line block ×7, first 2 shown]
	s_cbranch_scc1 .LBB226_67
.LBB226_68:
	s_set_inst_prefetch_distance 0x2
	s_and_b32 s6, s15, 7
	s_mov_b32 s5, 0
	s_cmp_eq_u32 s6, 0
	s_cbranch_scc1 .LBB226_71
; %bb.69:
	v_lshlrev_b32_e32 v2, 4, v0
	s_lshl_b64 s[2:3], s[2:3], 4
	s_lshl_b64 s[8:9], s[4:5], 4
	s_delay_alu instid0(VALU_DEP_1) | instskip(NEXT) | instid1(VALU_DEP_1)
	v_add_co_u32 v3, s2, s2, v2
	v_add_co_ci_u32_e64 v4, null, s3, 0, s2
	s_add_u32 s2, s12, s8
	s_addc_u32 s3, s13, s9
	s_add_u32 s0, s2, s0
	s_addc_u32 s1, s3, s1
	v_mul_lo_u32 v4, v4, s17
	v_mad_u64_u32 v[0:1], null, v3, s17, s[0:1]
	v_mul_lo_u32 v3, v3, s20
	s_mul_i32 s0, s4, 0x180
	s_delay_alu instid0(SALU_CYCLE_1) | instskip(NEXT) | instid1(VALU_DEP_2)
	v_add3_u32 v2, s0, v2, 0x2400
	v_add3_u32 v1, v4, v1, v3
.LBB226_70:                             ; =>This Inner Loop Header: Depth=1
	ds_load_2addr_b64 v[3:6], v2 offset1:1
	v_add_nc_u32_e32 v2, 0x180, v2
	s_add_i32 s6, s6, -1
	s_delay_alu instid0(SALU_CYCLE_1)
	s_cmp_lg_u32 s6, 0
	s_waitcnt lgkmcnt(0)
	global_store_b128 v[0:1], v[3:6], off
	v_add_co_u32 v0, vcc_lo, v0, 16
	v_add_co_ci_u32_e32 v1, vcc_lo, 0, v1, vcc_lo
	s_cbranch_scc1 .LBB226_70
.LBB226_71:
	s_nop 0
	s_sendmsg sendmsg(MSG_DEALLOC_VGPRS)
	s_endpgm
	.section	.rodata,"a",@progbits
	.p2align	6, 0x0
	.amdhsa_kernel _ZL38rocblas_trsm_small_left_device_sharedBILi24ELi24ELb1E19rocblas_complex_numIdES1_PKPKS1_PKPS1_Ev13rocblas_fill_18rocblas_operation_17rocblas_diagonal_iiT3_T4_lilT5_lili
		.amdhsa_group_segment_fixed_size 18432
		.amdhsa_private_segment_fixed_size 400
		.amdhsa_kernarg_size 368
		.amdhsa_user_sgpr_count 14
		.amdhsa_user_sgpr_dispatch_ptr 0
		.amdhsa_user_sgpr_queue_ptr 0
		.amdhsa_user_sgpr_kernarg_segment_ptr 1
		.amdhsa_user_sgpr_dispatch_id 0
		.amdhsa_user_sgpr_private_segment_size 0
		.amdhsa_wavefront_size32 1
		.amdhsa_uses_dynamic_stack 0
		.amdhsa_enable_private_segment 1
		.amdhsa_system_sgpr_workgroup_id_x 1
		.amdhsa_system_sgpr_workgroup_id_y 0
		.amdhsa_system_sgpr_workgroup_id_z 1
		.amdhsa_system_sgpr_workgroup_info 0
		.amdhsa_system_vgpr_workitem_id 0
		.amdhsa_next_free_vgpr 54
		.amdhsa_next_free_sgpr 35
		.amdhsa_reserve_vcc 1
		.amdhsa_float_round_mode_32 0
		.amdhsa_float_round_mode_16_64 0
		.amdhsa_float_denorm_mode_32 3
		.amdhsa_float_denorm_mode_16_64 3
		.amdhsa_dx10_clamp 1
		.amdhsa_ieee_mode 1
		.amdhsa_fp16_overflow 0
		.amdhsa_workgroup_processor_mode 1
		.amdhsa_memory_ordered 1
		.amdhsa_forward_progress 0
		.amdhsa_shared_vgpr_count 0
		.amdhsa_exception_fp_ieee_invalid_op 0
		.amdhsa_exception_fp_denorm_src 0
		.amdhsa_exception_fp_ieee_div_zero 0
		.amdhsa_exception_fp_ieee_overflow 0
		.amdhsa_exception_fp_ieee_underflow 0
		.amdhsa_exception_fp_ieee_inexact 0
		.amdhsa_exception_int_div_zero 0
	.end_amdhsa_kernel
	.section	.text._ZL38rocblas_trsm_small_left_device_sharedBILi24ELi24ELb1E19rocblas_complex_numIdES1_PKPKS1_PKPS1_Ev13rocblas_fill_18rocblas_operation_17rocblas_diagonal_iiT3_T4_lilT5_lili,"axG",@progbits,_ZL38rocblas_trsm_small_left_device_sharedBILi24ELi24ELb1E19rocblas_complex_numIdES1_PKPKS1_PKPS1_Ev13rocblas_fill_18rocblas_operation_17rocblas_diagonal_iiT3_T4_lilT5_lili,comdat
.Lfunc_end226:
	.size	_ZL38rocblas_trsm_small_left_device_sharedBILi24ELi24ELb1E19rocblas_complex_numIdES1_PKPKS1_PKPS1_Ev13rocblas_fill_18rocblas_operation_17rocblas_diagonal_iiT3_T4_lilT5_lili, .Lfunc_end226-_ZL38rocblas_trsm_small_left_device_sharedBILi24ELi24ELb1E19rocblas_complex_numIdES1_PKPKS1_PKPS1_Ev13rocblas_fill_18rocblas_operation_17rocblas_diagonal_iiT3_T4_lilT5_lili
                                        ; -- End function
	.section	.AMDGPU.csdata,"",@progbits
; Kernel info:
; codeLenInByte = 4300
; NumSgprs: 37
; NumVgprs: 54
; ScratchSize: 400
; MemoryBound: 0
; FloatMode: 240
; IeeeMode: 1
; LDSByteSize: 18432 bytes/workgroup (compile time only)
; SGPRBlocks: 4
; VGPRBlocks: 6
; NumSGPRsForWavesPerEU: 37
; NumVGPRsForWavesPerEU: 54
; Occupancy: 2
; WaveLimiterHint : 1
; COMPUTE_PGM_RSRC2:SCRATCH_EN: 1
; COMPUTE_PGM_RSRC2:USER_SGPR: 14
; COMPUTE_PGM_RSRC2:TRAP_HANDLER: 0
; COMPUTE_PGM_RSRC2:TGID_X_EN: 1
; COMPUTE_PGM_RSRC2:TGID_Y_EN: 0
; COMPUTE_PGM_RSRC2:TGID_Z_EN: 1
; COMPUTE_PGM_RSRC2:TIDIG_COMP_CNT: 0
	.section	.text._ZL30rocblas_trsm_small_left_deviceILi24ELi24ELb1E19rocblas_complex_numIdES1_PKPKS1_PKPS1_Ev13rocblas_fill_18rocblas_operation_17rocblas_diagonal_iiT3_T4_lilT5_lili,"axG",@progbits,_ZL30rocblas_trsm_small_left_deviceILi24ELi24ELb1E19rocblas_complex_numIdES1_PKPKS1_PKPS1_Ev13rocblas_fill_18rocblas_operation_17rocblas_diagonal_iiT3_T4_lilT5_lili,comdat
	.globl	_ZL30rocblas_trsm_small_left_deviceILi24ELi24ELb1E19rocblas_complex_numIdES1_PKPKS1_PKPS1_Ev13rocblas_fill_18rocblas_operation_17rocblas_diagonal_iiT3_T4_lilT5_lili ; -- Begin function _ZL30rocblas_trsm_small_left_deviceILi24ELi24ELb1E19rocblas_complex_numIdES1_PKPKS1_PKPS1_Ev13rocblas_fill_18rocblas_operation_17rocblas_diagonal_iiT3_T4_lilT5_lili
	.p2align	8
	.type	_ZL30rocblas_trsm_small_left_deviceILi24ELi24ELb1E19rocblas_complex_numIdES1_PKPKS1_PKPS1_Ev13rocblas_fill_18rocblas_operation_17rocblas_diagonal_iiT3_T4_lilT5_lili,@function
_ZL30rocblas_trsm_small_left_deviceILi24ELi24ELb1E19rocblas_complex_numIdES1_PKPKS1_PKPS1_Ev13rocblas_fill_18rocblas_operation_17rocblas_diagonal_iiT3_T4_lilT5_lili: ; @_ZL30rocblas_trsm_small_left_deviceILi24ELi24ELb1E19rocblas_complex_numIdES1_PKPKS1_PKPS1_Ev13rocblas_fill_18rocblas_operation_17rocblas_diagonal_iiT3_T4_lilT5_lili
; %bb.0:
	s_clause 0x1
	s_load_b128 s[20:23], s[0:1], 0x48
	s_load_b128 s[16:19], s[0:1], 0x4
	s_mov_b32 s2, s15
	s_mov_b32 s3, 0
	s_load_b32 s15, s[0:1], 0x70
	s_lshl_b64 s[24:25], s[2:3], 3
	s_mov_b32 s29, exec_lo
	s_waitcnt lgkmcnt(0)
	s_add_u32 s12, s20, s24
	s_addc_u32 s13, s21, s25
	s_load_b256 s[4:11], s[0:1], 0x18
	s_load_b64 s[12:13], s[12:13], 0x0
	s_min_i32 s18, s18, 24
	s_delay_alu instid0(SALU_CYCLE_1)
	s_add_i32 s28, s18, -1
	v_cmpx_gt_i32_e64 s18, v0
	s_cbranch_execz .LBB227_15
; %bb.1:
	s_load_b32 s20, s[0:1], 0x38
	v_lshlrev_b32_e32 v3, 4, v0
	s_waitcnt lgkmcnt(0)
	s_ashr_i32 s21, s20, 31
	s_cmpk_eq_i32 s16, 0x71
	s_cselect_b32 vcc_lo, -1, 0
	s_add_u32 s8, s8, s24
	s_addc_u32 s9, s9, s25
	s_cmp_lt_u32 s28, 3
	s_load_b64 s[8:9], s[8:9], 0x0
	s_cbranch_scc1 .LBB227_4
; %bb.2:
	v_dual_mov_b32 v4, v3 :: v_dual_lshlrev_b32 v1, 4, v0
	s_lshl_b64 s[24:25], s[10:11], 4
	s_and_b32 s3, s18, -4
	s_waitcnt lgkmcnt(0)
	s_add_u32 s2, s8, s24
	s_addc_u32 s24, s9, s25
	v_add_co_u32 v1, s2, s2, v1
	s_delay_alu instid0(VALU_DEP_1) | instskip(SKIP_1) | instid1(VALU_DEP_2)
	v_add_co_ci_u32_e64 v2, null, s24, 0, s2
	s_lshl_b64 s[24:25], s[20:21], 6
	v_add_co_u32 v1, s2, v1, 8
	s_delay_alu instid0(VALU_DEP_1)
	v_add_co_ci_u32_e64 v2, s2, 0, v2, s2
	s_lshl_b64 s[26:27], s[20:21], 4
	s_mov_b32 s30, 0
.LBB227_3:                              ; =>This Inner Loop Header: Depth=1
	s_delay_alu instid0(VALU_DEP_2) | instskip(NEXT) | instid1(VALU_DEP_1)
	v_add_co_u32 v9, s2, v1, s26
	v_add_co_ci_u32_e64 v10, s2, s27, v2, s2
	s_add_i32 s30, s30, 4
	s_delay_alu instid0(VALU_DEP_2) | instskip(NEXT) | instid1(VALU_DEP_1)
	v_add_co_u32 v13, s2, v9, s26
	v_add_co_ci_u32_e64 v14, s2, s27, v10, s2
	s_cmp_eq_u32 s3, s30
	s_delay_alu instid0(VALU_DEP_2) | instskip(NEXT) | instid1(VALU_DEP_1)
	v_add_co_u32 v17, s2, v13, s26
	v_add_co_ci_u32_e64 v18, s2, s27, v14, s2
	s_clause 0x3
	global_load_b128 v[5:8], v[1:2], off offset:-8
	global_load_b128 v[9:12], v[9:10], off offset:-8
	global_load_b128 v[13:16], v[13:14], off offset:-8
	global_load_b128 v[17:20], v[17:18], off offset:-8
	v_add_co_u32 v1, s2, v1, s24
	s_delay_alu instid0(VALU_DEP_1)
	v_add_co_ci_u32_e64 v2, s2, s25, v2, s2
	s_waitcnt vmcnt(3)
	v_xor_b32_e32 v21, 0x80000000, v8
	s_waitcnt vmcnt(2)
	v_xor_b32_e32 v22, 0x80000000, v12
	;; [unrolled: 2-line block ×4, first 2 shown]
	v_cndmask_b32_e32 v8, v8, v21, vcc_lo
	v_cndmask_b32_e32 v12, v12, v22, vcc_lo
	;; [unrolled: 1-line block ×3, first 2 shown]
	s_delay_alu instid0(VALU_DEP_4)
	v_cndmask_b32_e32 v20, v20, v24, vcc_lo
	ds_store_b128 v4, v[5:8]
	ds_store_b128 v4, v[9:12] offset:384
	ds_store_b128 v4, v[13:16] offset:768
	;; [unrolled: 1-line block ×3, first 2 shown]
	v_add_nc_u32_e32 v4, 0x600, v4
	s_cbranch_scc0 .LBB227_3
.LBB227_4:
	s_and_b32 s24, s18, 3
	s_delay_alu instid0(SALU_CYCLE_1)
	s_cmp_eq_u32 s24, 0
	s_cbranch_scc1 .LBB227_7
; %bb.5:
	s_mul_i32 s2, s21, s3
	s_mul_hi_u32 s25, s20, s3
	s_mul_i32 s26, s20, s3
	s_add_i32 s27, s25, s2
	s_lshl_b64 s[10:11], s[10:11], 4
	s_lshl_b64 s[26:27], s[26:27], 4
	s_mul_i32 s2, s3, 0x180
	s_add_u32 s3, s26, s10
	s_addc_u32 s10, s27, s11
	s_waitcnt lgkmcnt(0)
	s_add_u32 s3, s8, s3
	s_addc_u32 s8, s9, s10
	v_add_co_u32 v1, s3, s3, v3
	s_delay_alu instid0(VALU_DEP_1) | instskip(SKIP_1) | instid1(VALU_DEP_3)
	v_add_co_ci_u32_e64 v2, null, s8, 0, s3
	v_lshl_add_u32 v3, v0, 4, s2
	v_add_co_u32 v1, s2, v1, 8
	s_delay_alu instid0(VALU_DEP_1)
	v_add_co_ci_u32_e64 v2, s2, 0, v2, s2
	s_lshl_b64 s[8:9], s[20:21], 4
.LBB227_6:                              ; =>This Inner Loop Header: Depth=1
	global_load_b128 v[4:7], v[1:2], off offset:-8
	v_add_co_u32 v1, s2, v1, s8
	s_delay_alu instid0(VALU_DEP_1) | instskip(SKIP_1) | instid1(SALU_CYCLE_1)
	v_add_co_ci_u32_e64 v2, s2, s9, v2, s2
	s_add_i32 s24, s24, -1
	s_cmp_lg_u32 s24, 0
	s_waitcnt vmcnt(0)
	v_xor_b32_e32 v8, 0x80000000, v7
	s_delay_alu instid0(VALU_DEP_1)
	v_cndmask_b32_e32 v7, v7, v8, vcc_lo
	ds_store_b128 v3, v[4:7]
	v_add_nc_u32_e32 v3, 0x180, v3
	s_cbranch_scc1 .LBB227_6
.LBB227_7:
	v_mul_u32_u24_e32 v1, 25, v0
	s_cmpk_lg_i32 s17, 0x84
	s_delay_alu instid0(VALU_DEP_1)
	v_lshlrev_b32_e32 v9, 4, v1
	s_cbranch_scc0 .LBB227_13
; %bb.8:
	ds_load_b128 v[1:4], v9
	s_waitcnt lgkmcnt(0)
	v_cmp_gt_f64_e32 vcc_lo, 0, v[1:2]
	v_xor_b32_e32 v6, 0x80000000, v2
	v_mov_b32_e32 v5, v1
	v_xor_b32_e32 v7, 0x80000000, v4
	s_delay_alu instid0(VALU_DEP_3) | instskip(SKIP_1) | instid1(VALU_DEP_3)
	v_cndmask_b32_e32 v6, v2, v6, vcc_lo
	v_cmp_gt_f64_e32 vcc_lo, 0, v[3:4]
	v_dual_cndmask_b32 v8, v4, v7 :: v_dual_mov_b32 v7, v3
	s_delay_alu instid0(VALU_DEP_1) | instskip(SKIP_1) | instid1(SALU_CYCLE_1)
	v_cmp_ngt_f64_e32 vcc_lo, v[5:6], v[7:8]
                                        ; implicit-def: $vgpr7_vgpr8
	s_and_saveexec_b32 s2, vcc_lo
	s_xor_b32 s2, exec_lo, s2
	s_cbranch_execz .LBB227_10
; %bb.9:
	v_div_scale_f64 v[5:6], null, v[3:4], v[3:4], v[1:2]
	v_div_scale_f64 v[12:13], vcc_lo, v[1:2], v[3:4], v[1:2]
	s_delay_alu instid0(VALU_DEP_2) | instskip(SKIP_2) | instid1(VALU_DEP_1)
	v_rcp_f64_e32 v[7:8], v[5:6]
	s_waitcnt_depctr 0xfff
	v_fma_f64 v[10:11], -v[5:6], v[7:8], 1.0
	v_fma_f64 v[7:8], v[7:8], v[10:11], v[7:8]
	s_delay_alu instid0(VALU_DEP_1) | instskip(NEXT) | instid1(VALU_DEP_1)
	v_fma_f64 v[10:11], -v[5:6], v[7:8], 1.0
	v_fma_f64 v[7:8], v[7:8], v[10:11], v[7:8]
	s_delay_alu instid0(VALU_DEP_1) | instskip(NEXT) | instid1(VALU_DEP_1)
	v_mul_f64 v[10:11], v[12:13], v[7:8]
	v_fma_f64 v[5:6], -v[5:6], v[10:11], v[12:13]
	s_delay_alu instid0(VALU_DEP_1) | instskip(NEXT) | instid1(VALU_DEP_1)
	v_div_fmas_f64 v[5:6], v[5:6], v[7:8], v[10:11]
	v_div_fixup_f64 v[5:6], v[5:6], v[3:4], v[1:2]
	s_delay_alu instid0(VALU_DEP_1) | instskip(NEXT) | instid1(VALU_DEP_1)
	v_fma_f64 v[1:2], v[1:2], v[5:6], v[3:4]
	v_div_scale_f64 v[3:4], null, v[1:2], v[1:2], 1.0
	v_div_scale_f64 v[12:13], vcc_lo, 1.0, v[1:2], 1.0
	s_delay_alu instid0(VALU_DEP_2) | instskip(SKIP_2) | instid1(VALU_DEP_1)
	v_rcp_f64_e32 v[7:8], v[3:4]
	s_waitcnt_depctr 0xfff
	v_fma_f64 v[10:11], -v[3:4], v[7:8], 1.0
	v_fma_f64 v[7:8], v[7:8], v[10:11], v[7:8]
	s_delay_alu instid0(VALU_DEP_1) | instskip(NEXT) | instid1(VALU_DEP_1)
	v_fma_f64 v[10:11], -v[3:4], v[7:8], 1.0
	v_fma_f64 v[7:8], v[7:8], v[10:11], v[7:8]
	s_delay_alu instid0(VALU_DEP_1) | instskip(NEXT) | instid1(VALU_DEP_1)
	v_mul_f64 v[10:11], v[12:13], v[7:8]
	v_fma_f64 v[3:4], -v[3:4], v[10:11], v[12:13]
	s_delay_alu instid0(VALU_DEP_1) | instskip(SKIP_1) | instid1(VALU_DEP_2)
	v_div_fmas_f64 v[3:4], v[3:4], v[7:8], v[10:11]
	v_add_f64 v[7:8], v[5:6], 0
	v_div_fixup_f64 v[1:2], v[3:4], v[1:2], 1.0
	v_fma_f64 v[3:4], v[5:6], 0, -1.0
	s_delay_alu instid0(VALU_DEP_2) | instskip(NEXT) | instid1(VALU_DEP_2)
	v_mul_f64 v[5:6], v[7:8], v[1:2]
	v_mul_f64 v[7:8], v[3:4], v[1:2]
                                        ; implicit-def: $vgpr1_vgpr2
.LBB227_10:
	s_and_not1_saveexec_b32 s2, s2
	s_cbranch_execz .LBB227_12
; %bb.11:
	v_div_scale_f64 v[5:6], null, v[1:2], v[1:2], v[3:4]
	v_div_scale_f64 v[12:13], vcc_lo, v[3:4], v[1:2], v[3:4]
	s_delay_alu instid0(VALU_DEP_2) | instskip(SKIP_2) | instid1(VALU_DEP_1)
	v_rcp_f64_e32 v[7:8], v[5:6]
	s_waitcnt_depctr 0xfff
	v_fma_f64 v[10:11], -v[5:6], v[7:8], 1.0
	v_fma_f64 v[7:8], v[7:8], v[10:11], v[7:8]
	s_delay_alu instid0(VALU_DEP_1) | instskip(NEXT) | instid1(VALU_DEP_1)
	v_fma_f64 v[10:11], -v[5:6], v[7:8], 1.0
	v_fma_f64 v[7:8], v[7:8], v[10:11], v[7:8]
	s_delay_alu instid0(VALU_DEP_1) | instskip(NEXT) | instid1(VALU_DEP_1)
	v_mul_f64 v[10:11], v[12:13], v[7:8]
	v_fma_f64 v[5:6], -v[5:6], v[10:11], v[12:13]
	s_delay_alu instid0(VALU_DEP_1) | instskip(NEXT) | instid1(VALU_DEP_1)
	v_div_fmas_f64 v[5:6], v[5:6], v[7:8], v[10:11]
	v_div_fixup_f64 v[5:6], v[5:6], v[1:2], v[3:4]
	s_delay_alu instid0(VALU_DEP_1) | instskip(NEXT) | instid1(VALU_DEP_1)
	v_fma_f64 v[1:2], v[3:4], v[5:6], v[1:2]
	v_div_scale_f64 v[3:4], null, v[1:2], v[1:2], 1.0
	v_div_scale_f64 v[12:13], vcc_lo, 1.0, v[1:2], 1.0
	s_delay_alu instid0(VALU_DEP_2) | instskip(SKIP_2) | instid1(VALU_DEP_1)
	v_rcp_f64_e32 v[7:8], v[3:4]
	s_waitcnt_depctr 0xfff
	v_fma_f64 v[10:11], -v[3:4], v[7:8], 1.0
	v_fma_f64 v[7:8], v[7:8], v[10:11], v[7:8]
	s_delay_alu instid0(VALU_DEP_1) | instskip(NEXT) | instid1(VALU_DEP_1)
	v_fma_f64 v[10:11], -v[3:4], v[7:8], 1.0
	v_fma_f64 v[7:8], v[7:8], v[10:11], v[7:8]
	s_delay_alu instid0(VALU_DEP_1) | instskip(NEXT) | instid1(VALU_DEP_1)
	v_mul_f64 v[10:11], v[12:13], v[7:8]
	v_fma_f64 v[3:4], -v[3:4], v[10:11], v[12:13]
	s_delay_alu instid0(VALU_DEP_1) | instskip(SKIP_1) | instid1(VALU_DEP_2)
	v_div_fmas_f64 v[3:4], v[3:4], v[7:8], v[10:11]
	v_fma_f64 v[7:8], v[5:6], 0, 1.0
	v_div_fixup_f64 v[1:2], v[3:4], v[1:2], 1.0
	v_add_f64 v[3:4], -v[5:6], 0
	s_delay_alu instid0(VALU_DEP_2) | instskip(NEXT) | instid1(VALU_DEP_2)
	v_mul_f64 v[5:6], v[7:8], v[1:2]
	v_mul_f64 v[7:8], v[3:4], v[1:2]
.LBB227_12:
	s_or_b32 exec_lo, exec_lo, s2
	s_branch .LBB227_14
.LBB227_13:
	v_mov_b32_e32 v5, 0
	v_dual_mov_b32 v6, 0x3ff00000 :: v_dual_mov_b32 v7, 0
	v_mov_b32_e32 v8, 0
.LBB227_14:
	ds_store_b128 v9, v[5:8]
.LBB227_15:
	s_or_b32 exec_lo, exec_lo, s29
	s_mul_i32 s2, s14, 0xffffffe8
	s_add_i32 s15, s15, -1
	s_add_i32 s2, s2, s19
	s_cmp_ge_u32 s14, s15
	s_waitcnt lgkmcnt(0)
	s_cselect_b32 s2, s2, 24
	; wave barrier
	buffer_gl0_inv
	v_cmp_gt_i32_e32 vcc_lo, s2, v0
	s_mov_b32 s2, -1
	s_and_saveexec_b32 s3, vcc_lo
	s_cbranch_execz .LBB227_58
; %bb.16:
	s_load_b32 s0, s[0:1], 0x58
	v_mad_u64_u32 v[1:2], null, s14, 24, v[0:1]
	s_waitcnt lgkmcnt(0)
	s_delay_alu instid0(VALU_DEP_1) | instskip(SKIP_1) | instid1(SALU_CYCLE_1)
	v_mad_i64_i32 v[2:3], null, s0, v1, 0
	s_lshl_b64 s[0:1], s[22:23], 4
	s_add_u32 s3, s12, s0
	s_addc_u32 s8, s13, s1
	s_or_b32 s17, 0, 8
	s_cmpk_eq_i32 s16, 0x6f
	s_delay_alu instid0(VALU_DEP_1) | instskip(NEXT) | instid1(VALU_DEP_1)
	v_lshlrev_b64 v[4:5], 4, v[2:3]
	v_add_co_u32 v6, vcc_lo, s3, v4
	s_delay_alu instid0(VALU_DEP_2)
	v_add_co_ci_u32_e32 v7, vcc_lo, s8, v5, vcc_lo
	s_cbranch_scc1 .LBB227_37
; %bb.17:
	s_add_u32 s2, s12, s0
	s_addc_u32 s3, s13, s1
	v_add_co_u32 v0, vcc_lo, s2, v4
	v_add_co_ci_u32_e32 v1, vcc_lo, s3, v5, vcc_lo
	s_lshl_b32 s16, s18, 4
	s_delay_alu instid0(VALU_DEP_2) | instskip(NEXT) | instid1(VALU_DEP_2)
	v_add_co_u32 v8, vcc_lo, v0, 8
	v_add_co_ci_u32_e32 v9, vcc_lo, 0, v1, vcc_lo
	s_mov_b32 s3, 0
	s_add_i32 s16, s16, -16
	s_mov_b32 s2, s3
	s_mov_b32 s8, s28
	s_branch .LBB227_19
.LBB227_18:                             ;   in Loop: Header=BB227_19 Depth=1
	s_cmp_lt_i32 s8, 0
	s_cselect_b32 s9, -1, 0
	s_add_i32 s2, s2, 1
	s_delay_alu instid0(SALU_CYCLE_1) | instskip(SKIP_1) | instid1(SALU_CYCLE_1)
	s_cmp_eq_u32 s2, 3
	s_cselect_b32 s10, -1, 0
	s_or_b32 s9, s9, s10
	s_delay_alu instid0(SALU_CYCLE_1)
	s_and_not1_b32 vcc_lo, exec_lo, s9
	s_cbranch_vccz .LBB227_36
.LBB227_19:                             ; =>This Loop Header: Depth=1
                                        ;     Child Loop BB227_22 Depth 2
                                        ;       Child Loop BB227_23 Depth 3
                                        ;       Child Loop BB227_25 Depth 3
                                        ;         Child Loop BB227_26 Depth 4
                                        ;       Child Loop BB227_30 Depth 3
                                        ;         Child Loop BB227_32 Depth 4
	s_getpc_b64 s[10:11]
	s_add_u32 s10, s10, __const._ZL30rocblas_trsm_small_left_deviceILi24ELi24ELb1E19rocblas_complex_numIdES1_PKPKS1_PKPS1_Ev13rocblas_fill_18rocblas_operation_17rocblas_diagonal_iiT3_T4_lilT5_lili.step_sizes@rel32@lo+4
	s_addc_u32 s11, s11, __const._ZL30rocblas_trsm_small_left_deviceILi24ELi24ELb1E19rocblas_complex_numIdES1_PKPKS1_PKPS1_Ev13rocblas_fill_18rocblas_operation_17rocblas_diagonal_iiT3_T4_lilT5_lili.step_sizes@rel32@hi+12
	s_lshl_b64 s[14:15], s[2:3], 2
	s_delay_alu instid0(SALU_CYCLE_1) | instskip(SKIP_4) | instid1(SALU_CYCLE_1)
	s_add_u32 s10, s14, s10
	s_addc_u32 s11, s15, s11
	s_load_b32 s19, s[10:11], 0x0
	s_waitcnt lgkmcnt(0)
	s_add_i32 s20, s19, -1
	s_cmp_lt_i32 s8, s20
	s_cbranch_scc1 .LBB227_18
; %bb.20:                               ;   in Loop: Header=BB227_19 Depth=1
	s_mul_i32 s9, s8, 0x180
	s_max_i32 s21, s19, 1
	s_add_i32 s22, s16, s9
	s_mul_i32 s23, s19, 0xfffffe80
	s_mul_i32 s24, s8, 0x190
	;; [unrolled: 1-line block ×3, first 2 shown]
	s_branch .LBB227_22
.LBB227_21:                             ;   in Loop: Header=BB227_22 Depth=2
	s_sub_i32 s8, s8, s19
	s_add_i32 s22, s22, s23
	s_add_i32 s24, s24, s25
	s_cmp_lt_i32 s8, s20
	s_cbranch_scc1 .LBB227_18
.LBB227_22:                             ;   Parent Loop BB227_19 Depth=1
                                        ; =>  This Loop Header: Depth=2
                                        ;       Child Loop BB227_23 Depth 3
                                        ;       Child Loop BB227_25 Depth 3
                                        ;         Child Loop BB227_26 Depth 4
                                        ;       Child Loop BB227_30 Depth 3
                                        ;         Child Loop BB227_32 Depth 4
	s_ashr_i32 s9, s8, 31
	s_delay_alu instid0(SALU_CYCLE_1) | instskip(NEXT) | instid1(SALU_CYCLE_1)
	s_lshl_b64 s[10:11], s[8:9], 4
	v_add_co_u32 v0, vcc_lo, v8, s10
	v_add_co_ci_u32_e32 v1, vcc_lo, s11, v9, vcc_lo
	s_mov_b32 s10, 8
	s_mov_b32 s11, s21
	.p2align	6
.LBB227_23:                             ;   Parent Loop BB227_19 Depth=1
                                        ;     Parent Loop BB227_22 Depth=2
                                        ; =>    This Inner Loop Header: Depth=3
	global_load_b128 v[10:13], v[0:1], off offset:-8
	v_add_co_u32 v0, vcc_lo, v0, -16
	v_add_co_ci_u32_e32 v1, vcc_lo, -1, v1, vcc_lo
	s_add_i32 s11, s11, -1
	s_add_i32 s14, s10, 0
	s_add_i32 s10, s10, 16
	s_cmp_eq_u32 s11, 0
	s_waitcnt vmcnt(0)
	v_mul_f64 v[2:3], s[6:7], v[12:13]
	v_mul_f64 v[14:15], s[4:5], v[12:13]
	s_delay_alu instid0(VALU_DEP_2) | instskip(NEXT) | instid1(VALU_DEP_2)
	v_fma_f64 v[12:13], s[4:5], v[10:11], -v[2:3]
	v_fma_f64 v[14:15], s[6:7], v[10:11], v[14:15]
	scratch_store_b128 off, v[12:15], s14 offset:-8
	s_cbranch_scc0 .LBB227_23
; %bb.24:                               ;   in Loop: Header=BB227_22 Depth=2
	s_cmp_le_i32 s28, s8
	s_mov_b32 s14, s22
	s_mov_b32 s10, s28
	s_cbranch_scc1 .LBB227_28
	.p2align	6
.LBB227_25:                             ;   Parent Loop BB227_19 Depth=1
                                        ;     Parent Loop BB227_22 Depth=2
                                        ; =>    This Loop Header: Depth=3
                                        ;         Child Loop BB227_26 Depth 4
	s_ashr_i32 s11, s10, 31
	s_mov_b32 s15, s14
	s_lshl_b64 s[26:27], s[10:11], 4
	s_mov_b32 s11, s17
	v_add_co_u32 v0, vcc_lo, v6, s26
	v_add_co_ci_u32_e32 v1, vcc_lo, s27, v7, vcc_lo
	s_mov_b32 s26, s21
	global_load_b128 v[0:3], v[0:1], off
	.p2align	6
.LBB227_26:                             ;   Parent Loop BB227_19 Depth=1
                                        ;     Parent Loop BB227_22 Depth=2
                                        ;       Parent Loop BB227_25 Depth=3
                                        ; =>      This Inner Loop Header: Depth=4
	scratch_load_b128 v[10:13], off, s11 offset:-8
	v_mov_b32_e32 v14, s15
	s_add_i32 s26, s26, -1
	s_addk_i32 s15, 0xfe80
	ds_load_b128 v[14:17], v14
	s_waitcnt vmcnt(1) lgkmcnt(0)
	v_mul_f64 v[18:19], v[2:3], v[16:17]
	v_mul_f64 v[16:17], v[0:1], v[16:17]
	s_delay_alu instid0(VALU_DEP_2) | instskip(NEXT) | instid1(VALU_DEP_2)
	v_fma_f64 v[18:19], v[0:1], v[14:15], -v[18:19]
	v_fma_f64 v[14:15], v[2:3], v[14:15], v[16:17]
	s_waitcnt vmcnt(0)
	s_delay_alu instid0(VALU_DEP_2) | instskip(NEXT) | instid1(VALU_DEP_2)
	v_add_f64 v[10:11], v[10:11], -v[18:19]
	v_add_f64 v[12:13], v[12:13], -v[14:15]
	scratch_store_b128 off, v[10:13], s11 offset:-8
	s_add_i32 s11, s11, 16
	s_cmp_eq_u32 s26, 0
	s_cbranch_scc0 .LBB227_26
; %bb.27:                               ;   in Loop: Header=BB227_25 Depth=3
	s_add_i32 s10, s10, -1
	s_add_i32 s14, s14, -16
	s_cmp_le_i32 s10, s8
	s_cbranch_scc0 .LBB227_25
.LBB227_28:                             ;   in Loop: Header=BB227_22 Depth=2
	s_mov_b32 s26, 0
	s_mov_b32 s27, s24
	s_branch .LBB227_30
.LBB227_29:                             ;   in Loop: Header=BB227_30 Depth=3
	s_mulk_i32 s14, 0x190
	s_lshl_b64 s[10:11], s[10:11], 4
	v_mov_b32_e32 v10, s14
	s_lshl_b32 s14, s26, 4
	s_add_i32 s26, s26, 1
	s_addk_i32 s27, 0xfe80
	ds_load_b128 v[10:13], v10
	s_waitcnt vmcnt(0) lgkmcnt(0)
	v_mul_f64 v[14:15], v[12:13], v[2:3]
	v_mul_f64 v[2:3], v[10:11], v[2:3]
	s_delay_alu instid0(VALU_DEP_2) | instskip(NEXT) | instid1(VALU_DEP_2)
	v_fma_f64 v[10:11], v[10:11], v[0:1], -v[14:15]
	v_fma_f64 v[12:13], v[12:13], v[0:1], v[2:3]
	v_add_co_u32 v0, vcc_lo, v6, s10
	v_add_co_ci_u32_e32 v1, vcc_lo, s11, v7, vcc_lo
	s_add_i32 s10, s14, 0
	s_cmp_eq_u32 s26, s21
	scratch_store_b128 off, v[10:13], s10
	global_store_b128 v[0:1], v[10:13], off
	s_cbranch_scc1 .LBB227_21
.LBB227_30:                             ;   Parent Loop BB227_19 Depth=1
                                        ;     Parent Loop BB227_22 Depth=2
                                        ; =>    This Loop Header: Depth=3
                                        ;         Child Loop BB227_32 Depth 4
	s_cmp_lg_u32 s26, 0
	s_cbranch_scc0 .LBB227_34
; %bb.31:                               ;   in Loop: Header=BB227_30 Depth=3
	s_lshl_b32 s10, s26, 4
	s_mov_b32 s14, s27
	s_add_i32 s11, s10, 0
	v_add_nc_u32_e64 v10, s10, 0
	scratch_load_b128 v[0:3], off, s11
	s_mov_b32 s10, 0
	s_mov_b32 s11, s17
	.p2align	6
.LBB227_32:                             ;   Parent Loop BB227_19 Depth=1
                                        ;     Parent Loop BB227_22 Depth=2
                                        ;       Parent Loop BB227_30 Depth=3
                                        ; =>      This Inner Loop Header: Depth=4
	scratch_load_b128 v[11:14], off, s11 offset:-8
	v_mov_b32_e32 v15, s14
	s_add_i32 s10, s10, 1
	s_add_i32 s14, s14, -16
	s_add_i32 s11, s11, 16
	s_cmp_ge_u32 s10, s26
	ds_load_b128 v[15:18], v15
	s_waitcnt vmcnt(0) lgkmcnt(0)
	v_mul_f64 v[19:20], v[17:18], v[13:14]
	v_mul_f64 v[13:14], v[15:16], v[13:14]
	s_delay_alu instid0(VALU_DEP_2) | instskip(NEXT) | instid1(VALU_DEP_2)
	v_fma_f64 v[15:16], v[15:16], v[11:12], -v[19:20]
	v_fma_f64 v[11:12], v[17:18], v[11:12], v[13:14]
	s_delay_alu instid0(VALU_DEP_2) | instskip(NEXT) | instid1(VALU_DEP_2)
	v_add_f64 v[0:1], v[0:1], -v[15:16]
	v_add_f64 v[2:3], v[2:3], -v[11:12]
	scratch_store_b128 v10, v[0:3], off
	s_cbranch_scc0 .LBB227_32
; %bb.33:                               ;   in Loop: Header=BB227_30 Depth=3
	s_sub_i32 s14, s8, s26
	s_delay_alu instid0(SALU_CYCLE_1) | instskip(NEXT) | instid1(SALU_CYCLE_1)
	s_ashr_i32 s15, s14, 31
	s_mov_b64 s[10:11], s[14:15]
	s_branch .LBB227_29
.LBB227_34:                             ;   in Loop: Header=BB227_30 Depth=3
                                        ; implicit-def: $vgpr0_vgpr1
                                        ; implicit-def: $sgpr14
                                        ; implicit-def: $sgpr10_sgpr11
	s_cbranch_execz .LBB227_29
; %bb.35:                               ;   in Loop: Header=BB227_30 Depth=3
	scratch_load_b128 v[0:3], off, off
	s_mov_b64 s[10:11], s[8:9]
	s_mov_b32 s14, s8
	s_branch .LBB227_29
.LBB227_36:
	s_mov_b32 s2, 0
.LBB227_37:
	s_delay_alu instid0(SALU_CYCLE_1)
	s_and_b32 vcc_lo, exec_lo, s2
	s_cbranch_vccz .LBB227_58
; %bb.38:
	s_add_u32 s0, s12, s0
	s_addc_u32 s1, s13, s1
	v_add_co_u32 v0, vcc_lo, s0, v4
	v_add_co_ci_u32_e32 v1, vcc_lo, s1, v5, vcc_lo
	s_mov_b32 s1, 0
	s_delay_alu instid0(VALU_DEP_2) | instskip(NEXT) | instid1(VALU_DEP_2)
	v_add_co_u32 v8, vcc_lo, v0, 8
	v_add_co_ci_u32_e32 v9, vcc_lo, 0, v1, vcc_lo
	s_mov_b32 s2, s1
	s_mov_b32 s8, s1
	s_branch .LBB227_40
.LBB227_39:                             ;   in Loop: Header=BB227_40 Depth=1
	s_cmp_ge_i32 s2, s18
	s_cselect_b32 s0, -1, 0
	s_add_i32 s8, s8, 1
	s_delay_alu instid0(SALU_CYCLE_1) | instskip(SKIP_1) | instid1(SALU_CYCLE_1)
	s_cmp_eq_u32 s8, 3
	s_cselect_b32 s3, -1, 0
	s_or_b32 s0, s0, s3
	s_delay_alu instid0(SALU_CYCLE_1)
	s_and_b32 vcc_lo, exec_lo, s0
	s_cbranch_vccnz .LBB227_58
.LBB227_40:                             ; =>This Loop Header: Depth=1
                                        ;     Child Loop BB227_43 Depth 2
                                        ;       Child Loop BB227_44 Depth 3
                                        ;       Child Loop BB227_47 Depth 3
                                        ;         Child Loop BB227_48 Depth 4
                                        ;       Child Loop BB227_52 Depth 3
                                        ;         Child Loop BB227_54 Depth 4
	s_mov_b32 s9, s1
	s_getpc_b64 s[10:11]
	s_add_u32 s10, s10, __const._ZL30rocblas_trsm_small_left_deviceILi24ELi24ELb1E19rocblas_complex_numIdES1_PKPKS1_PKPS1_Ev13rocblas_fill_18rocblas_operation_17rocblas_diagonal_iiT3_T4_lilT5_lili.step_sizes@rel32@lo+4
	s_addc_u32 s11, s11, __const._ZL30rocblas_trsm_small_left_deviceILi24ELi24ELb1E19rocblas_complex_numIdES1_PKPKS1_PKPS1_Ev13rocblas_fill_18rocblas_operation_17rocblas_diagonal_iiT3_T4_lilT5_lili.step_sizes@rel32@hi+12
	s_lshl_b64 s[12:13], s[8:9], 2
	s_delay_alu instid0(SALU_CYCLE_1) | instskip(SKIP_4) | instid1(SALU_CYCLE_1)
	s_add_u32 s10, s12, s10
	s_addc_u32 s11, s13, s11
	s_load_b32 s10, s[10:11], 0x0
	s_waitcnt lgkmcnt(0)
	s_add_i32 s9, s10, -1
	s_add_i32 s0, s9, s2
	s_delay_alu instid0(SALU_CYCLE_1)
	s_cmp_ge_i32 s0, s18
	s_cbranch_scc1 .LBB227_39
; %bb.41:                               ;   in Loop: Header=BB227_40 Depth=1
	s_ashr_i32 s3, s2, 31
	s_ashr_i32 s11, s10, 31
	s_lshl_b64 s[12:13], s[2:3], 4
	s_max_i32 s16, s10, 1
	v_add_co_u32 v4, vcc_lo, v8, s12
	v_add_co_ci_u32_e32 v5, vcc_lo, s13, v9, vcc_lo
	s_lshl_b64 s[12:13], s[10:11], 4
	s_lshl_b32 s3, s2, 4
	s_lshl_b32 s11, s10, 4
	s_mul_i32 s19, s2, 0x190
	s_mul_i32 s20, s10, 0x190
	s_branch .LBB227_43
.LBB227_42:                             ;   in Loop: Header=BB227_43 Depth=2
	v_add_co_u32 v4, vcc_lo, v4, s12
	s_add_i32 s2, s2, s10
	v_add_co_ci_u32_e32 v5, vcc_lo, s13, v5, vcc_lo
	s_add_i32 s0, s9, s2
	s_add_i32 s3, s3, s11
	;; [unrolled: 1-line block ×3, first 2 shown]
	s_cmp_ge_i32 s0, s18
	s_cbranch_scc1 .LBB227_39
.LBB227_43:                             ;   Parent Loop BB227_40 Depth=1
                                        ; =>  This Loop Header: Depth=2
                                        ;       Child Loop BB227_44 Depth 3
                                        ;       Child Loop BB227_47 Depth 3
                                        ;         Child Loop BB227_48 Depth 4
                                        ;       Child Loop BB227_52 Depth 3
                                        ;         Child Loop BB227_54 Depth 4
	v_dual_mov_b32 v0, v4 :: v_dual_mov_b32 v1, v5
	s_mov_b32 s0, 8
	s_mov_b32 s14, s16
	.p2align	6
.LBB227_44:                             ;   Parent Loop BB227_40 Depth=1
                                        ;     Parent Loop BB227_43 Depth=2
                                        ; =>    This Inner Loop Header: Depth=3
	global_load_b128 v[10:13], v[0:1], off offset:-8
	v_add_co_u32 v0, vcc_lo, v0, 16
	v_add_co_ci_u32_e32 v1, vcc_lo, 0, v1, vcc_lo
	s_add_i32 s14, s14, -1
	s_add_i32 s15, s0, 0
	s_add_i32 s0, s0, 16
	s_cmp_eq_u32 s14, 0
	s_waitcnt vmcnt(0)
	v_mul_f64 v[2:3], s[6:7], v[12:13]
	v_mul_f64 v[14:15], s[4:5], v[12:13]
	s_delay_alu instid0(VALU_DEP_2) | instskip(NEXT) | instid1(VALU_DEP_2)
	v_fma_f64 v[12:13], s[4:5], v[10:11], -v[2:3]
	v_fma_f64 v[14:15], s[6:7], v[10:11], v[14:15]
	scratch_store_b128 off, v[12:15], s15 offset:-8
	s_cbranch_scc0 .LBB227_44
; %bb.45:                               ;   in Loop: Header=BB227_43 Depth=2
	s_cmp_lt_i32 s2, 1
	s_cbranch_scc1 .LBB227_50
; %bb.46:                               ;   in Loop: Header=BB227_43 Depth=2
	s_mov_b32 s0, 0
	s_mov_b32 s14, s3
	s_set_inst_prefetch_distance 0x1
	.p2align	6
.LBB227_47:                             ;   Parent Loop BB227_40 Depth=1
                                        ;     Parent Loop BB227_43 Depth=2
                                        ; =>    This Loop Header: Depth=3
                                        ;         Child Loop BB227_48 Depth 4
	s_lshl_b64 s[22:23], s[0:1], 4
	s_mov_b32 s15, s17
	v_add_co_u32 v0, vcc_lo, v6, s22
	v_add_co_ci_u32_e32 v1, vcc_lo, s23, v7, vcc_lo
	s_mov_b32 s21, s14
	s_mov_b32 s22, s16
	global_load_b128 v[0:3], v[0:1], off
	.p2align	6
.LBB227_48:                             ;   Parent Loop BB227_40 Depth=1
                                        ;     Parent Loop BB227_43 Depth=2
                                        ;       Parent Loop BB227_47 Depth=3
                                        ; =>      This Inner Loop Header: Depth=4
	scratch_load_b128 v[10:13], off, s15 offset:-8
	v_mov_b32_e32 v14, s21
	s_add_i32 s22, s22, -1
	s_add_i32 s21, s21, 16
	ds_load_b128 v[14:17], v14
	s_waitcnt vmcnt(1) lgkmcnt(0)
	v_mul_f64 v[18:19], v[2:3], v[16:17]
	v_mul_f64 v[16:17], v[0:1], v[16:17]
	s_delay_alu instid0(VALU_DEP_2) | instskip(NEXT) | instid1(VALU_DEP_2)
	v_fma_f64 v[18:19], v[0:1], v[14:15], -v[18:19]
	v_fma_f64 v[14:15], v[2:3], v[14:15], v[16:17]
	s_waitcnt vmcnt(0)
	s_delay_alu instid0(VALU_DEP_2) | instskip(NEXT) | instid1(VALU_DEP_2)
	v_add_f64 v[10:11], v[10:11], -v[18:19]
	v_add_f64 v[12:13], v[12:13], -v[14:15]
	scratch_store_b128 off, v[10:13], s15 offset:-8
	s_add_i32 s15, s15, 16
	s_cmp_eq_u32 s22, 0
	s_cbranch_scc0 .LBB227_48
; %bb.49:                               ;   in Loop: Header=BB227_47 Depth=3
	s_add_i32 s0, s0, 1
	s_addk_i32 s14, 0x180
	s_cmp_ge_i32 s0, s2
	s_cbranch_scc0 .LBB227_47
.LBB227_50:                             ;   in Loop: Header=BB227_43 Depth=2
	s_set_inst_prefetch_distance 0x2
	s_mov_b32 s0, 0
	s_mov_b32 s21, s19
	s_branch .LBB227_52
.LBB227_51:                             ;   in Loop: Header=BB227_52 Depth=3
	s_mul_i32 s15, s14, 0x190
	s_lshl_b32 s22, s0, 4
	v_mov_b32_e32 v10, s15
	s_ashr_i32 s15, s14, 31
	s_add_i32 s0, s0, 1
	s_lshl_b64 s[14:15], s[14:15], 4
	s_add_i32 s21, s21, 16
	ds_load_b128 v[10:13], v10
	s_waitcnt vmcnt(0) lgkmcnt(0)
	v_mul_f64 v[14:15], v[12:13], v[2:3]
	v_mul_f64 v[2:3], v[10:11], v[2:3]
	s_delay_alu instid0(VALU_DEP_2) | instskip(NEXT) | instid1(VALU_DEP_2)
	v_fma_f64 v[10:11], v[10:11], v[0:1], -v[14:15]
	v_fma_f64 v[12:13], v[12:13], v[0:1], v[2:3]
	v_add_co_u32 v0, vcc_lo, v6, s14
	v_add_co_ci_u32_e32 v1, vcc_lo, s15, v7, vcc_lo
	s_add_i32 s14, s22, 0
	s_cmp_eq_u32 s0, s16
	scratch_store_b128 off, v[10:13], s14
	global_store_b128 v[0:1], v[10:13], off
	s_cbranch_scc1 .LBB227_42
.LBB227_52:                             ;   Parent Loop BB227_40 Depth=1
                                        ;     Parent Loop BB227_43 Depth=2
                                        ; =>    This Loop Header: Depth=3
                                        ;         Child Loop BB227_54 Depth 4
	s_cmp_lg_u32 s0, 0
	s_cbranch_scc0 .LBB227_56
; %bb.53:                               ;   in Loop: Header=BB227_52 Depth=3
	s_lshl_b32 s15, s0, 4
	s_mov_b32 s22, s17
	s_add_i32 s14, s15, 0
	v_add_nc_u32_e64 v10, s15, 0
	scratch_load_b128 v[0:3], off, s14
	s_add_i32 s14, s0, s2
	s_mov_b32 s15, 0
	s_mov_b32 s23, s21
	.p2align	6
.LBB227_54:                             ;   Parent Loop BB227_40 Depth=1
                                        ;     Parent Loop BB227_43 Depth=2
                                        ;       Parent Loop BB227_52 Depth=3
                                        ; =>      This Inner Loop Header: Depth=4
	scratch_load_b128 v[11:14], off, s22 offset:-8
	v_mov_b32_e32 v15, s23
	s_add_i32 s15, s15, 1
	s_addk_i32 s23, 0x180
	s_add_i32 s22, s22, 16
	s_cmp_ge_u32 s15, s0
	ds_load_b128 v[15:18], v15
	s_waitcnt vmcnt(0) lgkmcnt(0)
	v_mul_f64 v[19:20], v[17:18], v[13:14]
	v_mul_f64 v[13:14], v[15:16], v[13:14]
	s_delay_alu instid0(VALU_DEP_2) | instskip(NEXT) | instid1(VALU_DEP_2)
	v_fma_f64 v[15:16], v[15:16], v[11:12], -v[19:20]
	v_fma_f64 v[11:12], v[17:18], v[11:12], v[13:14]
	s_delay_alu instid0(VALU_DEP_2) | instskip(NEXT) | instid1(VALU_DEP_2)
	v_add_f64 v[0:1], v[0:1], -v[15:16]
	v_add_f64 v[2:3], v[2:3], -v[11:12]
	scratch_store_b128 v10, v[0:3], off
	s_cbranch_scc0 .LBB227_54
; %bb.55:                               ;   in Loop: Header=BB227_52 Depth=3
	s_branch .LBB227_51
.LBB227_56:                             ;   in Loop: Header=BB227_52 Depth=3
                                        ; implicit-def: $vgpr0_vgpr1
                                        ; implicit-def: $sgpr14
	s_cbranch_execz .LBB227_51
; %bb.57:                               ;   in Loop: Header=BB227_52 Depth=3
	scratch_load_b128 v[0:3], off, off
	s_mov_b32 s14, s2
	s_branch .LBB227_51
.LBB227_58:
	s_endpgm
	.section	.rodata,"a",@progbits
	.p2align	6, 0x0
	.amdhsa_kernel _ZL30rocblas_trsm_small_left_deviceILi24ELi24ELb1E19rocblas_complex_numIdES1_PKPKS1_PKPS1_Ev13rocblas_fill_18rocblas_operation_17rocblas_diagonal_iiT3_T4_lilT5_lili
		.amdhsa_group_segment_fixed_size 9216
		.amdhsa_private_segment_fixed_size 400
		.amdhsa_kernarg_size 368
		.amdhsa_user_sgpr_count 14
		.amdhsa_user_sgpr_dispatch_ptr 0
		.amdhsa_user_sgpr_queue_ptr 0
		.amdhsa_user_sgpr_kernarg_segment_ptr 1
		.amdhsa_user_sgpr_dispatch_id 0
		.amdhsa_user_sgpr_private_segment_size 0
		.amdhsa_wavefront_size32 1
		.amdhsa_uses_dynamic_stack 0
		.amdhsa_enable_private_segment 1
		.amdhsa_system_sgpr_workgroup_id_x 1
		.amdhsa_system_sgpr_workgroup_id_y 0
		.amdhsa_system_sgpr_workgroup_id_z 1
		.amdhsa_system_sgpr_workgroup_info 0
		.amdhsa_system_vgpr_workitem_id 0
		.amdhsa_next_free_vgpr 25
		.amdhsa_next_free_sgpr 31
		.amdhsa_reserve_vcc 1
		.amdhsa_float_round_mode_32 0
		.amdhsa_float_round_mode_16_64 0
		.amdhsa_float_denorm_mode_32 3
		.amdhsa_float_denorm_mode_16_64 3
		.amdhsa_dx10_clamp 1
		.amdhsa_ieee_mode 1
		.amdhsa_fp16_overflow 0
		.amdhsa_workgroup_processor_mode 1
		.amdhsa_memory_ordered 1
		.amdhsa_forward_progress 0
		.amdhsa_shared_vgpr_count 0
		.amdhsa_exception_fp_ieee_invalid_op 0
		.amdhsa_exception_fp_denorm_src 0
		.amdhsa_exception_fp_ieee_div_zero 0
		.amdhsa_exception_fp_ieee_overflow 0
		.amdhsa_exception_fp_ieee_underflow 0
		.amdhsa_exception_fp_ieee_inexact 0
		.amdhsa_exception_int_div_zero 0
	.end_amdhsa_kernel
	.section	.text._ZL30rocblas_trsm_small_left_deviceILi24ELi24ELb1E19rocblas_complex_numIdES1_PKPKS1_PKPS1_Ev13rocblas_fill_18rocblas_operation_17rocblas_diagonal_iiT3_T4_lilT5_lili,"axG",@progbits,_ZL30rocblas_trsm_small_left_deviceILi24ELi24ELb1E19rocblas_complex_numIdES1_PKPKS1_PKPS1_Ev13rocblas_fill_18rocblas_operation_17rocblas_diagonal_iiT3_T4_lilT5_lili,comdat
.Lfunc_end227:
	.size	_ZL30rocblas_trsm_small_left_deviceILi24ELi24ELb1E19rocblas_complex_numIdES1_PKPKS1_PKPS1_Ev13rocblas_fill_18rocblas_operation_17rocblas_diagonal_iiT3_T4_lilT5_lili, .Lfunc_end227-_ZL30rocblas_trsm_small_left_deviceILi24ELi24ELb1E19rocblas_complex_numIdES1_PKPKS1_PKPS1_Ev13rocblas_fill_18rocblas_operation_17rocblas_diagonal_iiT3_T4_lilT5_lili
                                        ; -- End function
	.section	.AMDGPU.csdata,"",@progbits
; Kernel info:
; codeLenInByte = 3184
; NumSgprs: 33
; NumVgprs: 25
; ScratchSize: 400
; MemoryBound: 0
; FloatMode: 240
; IeeeMode: 1
; LDSByteSize: 9216 bytes/workgroup (compile time only)
; SGPRBlocks: 4
; VGPRBlocks: 3
; NumSGPRsForWavesPerEU: 33
; NumVGPRsForWavesPerEU: 25
; Occupancy: 4
; WaveLimiterHint : 1
; COMPUTE_PGM_RSRC2:SCRATCH_EN: 1
; COMPUTE_PGM_RSRC2:USER_SGPR: 14
; COMPUTE_PGM_RSRC2:TRAP_HANDLER: 0
; COMPUTE_PGM_RSRC2:TGID_X_EN: 1
; COMPUTE_PGM_RSRC2:TGID_Y_EN: 0
; COMPUTE_PGM_RSRC2:TGID_Z_EN: 1
; COMPUTE_PGM_RSRC2:TIDIG_COMP_CNT: 0
	.section	.text._ZL31rocblas_trsm_small_right_deviceI19rocblas_complex_numIdES1_PKPKS1_PKPS1_Li24EEv13rocblas_fill_18rocblas_operation_17rocblas_diagonal_iiT0_T1_lilT2_lili,"axG",@progbits,_ZL31rocblas_trsm_small_right_deviceI19rocblas_complex_numIdES1_PKPKS1_PKPS1_Li24EEv13rocblas_fill_18rocblas_operation_17rocblas_diagonal_iiT0_T1_lilT2_lili,comdat
	.globl	_ZL31rocblas_trsm_small_right_deviceI19rocblas_complex_numIdES1_PKPKS1_PKPS1_Li24EEv13rocblas_fill_18rocblas_operation_17rocblas_diagonal_iiT0_T1_lilT2_lili ; -- Begin function _ZL31rocblas_trsm_small_right_deviceI19rocblas_complex_numIdES1_PKPKS1_PKPS1_Li24EEv13rocblas_fill_18rocblas_operation_17rocblas_diagonal_iiT0_T1_lilT2_lili
	.p2align	8
	.type	_ZL31rocblas_trsm_small_right_deviceI19rocblas_complex_numIdES1_PKPKS1_PKPS1_Li24EEv13rocblas_fill_18rocblas_operation_17rocblas_diagonal_iiT0_T1_lilT2_lili,@function
_ZL31rocblas_trsm_small_right_deviceI19rocblas_complex_numIdES1_PKPKS1_PKPS1_Li24EEv13rocblas_fill_18rocblas_operation_17rocblas_diagonal_iiT0_T1_lilT2_lili: ; @_ZL31rocblas_trsm_small_right_deviceI19rocblas_complex_numIdES1_PKPKS1_PKPS1_Li24EEv13rocblas_fill_18rocblas_operation_17rocblas_diagonal_iiT0_T1_lilT2_lili
; %bb.0:
	s_mov_b32 s2, s15
	s_clause 0x1
	s_load_b128 s[20:23], s[0:1], 0x48
	s_load_b32 s15, s[0:1], 0x10
	s_mov_b32 s3, 0
	s_load_b128 s[16:19], s[0:1], 0x0
	s_lshl_b64 s[24:25], s[2:3], 3
	s_mov_b32 s30, exec_lo
	s_waitcnt lgkmcnt(0)
	s_add_u32 s12, s20, s24
	s_addc_u32 s13, s21, s25
	s_load_b256 s[4:11], s[0:1], 0x18
	s_load_b64 s[12:13], s[12:13], 0x0
	s_min_i32 s28, s15, 24
	s_delay_alu instid0(SALU_CYCLE_1)
	s_add_i32 s29, s28, -1
	v_cmpx_gt_i32_e64 s28, v0
	s_cbranch_execz .LBB228_9
; %bb.1:
	s_load_b32 s20, s[0:1], 0x38
	s_waitcnt lgkmcnt(0)
	s_ashr_i32 s21, s20, 31
	s_cmpk_eq_i32 s17, 0x71
	s_cselect_b32 vcc_lo, -1, 0
	s_add_u32 s8, s8, s24
	s_addc_u32 s9, s9, s25
	s_cmp_lt_u32 s29, 3
	s_load_b64 s[8:9], s[8:9], 0x0
	s_cbranch_scc1 .LBB228_4
; %bb.2:
	v_lshlrev_b32_e32 v1, 4, v0
	s_lshl_b64 s[24:25], s[10:11], 4
	s_and_b32 s3, s28, -4
	s_waitcnt lgkmcnt(0)
	s_add_u32 s2, s8, s24
	s_addc_u32 s24, s9, s25
	v_add_co_u32 v1, s2, s2, v1
	s_delay_alu instid0(VALU_DEP_1) | instskip(SKIP_1) | instid1(VALU_DEP_3)
	v_add_co_ci_u32_e64 v2, null, s24, 0, s2
	v_lshlrev_b32_e32 v3, 4, v0
	v_add_co_u32 v1, s2, v1, 8
	s_delay_alu instid0(VALU_DEP_1)
	v_add_co_ci_u32_e64 v2, s2, 0, v2, s2
	s_lshl_b64 s[24:25], s[20:21], 6
	s_lshl_b64 s[26:27], s[20:21], 4
	s_mov_b32 s31, 0
.LBB228_3:                              ; =>This Inner Loop Header: Depth=1
	v_add_co_u32 v8, s2, v1, s26
	s_delay_alu instid0(VALU_DEP_1) | instskip(SKIP_1) | instid1(VALU_DEP_2)
	v_add_co_ci_u32_e64 v9, s2, s27, v2, s2
	s_add_i32 s31, s31, 4
	v_add_co_u32 v12, s2, v8, s26
	s_delay_alu instid0(VALU_DEP_1) | instskip(SKIP_1) | instid1(VALU_DEP_2)
	v_add_co_ci_u32_e64 v13, s2, s27, v9, s2
	s_cmp_eq_u32 s3, s31
	v_add_co_u32 v16, s2, v12, s26
	s_delay_alu instid0(VALU_DEP_1)
	v_add_co_ci_u32_e64 v17, s2, s27, v13, s2
	s_clause 0x3
	global_load_b128 v[4:7], v[1:2], off offset:-8
	global_load_b128 v[8:11], v[8:9], off offset:-8
	;; [unrolled: 1-line block ×4, first 2 shown]
	v_add_co_u32 v1, s2, v1, s24
	s_delay_alu instid0(VALU_DEP_1)
	v_add_co_ci_u32_e64 v2, s2, s25, v2, s2
	s_waitcnt vmcnt(3)
	v_xor_b32_e32 v20, 0x80000000, v7
	s_waitcnt vmcnt(2)
	v_xor_b32_e32 v21, 0x80000000, v11
	;; [unrolled: 2-line block ×4, first 2 shown]
	v_cndmask_b32_e32 v7, v7, v20, vcc_lo
	v_cndmask_b32_e32 v11, v11, v21, vcc_lo
	;; [unrolled: 1-line block ×3, first 2 shown]
	s_delay_alu instid0(VALU_DEP_4)
	v_cndmask_b32_e32 v19, v19, v23, vcc_lo
	ds_store_b128 v3, v[4:7]
	ds_store_b128 v3, v[8:11] offset:384
	ds_store_b128 v3, v[12:15] offset:768
	;; [unrolled: 1-line block ×3, first 2 shown]
	v_add_nc_u32_e32 v3, 0x600, v3
	s_cbranch_scc0 .LBB228_3
.LBB228_4:
	s_and_b32 s24, s28, 3
	s_delay_alu instid0(SALU_CYCLE_1)
	s_cmp_eq_u32 s24, 0
	s_cbranch_scc1 .LBB228_7
; %bb.5:
	s_mul_i32 s2, s21, s3
	s_mul_hi_u32 s25, s20, s3
	s_mul_i32 s26, s20, s3
	s_add_i32 s27, s25, s2
	s_lshl_b64 s[10:11], s[10:11], 4
	s_lshl_b64 s[26:27], s[26:27], 4
	v_lshlrev_b32_e32 v1, 4, v0
	s_mul_i32 s2, s3, 0x180
	s_add_u32 s3, s26, s10
	s_addc_u32 s10, s27, s11
	s_waitcnt lgkmcnt(0)
	s_add_u32 s3, s8, s3
	s_addc_u32 s8, s9, s10
	v_add_co_u32 v1, s3, s3, v1
	s_delay_alu instid0(VALU_DEP_1) | instskip(SKIP_1) | instid1(VALU_DEP_3)
	v_add_co_ci_u32_e64 v2, null, s8, 0, s3
	v_lshl_add_u32 v3, v0, 4, s2
	v_add_co_u32 v1, s2, v1, 8
	s_delay_alu instid0(VALU_DEP_1)
	v_add_co_ci_u32_e64 v2, s2, 0, v2, s2
	s_lshl_b64 s[8:9], s[20:21], 4
.LBB228_6:                              ; =>This Inner Loop Header: Depth=1
	global_load_b128 v[4:7], v[1:2], off offset:-8
	v_add_co_u32 v1, s2, v1, s8
	s_delay_alu instid0(VALU_DEP_1) | instskip(SKIP_1) | instid1(SALU_CYCLE_1)
	v_add_co_ci_u32_e64 v2, s2, s9, v2, s2
	s_add_i32 s24, s24, -1
	s_cmp_lg_u32 s24, 0
	s_waitcnt vmcnt(0)
	v_xor_b32_e32 v8, 0x80000000, v7
	s_delay_alu instid0(VALU_DEP_1)
	v_cndmask_b32_e32 v7, v7, v8, vcc_lo
	ds_store_b128 v3, v[4:7]
	v_add_nc_u32_e32 v3, 0x180, v3
	s_cbranch_scc1 .LBB228_6
.LBB228_7:
	s_cmpk_eq_i32 s18, 0x84
	s_cbranch_scc0 .LBB228_9
; %bb.8:
	v_mul_u32_u24_e32 v3, 25, v0
	v_dual_mov_b32 v1, 0 :: v_dual_mov_b32 v2, 0x3ff00000
	s_delay_alu instid0(VALU_DEP_1)
	v_dual_mov_b32 v4, v1 :: v_dual_lshlrev_b32 v5, 4, v3
	v_mov_b32_e32 v3, v1
	ds_store_b128 v5, v[1:4]
.LBB228_9:
	s_or_b32 exec_lo, exec_lo, s30
	s_waitcnt lgkmcnt(0)
	s_clause 0x1
	s_load_b32 s8, s[0:1], 0x70
	s_load_b32 s0, s[0:1], 0x58
	s_lshl_b64 s[2:3], s[22:23], 4
	s_mul_i32 s10, s14, 0xffffffe8
	s_add_u32 s1, s12, s2
	s_addc_u32 s9, s13, s3
	s_add_i32 s10, s10, s19
	s_mul_i32 s18, s14, 0x180
	s_mov_b32 s23, 0
	s_waitcnt lgkmcnt(0)
	s_add_i32 s8, s8, -1
	s_delay_alu instid0(SALU_CYCLE_1)
	s_cmp_ge_u32 s14, s8
	s_mul_hi_i32 s14, s14, 0x180
	s_cselect_b32 s8, s10, 24
	s_add_u32 s19, s1, s18
	s_addc_u32 s20, s9, s14
	v_cmp_gt_i32_e32 vcc_lo, s8, v0
	s_cmp_gt_i32 s15, 0
	s_cselect_b32 s1, -1, 0
	s_delay_alu instid0(SALU_CYCLE_1) | instskip(NEXT) | instid1(SALU_CYCLE_1)
	s_and_b32 s21, vcc_lo, s1
	s_and_saveexec_b32 s22, s21
	s_cbranch_execz .LBB228_16
; %bb.10:
	s_ashr_i32 s1, s0, 31
	s_cmp_lt_u32 s15, 4
	s_cbranch_scc1 .LBB228_13
; %bb.11:
	v_lshlrev_b32_e32 v1, 4, v0
	v_lshl_or_b32 v3, v0, 4, 0x2400
	s_and_b32 s23, s15, 0x7ffffffc
	s_lshl_b64 s[10:11], s[0:1], 4
	s_mov_b32 s24, 0
	v_add_co_u32 v1, s8, s19, v1
	s_delay_alu instid0(VALU_DEP_1)
	v_add_co_ci_u32_e64 v2, null, s20, 0, s8
	s_lshl_b64 s[8:9], s[0:1], 6
.LBB228_12:                             ; =>This Inner Loop Header: Depth=1
	s_delay_alu instid0(VALU_DEP_2) | instskip(NEXT) | instid1(VALU_DEP_2)
	v_add_co_u32 v8, vcc_lo, v1, s10
	v_add_co_ci_u32_e32 v9, vcc_lo, s11, v2, vcc_lo
	global_load_b128 v[4:7], v[1:2], off
	v_add_co_u32 v12, vcc_lo, v8, s10
	v_add_co_ci_u32_e32 v13, vcc_lo, s11, v9, vcc_lo
	global_load_b128 v[8:11], v[8:9], off
	v_add_co_u32 v16, vcc_lo, v12, s10
	v_add_co_ci_u32_e32 v17, vcc_lo, s11, v13, vcc_lo
	v_add_co_u32 v1, vcc_lo, v1, s8
	s_clause 0x1
	global_load_b128 v[12:15], v[12:13], off
	global_load_b128 v[16:19], v[16:17], off
	v_add_co_ci_u32_e32 v2, vcc_lo, s9, v2, vcc_lo
	s_add_i32 s24, s24, 4
	s_delay_alu instid0(SALU_CYCLE_1)
	s_cmp_lg_u32 s23, s24
	s_waitcnt vmcnt(3)
	v_mul_f64 v[20:21], s[6:7], v[6:7]
	v_mul_f64 v[6:7], s[4:5], v[6:7]
	s_waitcnt vmcnt(2)
	v_mul_f64 v[22:23], s[6:7], v[10:11]
	v_mul_f64 v[10:11], s[4:5], v[10:11]
	s_waitcnt vmcnt(1)
	v_mul_f64 v[24:25], s[6:7], v[14:15]
	v_mul_f64 v[14:15], s[4:5], v[14:15]
	s_waitcnt vmcnt(0)
	v_mul_f64 v[26:27], s[6:7], v[18:19]
	v_mul_f64 v[28:29], s[4:5], v[18:19]
	v_fma_f64 v[18:19], s[4:5], v[4:5], -v[20:21]
	v_fma_f64 v[20:21], s[6:7], v[4:5], v[6:7]
	v_fma_f64 v[4:5], s[4:5], v[8:9], -v[22:23]
	v_fma_f64 v[6:7], s[6:7], v[8:9], v[10:11]
	;; [unrolled: 2-line block ×4, first 2 shown]
	ds_store_b128 v3, v[18:21]
	ds_store_b128 v3, v[4:7] offset:384
	ds_store_b128 v3, v[8:11] offset:768
	;; [unrolled: 1-line block ×3, first 2 shown]
	v_add_nc_u32_e32 v3, 0x600, v3
	s_cbranch_scc1 .LBB228_12
.LBB228_13:
	s_and_b32 s10, s15, 3
	s_delay_alu instid0(SALU_CYCLE_1)
	s_cmp_eq_u32 s10, 0
	s_cbranch_scc1 .LBB228_16
; %bb.14:
	s_mul_hi_i32 s9, s0, s23
	s_mul_i32 s8, s0, s23
	v_lshlrev_b32_e32 v1, 4, v0
	s_lshl_b64 s[8:9], s[8:9], 4
	s_mul_i32 s11, s23, 0x180
	s_add_u32 s8, s8, s18
	s_addc_u32 s9, s9, s14
	s_add_u32 s8, s8, s2
	s_addc_u32 s9, s9, s3
	;; [unrolled: 2-line block ×3, first 2 shown]
	v_add_co_u32 v2, s8, s8, v1
	s_delay_alu instid0(VALU_DEP_1) | instskip(SKIP_1) | instid1(VALU_DEP_3)
	v_add_co_ci_u32_e64 v4, null, s9, 0, s8
	v_add3_u32 v3, s11, v1, 0x2400
	v_add_co_u32 v1, vcc_lo, v2, 8
	s_delay_alu instid0(VALU_DEP_3)
	v_add_co_ci_u32_e32 v2, vcc_lo, 0, v4, vcc_lo
	s_lshl_b64 s[8:9], s[0:1], 4
	.p2align	6
.LBB228_15:                             ; =>This Inner Loop Header: Depth=1
	global_load_b128 v[4:7], v[1:2], off offset:-8
	v_add_co_u32 v1, vcc_lo, v1, s8
	v_add_co_ci_u32_e32 v2, vcc_lo, s9, v2, vcc_lo
	s_add_i32 s10, s10, -1
	s_delay_alu instid0(SALU_CYCLE_1) | instskip(SKIP_3) | instid1(VALU_DEP_2)
	s_cmp_lg_u32 s10, 0
	s_waitcnt vmcnt(0)
	v_mul_f64 v[8:9], s[6:7], v[6:7]
	v_mul_f64 v[10:11], s[4:5], v[6:7]
	v_fma_f64 v[6:7], s[4:5], v[4:5], -v[8:9]
	s_delay_alu instid0(VALU_DEP_2)
	v_fma_f64 v[8:9], s[6:7], v[4:5], v[10:11]
	ds_store_b128 v3, v[6:9]
	v_add_nc_u32_e32 v3, 0x180, v3
	s_cbranch_scc1 .LBB228_15
.LBB228_16:
	s_or_b32 exec_lo, exec_lo, s22
	s_cmpk_eq_i32 s17, 0x6f
	s_waitcnt lgkmcnt(0)
	s_cselect_b32 s1, -1, 0
	s_cmpk_eq_i32 s16, 0x79
	; wave barrier
	buffer_gl0_inv
	s_cselect_b32 s5, -1, 0
	s_cmpk_lg_i32 s16, 0x79
	s_cselect_b32 s4, -1, 0
	s_and_b32 s5, s5, s1
	s_delay_alu instid0(SALU_CYCLE_1)
	s_and_not1_b32 vcc_lo, exec_lo, s5
	s_mov_b32 s5, -1
	s_cbranch_vccz .LBB228_124
; %bb.17:
	s_cmpk_lg_i32 s16, 0x7a
	s_cselect_b32 s5, -1, 0
	s_xor_b32 s1, s1, -1
	s_delay_alu instid0(SALU_CYCLE_1)
	s_or_b32 s5, s5, s1
	s_cmp_gt_i32 s15, 3
	s_cselect_b32 s1, -1, 0
	s_and_b32 vcc_lo, exec_lo, s5
	s_mov_b32 s5, -1
	s_cbranch_vccz .LBB228_91
; %bb.18:
	s_and_not1_b32 vcc_lo, exec_lo, s4
	s_mov_b32 s4, -1
	s_cbranch_vccnz .LBB228_58
; %bb.19:
	s_and_not1_b32 vcc_lo, exec_lo, s1
	s_mov_b32 s6, 0
	s_cbranch_vccnz .LBB228_42
; %bb.20:
	v_lshl_or_b32 v25, v0, 4, 0x2400
	s_mov_b32 s4, 0
	s_mov_b32 s5, 0
.LBB228_21:                             ; =>This Loop Header: Depth=1
                                        ;     Child Loop BB228_23 Depth 2
	s_delay_alu instid0(SALU_CYCLE_1) | instskip(NEXT) | instid1(SALU_CYCLE_1)
	s_mul_i32 s6, s5, 24
	s_add_i32 s7, s6, 24
	v_add_lshl_u32 v13, s6, v0, 4
	s_add_i32 s6, s6, 48
	v_add_lshl_u32 v14, s7, v0, 4
	v_add_lshl_u32 v15, s6, v0, 4
	s_cmp_eq_u32 s5, 0
	ds_load_b128 v[17:20], v13 offset:9216
	ds_load_b128 v[9:12], v14 offset:9216
	ds_load_b128 v[5:8], v15 offset:9216
	ds_load_b128 v[1:4], v15 offset:9600
	s_cbranch_scc1 .LBB228_24
; %bb.22:                               ;   in Loop: Header=BB228_21 Depth=1
	v_mov_b32_e32 v16, v25
	s_mov_b32 s8, 0
	s_mov_b32 s9, s4
.LBB228_23:                             ;   Parent Loop BB228_21 Depth=1
                                        ; =>  This Inner Loop Header: Depth=2
	s_delay_alu instid0(SALU_CYCLE_1)
	v_mov_b32_e32 v58, s9
	s_add_i32 s8, s8, 2
	s_addk_i32 s9, 0x300
	s_cmp_ge_u32 s8, s5
	ds_load_b128 v[21:24], v16
	ds_load_b128 v[26:29], v58
	ds_load_b128 v[30:33], v58 offset:16
	ds_load_b128 v[34:37], v58 offset:32
	;; [unrolled: 1-line block ×8, first 2 shown]
	v_add_nc_u32_e32 v16, 0x300, v16
	s_waitcnt lgkmcnt(8)
	v_mul_f64 v[62:63], v[23:24], v[28:29]
	v_mul_f64 v[28:29], v[21:22], v[28:29]
	s_waitcnt lgkmcnt(7)
	v_mul_f64 v[64:65], v[23:24], v[32:33]
	v_mul_f64 v[32:33], v[21:22], v[32:33]
	;; [unrolled: 3-line block ×8, first 2 shown]
	v_fma_f64 v[62:63], v[21:22], v[26:27], -v[62:63]
	v_fma_f64 v[26:27], v[23:24], v[26:27], v[28:29]
	v_fma_f64 v[28:29], v[21:22], v[30:31], -v[64:65]
	v_fma_f64 v[30:31], v[23:24], v[30:31], v[32:33]
	;; [unrolled: 2-line block ×8, first 2 shown]
	v_add_f64 v[17:18], v[17:18], -v[62:63]
	v_add_f64 v[19:20], v[19:20], -v[26:27]
	;; [unrolled: 1-line block ×16, first 2 shown]
	s_cbranch_scc0 .LBB228_23
.LBB228_24:                             ;   in Loop: Header=BB228_21 Depth=1
	s_mul_i32 s8, s5, 0x190
	s_delay_alu instid0(SALU_CYCLE_1)
	v_dual_mov_b32 v13, s8 :: v_dual_add_nc_u32 v28, 0x2400, v13
	ds_load_b128 v[21:24], v13
	s_waitcnt lgkmcnt(0)
	v_dual_mov_b32 v13, v21 :: v_dual_add_nc_u32 v26, 0x2400, v15
	v_cmp_gt_f64_e32 vcc_lo, 0, v[21:22]
	v_xor_b32_e32 v15, 0x80000000, v24
	v_add_nc_u32_e32 v27, 0x2400, v14
	v_xor_b32_e32 v14, 0x80000000, v22
	s_delay_alu instid0(VALU_DEP_1) | instskip(SKIP_2) | instid1(VALU_DEP_1)
	v_cndmask_b32_e32 v14, v22, v14, vcc_lo
	v_cmp_gt_f64_e32 vcc_lo, 0, v[23:24]
	v_dual_cndmask_b32 v16, v24, v15 :: v_dual_mov_b32 v15, v23
	v_cmp_ngt_f64_e32 vcc_lo, v[13:14], v[15:16]
	s_cbranch_vccz .LBB228_26
; %bb.25:                               ;   in Loop: Header=BB228_21 Depth=1
	v_div_scale_f64 v[13:14], null, v[23:24], v[23:24], v[21:22]
	v_div_scale_f64 v[31:32], vcc_lo, v[21:22], v[23:24], v[21:22]
	s_delay_alu instid0(VALU_DEP_2) | instskip(SKIP_2) | instid1(VALU_DEP_1)
	v_rcp_f64_e32 v[15:16], v[13:14]
	s_waitcnt_depctr 0xfff
	v_fma_f64 v[29:30], -v[13:14], v[15:16], 1.0
	v_fma_f64 v[15:16], v[15:16], v[29:30], v[15:16]
	s_delay_alu instid0(VALU_DEP_1) | instskip(NEXT) | instid1(VALU_DEP_1)
	v_fma_f64 v[29:30], -v[13:14], v[15:16], 1.0
	v_fma_f64 v[15:16], v[15:16], v[29:30], v[15:16]
	s_delay_alu instid0(VALU_DEP_1) | instskip(NEXT) | instid1(VALU_DEP_1)
	v_mul_f64 v[29:30], v[31:32], v[15:16]
	v_fma_f64 v[13:14], -v[13:14], v[29:30], v[31:32]
	s_delay_alu instid0(VALU_DEP_1) | instskip(NEXT) | instid1(VALU_DEP_1)
	v_div_fmas_f64 v[13:14], v[13:14], v[15:16], v[29:30]
	v_div_fixup_f64 v[13:14], v[13:14], v[23:24], v[21:22]
	s_delay_alu instid0(VALU_DEP_1) | instskip(NEXT) | instid1(VALU_DEP_1)
	v_fma_f64 v[15:16], v[21:22], v[13:14], v[23:24]
	v_div_scale_f64 v[29:30], null, v[15:16], v[15:16], 1.0
	v_div_scale_f64 v[35:36], vcc_lo, 1.0, v[15:16], 1.0
	s_delay_alu instid0(VALU_DEP_2) | instskip(SKIP_2) | instid1(VALU_DEP_1)
	v_rcp_f64_e32 v[31:32], v[29:30]
	s_waitcnt_depctr 0xfff
	v_fma_f64 v[33:34], -v[29:30], v[31:32], 1.0
	v_fma_f64 v[31:32], v[31:32], v[33:34], v[31:32]
	s_delay_alu instid0(VALU_DEP_1) | instskip(NEXT) | instid1(VALU_DEP_1)
	v_fma_f64 v[33:34], -v[29:30], v[31:32], 1.0
	v_fma_f64 v[31:32], v[31:32], v[33:34], v[31:32]
	s_delay_alu instid0(VALU_DEP_1) | instskip(NEXT) | instid1(VALU_DEP_1)
	v_mul_f64 v[33:34], v[35:36], v[31:32]
	v_fma_f64 v[29:30], -v[29:30], v[33:34], v[35:36]
	s_delay_alu instid0(VALU_DEP_1) | instskip(SKIP_1) | instid1(VALU_DEP_2)
	v_div_fmas_f64 v[29:30], v[29:30], v[31:32], v[33:34]
	v_fma_f64 v[31:32], v[17:18], v[13:14], v[19:20]
	v_div_fixup_f64 v[15:16], v[29:30], v[15:16], 1.0
	v_fma_f64 v[29:30], v[19:20], v[13:14], -v[17:18]
	s_delay_alu instid0(VALU_DEP_2) | instskip(NEXT) | instid1(VALU_DEP_2)
	v_mul_f64 v[13:14], v[31:32], v[15:16]
	v_mul_f64 v[15:16], v[29:30], v[15:16]
	s_cbranch_execz .LBB228_27
	s_branch .LBB228_28
.LBB228_26:                             ;   in Loop: Header=BB228_21 Depth=1
                                        ; implicit-def: $vgpr15_vgpr16
.LBB228_27:                             ;   in Loop: Header=BB228_21 Depth=1
	v_div_scale_f64 v[13:14], null, v[21:22], v[21:22], v[23:24]
	v_div_scale_f64 v[31:32], vcc_lo, v[23:24], v[21:22], v[23:24]
	s_delay_alu instid0(VALU_DEP_2) | instskip(SKIP_2) | instid1(VALU_DEP_1)
	v_rcp_f64_e32 v[15:16], v[13:14]
	s_waitcnt_depctr 0xfff
	v_fma_f64 v[29:30], -v[13:14], v[15:16], 1.0
	v_fma_f64 v[15:16], v[15:16], v[29:30], v[15:16]
	s_delay_alu instid0(VALU_DEP_1) | instskip(NEXT) | instid1(VALU_DEP_1)
	v_fma_f64 v[29:30], -v[13:14], v[15:16], 1.0
	v_fma_f64 v[15:16], v[15:16], v[29:30], v[15:16]
	s_delay_alu instid0(VALU_DEP_1) | instskip(NEXT) | instid1(VALU_DEP_1)
	v_mul_f64 v[29:30], v[31:32], v[15:16]
	v_fma_f64 v[13:14], -v[13:14], v[29:30], v[31:32]
	s_delay_alu instid0(VALU_DEP_1) | instskip(NEXT) | instid1(VALU_DEP_1)
	v_div_fmas_f64 v[13:14], v[13:14], v[15:16], v[29:30]
	v_div_fixup_f64 v[13:14], v[13:14], v[21:22], v[23:24]
	s_delay_alu instid0(VALU_DEP_1) | instskip(NEXT) | instid1(VALU_DEP_1)
	v_fma_f64 v[15:16], v[23:24], v[13:14], v[21:22]
	v_div_scale_f64 v[21:22], null, v[15:16], v[15:16], 1.0
	v_div_scale_f64 v[31:32], vcc_lo, 1.0, v[15:16], 1.0
	s_delay_alu instid0(VALU_DEP_2) | instskip(SKIP_2) | instid1(VALU_DEP_1)
	v_rcp_f64_e32 v[23:24], v[21:22]
	s_waitcnt_depctr 0xfff
	v_fma_f64 v[29:30], -v[21:22], v[23:24], 1.0
	v_fma_f64 v[23:24], v[23:24], v[29:30], v[23:24]
	s_delay_alu instid0(VALU_DEP_1) | instskip(NEXT) | instid1(VALU_DEP_1)
	v_fma_f64 v[29:30], -v[21:22], v[23:24], 1.0
	v_fma_f64 v[23:24], v[23:24], v[29:30], v[23:24]
	s_delay_alu instid0(VALU_DEP_1) | instskip(NEXT) | instid1(VALU_DEP_1)
	v_mul_f64 v[29:30], v[31:32], v[23:24]
	v_fma_f64 v[21:22], -v[21:22], v[29:30], v[31:32]
	s_delay_alu instid0(VALU_DEP_1) | instskip(SKIP_2) | instid1(VALU_DEP_3)
	v_div_fmas_f64 v[21:22], v[21:22], v[23:24], v[29:30]
	v_fma_f64 v[23:24], v[19:20], v[13:14], v[17:18]
	v_fma_f64 v[17:18], -v[17:18], v[13:14], v[19:20]
	v_div_fixup_f64 v[15:16], v[21:22], v[15:16], 1.0
	s_delay_alu instid0(VALU_DEP_1) | instskip(NEXT) | instid1(VALU_DEP_3)
	v_mul_f64 v[13:14], v[23:24], v[15:16]
	v_mul_f64 v[15:16], v[17:18], v[15:16]
.LBB228_28:                             ;   in Loop: Header=BB228_21 Depth=1
	v_mov_b32_e32 v17, s8
	ds_load_b128 v[21:24], v17 offset:16
	ds_load_b128 v[17:20], v17 offset:400
	ds_store_b128 v28, v[13:16]
	s_waitcnt lgkmcnt(2)
	v_mul_f64 v[29:30], v[15:16], v[23:24]
	v_mul_f64 v[23:24], v[13:14], v[23:24]
	s_waitcnt lgkmcnt(1)
	v_cmp_gt_f64_e32 vcc_lo, 0, v[17:18]
	v_xor_b32_e32 v32, 0x80000000, v20
	v_mov_b32_e32 v31, v19
	v_fma_f64 v[29:30], v[13:14], v[21:22], -v[29:30]
	v_fma_f64 v[23:24], v[15:16], v[21:22], v[23:24]
	v_xor_b32_e32 v22, 0x80000000, v18
	s_delay_alu instid0(VALU_DEP_1) | instskip(SKIP_4) | instid1(VALU_DEP_1)
	v_cndmask_b32_e32 v22, v18, v22, vcc_lo
	v_cmp_gt_f64_e32 vcc_lo, 0, v[19:20]
	v_mov_b32_e32 v21, v17
	v_add_f64 v[23:24], v[11:12], -v[23:24]
	v_cndmask_b32_e32 v32, v20, v32, vcc_lo
	v_cmp_ngt_f64_e32 vcc_lo, v[21:22], v[31:32]
	v_add_f64 v[21:22], v[9:10], -v[29:30]
	s_cbranch_vccz .LBB228_30
; %bb.29:                               ;   in Loop: Header=BB228_21 Depth=1
	v_div_scale_f64 v[9:10], null, v[19:20], v[19:20], v[17:18]
	v_div_scale_f64 v[30:31], vcc_lo, v[17:18], v[19:20], v[17:18]
	s_delay_alu instid0(VALU_DEP_2) | instskip(SKIP_2) | instid1(VALU_DEP_1)
	v_rcp_f64_e32 v[11:12], v[9:10]
	s_waitcnt_depctr 0xfff
	v_fma_f64 v[28:29], -v[9:10], v[11:12], 1.0
	v_fma_f64 v[11:12], v[11:12], v[28:29], v[11:12]
	s_delay_alu instid0(VALU_DEP_1) | instskip(NEXT) | instid1(VALU_DEP_1)
	v_fma_f64 v[28:29], -v[9:10], v[11:12], 1.0
	v_fma_f64 v[11:12], v[11:12], v[28:29], v[11:12]
	s_delay_alu instid0(VALU_DEP_1) | instskip(NEXT) | instid1(VALU_DEP_1)
	v_mul_f64 v[28:29], v[30:31], v[11:12]
	v_fma_f64 v[9:10], -v[9:10], v[28:29], v[30:31]
	s_delay_alu instid0(VALU_DEP_1) | instskip(NEXT) | instid1(VALU_DEP_1)
	v_div_fmas_f64 v[9:10], v[9:10], v[11:12], v[28:29]
	v_div_fixup_f64 v[9:10], v[9:10], v[19:20], v[17:18]
	s_delay_alu instid0(VALU_DEP_1) | instskip(NEXT) | instid1(VALU_DEP_1)
	v_fma_f64 v[11:12], v[17:18], v[9:10], v[19:20]
	v_div_scale_f64 v[28:29], null, v[11:12], v[11:12], 1.0
	v_div_scale_f64 v[34:35], vcc_lo, 1.0, v[11:12], 1.0
	s_delay_alu instid0(VALU_DEP_2) | instskip(SKIP_2) | instid1(VALU_DEP_1)
	v_rcp_f64_e32 v[30:31], v[28:29]
	s_waitcnt_depctr 0xfff
	v_fma_f64 v[32:33], -v[28:29], v[30:31], 1.0
	v_fma_f64 v[30:31], v[30:31], v[32:33], v[30:31]
	s_delay_alu instid0(VALU_DEP_1) | instskip(NEXT) | instid1(VALU_DEP_1)
	v_fma_f64 v[32:33], -v[28:29], v[30:31], 1.0
	v_fma_f64 v[30:31], v[30:31], v[32:33], v[30:31]
	s_delay_alu instid0(VALU_DEP_1) | instskip(NEXT) | instid1(VALU_DEP_1)
	v_mul_f64 v[32:33], v[34:35], v[30:31]
	v_fma_f64 v[28:29], -v[28:29], v[32:33], v[34:35]
	s_delay_alu instid0(VALU_DEP_1) | instskip(SKIP_1) | instid1(VALU_DEP_2)
	v_div_fmas_f64 v[28:29], v[28:29], v[30:31], v[32:33]
	v_fma_f64 v[30:31], v[9:10], v[21:22], v[23:24]
	v_div_fixup_f64 v[11:12], v[28:29], v[11:12], 1.0
	v_fma_f64 v[28:29], v[9:10], v[23:24], -v[21:22]
	s_delay_alu instid0(VALU_DEP_2) | instskip(NEXT) | instid1(VALU_DEP_2)
	v_mul_f64 v[9:10], v[30:31], v[11:12]
	v_mul_f64 v[11:12], v[28:29], v[11:12]
	s_cbranch_execz .LBB228_31
	s_branch .LBB228_32
.LBB228_30:                             ;   in Loop: Header=BB228_21 Depth=1
                                        ; implicit-def: $vgpr11_vgpr12
.LBB228_31:                             ;   in Loop: Header=BB228_21 Depth=1
	v_div_scale_f64 v[9:10], null, v[17:18], v[17:18], v[19:20]
	v_div_scale_f64 v[30:31], vcc_lo, v[19:20], v[17:18], v[19:20]
	s_delay_alu instid0(VALU_DEP_2) | instskip(SKIP_2) | instid1(VALU_DEP_1)
	v_rcp_f64_e32 v[11:12], v[9:10]
	s_waitcnt_depctr 0xfff
	v_fma_f64 v[28:29], -v[9:10], v[11:12], 1.0
	v_fma_f64 v[11:12], v[11:12], v[28:29], v[11:12]
	s_delay_alu instid0(VALU_DEP_1) | instskip(NEXT) | instid1(VALU_DEP_1)
	v_fma_f64 v[28:29], -v[9:10], v[11:12], 1.0
	v_fma_f64 v[11:12], v[11:12], v[28:29], v[11:12]
	s_delay_alu instid0(VALU_DEP_1) | instskip(NEXT) | instid1(VALU_DEP_1)
	v_mul_f64 v[28:29], v[30:31], v[11:12]
	v_fma_f64 v[9:10], -v[9:10], v[28:29], v[30:31]
	s_delay_alu instid0(VALU_DEP_1) | instskip(NEXT) | instid1(VALU_DEP_1)
	v_div_fmas_f64 v[9:10], v[9:10], v[11:12], v[28:29]
	v_div_fixup_f64 v[9:10], v[9:10], v[17:18], v[19:20]
	s_delay_alu instid0(VALU_DEP_1) | instskip(NEXT) | instid1(VALU_DEP_1)
	v_fma_f64 v[11:12], v[19:20], v[9:10], v[17:18]
	v_div_scale_f64 v[17:18], null, v[11:12], v[11:12], 1.0
	v_div_scale_f64 v[30:31], vcc_lo, 1.0, v[11:12], 1.0
	s_delay_alu instid0(VALU_DEP_2) | instskip(SKIP_2) | instid1(VALU_DEP_1)
	v_rcp_f64_e32 v[19:20], v[17:18]
	s_waitcnt_depctr 0xfff
	v_fma_f64 v[28:29], -v[17:18], v[19:20], 1.0
	v_fma_f64 v[19:20], v[19:20], v[28:29], v[19:20]
	s_delay_alu instid0(VALU_DEP_1) | instskip(NEXT) | instid1(VALU_DEP_1)
	v_fma_f64 v[28:29], -v[17:18], v[19:20], 1.0
	v_fma_f64 v[19:20], v[19:20], v[28:29], v[19:20]
	s_delay_alu instid0(VALU_DEP_1) | instskip(NEXT) | instid1(VALU_DEP_1)
	v_mul_f64 v[28:29], v[30:31], v[19:20]
	v_fma_f64 v[17:18], -v[17:18], v[28:29], v[30:31]
	s_delay_alu instid0(VALU_DEP_1) | instskip(SKIP_1) | instid1(VALU_DEP_2)
	v_div_fmas_f64 v[17:18], v[17:18], v[19:20], v[28:29]
	v_fma_f64 v[19:20], v[9:10], v[23:24], v[21:22]
	v_div_fixup_f64 v[11:12], v[17:18], v[11:12], 1.0
	v_fma_f64 v[17:18], -v[9:10], v[21:22], v[23:24]
	s_delay_alu instid0(VALU_DEP_2) | instskip(NEXT) | instid1(VALU_DEP_2)
	v_mul_f64 v[9:10], v[19:20], v[11:12]
	v_mul_f64 v[11:12], v[17:18], v[11:12]
.LBB228_32:                             ;   in Loop: Header=BB228_21 Depth=1
	s_add_i32 s7, s7, s5
	s_delay_alu instid0(SALU_CYCLE_1) | instskip(NEXT) | instid1(SALU_CYCLE_1)
	s_lshl_b32 s7, s7, 4
	v_dual_mov_b32 v17, s8 :: v_dual_mov_b32 v28, s7
	ds_load_b128 v[21:24], v17 offset:32
	ds_load_b128 v[17:20], v17 offset:800
	ds_load_b128 v[28:31], v28 offset:32
	ds_store_b128 v27, v[9:12]
	s_waitcnt lgkmcnt(3)
	v_mul_f64 v[32:33], v[15:16], v[23:24]
	v_mul_f64 v[23:24], v[13:14], v[23:24]
	s_waitcnt lgkmcnt(1)
	v_mul_f64 v[34:35], v[11:12], v[30:31]
	v_mul_f64 v[30:31], v[9:10], v[30:31]
	v_cmp_gt_f64_e32 vcc_lo, 0, v[17:18]
	v_fma_f64 v[32:33], v[13:14], v[21:22], -v[32:33]
	v_fma_f64 v[21:22], v[15:16], v[21:22], v[23:24]
	v_fma_f64 v[23:24], v[9:10], v[28:29], -v[34:35]
	v_fma_f64 v[28:29], v[11:12], v[28:29], v[30:31]
	v_xor_b32_e32 v31, 0x80000000, v20
	v_mov_b32_e32 v30, v19
	v_add_f64 v[5:6], v[5:6], -v[32:33]
	v_add_f64 v[7:8], v[7:8], -v[21:22]
	v_xor_b32_e32 v22, 0x80000000, v18
	s_delay_alu instid0(VALU_DEP_1) | instskip(SKIP_2) | instid1(VALU_DEP_1)
	v_dual_mov_b32 v21, v17 :: v_dual_cndmask_b32 v22, v18, v22
	v_cmp_gt_f64_e32 vcc_lo, 0, v[19:20]
	v_cndmask_b32_e32 v31, v20, v31, vcc_lo
	v_cmp_ngt_f64_e32 vcc_lo, v[21:22], v[30:31]
	v_add_f64 v[21:22], v[5:6], -v[23:24]
	v_add_f64 v[23:24], v[7:8], -v[28:29]
	s_cbranch_vccz .LBB228_34
; %bb.33:                               ;   in Loop: Header=BB228_21 Depth=1
	v_div_scale_f64 v[5:6], null, v[19:20], v[19:20], v[17:18]
	v_div_scale_f64 v[29:30], vcc_lo, v[17:18], v[19:20], v[17:18]
	s_delay_alu instid0(VALU_DEP_2) | instskip(SKIP_2) | instid1(VALU_DEP_1)
	v_rcp_f64_e32 v[7:8], v[5:6]
	s_waitcnt_depctr 0xfff
	v_fma_f64 v[27:28], -v[5:6], v[7:8], 1.0
	v_fma_f64 v[7:8], v[7:8], v[27:28], v[7:8]
	s_delay_alu instid0(VALU_DEP_1) | instskip(NEXT) | instid1(VALU_DEP_1)
	v_fma_f64 v[27:28], -v[5:6], v[7:8], 1.0
	v_fma_f64 v[7:8], v[7:8], v[27:28], v[7:8]
	s_delay_alu instid0(VALU_DEP_1) | instskip(NEXT) | instid1(VALU_DEP_1)
	v_mul_f64 v[27:28], v[29:30], v[7:8]
	v_fma_f64 v[5:6], -v[5:6], v[27:28], v[29:30]
	s_delay_alu instid0(VALU_DEP_1) | instskip(NEXT) | instid1(VALU_DEP_1)
	v_div_fmas_f64 v[5:6], v[5:6], v[7:8], v[27:28]
	v_div_fixup_f64 v[5:6], v[5:6], v[19:20], v[17:18]
	s_delay_alu instid0(VALU_DEP_1) | instskip(NEXT) | instid1(VALU_DEP_1)
	v_fma_f64 v[7:8], v[17:18], v[5:6], v[19:20]
	v_div_scale_f64 v[27:28], null, v[7:8], v[7:8], 1.0
	v_div_scale_f64 v[33:34], vcc_lo, 1.0, v[7:8], 1.0
	s_delay_alu instid0(VALU_DEP_2) | instskip(SKIP_2) | instid1(VALU_DEP_1)
	v_rcp_f64_e32 v[29:30], v[27:28]
	s_waitcnt_depctr 0xfff
	v_fma_f64 v[31:32], -v[27:28], v[29:30], 1.0
	v_fma_f64 v[29:30], v[29:30], v[31:32], v[29:30]
	s_delay_alu instid0(VALU_DEP_1) | instskip(NEXT) | instid1(VALU_DEP_1)
	v_fma_f64 v[31:32], -v[27:28], v[29:30], 1.0
	v_fma_f64 v[29:30], v[29:30], v[31:32], v[29:30]
	s_delay_alu instid0(VALU_DEP_1) | instskip(NEXT) | instid1(VALU_DEP_1)
	v_mul_f64 v[31:32], v[33:34], v[29:30]
	v_fma_f64 v[27:28], -v[27:28], v[31:32], v[33:34]
	s_delay_alu instid0(VALU_DEP_1) | instskip(SKIP_1) | instid1(VALU_DEP_2)
	v_div_fmas_f64 v[27:28], v[27:28], v[29:30], v[31:32]
	v_fma_f64 v[29:30], v[5:6], v[21:22], v[23:24]
	v_div_fixup_f64 v[7:8], v[27:28], v[7:8], 1.0
	v_fma_f64 v[27:28], v[5:6], v[23:24], -v[21:22]
	s_delay_alu instid0(VALU_DEP_2) | instskip(NEXT) | instid1(VALU_DEP_2)
	v_mul_f64 v[5:6], v[29:30], v[7:8]
	v_mul_f64 v[7:8], v[27:28], v[7:8]
	s_cbranch_execz .LBB228_35
	s_branch .LBB228_36
.LBB228_34:                             ;   in Loop: Header=BB228_21 Depth=1
                                        ; implicit-def: $vgpr7_vgpr8
.LBB228_35:                             ;   in Loop: Header=BB228_21 Depth=1
	v_div_scale_f64 v[5:6], null, v[17:18], v[17:18], v[19:20]
	v_div_scale_f64 v[29:30], vcc_lo, v[19:20], v[17:18], v[19:20]
	s_delay_alu instid0(VALU_DEP_2) | instskip(SKIP_2) | instid1(VALU_DEP_1)
	v_rcp_f64_e32 v[7:8], v[5:6]
	s_waitcnt_depctr 0xfff
	v_fma_f64 v[27:28], -v[5:6], v[7:8], 1.0
	v_fma_f64 v[7:8], v[7:8], v[27:28], v[7:8]
	s_delay_alu instid0(VALU_DEP_1) | instskip(NEXT) | instid1(VALU_DEP_1)
	v_fma_f64 v[27:28], -v[5:6], v[7:8], 1.0
	v_fma_f64 v[7:8], v[7:8], v[27:28], v[7:8]
	s_delay_alu instid0(VALU_DEP_1) | instskip(NEXT) | instid1(VALU_DEP_1)
	v_mul_f64 v[27:28], v[29:30], v[7:8]
	v_fma_f64 v[5:6], -v[5:6], v[27:28], v[29:30]
	s_delay_alu instid0(VALU_DEP_1) | instskip(NEXT) | instid1(VALU_DEP_1)
	v_div_fmas_f64 v[5:6], v[5:6], v[7:8], v[27:28]
	v_div_fixup_f64 v[5:6], v[5:6], v[17:18], v[19:20]
	s_delay_alu instid0(VALU_DEP_1) | instskip(NEXT) | instid1(VALU_DEP_1)
	v_fma_f64 v[7:8], v[19:20], v[5:6], v[17:18]
	v_div_scale_f64 v[17:18], null, v[7:8], v[7:8], 1.0
	v_div_scale_f64 v[29:30], vcc_lo, 1.0, v[7:8], 1.0
	s_delay_alu instid0(VALU_DEP_2) | instskip(SKIP_2) | instid1(VALU_DEP_1)
	v_rcp_f64_e32 v[19:20], v[17:18]
	s_waitcnt_depctr 0xfff
	v_fma_f64 v[27:28], -v[17:18], v[19:20], 1.0
	v_fma_f64 v[19:20], v[19:20], v[27:28], v[19:20]
	s_delay_alu instid0(VALU_DEP_1) | instskip(NEXT) | instid1(VALU_DEP_1)
	v_fma_f64 v[27:28], -v[17:18], v[19:20], 1.0
	v_fma_f64 v[19:20], v[19:20], v[27:28], v[19:20]
	s_delay_alu instid0(VALU_DEP_1) | instskip(NEXT) | instid1(VALU_DEP_1)
	v_mul_f64 v[27:28], v[29:30], v[19:20]
	v_fma_f64 v[17:18], -v[17:18], v[27:28], v[29:30]
	s_delay_alu instid0(VALU_DEP_1) | instskip(SKIP_1) | instid1(VALU_DEP_2)
	v_div_fmas_f64 v[17:18], v[17:18], v[19:20], v[27:28]
	v_fma_f64 v[19:20], v[5:6], v[23:24], v[21:22]
	v_div_fixup_f64 v[7:8], v[17:18], v[7:8], 1.0
	v_fma_f64 v[17:18], -v[5:6], v[21:22], v[23:24]
	s_delay_alu instid0(VALU_DEP_2) | instskip(NEXT) | instid1(VALU_DEP_2)
	v_mul_f64 v[5:6], v[19:20], v[7:8]
	v_mul_f64 v[7:8], v[17:18], v[7:8]
.LBB228_36:                             ;   in Loop: Header=BB228_21 Depth=1
	v_mov_b32_e32 v17, s8
	s_add_i32 s6, s6, s5
	ds_load_b128 v[21:24], v17 offset:48
	ds_load_b128 v[17:20], v17 offset:1200
	v_mov_b32_e32 v27, s7
	s_lshl_b32 s6, s6, 4
	ds_store_b128 v26, v[5:8]
	v_mov_b32_e32 v31, s6
	ds_load_b128 v[27:30], v27 offset:48
	ds_load_b128 v[31:34], v31 offset:48
	s_waitcnt lgkmcnt(4)
	v_mul_f64 v[35:36], v[15:16], v[23:24]
	v_mul_f64 v[23:24], v[13:14], v[23:24]
	s_waitcnt lgkmcnt(3)
	v_cmp_gt_f64_e32 vcc_lo, 0, v[17:18]
	s_waitcnt lgkmcnt(1)
	v_mul_f64 v[37:38], v[11:12], v[29:30]
	v_mul_f64 v[29:30], v[9:10], v[29:30]
	v_fma_f64 v[13:14], v[13:14], v[21:22], -v[35:36]
	v_fma_f64 v[15:16], v[15:16], v[21:22], v[23:24]
	s_waitcnt lgkmcnt(0)
	v_mul_f64 v[21:22], v[7:8], v[33:34]
	v_mul_f64 v[23:24], v[5:6], v[33:34]
	v_fma_f64 v[9:10], v[9:10], v[27:28], -v[37:38]
	v_fma_f64 v[11:12], v[11:12], v[27:28], v[29:30]
	v_add_f64 v[1:2], v[1:2], -v[13:14]
	v_add_f64 v[3:4], v[3:4], -v[15:16]
	v_fma_f64 v[13:14], v[5:6], v[31:32], -v[21:22]
	v_fma_f64 v[15:16], v[7:8], v[31:32], v[23:24]
	s_delay_alu instid0(VALU_DEP_4) | instskip(SKIP_4) | instid1(VALU_DEP_4)
	v_add_f64 v[1:2], v[1:2], -v[9:10]
	v_xor_b32_e32 v10, 0x80000000, v18
	v_add_f64 v[3:4], v[3:4], -v[11:12]
	v_xor_b32_e32 v12, 0x80000000, v20
	v_mov_b32_e32 v9, v17
	v_dual_mov_b32 v11, v19 :: v_dual_cndmask_b32 v10, v18, v10
	v_cmp_gt_f64_e32 vcc_lo, 0, v[19:20]
	s_delay_alu instid0(VALU_DEP_4) | instskip(NEXT) | instid1(VALU_DEP_1)
	v_cndmask_b32_e32 v12, v20, v12, vcc_lo
	v_cmp_ngt_f64_e32 vcc_lo, v[9:10], v[11:12]
	v_add_f64 v[9:10], v[1:2], -v[13:14]
	v_add_f64 v[11:12], v[3:4], -v[15:16]
	s_cbranch_vccz .LBB228_38
; %bb.37:                               ;   in Loop: Header=BB228_21 Depth=1
	v_div_scale_f64 v[1:2], null, v[19:20], v[19:20], v[17:18]
	v_div_scale_f64 v[7:8], vcc_lo, v[17:18], v[19:20], v[17:18]
	s_delay_alu instid0(VALU_DEP_2) | instskip(SKIP_2) | instid1(VALU_DEP_1)
	v_rcp_f64_e32 v[3:4], v[1:2]
	s_waitcnt_depctr 0xfff
	v_fma_f64 v[5:6], -v[1:2], v[3:4], 1.0
	v_fma_f64 v[3:4], v[3:4], v[5:6], v[3:4]
	s_delay_alu instid0(VALU_DEP_1) | instskip(NEXT) | instid1(VALU_DEP_1)
	v_fma_f64 v[5:6], -v[1:2], v[3:4], 1.0
	v_fma_f64 v[3:4], v[3:4], v[5:6], v[3:4]
	s_delay_alu instid0(VALU_DEP_1) | instskip(NEXT) | instid1(VALU_DEP_1)
	v_mul_f64 v[5:6], v[7:8], v[3:4]
	v_fma_f64 v[1:2], -v[1:2], v[5:6], v[7:8]
	s_delay_alu instid0(VALU_DEP_1) | instskip(NEXT) | instid1(VALU_DEP_1)
	v_div_fmas_f64 v[1:2], v[1:2], v[3:4], v[5:6]
	v_div_fixup_f64 v[1:2], v[1:2], v[19:20], v[17:18]
	s_delay_alu instid0(VALU_DEP_1) | instskip(NEXT) | instid1(VALU_DEP_1)
	v_fma_f64 v[3:4], v[17:18], v[1:2], v[19:20]
	v_div_scale_f64 v[5:6], null, v[3:4], v[3:4], 1.0
	v_div_scale_f64 v[15:16], vcc_lo, 1.0, v[3:4], 1.0
	s_delay_alu instid0(VALU_DEP_2) | instskip(SKIP_2) | instid1(VALU_DEP_1)
	v_rcp_f64_e32 v[7:8], v[5:6]
	s_waitcnt_depctr 0xfff
	v_fma_f64 v[13:14], -v[5:6], v[7:8], 1.0
	v_fma_f64 v[7:8], v[7:8], v[13:14], v[7:8]
	s_delay_alu instid0(VALU_DEP_1) | instskip(NEXT) | instid1(VALU_DEP_1)
	v_fma_f64 v[13:14], -v[5:6], v[7:8], 1.0
	v_fma_f64 v[7:8], v[7:8], v[13:14], v[7:8]
	s_delay_alu instid0(VALU_DEP_1) | instskip(NEXT) | instid1(VALU_DEP_1)
	v_mul_f64 v[13:14], v[15:16], v[7:8]
	v_fma_f64 v[5:6], -v[5:6], v[13:14], v[15:16]
	s_delay_alu instid0(VALU_DEP_1) | instskip(SKIP_1) | instid1(VALU_DEP_2)
	v_div_fmas_f64 v[5:6], v[5:6], v[7:8], v[13:14]
	v_fma_f64 v[7:8], v[1:2], v[9:10], v[11:12]
	v_div_fixup_f64 v[3:4], v[5:6], v[3:4], 1.0
	v_fma_f64 v[5:6], v[1:2], v[11:12], -v[9:10]
	s_delay_alu instid0(VALU_DEP_2) | instskip(NEXT) | instid1(VALU_DEP_2)
	v_mul_f64 v[1:2], v[7:8], v[3:4]
	v_mul_f64 v[3:4], v[5:6], v[3:4]
	s_cbranch_execz .LBB228_39
	s_branch .LBB228_40
.LBB228_38:                             ;   in Loop: Header=BB228_21 Depth=1
                                        ; implicit-def: $vgpr3_vgpr4
.LBB228_39:                             ;   in Loop: Header=BB228_21 Depth=1
	v_div_scale_f64 v[1:2], null, v[17:18], v[17:18], v[19:20]
	v_div_scale_f64 v[7:8], vcc_lo, v[19:20], v[17:18], v[19:20]
	s_delay_alu instid0(VALU_DEP_2) | instskip(SKIP_2) | instid1(VALU_DEP_1)
	v_rcp_f64_e32 v[3:4], v[1:2]
	s_waitcnt_depctr 0xfff
	v_fma_f64 v[5:6], -v[1:2], v[3:4], 1.0
	v_fma_f64 v[3:4], v[3:4], v[5:6], v[3:4]
	s_delay_alu instid0(VALU_DEP_1) | instskip(NEXT) | instid1(VALU_DEP_1)
	v_fma_f64 v[5:6], -v[1:2], v[3:4], 1.0
	v_fma_f64 v[3:4], v[3:4], v[5:6], v[3:4]
	s_delay_alu instid0(VALU_DEP_1) | instskip(NEXT) | instid1(VALU_DEP_1)
	v_mul_f64 v[5:6], v[7:8], v[3:4]
	v_fma_f64 v[1:2], -v[1:2], v[5:6], v[7:8]
	s_delay_alu instid0(VALU_DEP_1) | instskip(NEXT) | instid1(VALU_DEP_1)
	v_div_fmas_f64 v[1:2], v[1:2], v[3:4], v[5:6]
	v_div_fixup_f64 v[1:2], v[1:2], v[17:18], v[19:20]
	s_delay_alu instid0(VALU_DEP_1) | instskip(NEXT) | instid1(VALU_DEP_1)
	v_fma_f64 v[3:4], v[19:20], v[1:2], v[17:18]
	v_div_scale_f64 v[5:6], null, v[3:4], v[3:4], 1.0
	v_div_scale_f64 v[15:16], vcc_lo, 1.0, v[3:4], 1.0
	s_delay_alu instid0(VALU_DEP_2) | instskip(SKIP_2) | instid1(VALU_DEP_1)
	v_rcp_f64_e32 v[7:8], v[5:6]
	s_waitcnt_depctr 0xfff
	v_fma_f64 v[13:14], -v[5:6], v[7:8], 1.0
	v_fma_f64 v[7:8], v[7:8], v[13:14], v[7:8]
	s_delay_alu instid0(VALU_DEP_1) | instskip(NEXT) | instid1(VALU_DEP_1)
	v_fma_f64 v[13:14], -v[5:6], v[7:8], 1.0
	v_fma_f64 v[7:8], v[7:8], v[13:14], v[7:8]
	s_delay_alu instid0(VALU_DEP_1) | instskip(NEXT) | instid1(VALU_DEP_1)
	v_mul_f64 v[13:14], v[15:16], v[7:8]
	v_fma_f64 v[5:6], -v[5:6], v[13:14], v[15:16]
	s_delay_alu instid0(VALU_DEP_1) | instskip(SKIP_1) | instid1(VALU_DEP_2)
	v_div_fmas_f64 v[5:6], v[5:6], v[7:8], v[13:14]
	v_fma_f64 v[7:8], v[1:2], v[11:12], v[9:10]
	v_div_fixup_f64 v[3:4], v[5:6], v[3:4], 1.0
	v_fma_f64 v[5:6], -v[1:2], v[9:10], v[11:12]
	s_delay_alu instid0(VALU_DEP_2) | instskip(NEXT) | instid1(VALU_DEP_2)
	v_mul_f64 v[1:2], v[7:8], v[3:4]
	v_mul_f64 v[3:4], v[5:6], v[3:4]
.LBB228_40:                             ;   in Loop: Header=BB228_21 Depth=1
	s_add_i32 s6, s5, 4
	s_add_i32 s5, s5, 7
	;; [unrolled: 1-line block ×3, first 2 shown]
	s_cmp_ge_i32 s5, s28
	ds_store_b128 v26, v[1:4] offset:384
	s_cbranch_scc1 .LBB228_42
; %bb.41:                               ;   in Loop: Header=BB228_21 Depth=1
	s_mov_b32 s5, s6
	s_branch .LBB228_21
.LBB228_42:
	s_cmp_ge_i32 s6, s28
	s_cbranch_scc1 .LBB228_57
; %bb.43:
	v_lshl_or_b32 v13, v0, 4, 0x2400
	s_add_i32 s4, s6, -1
	s_lshl_b32 s5, s6, 4
	s_mov_b32 s7, 0
	s_mov_b32 s8, s6
	s_branch .LBB228_45
.LBB228_44:                             ;   in Loop: Header=BB228_45 Depth=1
	v_add_nc_u16 v1, s8, 1
	s_add_i32 s6, s6, 1
	s_add_i32 s7, s7, 1
	;; [unrolled: 1-line block ×3, first 2 shown]
	s_cmp_ge_i32 s6, s28
	v_readfirstlane_b32 s8, v1
	ds_store_b128 v14, v[9:12]
	s_cbranch_scc1 .LBB228_57
.LBB228_45:                             ; =>This Loop Header: Depth=1
                                        ;     Child Loop BB228_48 Depth 2
                                        ;     Child Loop BB228_52 Depth 2
	s_mul_i32 s9, s6, 24
	s_cmp_eq_u32 s6, 0
	v_add_lshl_u32 v5, s9, v0, 4
	ds_load_b128 v[1:4], v5 offset:9216
	s_cbranch_scc1 .LBB228_53
; %bb.46:                               ;   in Loop: Header=BB228_45 Depth=1
	s_add_i32 s9, s4, s7
	s_delay_alu instid0(SALU_CYCLE_1)
	s_cmp_lt_u32 s9, 3
	s_cbranch_scc1 .LBB228_50
; %bb.47:                               ;   in Loop: Header=BB228_45 Depth=1
	v_mov_b32_e32 v6, v13
	s_and_b32 s9, s6, -4
	s_mov_b32 s10, 0
	s_mov_b32 s11, s5
.LBB228_48:                             ;   Parent Loop BB228_45 Depth=1
                                        ; =>  This Inner Loop Header: Depth=2
	s_delay_alu instid0(SALU_CYCLE_1)
	v_mov_b32_e32 v30, s11
	s_add_i32 s10, s10, 4
	s_addk_i32 s11, 0x600
	s_cmp_eq_u32 s9, s10
	ds_load_b128 v[7:10], v6
	ds_load_b128 v[14:17], v30
	ds_load_b128 v[18:21], v6 offset:384
	ds_load_b128 v[22:25], v30 offset:384
	s_waitcnt lgkmcnt(2)
	v_mul_f64 v[11:12], v[16:17], v[9:10]
	v_mul_f64 v[9:10], v[14:15], v[9:10]
	s_waitcnt lgkmcnt(0)
	v_mul_f64 v[34:35], v[24:25], v[20:21]
	v_mul_f64 v[20:21], v[22:23], v[20:21]
	s_delay_alu instid0(VALU_DEP_4) | instskip(NEXT) | instid1(VALU_DEP_4)
	v_fma_f64 v[11:12], v[14:15], v[7:8], -v[11:12]
	v_fma_f64 v[36:37], v[16:17], v[7:8], v[9:10]
	ds_load_b128 v[7:10], v6 offset:768
	ds_load_b128 v[14:17], v30 offset:768
	ds_load_b128 v[26:29], v6 offset:1152
	ds_load_b128 v[30:33], v30 offset:1152
	v_fma_f64 v[22:23], v[22:23], v[18:19], -v[34:35]
	v_fma_f64 v[18:19], v[24:25], v[18:19], v[20:21]
	v_add_nc_u32_e32 v6, 0x600, v6
	s_waitcnt lgkmcnt(2)
	v_mul_f64 v[38:39], v[16:17], v[9:10]
	v_mul_f64 v[9:10], v[14:15], v[9:10]
	s_waitcnt lgkmcnt(0)
	v_mul_f64 v[20:21], v[30:31], v[28:29]
	v_add_f64 v[1:2], v[1:2], -v[11:12]
	v_add_f64 v[3:4], v[3:4], -v[36:37]
	v_mul_f64 v[11:12], v[32:33], v[28:29]
	v_fma_f64 v[14:15], v[14:15], v[7:8], -v[38:39]
	v_fma_f64 v[7:8], v[16:17], v[7:8], v[9:10]
	v_add_f64 v[1:2], v[1:2], -v[22:23]
	v_add_f64 v[3:4], v[3:4], -v[18:19]
	v_fma_f64 v[9:10], v[30:31], v[26:27], -v[11:12]
	v_fma_f64 v[11:12], v[32:33], v[26:27], v[20:21]
	s_delay_alu instid0(VALU_DEP_4) | instskip(NEXT) | instid1(VALU_DEP_4)
	v_add_f64 v[1:2], v[1:2], -v[14:15]
	v_add_f64 v[3:4], v[3:4], -v[7:8]
	s_delay_alu instid0(VALU_DEP_2) | instskip(NEXT) | instid1(VALU_DEP_2)
	v_add_f64 v[1:2], v[1:2], -v[9:10]
	v_add_f64 v[3:4], v[3:4], -v[11:12]
	s_cbranch_scc0 .LBB228_48
; %bb.49:                               ;   in Loop: Header=BB228_45 Depth=1
	s_and_b32 s10, s6, 3
	s_delay_alu instid0(SALU_CYCLE_1)
	s_cmp_eq_u32 s10, 0
	s_cbranch_scc0 .LBB228_51
	s_branch .LBB228_53
.LBB228_50:                             ;   in Loop: Header=BB228_45 Depth=1
	s_mov_b32 s9, 0
	s_and_b32 s10, s6, 3
	s_delay_alu instid0(SALU_CYCLE_1)
	s_cmp_eq_u32 s10, 0
	s_cbranch_scc1 .LBB228_53
.LBB228_51:                             ;   in Loop: Header=BB228_45 Depth=1
	s_and_b32 s10, s8, 3
	s_mulk_i32 s9, 0x180
	.p2align	6
.LBB228_52:                             ;   Parent Loop BB228_45 Depth=1
                                        ; =>  This Inner Loop Header: Depth=2
	s_delay_alu instid0(SALU_CYCLE_1)
	s_add_i32 s11, s5, s9
	v_add_nc_u32_e32 v6, s9, v13
	v_mov_b32_e32 v10, s11
	s_add_i32 s10, s10, -1
	s_addk_i32 s9, 0x180
	s_cmp_lg_u32 s10, 0
	ds_load_b128 v[6:9], v6
	ds_load_b128 v[14:17], v10
	s_waitcnt lgkmcnt(0)
	v_mul_f64 v[10:11], v[16:17], v[8:9]
	v_mul_f64 v[8:9], v[14:15], v[8:9]
	s_delay_alu instid0(VALU_DEP_2) | instskip(NEXT) | instid1(VALU_DEP_2)
	v_fma_f64 v[10:11], v[14:15], v[6:7], -v[10:11]
	v_fma_f64 v[6:7], v[16:17], v[6:7], v[8:9]
	s_delay_alu instid0(VALU_DEP_2) | instskip(NEXT) | instid1(VALU_DEP_2)
	v_add_f64 v[1:2], v[1:2], -v[10:11]
	v_add_f64 v[3:4], v[3:4], -v[6:7]
	s_cbranch_scc1 .LBB228_52
.LBB228_53:                             ;   in Loop: Header=BB228_45 Depth=1
	s_mul_i32 s9, s6, 0x190
	s_delay_alu instid0(SALU_CYCLE_1)
	v_dual_mov_b32 v5, s9 :: v_dual_add_nc_u32 v14, 0x2400, v5
	ds_load_b128 v[5:8], v5
	s_waitcnt lgkmcnt(0)
	v_cmp_gt_f64_e32 vcc_lo, 0, v[5:6]
	v_xor_b32_e32 v10, 0x80000000, v6
	v_mov_b32_e32 v9, v5
	v_xor_b32_e32 v11, 0x80000000, v8
	s_delay_alu instid0(VALU_DEP_3) | instskip(SKIP_1) | instid1(VALU_DEP_3)
	v_cndmask_b32_e32 v10, v6, v10, vcc_lo
	v_cmp_gt_f64_e32 vcc_lo, 0, v[7:8]
	v_dual_cndmask_b32 v12, v8, v11 :: v_dual_mov_b32 v11, v7
	s_delay_alu instid0(VALU_DEP_1)
	v_cmp_ngt_f64_e32 vcc_lo, v[9:10], v[11:12]
	s_cbranch_vccz .LBB228_55
; %bb.54:                               ;   in Loop: Header=BB228_45 Depth=1
	v_div_scale_f64 v[9:10], null, v[7:8], v[7:8], v[5:6]
	v_div_scale_f64 v[17:18], vcc_lo, v[5:6], v[7:8], v[5:6]
	s_delay_alu instid0(VALU_DEP_2) | instskip(SKIP_2) | instid1(VALU_DEP_1)
	v_rcp_f64_e32 v[11:12], v[9:10]
	s_waitcnt_depctr 0xfff
	v_fma_f64 v[15:16], -v[9:10], v[11:12], 1.0
	v_fma_f64 v[11:12], v[11:12], v[15:16], v[11:12]
	s_delay_alu instid0(VALU_DEP_1) | instskip(NEXT) | instid1(VALU_DEP_1)
	v_fma_f64 v[15:16], -v[9:10], v[11:12], 1.0
	v_fma_f64 v[11:12], v[11:12], v[15:16], v[11:12]
	s_delay_alu instid0(VALU_DEP_1) | instskip(NEXT) | instid1(VALU_DEP_1)
	v_mul_f64 v[15:16], v[17:18], v[11:12]
	v_fma_f64 v[9:10], -v[9:10], v[15:16], v[17:18]
	s_delay_alu instid0(VALU_DEP_1) | instskip(NEXT) | instid1(VALU_DEP_1)
	v_div_fmas_f64 v[9:10], v[9:10], v[11:12], v[15:16]
	v_div_fixup_f64 v[9:10], v[9:10], v[7:8], v[5:6]
	s_delay_alu instid0(VALU_DEP_1) | instskip(NEXT) | instid1(VALU_DEP_1)
	v_fma_f64 v[11:12], v[5:6], v[9:10], v[7:8]
	v_div_scale_f64 v[15:16], null, v[11:12], v[11:12], 1.0
	v_div_scale_f64 v[21:22], vcc_lo, 1.0, v[11:12], 1.0
	s_delay_alu instid0(VALU_DEP_2) | instskip(SKIP_2) | instid1(VALU_DEP_1)
	v_rcp_f64_e32 v[17:18], v[15:16]
	s_waitcnt_depctr 0xfff
	v_fma_f64 v[19:20], -v[15:16], v[17:18], 1.0
	v_fma_f64 v[17:18], v[17:18], v[19:20], v[17:18]
	s_delay_alu instid0(VALU_DEP_1) | instskip(NEXT) | instid1(VALU_DEP_1)
	v_fma_f64 v[19:20], -v[15:16], v[17:18], 1.0
	v_fma_f64 v[17:18], v[17:18], v[19:20], v[17:18]
	s_delay_alu instid0(VALU_DEP_1) | instskip(NEXT) | instid1(VALU_DEP_1)
	v_mul_f64 v[19:20], v[21:22], v[17:18]
	v_fma_f64 v[15:16], -v[15:16], v[19:20], v[21:22]
	s_delay_alu instid0(VALU_DEP_1) | instskip(SKIP_1) | instid1(VALU_DEP_2)
	v_div_fmas_f64 v[15:16], v[15:16], v[17:18], v[19:20]
	v_fma_f64 v[17:18], v[1:2], v[9:10], v[3:4]
	v_div_fixup_f64 v[11:12], v[15:16], v[11:12], 1.0
	v_fma_f64 v[15:16], v[3:4], v[9:10], -v[1:2]
	s_delay_alu instid0(VALU_DEP_2) | instskip(NEXT) | instid1(VALU_DEP_2)
	v_mul_f64 v[9:10], v[17:18], v[11:12]
	v_mul_f64 v[11:12], v[15:16], v[11:12]
	s_cbranch_execnz .LBB228_44
	s_branch .LBB228_56
.LBB228_55:                             ;   in Loop: Header=BB228_45 Depth=1
                                        ; implicit-def: $vgpr9_vgpr10
.LBB228_56:                             ;   in Loop: Header=BB228_45 Depth=1
	v_div_scale_f64 v[9:10], null, v[5:6], v[5:6], v[7:8]
	v_div_scale_f64 v[17:18], vcc_lo, v[7:8], v[5:6], v[7:8]
	s_delay_alu instid0(VALU_DEP_2) | instskip(SKIP_2) | instid1(VALU_DEP_1)
	v_rcp_f64_e32 v[11:12], v[9:10]
	s_waitcnt_depctr 0xfff
	v_fma_f64 v[15:16], -v[9:10], v[11:12], 1.0
	v_fma_f64 v[11:12], v[11:12], v[15:16], v[11:12]
	s_delay_alu instid0(VALU_DEP_1) | instskip(NEXT) | instid1(VALU_DEP_1)
	v_fma_f64 v[15:16], -v[9:10], v[11:12], 1.0
	v_fma_f64 v[11:12], v[11:12], v[15:16], v[11:12]
	s_delay_alu instid0(VALU_DEP_1) | instskip(NEXT) | instid1(VALU_DEP_1)
	v_mul_f64 v[15:16], v[17:18], v[11:12]
	v_fma_f64 v[9:10], -v[9:10], v[15:16], v[17:18]
	s_delay_alu instid0(VALU_DEP_1) | instskip(NEXT) | instid1(VALU_DEP_1)
	v_div_fmas_f64 v[9:10], v[9:10], v[11:12], v[15:16]
	v_div_fixup_f64 v[9:10], v[9:10], v[5:6], v[7:8]
	s_delay_alu instid0(VALU_DEP_1) | instskip(NEXT) | instid1(VALU_DEP_1)
	v_fma_f64 v[5:6], v[7:8], v[9:10], v[5:6]
	v_div_scale_f64 v[7:8], null, v[5:6], v[5:6], 1.0
	v_div_scale_f64 v[17:18], vcc_lo, 1.0, v[5:6], 1.0
	s_delay_alu instid0(VALU_DEP_2) | instskip(SKIP_2) | instid1(VALU_DEP_1)
	v_rcp_f64_e32 v[11:12], v[7:8]
	s_waitcnt_depctr 0xfff
	v_fma_f64 v[15:16], -v[7:8], v[11:12], 1.0
	v_fma_f64 v[11:12], v[11:12], v[15:16], v[11:12]
	s_delay_alu instid0(VALU_DEP_1) | instskip(NEXT) | instid1(VALU_DEP_1)
	v_fma_f64 v[15:16], -v[7:8], v[11:12], 1.0
	v_fma_f64 v[11:12], v[11:12], v[15:16], v[11:12]
	s_delay_alu instid0(VALU_DEP_1) | instskip(NEXT) | instid1(VALU_DEP_1)
	v_mul_f64 v[15:16], v[17:18], v[11:12]
	v_fma_f64 v[7:8], -v[7:8], v[15:16], v[17:18]
	s_delay_alu instid0(VALU_DEP_1) | instskip(SKIP_2) | instid1(VALU_DEP_3)
	v_div_fmas_f64 v[7:8], v[7:8], v[11:12], v[15:16]
	v_fma_f64 v[11:12], v[3:4], v[9:10], v[1:2]
	v_fma_f64 v[1:2], -v[1:2], v[9:10], v[3:4]
	v_div_fixup_f64 v[5:6], v[7:8], v[5:6], 1.0
	s_delay_alu instid0(VALU_DEP_1) | instskip(NEXT) | instid1(VALU_DEP_3)
	v_mul_f64 v[9:10], v[11:12], v[5:6]
	v_mul_f64 v[11:12], v[1:2], v[5:6]
	s_branch .LBB228_44
.LBB228_57:
	s_mov_b32 s4, 0
.LBB228_58:
	s_delay_alu instid0(SALU_CYCLE_1)
	s_and_b32 vcc_lo, exec_lo, s4
	s_cbranch_vccz .LBB228_90
; %bb.59:
	s_and_not1_b32 vcc_lo, exec_lo, s1
	s_mov_b32 s6, s29
	s_cbranch_vccnz .LBB228_81
; %bb.60:
	v_lshlrev_b32_e32 v1, 4, v0
	s_mul_i32 s4, s28, 0x180
	s_mov_b32 s5, s29
	s_delay_alu instid0(VALU_DEP_1) | instskip(SKIP_1) | instid1(SALU_CYCLE_1)
	v_add3_u32 v25, s4, v1, 0x2100
	s_mul_i32 s4, s28, 0x190
	s_addk_i32 s4, 0xfcc0
.LBB228_61:                             ; =>This Loop Header: Depth=1
                                        ;     Child Loop BB228_62 Depth 2
	s_mul_i32 s8, s5, 24
	s_delay_alu instid0(VALU_DEP_1)
	v_mov_b32_e32 v16, v25
	s_sub_i32 s7, s8, 24
	v_add_lshl_u32 v13, s8, v0, 4
	s_sub_i32 s6, s8, 48
	v_add_lshl_u32 v15, s7, v0, 4
	v_add_lshl_u32 v14, s6, v0, 4
	s_cmp_le_i32 s29, s5
	ds_load_b128 v[17:20], v13 offset:9216
	ds_load_b128 v[9:12], v15 offset:9216
	;; [unrolled: 1-line block ×4, first 2 shown]
	s_mov_b32 s9, s4
	s_mov_b32 s10, s29
	s_cbranch_scc1 .LBB228_63
.LBB228_62:                             ;   Parent Loop BB228_61 Depth=1
                                        ; =>  This Inner Loop Header: Depth=2
	v_mov_b32_e32 v58, s9
	s_add_i32 s10, s10, -2
	s_addk_i32 s9, 0xfd00
	s_cmp_le_i32 s10, s5
	ds_load_b128 v[21:24], v16 offset:384
	ds_load_b128 v[26:29], v58 offset:432
	;; [unrolled: 1-line block ×5, first 2 shown]
	ds_load_b128 v[42:45], v16
	ds_load_b128 v[46:49], v58 offset:48
	ds_load_b128 v[50:53], v58 offset:32
	;; [unrolled: 1-line block ×3, first 2 shown]
	ds_load_b128 v[58:61], v58
	v_add_nc_u32_e32 v16, 0xfffffd00, v16
	s_waitcnt lgkmcnt(8)
	v_mul_f64 v[62:63], v[23:24], v[28:29]
	v_mul_f64 v[28:29], v[21:22], v[28:29]
	s_waitcnt lgkmcnt(7)
	v_mul_f64 v[64:65], v[23:24], v[32:33]
	v_mul_f64 v[32:33], v[21:22], v[32:33]
	;; [unrolled: 3-line block ×8, first 2 shown]
	v_fma_f64 v[62:63], v[21:22], v[26:27], -v[62:63]
	v_fma_f64 v[26:27], v[23:24], v[26:27], v[28:29]
	v_fma_f64 v[28:29], v[21:22], v[30:31], -v[64:65]
	v_fma_f64 v[30:31], v[23:24], v[30:31], v[32:33]
	;; [unrolled: 2-line block ×8, first 2 shown]
	v_add_f64 v[17:18], v[17:18], -v[62:63]
	v_add_f64 v[19:20], v[19:20], -v[26:27]
	;; [unrolled: 1-line block ×16, first 2 shown]
	s_cbranch_scc0 .LBB228_62
.LBB228_63:                             ;   in Loop: Header=BB228_61 Depth=1
	s_mul_i32 s9, s5, 0x190
	v_add_nc_u32_e32 v29, 0x2400, v13
	v_dual_mov_b32 v13, s9 :: v_dual_add_nc_u32 v28, 0x2400, v15
	ds_load_b128 v[21:24], v13
	s_waitcnt lgkmcnt(0)
	v_dual_mov_b32 v13, v21 :: v_dual_add_nc_u32 v26, 0x2280, v14
	v_cmp_gt_f64_e32 vcc_lo, 0, v[21:22]
	v_xor_b32_e32 v15, 0x80000000, v24
	v_add_nc_u32_e32 v27, 0x2400, v14
	v_xor_b32_e32 v14, 0x80000000, v22
	s_delay_alu instid0(VALU_DEP_1) | instskip(SKIP_2) | instid1(VALU_DEP_1)
	v_cndmask_b32_e32 v14, v22, v14, vcc_lo
	v_cmp_gt_f64_e32 vcc_lo, 0, v[23:24]
	v_dual_cndmask_b32 v16, v24, v15 :: v_dual_mov_b32 v15, v23
	v_cmp_ngt_f64_e32 vcc_lo, v[13:14], v[15:16]
	s_cbranch_vccz .LBB228_65
; %bb.64:                               ;   in Loop: Header=BB228_61 Depth=1
	v_div_scale_f64 v[13:14], null, v[23:24], v[23:24], v[21:22]
	v_div_scale_f64 v[32:33], vcc_lo, v[21:22], v[23:24], v[21:22]
	s_delay_alu instid0(VALU_DEP_2) | instskip(SKIP_2) | instid1(VALU_DEP_1)
	v_rcp_f64_e32 v[15:16], v[13:14]
	s_waitcnt_depctr 0xfff
	v_fma_f64 v[30:31], -v[13:14], v[15:16], 1.0
	v_fma_f64 v[15:16], v[15:16], v[30:31], v[15:16]
	s_delay_alu instid0(VALU_DEP_1) | instskip(NEXT) | instid1(VALU_DEP_1)
	v_fma_f64 v[30:31], -v[13:14], v[15:16], 1.0
	v_fma_f64 v[15:16], v[15:16], v[30:31], v[15:16]
	s_delay_alu instid0(VALU_DEP_1) | instskip(NEXT) | instid1(VALU_DEP_1)
	v_mul_f64 v[30:31], v[32:33], v[15:16]
	v_fma_f64 v[13:14], -v[13:14], v[30:31], v[32:33]
	s_delay_alu instid0(VALU_DEP_1) | instskip(NEXT) | instid1(VALU_DEP_1)
	v_div_fmas_f64 v[13:14], v[13:14], v[15:16], v[30:31]
	v_div_fixup_f64 v[13:14], v[13:14], v[23:24], v[21:22]
	s_delay_alu instid0(VALU_DEP_1) | instskip(NEXT) | instid1(VALU_DEP_1)
	v_fma_f64 v[15:16], v[21:22], v[13:14], v[23:24]
	v_div_scale_f64 v[30:31], null, v[15:16], v[15:16], 1.0
	v_div_scale_f64 v[36:37], vcc_lo, 1.0, v[15:16], 1.0
	s_delay_alu instid0(VALU_DEP_2) | instskip(SKIP_2) | instid1(VALU_DEP_1)
	v_rcp_f64_e32 v[32:33], v[30:31]
	s_waitcnt_depctr 0xfff
	v_fma_f64 v[34:35], -v[30:31], v[32:33], 1.0
	v_fma_f64 v[32:33], v[32:33], v[34:35], v[32:33]
	s_delay_alu instid0(VALU_DEP_1) | instskip(NEXT) | instid1(VALU_DEP_1)
	v_fma_f64 v[34:35], -v[30:31], v[32:33], 1.0
	v_fma_f64 v[32:33], v[32:33], v[34:35], v[32:33]
	s_delay_alu instid0(VALU_DEP_1) | instskip(NEXT) | instid1(VALU_DEP_1)
	v_mul_f64 v[34:35], v[36:37], v[32:33]
	v_fma_f64 v[30:31], -v[30:31], v[34:35], v[36:37]
	s_delay_alu instid0(VALU_DEP_1) | instskip(SKIP_1) | instid1(VALU_DEP_2)
	v_div_fmas_f64 v[30:31], v[30:31], v[32:33], v[34:35]
	v_fma_f64 v[32:33], v[17:18], v[13:14], v[19:20]
	v_div_fixup_f64 v[15:16], v[30:31], v[15:16], 1.0
	v_fma_f64 v[30:31], v[19:20], v[13:14], -v[17:18]
	s_delay_alu instid0(VALU_DEP_2) | instskip(NEXT) | instid1(VALU_DEP_2)
	v_mul_f64 v[13:14], v[32:33], v[15:16]
	v_mul_f64 v[15:16], v[30:31], v[15:16]
	s_cbranch_execz .LBB228_66
	s_branch .LBB228_67
.LBB228_65:                             ;   in Loop: Header=BB228_61 Depth=1
                                        ; implicit-def: $vgpr15_vgpr16
.LBB228_66:                             ;   in Loop: Header=BB228_61 Depth=1
	v_div_scale_f64 v[13:14], null, v[21:22], v[21:22], v[23:24]
	v_div_scale_f64 v[32:33], vcc_lo, v[23:24], v[21:22], v[23:24]
	s_delay_alu instid0(VALU_DEP_2) | instskip(SKIP_2) | instid1(VALU_DEP_1)
	v_rcp_f64_e32 v[15:16], v[13:14]
	s_waitcnt_depctr 0xfff
	v_fma_f64 v[30:31], -v[13:14], v[15:16], 1.0
	v_fma_f64 v[15:16], v[15:16], v[30:31], v[15:16]
	s_delay_alu instid0(VALU_DEP_1) | instskip(NEXT) | instid1(VALU_DEP_1)
	v_fma_f64 v[30:31], -v[13:14], v[15:16], 1.0
	v_fma_f64 v[15:16], v[15:16], v[30:31], v[15:16]
	s_delay_alu instid0(VALU_DEP_1) | instskip(NEXT) | instid1(VALU_DEP_1)
	v_mul_f64 v[30:31], v[32:33], v[15:16]
	v_fma_f64 v[13:14], -v[13:14], v[30:31], v[32:33]
	s_delay_alu instid0(VALU_DEP_1) | instskip(NEXT) | instid1(VALU_DEP_1)
	v_div_fmas_f64 v[13:14], v[13:14], v[15:16], v[30:31]
	v_div_fixup_f64 v[13:14], v[13:14], v[21:22], v[23:24]
	s_delay_alu instid0(VALU_DEP_1) | instskip(NEXT) | instid1(VALU_DEP_1)
	v_fma_f64 v[15:16], v[23:24], v[13:14], v[21:22]
	v_div_scale_f64 v[21:22], null, v[15:16], v[15:16], 1.0
	v_div_scale_f64 v[32:33], vcc_lo, 1.0, v[15:16], 1.0
	s_delay_alu instid0(VALU_DEP_2) | instskip(SKIP_2) | instid1(VALU_DEP_1)
	v_rcp_f64_e32 v[23:24], v[21:22]
	s_waitcnt_depctr 0xfff
	v_fma_f64 v[30:31], -v[21:22], v[23:24], 1.0
	v_fma_f64 v[23:24], v[23:24], v[30:31], v[23:24]
	s_delay_alu instid0(VALU_DEP_1) | instskip(NEXT) | instid1(VALU_DEP_1)
	v_fma_f64 v[30:31], -v[21:22], v[23:24], 1.0
	v_fma_f64 v[23:24], v[23:24], v[30:31], v[23:24]
	s_delay_alu instid0(VALU_DEP_1) | instskip(NEXT) | instid1(VALU_DEP_1)
	v_mul_f64 v[30:31], v[32:33], v[23:24]
	v_fma_f64 v[21:22], -v[21:22], v[30:31], v[32:33]
	s_delay_alu instid0(VALU_DEP_1) | instskip(SKIP_2) | instid1(VALU_DEP_3)
	v_div_fmas_f64 v[21:22], v[21:22], v[23:24], v[30:31]
	v_fma_f64 v[23:24], v[19:20], v[13:14], v[17:18]
	v_fma_f64 v[17:18], -v[17:18], v[13:14], v[19:20]
	v_div_fixup_f64 v[15:16], v[21:22], v[15:16], 1.0
	s_delay_alu instid0(VALU_DEP_1) | instskip(NEXT) | instid1(VALU_DEP_3)
	v_mul_f64 v[13:14], v[23:24], v[15:16]
	v_mul_f64 v[15:16], v[17:18], v[15:16]
.LBB228_67:                             ;   in Loop: Header=BB228_61 Depth=1
	s_add_i32 s10, s5, s8
	s_addk_i32 s9, 0xfe70
	s_lshl_b32 s10, s10, 4
	ds_store_b128 v29, v[13:16]
	s_add_i32 s10, s10, -16
	s_delay_alu instid0(SALU_CYCLE_1)
	v_mov_b32_e32 v17, s10
	ds_load_b128 v[21:24], v17
	v_mov_b32_e32 v17, s9
	ds_load_b128 v[17:20], v17
	s_waitcnt lgkmcnt(1)
	v_mul_f64 v[30:31], v[15:16], v[23:24]
	v_mul_f64 v[23:24], v[13:14], v[23:24]
	s_waitcnt lgkmcnt(0)
	v_cmp_gt_f64_e32 vcc_lo, 0, v[17:18]
	v_xor_b32_e32 v33, 0x80000000, v20
	v_mov_b32_e32 v32, v19
	v_fma_f64 v[30:31], v[13:14], v[21:22], -v[30:31]
	v_fma_f64 v[23:24], v[15:16], v[21:22], v[23:24]
	v_xor_b32_e32 v22, 0x80000000, v18
	s_delay_alu instid0(VALU_DEP_1) | instskip(SKIP_1) | instid1(VALU_DEP_4)
	v_dual_mov_b32 v21, v17 :: v_dual_cndmask_b32 v22, v18, v22
	v_cmp_gt_f64_e32 vcc_lo, 0, v[19:20]
	v_add_f64 v[23:24], v[11:12], -v[23:24]
	v_cndmask_b32_e32 v33, v20, v33, vcc_lo
	s_delay_alu instid0(VALU_DEP_1)
	v_cmp_ngt_f64_e32 vcc_lo, v[21:22], v[32:33]
	v_add_f64 v[21:22], v[9:10], -v[30:31]
	s_cbranch_vccz .LBB228_69
; %bb.68:                               ;   in Loop: Header=BB228_61 Depth=1
	v_div_scale_f64 v[9:10], null, v[19:20], v[19:20], v[17:18]
	v_div_scale_f64 v[31:32], vcc_lo, v[17:18], v[19:20], v[17:18]
	s_delay_alu instid0(VALU_DEP_2) | instskip(SKIP_2) | instid1(VALU_DEP_1)
	v_rcp_f64_e32 v[11:12], v[9:10]
	s_waitcnt_depctr 0xfff
	v_fma_f64 v[29:30], -v[9:10], v[11:12], 1.0
	v_fma_f64 v[11:12], v[11:12], v[29:30], v[11:12]
	s_delay_alu instid0(VALU_DEP_1) | instskip(NEXT) | instid1(VALU_DEP_1)
	v_fma_f64 v[29:30], -v[9:10], v[11:12], 1.0
	v_fma_f64 v[11:12], v[11:12], v[29:30], v[11:12]
	s_delay_alu instid0(VALU_DEP_1) | instskip(NEXT) | instid1(VALU_DEP_1)
	v_mul_f64 v[29:30], v[31:32], v[11:12]
	v_fma_f64 v[9:10], -v[9:10], v[29:30], v[31:32]
	s_delay_alu instid0(VALU_DEP_1) | instskip(NEXT) | instid1(VALU_DEP_1)
	v_div_fmas_f64 v[9:10], v[9:10], v[11:12], v[29:30]
	v_div_fixup_f64 v[9:10], v[9:10], v[19:20], v[17:18]
	s_delay_alu instid0(VALU_DEP_1) | instskip(NEXT) | instid1(VALU_DEP_1)
	v_fma_f64 v[11:12], v[17:18], v[9:10], v[19:20]
	v_div_scale_f64 v[29:30], null, v[11:12], v[11:12], 1.0
	v_div_scale_f64 v[35:36], vcc_lo, 1.0, v[11:12], 1.0
	s_delay_alu instid0(VALU_DEP_2) | instskip(SKIP_2) | instid1(VALU_DEP_1)
	v_rcp_f64_e32 v[31:32], v[29:30]
	s_waitcnt_depctr 0xfff
	v_fma_f64 v[33:34], -v[29:30], v[31:32], 1.0
	v_fma_f64 v[31:32], v[31:32], v[33:34], v[31:32]
	s_delay_alu instid0(VALU_DEP_1) | instskip(NEXT) | instid1(VALU_DEP_1)
	v_fma_f64 v[33:34], -v[29:30], v[31:32], 1.0
	v_fma_f64 v[31:32], v[31:32], v[33:34], v[31:32]
	s_delay_alu instid0(VALU_DEP_1) | instskip(NEXT) | instid1(VALU_DEP_1)
	v_mul_f64 v[33:34], v[35:36], v[31:32]
	v_fma_f64 v[29:30], -v[29:30], v[33:34], v[35:36]
	s_delay_alu instid0(VALU_DEP_1) | instskip(SKIP_1) | instid1(VALU_DEP_2)
	v_div_fmas_f64 v[29:30], v[29:30], v[31:32], v[33:34]
	v_fma_f64 v[31:32], v[9:10], v[21:22], v[23:24]
	v_div_fixup_f64 v[11:12], v[29:30], v[11:12], 1.0
	v_fma_f64 v[29:30], v[9:10], v[23:24], -v[21:22]
	s_delay_alu instid0(VALU_DEP_2) | instskip(NEXT) | instid1(VALU_DEP_2)
	v_mul_f64 v[9:10], v[31:32], v[11:12]
	v_mul_f64 v[11:12], v[29:30], v[11:12]
	s_cbranch_execz .LBB228_70
	s_branch .LBB228_71
.LBB228_69:                             ;   in Loop: Header=BB228_61 Depth=1
                                        ; implicit-def: $vgpr11_vgpr12
.LBB228_70:                             ;   in Loop: Header=BB228_61 Depth=1
	v_div_scale_f64 v[9:10], null, v[17:18], v[17:18], v[19:20]
	v_div_scale_f64 v[31:32], vcc_lo, v[19:20], v[17:18], v[19:20]
	s_delay_alu instid0(VALU_DEP_2) | instskip(SKIP_2) | instid1(VALU_DEP_1)
	v_rcp_f64_e32 v[11:12], v[9:10]
	s_waitcnt_depctr 0xfff
	v_fma_f64 v[29:30], -v[9:10], v[11:12], 1.0
	v_fma_f64 v[11:12], v[11:12], v[29:30], v[11:12]
	s_delay_alu instid0(VALU_DEP_1) | instskip(NEXT) | instid1(VALU_DEP_1)
	v_fma_f64 v[29:30], -v[9:10], v[11:12], 1.0
	v_fma_f64 v[11:12], v[11:12], v[29:30], v[11:12]
	s_delay_alu instid0(VALU_DEP_1) | instskip(NEXT) | instid1(VALU_DEP_1)
	v_mul_f64 v[29:30], v[31:32], v[11:12]
	v_fma_f64 v[9:10], -v[9:10], v[29:30], v[31:32]
	s_delay_alu instid0(VALU_DEP_1) | instskip(NEXT) | instid1(VALU_DEP_1)
	v_div_fmas_f64 v[9:10], v[9:10], v[11:12], v[29:30]
	v_div_fixup_f64 v[9:10], v[9:10], v[17:18], v[19:20]
	s_delay_alu instid0(VALU_DEP_1) | instskip(NEXT) | instid1(VALU_DEP_1)
	v_fma_f64 v[11:12], v[19:20], v[9:10], v[17:18]
	v_div_scale_f64 v[17:18], null, v[11:12], v[11:12], 1.0
	v_div_scale_f64 v[31:32], vcc_lo, 1.0, v[11:12], 1.0
	s_delay_alu instid0(VALU_DEP_2) | instskip(SKIP_2) | instid1(VALU_DEP_1)
	v_rcp_f64_e32 v[19:20], v[17:18]
	s_waitcnt_depctr 0xfff
	v_fma_f64 v[29:30], -v[17:18], v[19:20], 1.0
	v_fma_f64 v[19:20], v[19:20], v[29:30], v[19:20]
	s_delay_alu instid0(VALU_DEP_1) | instskip(NEXT) | instid1(VALU_DEP_1)
	v_fma_f64 v[29:30], -v[17:18], v[19:20], 1.0
	v_fma_f64 v[19:20], v[19:20], v[29:30], v[19:20]
	s_delay_alu instid0(VALU_DEP_1) | instskip(NEXT) | instid1(VALU_DEP_1)
	v_mul_f64 v[29:30], v[31:32], v[19:20]
	v_fma_f64 v[17:18], -v[17:18], v[29:30], v[31:32]
	s_delay_alu instid0(VALU_DEP_1) | instskip(SKIP_1) | instid1(VALU_DEP_2)
	v_div_fmas_f64 v[17:18], v[17:18], v[19:20], v[29:30]
	v_fma_f64 v[19:20], v[9:10], v[23:24], v[21:22]
	v_div_fixup_f64 v[11:12], v[17:18], v[11:12], 1.0
	v_fma_f64 v[17:18], -v[9:10], v[21:22], v[23:24]
	s_delay_alu instid0(VALU_DEP_2) | instskip(NEXT) | instid1(VALU_DEP_2)
	v_mul_f64 v[9:10], v[19:20], v[11:12]
	v_mul_f64 v[11:12], v[17:18], v[11:12]
.LBB228_71:                             ;   in Loop: Header=BB228_61 Depth=1
	s_add_i32 s10, s5, -2
	s_addk_i32 s9, 0xfe70
	s_add_i32 s11, s8, s10
	s_add_i32 s10, s7, s10
	s_lshl_b32 s11, s11, 4
	s_lshl_b32 s10, s10, 4
	v_mov_b32_e32 v17, s11
	v_mov_b32_e32 v21, s10
	ds_store_b128 v28, v[9:12]
	ds_load_b128 v[17:20], v17
	ds_load_b128 v[21:24], v21
	s_waitcnt lgkmcnt(1)
	v_mul_f64 v[29:30], v[15:16], v[19:20]
	v_mul_f64 v[19:20], v[13:14], v[19:20]
	s_waitcnt lgkmcnt(0)
	v_mul_f64 v[31:32], v[11:12], v[23:24]
	v_mul_f64 v[23:24], v[9:10], v[23:24]
	s_delay_alu instid0(VALU_DEP_4) | instskip(NEXT) | instid1(VALU_DEP_4)
	v_fma_f64 v[29:30], v[13:14], v[17:18], -v[29:30]
	v_fma_f64 v[17:18], v[15:16], v[17:18], v[19:20]
	v_mov_b32_e32 v19, s9
	v_fma_f64 v[31:32], v[9:10], v[21:22], -v[31:32]
	v_fma_f64 v[23:24], v[11:12], v[21:22], v[23:24]
	v_add_f64 v[5:6], v[5:6], -v[29:30]
	v_add_f64 v[7:8], v[7:8], -v[17:18]
	ds_load_b128 v[17:20], v19
	s_waitcnt lgkmcnt(0)
	v_cmp_gt_f64_e32 vcc_lo, 0, v[17:18]
	v_xor_b32_e32 v22, 0x80000000, v18
	v_xor_b32_e32 v30, 0x80000000, v20
	v_mov_b32_e32 v21, v17
	v_mov_b32_e32 v29, v19
	v_add_f64 v[23:24], v[7:8], -v[23:24]
	v_cndmask_b32_e32 v22, v18, v22, vcc_lo
	v_cmp_gt_f64_e32 vcc_lo, 0, v[19:20]
	v_cndmask_b32_e32 v30, v20, v30, vcc_lo
	s_delay_alu instid0(VALU_DEP_1)
	v_cmp_ngt_f64_e32 vcc_lo, v[21:22], v[29:30]
	v_add_f64 v[21:22], v[5:6], -v[31:32]
	s_cbranch_vccz .LBB228_73
; %bb.72:                               ;   in Loop: Header=BB228_61 Depth=1
	v_div_scale_f64 v[5:6], null, v[19:20], v[19:20], v[17:18]
	v_div_scale_f64 v[30:31], vcc_lo, v[17:18], v[19:20], v[17:18]
	s_delay_alu instid0(VALU_DEP_2) | instskip(SKIP_2) | instid1(VALU_DEP_1)
	v_rcp_f64_e32 v[7:8], v[5:6]
	s_waitcnt_depctr 0xfff
	v_fma_f64 v[28:29], -v[5:6], v[7:8], 1.0
	v_fma_f64 v[7:8], v[7:8], v[28:29], v[7:8]
	s_delay_alu instid0(VALU_DEP_1) | instskip(NEXT) | instid1(VALU_DEP_1)
	v_fma_f64 v[28:29], -v[5:6], v[7:8], 1.0
	v_fma_f64 v[7:8], v[7:8], v[28:29], v[7:8]
	s_delay_alu instid0(VALU_DEP_1) | instskip(NEXT) | instid1(VALU_DEP_1)
	v_mul_f64 v[28:29], v[30:31], v[7:8]
	v_fma_f64 v[5:6], -v[5:6], v[28:29], v[30:31]
	s_delay_alu instid0(VALU_DEP_1) | instskip(NEXT) | instid1(VALU_DEP_1)
	v_div_fmas_f64 v[5:6], v[5:6], v[7:8], v[28:29]
	v_div_fixup_f64 v[5:6], v[5:6], v[19:20], v[17:18]
	s_delay_alu instid0(VALU_DEP_1) | instskip(NEXT) | instid1(VALU_DEP_1)
	v_fma_f64 v[7:8], v[17:18], v[5:6], v[19:20]
	v_div_scale_f64 v[28:29], null, v[7:8], v[7:8], 1.0
	v_div_scale_f64 v[34:35], vcc_lo, 1.0, v[7:8], 1.0
	s_delay_alu instid0(VALU_DEP_2) | instskip(SKIP_2) | instid1(VALU_DEP_1)
	v_rcp_f64_e32 v[30:31], v[28:29]
	s_waitcnt_depctr 0xfff
	v_fma_f64 v[32:33], -v[28:29], v[30:31], 1.0
	v_fma_f64 v[30:31], v[30:31], v[32:33], v[30:31]
	s_delay_alu instid0(VALU_DEP_1) | instskip(NEXT) | instid1(VALU_DEP_1)
	v_fma_f64 v[32:33], -v[28:29], v[30:31], 1.0
	v_fma_f64 v[30:31], v[30:31], v[32:33], v[30:31]
	s_delay_alu instid0(VALU_DEP_1) | instskip(NEXT) | instid1(VALU_DEP_1)
	v_mul_f64 v[32:33], v[34:35], v[30:31]
	v_fma_f64 v[28:29], -v[28:29], v[32:33], v[34:35]
	s_delay_alu instid0(VALU_DEP_1) | instskip(SKIP_1) | instid1(VALU_DEP_2)
	v_div_fmas_f64 v[28:29], v[28:29], v[30:31], v[32:33]
	v_fma_f64 v[30:31], v[5:6], v[21:22], v[23:24]
	v_div_fixup_f64 v[7:8], v[28:29], v[7:8], 1.0
	v_fma_f64 v[28:29], v[5:6], v[23:24], -v[21:22]
	s_delay_alu instid0(VALU_DEP_2) | instskip(NEXT) | instid1(VALU_DEP_2)
	v_mul_f64 v[5:6], v[30:31], v[7:8]
	v_mul_f64 v[7:8], v[28:29], v[7:8]
	s_cbranch_execz .LBB228_74
	s_branch .LBB228_75
.LBB228_73:                             ;   in Loop: Header=BB228_61 Depth=1
                                        ; implicit-def: $vgpr7_vgpr8
.LBB228_74:                             ;   in Loop: Header=BB228_61 Depth=1
	v_div_scale_f64 v[5:6], null, v[17:18], v[17:18], v[19:20]
	v_div_scale_f64 v[30:31], vcc_lo, v[19:20], v[17:18], v[19:20]
	s_delay_alu instid0(VALU_DEP_2) | instskip(SKIP_2) | instid1(VALU_DEP_1)
	v_rcp_f64_e32 v[7:8], v[5:6]
	s_waitcnt_depctr 0xfff
	v_fma_f64 v[28:29], -v[5:6], v[7:8], 1.0
	v_fma_f64 v[7:8], v[7:8], v[28:29], v[7:8]
	s_delay_alu instid0(VALU_DEP_1) | instskip(NEXT) | instid1(VALU_DEP_1)
	v_fma_f64 v[28:29], -v[5:6], v[7:8], 1.0
	v_fma_f64 v[7:8], v[7:8], v[28:29], v[7:8]
	s_delay_alu instid0(VALU_DEP_1) | instskip(NEXT) | instid1(VALU_DEP_1)
	v_mul_f64 v[28:29], v[30:31], v[7:8]
	v_fma_f64 v[5:6], -v[5:6], v[28:29], v[30:31]
	s_delay_alu instid0(VALU_DEP_1) | instskip(NEXT) | instid1(VALU_DEP_1)
	v_div_fmas_f64 v[5:6], v[5:6], v[7:8], v[28:29]
	v_div_fixup_f64 v[5:6], v[5:6], v[17:18], v[19:20]
	s_delay_alu instid0(VALU_DEP_1) | instskip(NEXT) | instid1(VALU_DEP_1)
	v_fma_f64 v[7:8], v[19:20], v[5:6], v[17:18]
	v_div_scale_f64 v[17:18], null, v[7:8], v[7:8], 1.0
	v_div_scale_f64 v[30:31], vcc_lo, 1.0, v[7:8], 1.0
	s_delay_alu instid0(VALU_DEP_2) | instskip(SKIP_2) | instid1(VALU_DEP_1)
	v_rcp_f64_e32 v[19:20], v[17:18]
	s_waitcnt_depctr 0xfff
	v_fma_f64 v[28:29], -v[17:18], v[19:20], 1.0
	v_fma_f64 v[19:20], v[19:20], v[28:29], v[19:20]
	s_delay_alu instid0(VALU_DEP_1) | instskip(NEXT) | instid1(VALU_DEP_1)
	v_fma_f64 v[28:29], -v[17:18], v[19:20], 1.0
	v_fma_f64 v[19:20], v[19:20], v[28:29], v[19:20]
	s_delay_alu instid0(VALU_DEP_1) | instskip(NEXT) | instid1(VALU_DEP_1)
	v_mul_f64 v[28:29], v[30:31], v[19:20]
	v_fma_f64 v[17:18], -v[17:18], v[28:29], v[30:31]
	s_delay_alu instid0(VALU_DEP_1) | instskip(SKIP_1) | instid1(VALU_DEP_2)
	v_div_fmas_f64 v[17:18], v[17:18], v[19:20], v[28:29]
	v_fma_f64 v[19:20], v[5:6], v[23:24], v[21:22]
	v_div_fixup_f64 v[7:8], v[17:18], v[7:8], 1.0
	v_fma_f64 v[17:18], -v[5:6], v[21:22], v[23:24]
	s_delay_alu instid0(VALU_DEP_2) | instskip(NEXT) | instid1(VALU_DEP_2)
	v_mul_f64 v[5:6], v[19:20], v[7:8]
	v_mul_f64 v[7:8], v[17:18], v[7:8]
.LBB228_75:                             ;   in Loop: Header=BB228_61 Depth=1
	s_add_i32 s10, s5, -3
	ds_store_b128 v27, v[5:8]
	s_add_i32 s8, s8, s10
	s_add_i32 s7, s7, s10
	s_lshl_b32 s8, s8, 4
	s_lshl_b32 s7, s7, 4
	v_mov_b32_e32 v17, s8
	v_mov_b32_e32 v21, s7
	s_add_i32 s6, s6, s10
	s_delay_alu instid0(SALU_CYCLE_1)
	s_lshl_b32 s6, s6, 4
	ds_load_b128 v[17:20], v17
	ds_load_b128 v[21:24], v21
	s_waitcnt lgkmcnt(1)
	v_mul_f64 v[28:29], v[15:16], v[19:20]
	v_mul_f64 v[19:20], v[13:14], v[19:20]
	s_delay_alu instid0(VALU_DEP_2) | instskip(SKIP_1) | instid1(VALU_DEP_3)
	v_fma_f64 v[28:29], v[13:14], v[17:18], -v[28:29]
	v_mov_b32_e32 v13, s6
	v_fma_f64 v[32:33], v[15:16], v[17:18], v[19:20]
	s_add_i32 s6, s9, 0xfffffe70
	ds_load_b128 v[17:20], v13
	s_waitcnt lgkmcnt(1)
	v_mul_f64 v[30:31], v[11:12], v[23:24]
	v_mul_f64 v[23:24], v[9:10], v[23:24]
	v_mov_b32_e32 v13, s6
	ds_load_b128 v[13:16], v13
	s_waitcnt lgkmcnt(1)
	v_mul_f64 v[34:35], v[7:8], v[19:20]
	v_mul_f64 v[19:20], v[5:6], v[19:20]
	s_waitcnt lgkmcnt(0)
	v_cmp_gt_f64_e32 vcc_lo, 0, v[13:14]
	v_add_f64 v[1:2], v[1:2], -v[28:29]
	v_add_f64 v[3:4], v[3:4], -v[32:33]
	v_fma_f64 v[9:10], v[9:10], v[21:22], -v[30:31]
	v_fma_f64 v[11:12], v[11:12], v[21:22], v[23:24]
	v_fma_f64 v[21:22], v[5:6], v[17:18], -v[34:35]
	v_fma_f64 v[17:18], v[7:8], v[17:18], v[19:20]
	s_delay_alu instid0(VALU_DEP_4) | instskip(SKIP_4) | instid1(VALU_DEP_4)
	v_add_f64 v[1:2], v[1:2], -v[9:10]
	v_xor_b32_e32 v10, 0x80000000, v14
	v_add_f64 v[3:4], v[3:4], -v[11:12]
	v_xor_b32_e32 v12, 0x80000000, v16
	v_mov_b32_e32 v9, v13
	v_dual_mov_b32 v11, v15 :: v_dual_cndmask_b32 v10, v14, v10
	v_cmp_gt_f64_e32 vcc_lo, 0, v[15:16]
	s_delay_alu instid0(VALU_DEP_4) | instskip(NEXT) | instid1(VALU_DEP_1)
	v_cndmask_b32_e32 v12, v16, v12, vcc_lo
	v_cmp_ngt_f64_e32 vcc_lo, v[9:10], v[11:12]
	v_add_f64 v[9:10], v[1:2], -v[21:22]
	v_add_f64 v[11:12], v[3:4], -v[17:18]
	s_cbranch_vccz .LBB228_77
; %bb.76:                               ;   in Loop: Header=BB228_61 Depth=1
	v_div_scale_f64 v[1:2], null, v[15:16], v[15:16], v[13:14]
	v_div_scale_f64 v[7:8], vcc_lo, v[13:14], v[15:16], v[13:14]
	s_delay_alu instid0(VALU_DEP_2) | instskip(SKIP_2) | instid1(VALU_DEP_1)
	v_rcp_f64_e32 v[3:4], v[1:2]
	s_waitcnt_depctr 0xfff
	v_fma_f64 v[5:6], -v[1:2], v[3:4], 1.0
	v_fma_f64 v[3:4], v[3:4], v[5:6], v[3:4]
	s_delay_alu instid0(VALU_DEP_1) | instskip(NEXT) | instid1(VALU_DEP_1)
	v_fma_f64 v[5:6], -v[1:2], v[3:4], 1.0
	v_fma_f64 v[3:4], v[3:4], v[5:6], v[3:4]
	s_delay_alu instid0(VALU_DEP_1) | instskip(NEXT) | instid1(VALU_DEP_1)
	v_mul_f64 v[5:6], v[7:8], v[3:4]
	v_fma_f64 v[1:2], -v[1:2], v[5:6], v[7:8]
	s_delay_alu instid0(VALU_DEP_1) | instskip(NEXT) | instid1(VALU_DEP_1)
	v_div_fmas_f64 v[1:2], v[1:2], v[3:4], v[5:6]
	v_div_fixup_f64 v[1:2], v[1:2], v[15:16], v[13:14]
	s_delay_alu instid0(VALU_DEP_1) | instskip(NEXT) | instid1(VALU_DEP_1)
	v_fma_f64 v[3:4], v[13:14], v[1:2], v[15:16]
	v_div_scale_f64 v[5:6], null, v[3:4], v[3:4], 1.0
	v_div_scale_f64 v[19:20], vcc_lo, 1.0, v[3:4], 1.0
	s_delay_alu instid0(VALU_DEP_2) | instskip(SKIP_2) | instid1(VALU_DEP_1)
	v_rcp_f64_e32 v[7:8], v[5:6]
	s_waitcnt_depctr 0xfff
	v_fma_f64 v[17:18], -v[5:6], v[7:8], 1.0
	v_fma_f64 v[7:8], v[7:8], v[17:18], v[7:8]
	s_delay_alu instid0(VALU_DEP_1) | instskip(NEXT) | instid1(VALU_DEP_1)
	v_fma_f64 v[17:18], -v[5:6], v[7:8], 1.0
	v_fma_f64 v[7:8], v[7:8], v[17:18], v[7:8]
	s_delay_alu instid0(VALU_DEP_1) | instskip(NEXT) | instid1(VALU_DEP_1)
	v_mul_f64 v[17:18], v[19:20], v[7:8]
	v_fma_f64 v[5:6], -v[5:6], v[17:18], v[19:20]
	s_delay_alu instid0(VALU_DEP_1) | instskip(SKIP_1) | instid1(VALU_DEP_2)
	v_div_fmas_f64 v[5:6], v[5:6], v[7:8], v[17:18]
	v_fma_f64 v[7:8], v[1:2], v[9:10], v[11:12]
	v_div_fixup_f64 v[3:4], v[5:6], v[3:4], 1.0
	v_fma_f64 v[5:6], v[1:2], v[11:12], -v[9:10]
	s_delay_alu instid0(VALU_DEP_2) | instskip(NEXT) | instid1(VALU_DEP_2)
	v_mul_f64 v[1:2], v[7:8], v[3:4]
	v_mul_f64 v[3:4], v[5:6], v[3:4]
	s_cbranch_execz .LBB228_78
	s_branch .LBB228_79
.LBB228_77:                             ;   in Loop: Header=BB228_61 Depth=1
                                        ; implicit-def: $vgpr3_vgpr4
.LBB228_78:                             ;   in Loop: Header=BB228_61 Depth=1
	v_div_scale_f64 v[1:2], null, v[13:14], v[13:14], v[15:16]
	v_div_scale_f64 v[7:8], vcc_lo, v[15:16], v[13:14], v[15:16]
	s_delay_alu instid0(VALU_DEP_2) | instskip(SKIP_2) | instid1(VALU_DEP_1)
	v_rcp_f64_e32 v[3:4], v[1:2]
	s_waitcnt_depctr 0xfff
	v_fma_f64 v[5:6], -v[1:2], v[3:4], 1.0
	v_fma_f64 v[3:4], v[3:4], v[5:6], v[3:4]
	s_delay_alu instid0(VALU_DEP_1) | instskip(NEXT) | instid1(VALU_DEP_1)
	v_fma_f64 v[5:6], -v[1:2], v[3:4], 1.0
	v_fma_f64 v[3:4], v[3:4], v[5:6], v[3:4]
	s_delay_alu instid0(VALU_DEP_1) | instskip(NEXT) | instid1(VALU_DEP_1)
	v_mul_f64 v[5:6], v[7:8], v[3:4]
	v_fma_f64 v[1:2], -v[1:2], v[5:6], v[7:8]
	s_delay_alu instid0(VALU_DEP_1) | instskip(NEXT) | instid1(VALU_DEP_1)
	v_div_fmas_f64 v[1:2], v[1:2], v[3:4], v[5:6]
	v_div_fixup_f64 v[1:2], v[1:2], v[13:14], v[15:16]
	s_delay_alu instid0(VALU_DEP_1) | instskip(NEXT) | instid1(VALU_DEP_1)
	v_fma_f64 v[3:4], v[15:16], v[1:2], v[13:14]
	v_div_scale_f64 v[5:6], null, v[3:4], v[3:4], 1.0
	v_div_scale_f64 v[15:16], vcc_lo, 1.0, v[3:4], 1.0
	s_delay_alu instid0(VALU_DEP_2) | instskip(SKIP_2) | instid1(VALU_DEP_1)
	v_rcp_f64_e32 v[7:8], v[5:6]
	s_waitcnt_depctr 0xfff
	v_fma_f64 v[13:14], -v[5:6], v[7:8], 1.0
	v_fma_f64 v[7:8], v[7:8], v[13:14], v[7:8]
	s_delay_alu instid0(VALU_DEP_1) | instskip(NEXT) | instid1(VALU_DEP_1)
	v_fma_f64 v[13:14], -v[5:6], v[7:8], 1.0
	v_fma_f64 v[7:8], v[7:8], v[13:14], v[7:8]
	s_delay_alu instid0(VALU_DEP_1) | instskip(NEXT) | instid1(VALU_DEP_1)
	v_mul_f64 v[13:14], v[15:16], v[7:8]
	v_fma_f64 v[5:6], -v[5:6], v[13:14], v[15:16]
	s_delay_alu instid0(VALU_DEP_1) | instskip(SKIP_1) | instid1(VALU_DEP_2)
	v_div_fmas_f64 v[5:6], v[5:6], v[7:8], v[13:14]
	v_fma_f64 v[7:8], v[1:2], v[11:12], v[9:10]
	v_div_fixup_f64 v[3:4], v[5:6], v[3:4], 1.0
	v_fma_f64 v[5:6], -v[1:2], v[9:10], v[11:12]
	s_delay_alu instid0(VALU_DEP_2) | instskip(NEXT) | instid1(VALU_DEP_2)
	v_mul_f64 v[1:2], v[7:8], v[3:4]
	v_mul_f64 v[3:4], v[5:6], v[3:4]
.LBB228_79:                             ;   in Loop: Header=BB228_61 Depth=1
	s_add_i32 s6, s5, -4
	s_sub_i32 s4, s4, 64
	s_cmp_lt_i32 s5, 7
	ds_store_b128 v26, v[1:4]
	s_cbranch_scc1 .LBB228_81
; %bb.80:                               ;   in Loop: Header=BB228_61 Depth=1
	s_mov_b32 s5, s6
	s_branch .LBB228_61
.LBB228_81:
	s_cmp_lt_i32 s6, 0
	s_cbranch_scc1 .LBB228_90
; %bb.82:
	v_lshlrev_b32_e32 v1, 4, v0
	s_mul_i32 s4, s28, 0x180
	s_lshl_b32 s5, s6, 4
	s_delay_alu instid0(VALU_DEP_1) | instskip(SKIP_1) | instid1(SALU_CYCLE_1)
	v_add3_u32 v13, s4, v1, 0x2280
	s_add_i32 s4, s4, s5
	s_addk_i32 s4, 0xfe80
	s_branch .LBB228_84
.LBB228_83:                             ;   in Loop: Header=BB228_84 Depth=1
	s_add_i32 s5, s6, -1
	s_add_i32 s4, s4, -16
	s_cmp_lt_i32 s6, 1
	s_mov_b32 s6, s5
	ds_store_b128 v14, v[9:12]
	s_cbranch_scc1 .LBB228_90
.LBB228_84:                             ; =>This Loop Header: Depth=1
                                        ;     Child Loop BB228_85 Depth 2
	s_mul_i32 s5, s6, 24
	v_mov_b32_e32 v6, v13
	v_add_lshl_u32 v5, s5, v0, 4
	s_cmp_le_i32 s29, s6
	s_mov_b32 s5, s4
	s_mov_b32 s7, s29
	ds_load_b128 v[1:4], v5 offset:9216
	s_cbranch_scc1 .LBB228_86
	.p2align	6
.LBB228_85:                             ;   Parent Loop BB228_84 Depth=1
                                        ; =>  This Inner Loop Header: Depth=2
	v_mov_b32_e32 v11, s5
	s_add_i32 s7, s7, -1
	s_addk_i32 s5, 0xfe80
	s_cmp_le_i32 s7, s6
	ds_load_b128 v[7:10], v6
	ds_load_b128 v[14:17], v11
	v_add_nc_u32_e32 v6, 0xfffffe80, v6
	s_waitcnt lgkmcnt(0)
	v_mul_f64 v[11:12], v[16:17], v[9:10]
	v_mul_f64 v[9:10], v[14:15], v[9:10]
	s_delay_alu instid0(VALU_DEP_2) | instskip(NEXT) | instid1(VALU_DEP_2)
	v_fma_f64 v[11:12], v[14:15], v[7:8], -v[11:12]
	v_fma_f64 v[7:8], v[16:17], v[7:8], v[9:10]
	s_delay_alu instid0(VALU_DEP_2) | instskip(NEXT) | instid1(VALU_DEP_2)
	v_add_f64 v[1:2], v[1:2], -v[11:12]
	v_add_f64 v[3:4], v[3:4], -v[7:8]
	s_cbranch_scc0 .LBB228_85
.LBB228_86:                             ;   in Loop: Header=BB228_84 Depth=1
	s_mul_i32 s5, s6, 0x190
	s_delay_alu instid0(SALU_CYCLE_1)
	v_dual_mov_b32 v5, s5 :: v_dual_add_nc_u32 v14, 0x2400, v5
	ds_load_b128 v[5:8], v5
	s_waitcnt lgkmcnt(0)
	v_cmp_gt_f64_e32 vcc_lo, 0, v[5:6]
	v_xor_b32_e32 v10, 0x80000000, v6
	v_mov_b32_e32 v9, v5
	v_xor_b32_e32 v11, 0x80000000, v8
	s_delay_alu instid0(VALU_DEP_3) | instskip(SKIP_1) | instid1(VALU_DEP_3)
	v_cndmask_b32_e32 v10, v6, v10, vcc_lo
	v_cmp_gt_f64_e32 vcc_lo, 0, v[7:8]
	v_dual_cndmask_b32 v12, v8, v11 :: v_dual_mov_b32 v11, v7
	s_delay_alu instid0(VALU_DEP_1)
	v_cmp_ngt_f64_e32 vcc_lo, v[9:10], v[11:12]
	s_cbranch_vccz .LBB228_88
; %bb.87:                               ;   in Loop: Header=BB228_84 Depth=1
	v_div_scale_f64 v[9:10], null, v[7:8], v[7:8], v[5:6]
	v_div_scale_f64 v[17:18], vcc_lo, v[5:6], v[7:8], v[5:6]
	s_delay_alu instid0(VALU_DEP_2) | instskip(SKIP_2) | instid1(VALU_DEP_1)
	v_rcp_f64_e32 v[11:12], v[9:10]
	s_waitcnt_depctr 0xfff
	v_fma_f64 v[15:16], -v[9:10], v[11:12], 1.0
	v_fma_f64 v[11:12], v[11:12], v[15:16], v[11:12]
	s_delay_alu instid0(VALU_DEP_1) | instskip(NEXT) | instid1(VALU_DEP_1)
	v_fma_f64 v[15:16], -v[9:10], v[11:12], 1.0
	v_fma_f64 v[11:12], v[11:12], v[15:16], v[11:12]
	s_delay_alu instid0(VALU_DEP_1) | instskip(NEXT) | instid1(VALU_DEP_1)
	v_mul_f64 v[15:16], v[17:18], v[11:12]
	v_fma_f64 v[9:10], -v[9:10], v[15:16], v[17:18]
	s_delay_alu instid0(VALU_DEP_1) | instskip(NEXT) | instid1(VALU_DEP_1)
	v_div_fmas_f64 v[9:10], v[9:10], v[11:12], v[15:16]
	v_div_fixup_f64 v[9:10], v[9:10], v[7:8], v[5:6]
	s_delay_alu instid0(VALU_DEP_1) | instskip(NEXT) | instid1(VALU_DEP_1)
	v_fma_f64 v[11:12], v[5:6], v[9:10], v[7:8]
	v_div_scale_f64 v[15:16], null, v[11:12], v[11:12], 1.0
	v_div_scale_f64 v[21:22], vcc_lo, 1.0, v[11:12], 1.0
	s_delay_alu instid0(VALU_DEP_2) | instskip(SKIP_2) | instid1(VALU_DEP_1)
	v_rcp_f64_e32 v[17:18], v[15:16]
	s_waitcnt_depctr 0xfff
	v_fma_f64 v[19:20], -v[15:16], v[17:18], 1.0
	v_fma_f64 v[17:18], v[17:18], v[19:20], v[17:18]
	s_delay_alu instid0(VALU_DEP_1) | instskip(NEXT) | instid1(VALU_DEP_1)
	v_fma_f64 v[19:20], -v[15:16], v[17:18], 1.0
	v_fma_f64 v[17:18], v[17:18], v[19:20], v[17:18]
	s_delay_alu instid0(VALU_DEP_1) | instskip(NEXT) | instid1(VALU_DEP_1)
	v_mul_f64 v[19:20], v[21:22], v[17:18]
	v_fma_f64 v[15:16], -v[15:16], v[19:20], v[21:22]
	s_delay_alu instid0(VALU_DEP_1) | instskip(SKIP_1) | instid1(VALU_DEP_2)
	v_div_fmas_f64 v[15:16], v[15:16], v[17:18], v[19:20]
	v_fma_f64 v[17:18], v[1:2], v[9:10], v[3:4]
	v_div_fixup_f64 v[11:12], v[15:16], v[11:12], 1.0
	v_fma_f64 v[15:16], v[3:4], v[9:10], -v[1:2]
	s_delay_alu instid0(VALU_DEP_2) | instskip(NEXT) | instid1(VALU_DEP_2)
	v_mul_f64 v[9:10], v[17:18], v[11:12]
	v_mul_f64 v[11:12], v[15:16], v[11:12]
	s_cbranch_execnz .LBB228_83
	s_branch .LBB228_89
.LBB228_88:                             ;   in Loop: Header=BB228_84 Depth=1
                                        ; implicit-def: $vgpr9_vgpr10
.LBB228_89:                             ;   in Loop: Header=BB228_84 Depth=1
	v_div_scale_f64 v[9:10], null, v[5:6], v[5:6], v[7:8]
	v_div_scale_f64 v[17:18], vcc_lo, v[7:8], v[5:6], v[7:8]
	s_delay_alu instid0(VALU_DEP_2) | instskip(SKIP_2) | instid1(VALU_DEP_1)
	v_rcp_f64_e32 v[11:12], v[9:10]
	s_waitcnt_depctr 0xfff
	v_fma_f64 v[15:16], -v[9:10], v[11:12], 1.0
	v_fma_f64 v[11:12], v[11:12], v[15:16], v[11:12]
	s_delay_alu instid0(VALU_DEP_1) | instskip(NEXT) | instid1(VALU_DEP_1)
	v_fma_f64 v[15:16], -v[9:10], v[11:12], 1.0
	v_fma_f64 v[11:12], v[11:12], v[15:16], v[11:12]
	s_delay_alu instid0(VALU_DEP_1) | instskip(NEXT) | instid1(VALU_DEP_1)
	v_mul_f64 v[15:16], v[17:18], v[11:12]
	v_fma_f64 v[9:10], -v[9:10], v[15:16], v[17:18]
	s_delay_alu instid0(VALU_DEP_1) | instskip(NEXT) | instid1(VALU_DEP_1)
	v_div_fmas_f64 v[9:10], v[9:10], v[11:12], v[15:16]
	v_div_fixup_f64 v[9:10], v[9:10], v[5:6], v[7:8]
	s_delay_alu instid0(VALU_DEP_1) | instskip(NEXT) | instid1(VALU_DEP_1)
	v_fma_f64 v[5:6], v[7:8], v[9:10], v[5:6]
	v_div_scale_f64 v[7:8], null, v[5:6], v[5:6], 1.0
	v_div_scale_f64 v[17:18], vcc_lo, 1.0, v[5:6], 1.0
	s_delay_alu instid0(VALU_DEP_2) | instskip(SKIP_2) | instid1(VALU_DEP_1)
	v_rcp_f64_e32 v[11:12], v[7:8]
	s_waitcnt_depctr 0xfff
	v_fma_f64 v[15:16], -v[7:8], v[11:12], 1.0
	v_fma_f64 v[11:12], v[11:12], v[15:16], v[11:12]
	s_delay_alu instid0(VALU_DEP_1) | instskip(NEXT) | instid1(VALU_DEP_1)
	v_fma_f64 v[15:16], -v[7:8], v[11:12], 1.0
	v_fma_f64 v[11:12], v[11:12], v[15:16], v[11:12]
	s_delay_alu instid0(VALU_DEP_1) | instskip(NEXT) | instid1(VALU_DEP_1)
	v_mul_f64 v[15:16], v[17:18], v[11:12]
	v_fma_f64 v[7:8], -v[7:8], v[15:16], v[17:18]
	s_delay_alu instid0(VALU_DEP_1) | instskip(SKIP_2) | instid1(VALU_DEP_3)
	v_div_fmas_f64 v[7:8], v[7:8], v[11:12], v[15:16]
	v_fma_f64 v[11:12], v[3:4], v[9:10], v[1:2]
	v_fma_f64 v[1:2], -v[1:2], v[9:10], v[3:4]
	v_div_fixup_f64 v[5:6], v[7:8], v[5:6], 1.0
	s_delay_alu instid0(VALU_DEP_1) | instskip(NEXT) | instid1(VALU_DEP_3)
	v_mul_f64 v[9:10], v[11:12], v[5:6]
	v_mul_f64 v[11:12], v[1:2], v[5:6]
	s_branch .LBB228_83
.LBB228_90:
	s_mov_b32 s5, 0
.LBB228_91:
	s_delay_alu instid0(SALU_CYCLE_1)
	s_and_not1_b32 vcc_lo, exec_lo, s5
	s_cbranch_vccnz .LBB228_123
; %bb.92:
	s_and_not1_b32 vcc_lo, exec_lo, s1
	s_mul_i32 s1, s28, 0x180
	s_mov_b32 s6, s29
	s_cbranch_vccnz .LBB228_114
; %bb.93:
	v_lshlrev_b32_e32 v1, 4, v0
	s_mul_i32 s4, s28, 0x190
	s_mov_b32 s5, s29
	s_addk_i32 s4, 0xf9e0
	s_delay_alu instid0(VALU_DEP_1)
	v_add3_u32 v25, s1, v1, 0x2100
.LBB228_94:                             ; =>This Loop Header: Depth=1
                                        ;     Child Loop BB228_95 Depth 2
	s_mul_i32 s6, s5, 24
	s_delay_alu instid0(VALU_DEP_1)
	v_mov_b32_e32 v21, v25
	s_sub_i32 s8, s6, 24
	v_add_lshl_u32 v13, s6, v0, 4
	s_sub_i32 s7, s6, 48
	v_add_lshl_u32 v14, s8, v0, 4
	s_addk_i32 s6, 0xffb8
	v_add_lshl_u32 v15, s7, v0, 4
	v_add_lshl_u32 v16, s6, v0, 4
	ds_load_b128 v[17:20], v13 offset:9216
	ds_load_b128 v[9:12], v14 offset:9216
	;; [unrolled: 1-line block ×4, first 2 shown]
	s_cmp_le_i32 s29, s5
	s_mov_b32 s9, s4
	s_mov_b32 s10, s29
	s_cbranch_scc1 .LBB228_96
.LBB228_95:                             ;   Parent Loop BB228_94 Depth=1
                                        ; =>  This Inner Loop Header: Depth=2
	v_mov_b32_e32 v22, s9
	s_add_i32 s10, s10, -2
	s_sub_i32 s9, s9, 32
	s_cmp_le_i32 s10, s5
	ds_load_b128 v[26:29], v21 offset:384
	ds_load_b128 v[30:33], v22 offset:1168
	ds_load_b128 v[34:37], v22 offset:784
	ds_load_b128 v[38:41], v22 offset:400
	ds_load_b128 v[42:45], v22 offset:16
	ds_load_b128 v[46:49], v22
	ds_load_b128 v[50:53], v21
	ds_load_b128 v[54:57], v22 offset:1152
	ds_load_b128 v[58:61], v22 offset:768
	;; [unrolled: 1-line block ×3, first 2 shown]
	v_add_nc_u32_e32 v21, 0xfffffd00, v21
	s_waitcnt lgkmcnt(8)
	v_mul_f64 v[22:23], v[28:29], v[32:33]
	v_mul_f64 v[32:33], v[26:27], v[32:33]
	s_waitcnt lgkmcnt(7)
	v_mul_f64 v[66:67], v[28:29], v[36:37]
	v_mul_f64 v[36:37], v[26:27], v[36:37]
	;; [unrolled: 3-line block ×7, first 2 shown]
	v_mul_f64 v[78:79], v[52:53], v[48:49]
	v_mul_f64 v[48:49], v[50:51], v[48:49]
	v_fma_f64 v[22:23], v[26:27], v[30:31], -v[22:23]
	v_fma_f64 v[30:31], v[28:29], v[30:31], v[32:33]
	v_fma_f64 v[32:33], v[26:27], v[34:35], -v[66:67]
	v_fma_f64 v[34:35], v[28:29], v[34:35], v[36:37]
	v_fma_f64 v[36:37], v[26:27], v[38:39], -v[68:69]
	v_fma_f64 v[38:39], v[28:29], v[38:39], v[40:41]
	v_fma_f64 v[26:27], v[26:27], v[42:43], -v[70:71]
	v_fma_f64 v[28:29], v[28:29], v[42:43], v[44:45]
	v_fma_f64 v[40:41], v[50:51], v[54:55], -v[72:73]
	v_fma_f64 v[42:43], v[52:53], v[54:55], v[56:57]
	v_fma_f64 v[44:45], v[50:51], v[58:59], -v[74:75]
	v_fma_f64 v[54:55], v[52:53], v[58:59], v[60:61]
	v_fma_f64 v[56:57], v[50:51], v[62:63], -v[76:77]
	v_fma_f64 v[58:59], v[52:53], v[62:63], v[64:65]
	v_fma_f64 v[50:51], v[50:51], v[46:47], -v[78:79]
	v_fma_f64 v[46:47], v[52:53], v[46:47], v[48:49]
	v_add_f64 v[17:18], v[17:18], -v[22:23]
	v_add_f64 v[19:20], v[19:20], -v[30:31]
	v_add_f64 v[9:10], v[9:10], -v[32:33]
	v_add_f64 v[11:12], v[11:12], -v[34:35]
	v_add_f64 v[5:6], v[5:6], -v[36:37]
	v_add_f64 v[7:8], v[7:8], -v[38:39]
	v_add_f64 v[1:2], v[1:2], -v[26:27]
	v_add_f64 v[3:4], v[3:4], -v[28:29]
	v_add_f64 v[17:18], v[17:18], -v[40:41]
	v_add_f64 v[19:20], v[19:20], -v[42:43]
	v_add_f64 v[9:10], v[9:10], -v[44:45]
	v_add_f64 v[11:12], v[11:12], -v[54:55]
	v_add_f64 v[5:6], v[5:6], -v[56:57]
	v_add_f64 v[7:8], v[7:8], -v[58:59]
	v_add_f64 v[1:2], v[1:2], -v[50:51]
	v_add_f64 v[3:4], v[3:4], -v[46:47]
	s_cbranch_scc0 .LBB228_95
.LBB228_96:                             ;   in Loop: Header=BB228_94 Depth=1
	s_mul_i32 s9, s5, 0x190
	v_add_nc_u32_e32 v29, 0x2400, v13
	v_dual_mov_b32 v13, s9 :: v_dual_add_nc_u32 v28, 0x2400, v14
	v_add_nc_u32_e32 v27, 0x2400, v15
	ds_load_b128 v[21:24], v13
	s_waitcnt lgkmcnt(0)
	v_dual_mov_b32 v13, v21 :: v_dual_add_nc_u32 v26, 0x2400, v16
	v_cmp_gt_f64_e32 vcc_lo, 0, v[21:22]
	v_xor_b32_e32 v14, 0x80000000, v22
	v_xor_b32_e32 v15, 0x80000000, v24
	s_delay_alu instid0(VALU_DEP_2) | instskip(SKIP_1) | instid1(VALU_DEP_3)
	v_cndmask_b32_e32 v14, v22, v14, vcc_lo
	v_cmp_gt_f64_e32 vcc_lo, 0, v[23:24]
	v_dual_cndmask_b32 v16, v24, v15 :: v_dual_mov_b32 v15, v23
	s_delay_alu instid0(VALU_DEP_1)
	v_cmp_ngt_f64_e32 vcc_lo, v[13:14], v[15:16]
	s_cbranch_vccz .LBB228_98
; %bb.97:                               ;   in Loop: Header=BB228_94 Depth=1
	v_div_scale_f64 v[13:14], null, v[23:24], v[23:24], v[21:22]
	v_div_scale_f64 v[32:33], vcc_lo, v[21:22], v[23:24], v[21:22]
	s_delay_alu instid0(VALU_DEP_2) | instskip(SKIP_2) | instid1(VALU_DEP_1)
	v_rcp_f64_e32 v[15:16], v[13:14]
	s_waitcnt_depctr 0xfff
	v_fma_f64 v[30:31], -v[13:14], v[15:16], 1.0
	v_fma_f64 v[15:16], v[15:16], v[30:31], v[15:16]
	s_delay_alu instid0(VALU_DEP_1) | instskip(NEXT) | instid1(VALU_DEP_1)
	v_fma_f64 v[30:31], -v[13:14], v[15:16], 1.0
	v_fma_f64 v[15:16], v[15:16], v[30:31], v[15:16]
	s_delay_alu instid0(VALU_DEP_1) | instskip(NEXT) | instid1(VALU_DEP_1)
	v_mul_f64 v[30:31], v[32:33], v[15:16]
	v_fma_f64 v[13:14], -v[13:14], v[30:31], v[32:33]
	s_delay_alu instid0(VALU_DEP_1) | instskip(NEXT) | instid1(VALU_DEP_1)
	v_div_fmas_f64 v[13:14], v[13:14], v[15:16], v[30:31]
	v_div_fixup_f64 v[13:14], v[13:14], v[23:24], v[21:22]
	s_delay_alu instid0(VALU_DEP_1) | instskip(NEXT) | instid1(VALU_DEP_1)
	v_fma_f64 v[15:16], v[21:22], v[13:14], v[23:24]
	v_div_scale_f64 v[30:31], null, v[15:16], v[15:16], 1.0
	v_div_scale_f64 v[36:37], vcc_lo, 1.0, v[15:16], 1.0
	s_delay_alu instid0(VALU_DEP_2) | instskip(SKIP_2) | instid1(VALU_DEP_1)
	v_rcp_f64_e32 v[32:33], v[30:31]
	s_waitcnt_depctr 0xfff
	v_fma_f64 v[34:35], -v[30:31], v[32:33], 1.0
	v_fma_f64 v[32:33], v[32:33], v[34:35], v[32:33]
	s_delay_alu instid0(VALU_DEP_1) | instskip(NEXT) | instid1(VALU_DEP_1)
	v_fma_f64 v[34:35], -v[30:31], v[32:33], 1.0
	v_fma_f64 v[32:33], v[32:33], v[34:35], v[32:33]
	s_delay_alu instid0(VALU_DEP_1) | instskip(NEXT) | instid1(VALU_DEP_1)
	v_mul_f64 v[34:35], v[36:37], v[32:33]
	v_fma_f64 v[30:31], -v[30:31], v[34:35], v[36:37]
	s_delay_alu instid0(VALU_DEP_1) | instskip(SKIP_1) | instid1(VALU_DEP_2)
	v_div_fmas_f64 v[30:31], v[30:31], v[32:33], v[34:35]
	v_fma_f64 v[32:33], v[17:18], v[13:14], v[19:20]
	v_div_fixup_f64 v[15:16], v[30:31], v[15:16], 1.0
	v_fma_f64 v[30:31], v[19:20], v[13:14], -v[17:18]
	s_delay_alu instid0(VALU_DEP_2) | instskip(NEXT) | instid1(VALU_DEP_2)
	v_mul_f64 v[13:14], v[32:33], v[15:16]
	v_mul_f64 v[15:16], v[30:31], v[15:16]
	s_cbranch_execz .LBB228_99
	s_branch .LBB228_100
.LBB228_98:                             ;   in Loop: Header=BB228_94 Depth=1
                                        ; implicit-def: $vgpr15_vgpr16
.LBB228_99:                             ;   in Loop: Header=BB228_94 Depth=1
	v_div_scale_f64 v[13:14], null, v[21:22], v[21:22], v[23:24]
	v_div_scale_f64 v[32:33], vcc_lo, v[23:24], v[21:22], v[23:24]
	s_delay_alu instid0(VALU_DEP_2) | instskip(SKIP_2) | instid1(VALU_DEP_1)
	v_rcp_f64_e32 v[15:16], v[13:14]
	s_waitcnt_depctr 0xfff
	v_fma_f64 v[30:31], -v[13:14], v[15:16], 1.0
	v_fma_f64 v[15:16], v[15:16], v[30:31], v[15:16]
	s_delay_alu instid0(VALU_DEP_1) | instskip(NEXT) | instid1(VALU_DEP_1)
	v_fma_f64 v[30:31], -v[13:14], v[15:16], 1.0
	v_fma_f64 v[15:16], v[15:16], v[30:31], v[15:16]
	s_delay_alu instid0(VALU_DEP_1) | instskip(NEXT) | instid1(VALU_DEP_1)
	v_mul_f64 v[30:31], v[32:33], v[15:16]
	v_fma_f64 v[13:14], -v[13:14], v[30:31], v[32:33]
	s_delay_alu instid0(VALU_DEP_1) | instskip(NEXT) | instid1(VALU_DEP_1)
	v_div_fmas_f64 v[13:14], v[13:14], v[15:16], v[30:31]
	v_div_fixup_f64 v[13:14], v[13:14], v[21:22], v[23:24]
	s_delay_alu instid0(VALU_DEP_1) | instskip(NEXT) | instid1(VALU_DEP_1)
	v_fma_f64 v[15:16], v[23:24], v[13:14], v[21:22]
	v_div_scale_f64 v[21:22], null, v[15:16], v[15:16], 1.0
	v_div_scale_f64 v[32:33], vcc_lo, 1.0, v[15:16], 1.0
	s_delay_alu instid0(VALU_DEP_2) | instskip(SKIP_2) | instid1(VALU_DEP_1)
	v_rcp_f64_e32 v[23:24], v[21:22]
	s_waitcnt_depctr 0xfff
	v_fma_f64 v[30:31], -v[21:22], v[23:24], 1.0
	v_fma_f64 v[23:24], v[23:24], v[30:31], v[23:24]
	s_delay_alu instid0(VALU_DEP_1) | instskip(NEXT) | instid1(VALU_DEP_1)
	v_fma_f64 v[30:31], -v[21:22], v[23:24], 1.0
	v_fma_f64 v[23:24], v[23:24], v[30:31], v[23:24]
	s_delay_alu instid0(VALU_DEP_1) | instskip(NEXT) | instid1(VALU_DEP_1)
	v_mul_f64 v[30:31], v[32:33], v[23:24]
	v_fma_f64 v[21:22], -v[21:22], v[30:31], v[32:33]
	s_delay_alu instid0(VALU_DEP_1) | instskip(SKIP_2) | instid1(VALU_DEP_3)
	v_div_fmas_f64 v[21:22], v[21:22], v[23:24], v[30:31]
	v_fma_f64 v[23:24], v[19:20], v[13:14], v[17:18]
	v_fma_f64 v[17:18], -v[17:18], v[13:14], v[19:20]
	v_div_fixup_f64 v[15:16], v[21:22], v[15:16], 1.0
	s_delay_alu instid0(VALU_DEP_1) | instskip(NEXT) | instid1(VALU_DEP_3)
	v_mul_f64 v[13:14], v[23:24], v[15:16]
	v_mul_f64 v[15:16], v[17:18], v[15:16]
.LBB228_100:                            ;   in Loop: Header=BB228_94 Depth=1
	s_add_i32 s8, s8, s5
	s_addk_i32 s9, 0xfe70
	s_lshl_b32 s8, s8, 4
	ds_store_b128 v29, v[13:16]
	v_mov_b32_e32 v17, s8
	ds_load_b128 v[21:24], v17
	v_mov_b32_e32 v17, s9
	ds_load_b128 v[17:20], v17
	s_waitcnt lgkmcnt(1)
	v_mul_f64 v[30:31], v[15:16], v[23:24]
	v_mul_f64 v[23:24], v[13:14], v[23:24]
	s_waitcnt lgkmcnt(0)
	v_cmp_gt_f64_e32 vcc_lo, 0, v[17:18]
	v_xor_b32_e32 v33, 0x80000000, v20
	v_mov_b32_e32 v32, v19
	v_fma_f64 v[30:31], v[13:14], v[21:22], -v[30:31]
	v_fma_f64 v[23:24], v[15:16], v[21:22], v[23:24]
	v_xor_b32_e32 v22, 0x80000000, v18
	s_delay_alu instid0(VALU_DEP_1) | instskip(SKIP_1) | instid1(VALU_DEP_4)
	v_dual_mov_b32 v21, v17 :: v_dual_cndmask_b32 v22, v18, v22
	v_cmp_gt_f64_e32 vcc_lo, 0, v[19:20]
	v_add_f64 v[23:24], v[11:12], -v[23:24]
	v_cndmask_b32_e32 v33, v20, v33, vcc_lo
	s_delay_alu instid0(VALU_DEP_1)
	v_cmp_ngt_f64_e32 vcc_lo, v[21:22], v[32:33]
	v_add_f64 v[21:22], v[9:10], -v[30:31]
	s_cbranch_vccz .LBB228_102
; %bb.101:                              ;   in Loop: Header=BB228_94 Depth=1
	v_div_scale_f64 v[9:10], null, v[19:20], v[19:20], v[17:18]
	v_div_scale_f64 v[31:32], vcc_lo, v[17:18], v[19:20], v[17:18]
	s_delay_alu instid0(VALU_DEP_2) | instskip(SKIP_2) | instid1(VALU_DEP_1)
	v_rcp_f64_e32 v[11:12], v[9:10]
	s_waitcnt_depctr 0xfff
	v_fma_f64 v[29:30], -v[9:10], v[11:12], 1.0
	v_fma_f64 v[11:12], v[11:12], v[29:30], v[11:12]
	s_delay_alu instid0(VALU_DEP_1) | instskip(NEXT) | instid1(VALU_DEP_1)
	v_fma_f64 v[29:30], -v[9:10], v[11:12], 1.0
	v_fma_f64 v[11:12], v[11:12], v[29:30], v[11:12]
	s_delay_alu instid0(VALU_DEP_1) | instskip(NEXT) | instid1(VALU_DEP_1)
	v_mul_f64 v[29:30], v[31:32], v[11:12]
	v_fma_f64 v[9:10], -v[9:10], v[29:30], v[31:32]
	s_delay_alu instid0(VALU_DEP_1) | instskip(NEXT) | instid1(VALU_DEP_1)
	v_div_fmas_f64 v[9:10], v[9:10], v[11:12], v[29:30]
	v_div_fixup_f64 v[9:10], v[9:10], v[19:20], v[17:18]
	s_delay_alu instid0(VALU_DEP_1) | instskip(NEXT) | instid1(VALU_DEP_1)
	v_fma_f64 v[11:12], v[17:18], v[9:10], v[19:20]
	v_div_scale_f64 v[29:30], null, v[11:12], v[11:12], 1.0
	v_div_scale_f64 v[35:36], vcc_lo, 1.0, v[11:12], 1.0
	s_delay_alu instid0(VALU_DEP_2) | instskip(SKIP_2) | instid1(VALU_DEP_1)
	v_rcp_f64_e32 v[31:32], v[29:30]
	s_waitcnt_depctr 0xfff
	v_fma_f64 v[33:34], -v[29:30], v[31:32], 1.0
	v_fma_f64 v[31:32], v[31:32], v[33:34], v[31:32]
	s_delay_alu instid0(VALU_DEP_1) | instskip(NEXT) | instid1(VALU_DEP_1)
	v_fma_f64 v[33:34], -v[29:30], v[31:32], 1.0
	v_fma_f64 v[31:32], v[31:32], v[33:34], v[31:32]
	s_delay_alu instid0(VALU_DEP_1) | instskip(NEXT) | instid1(VALU_DEP_1)
	v_mul_f64 v[33:34], v[35:36], v[31:32]
	v_fma_f64 v[29:30], -v[29:30], v[33:34], v[35:36]
	s_delay_alu instid0(VALU_DEP_1) | instskip(SKIP_1) | instid1(VALU_DEP_2)
	v_div_fmas_f64 v[29:30], v[29:30], v[31:32], v[33:34]
	v_fma_f64 v[31:32], v[9:10], v[21:22], v[23:24]
	v_div_fixup_f64 v[11:12], v[29:30], v[11:12], 1.0
	v_fma_f64 v[29:30], v[9:10], v[23:24], -v[21:22]
	s_delay_alu instid0(VALU_DEP_2) | instskip(NEXT) | instid1(VALU_DEP_2)
	v_mul_f64 v[9:10], v[31:32], v[11:12]
	v_mul_f64 v[11:12], v[29:30], v[11:12]
	s_cbranch_execz .LBB228_103
	s_branch .LBB228_104
.LBB228_102:                            ;   in Loop: Header=BB228_94 Depth=1
                                        ; implicit-def: $vgpr11_vgpr12
.LBB228_103:                            ;   in Loop: Header=BB228_94 Depth=1
	v_div_scale_f64 v[9:10], null, v[17:18], v[17:18], v[19:20]
	v_div_scale_f64 v[31:32], vcc_lo, v[19:20], v[17:18], v[19:20]
	s_delay_alu instid0(VALU_DEP_2) | instskip(SKIP_2) | instid1(VALU_DEP_1)
	v_rcp_f64_e32 v[11:12], v[9:10]
	s_waitcnt_depctr 0xfff
	v_fma_f64 v[29:30], -v[9:10], v[11:12], 1.0
	v_fma_f64 v[11:12], v[11:12], v[29:30], v[11:12]
	s_delay_alu instid0(VALU_DEP_1) | instskip(NEXT) | instid1(VALU_DEP_1)
	v_fma_f64 v[29:30], -v[9:10], v[11:12], 1.0
	v_fma_f64 v[11:12], v[11:12], v[29:30], v[11:12]
	s_delay_alu instid0(VALU_DEP_1) | instskip(NEXT) | instid1(VALU_DEP_1)
	v_mul_f64 v[29:30], v[31:32], v[11:12]
	v_fma_f64 v[9:10], -v[9:10], v[29:30], v[31:32]
	s_delay_alu instid0(VALU_DEP_1) | instskip(NEXT) | instid1(VALU_DEP_1)
	v_div_fmas_f64 v[9:10], v[9:10], v[11:12], v[29:30]
	v_div_fixup_f64 v[9:10], v[9:10], v[17:18], v[19:20]
	s_delay_alu instid0(VALU_DEP_1) | instskip(NEXT) | instid1(VALU_DEP_1)
	v_fma_f64 v[11:12], v[19:20], v[9:10], v[17:18]
	v_div_scale_f64 v[17:18], null, v[11:12], v[11:12], 1.0
	v_div_scale_f64 v[31:32], vcc_lo, 1.0, v[11:12], 1.0
	s_delay_alu instid0(VALU_DEP_2) | instskip(SKIP_2) | instid1(VALU_DEP_1)
	v_rcp_f64_e32 v[19:20], v[17:18]
	s_waitcnt_depctr 0xfff
	v_fma_f64 v[29:30], -v[17:18], v[19:20], 1.0
	v_fma_f64 v[19:20], v[19:20], v[29:30], v[19:20]
	s_delay_alu instid0(VALU_DEP_1) | instskip(NEXT) | instid1(VALU_DEP_1)
	v_fma_f64 v[29:30], -v[17:18], v[19:20], 1.0
	v_fma_f64 v[19:20], v[19:20], v[29:30], v[19:20]
	s_delay_alu instid0(VALU_DEP_1) | instskip(NEXT) | instid1(VALU_DEP_1)
	v_mul_f64 v[29:30], v[31:32], v[19:20]
	v_fma_f64 v[17:18], -v[17:18], v[29:30], v[31:32]
	s_delay_alu instid0(VALU_DEP_1) | instskip(SKIP_1) | instid1(VALU_DEP_2)
	v_div_fmas_f64 v[17:18], v[17:18], v[19:20], v[29:30]
	v_fma_f64 v[19:20], v[9:10], v[23:24], v[21:22]
	v_div_fixup_f64 v[11:12], v[17:18], v[11:12], 1.0
	v_fma_f64 v[17:18], -v[9:10], v[21:22], v[23:24]
	s_delay_alu instid0(VALU_DEP_2) | instskip(NEXT) | instid1(VALU_DEP_2)
	v_mul_f64 v[9:10], v[19:20], v[11:12]
	v_mul_f64 v[11:12], v[17:18], v[11:12]
.LBB228_104:                            ;   in Loop: Header=BB228_94 Depth=1
	s_add_i32 s8, s7, s5
	ds_store_b128 v28, v[9:12]
	s_lshl_b32 s8, s8, 4
	s_delay_alu instid0(SALU_CYCLE_1) | instskip(SKIP_1) | instid1(SALU_CYCLE_1)
	v_mov_b32_e32 v17, s8
	s_add_i32 s8, s5, -1
	s_add_i32 s7, s7, s8
	s_delay_alu instid0(SALU_CYCLE_1)
	s_lshl_b32 s7, s7, 4
	ds_load_b128 v[17:20], v17
	v_mov_b32_e32 v21, s7
	s_add_i32 s7, s9, 0xfffffe70
	ds_load_b128 v[21:24], v21
	s_waitcnt lgkmcnt(1)
	v_mul_f64 v[29:30], v[15:16], v[19:20]
	v_mul_f64 v[19:20], v[13:14], v[19:20]
	s_waitcnt lgkmcnt(0)
	v_mul_f64 v[31:32], v[11:12], v[23:24]
	v_mul_f64 v[23:24], v[9:10], v[23:24]
	s_delay_alu instid0(VALU_DEP_4) | instskip(NEXT) | instid1(VALU_DEP_4)
	v_fma_f64 v[29:30], v[13:14], v[17:18], -v[29:30]
	v_fma_f64 v[17:18], v[15:16], v[17:18], v[19:20]
	v_mov_b32_e32 v19, s7
	v_fma_f64 v[31:32], v[9:10], v[21:22], -v[31:32]
	v_fma_f64 v[23:24], v[11:12], v[21:22], v[23:24]
	v_add_f64 v[5:6], v[5:6], -v[29:30]
	v_add_f64 v[7:8], v[7:8], -v[17:18]
	ds_load_b128 v[17:20], v19
	s_waitcnt lgkmcnt(0)
	v_cmp_gt_f64_e32 vcc_lo, 0, v[17:18]
	v_xor_b32_e32 v22, 0x80000000, v18
	v_xor_b32_e32 v30, 0x80000000, v20
	v_mov_b32_e32 v21, v17
	v_mov_b32_e32 v29, v19
	v_add_f64 v[23:24], v[7:8], -v[23:24]
	v_cndmask_b32_e32 v22, v18, v22, vcc_lo
	v_cmp_gt_f64_e32 vcc_lo, 0, v[19:20]
	v_cndmask_b32_e32 v30, v20, v30, vcc_lo
	s_delay_alu instid0(VALU_DEP_1)
	v_cmp_ngt_f64_e32 vcc_lo, v[21:22], v[29:30]
	v_add_f64 v[21:22], v[5:6], -v[31:32]
	s_cbranch_vccz .LBB228_106
; %bb.105:                              ;   in Loop: Header=BB228_94 Depth=1
	v_div_scale_f64 v[5:6], null, v[19:20], v[19:20], v[17:18]
	v_div_scale_f64 v[30:31], vcc_lo, v[17:18], v[19:20], v[17:18]
	s_delay_alu instid0(VALU_DEP_2) | instskip(SKIP_2) | instid1(VALU_DEP_1)
	v_rcp_f64_e32 v[7:8], v[5:6]
	s_waitcnt_depctr 0xfff
	v_fma_f64 v[28:29], -v[5:6], v[7:8], 1.0
	v_fma_f64 v[7:8], v[7:8], v[28:29], v[7:8]
	s_delay_alu instid0(VALU_DEP_1) | instskip(NEXT) | instid1(VALU_DEP_1)
	v_fma_f64 v[28:29], -v[5:6], v[7:8], 1.0
	v_fma_f64 v[7:8], v[7:8], v[28:29], v[7:8]
	s_delay_alu instid0(VALU_DEP_1) | instskip(NEXT) | instid1(VALU_DEP_1)
	v_mul_f64 v[28:29], v[30:31], v[7:8]
	v_fma_f64 v[5:6], -v[5:6], v[28:29], v[30:31]
	s_delay_alu instid0(VALU_DEP_1) | instskip(NEXT) | instid1(VALU_DEP_1)
	v_div_fmas_f64 v[5:6], v[5:6], v[7:8], v[28:29]
	v_div_fixup_f64 v[5:6], v[5:6], v[19:20], v[17:18]
	s_delay_alu instid0(VALU_DEP_1) | instskip(NEXT) | instid1(VALU_DEP_1)
	v_fma_f64 v[7:8], v[17:18], v[5:6], v[19:20]
	v_div_scale_f64 v[28:29], null, v[7:8], v[7:8], 1.0
	v_div_scale_f64 v[34:35], vcc_lo, 1.0, v[7:8], 1.0
	s_delay_alu instid0(VALU_DEP_2) | instskip(SKIP_2) | instid1(VALU_DEP_1)
	v_rcp_f64_e32 v[30:31], v[28:29]
	s_waitcnt_depctr 0xfff
	v_fma_f64 v[32:33], -v[28:29], v[30:31], 1.0
	v_fma_f64 v[30:31], v[30:31], v[32:33], v[30:31]
	s_delay_alu instid0(VALU_DEP_1) | instskip(NEXT) | instid1(VALU_DEP_1)
	v_fma_f64 v[32:33], -v[28:29], v[30:31], 1.0
	v_fma_f64 v[30:31], v[30:31], v[32:33], v[30:31]
	s_delay_alu instid0(VALU_DEP_1) | instskip(NEXT) | instid1(VALU_DEP_1)
	v_mul_f64 v[32:33], v[34:35], v[30:31]
	v_fma_f64 v[28:29], -v[28:29], v[32:33], v[34:35]
	s_delay_alu instid0(VALU_DEP_1) | instskip(SKIP_1) | instid1(VALU_DEP_2)
	v_div_fmas_f64 v[28:29], v[28:29], v[30:31], v[32:33]
	v_fma_f64 v[30:31], v[5:6], v[21:22], v[23:24]
	v_div_fixup_f64 v[7:8], v[28:29], v[7:8], 1.0
	v_fma_f64 v[28:29], v[5:6], v[23:24], -v[21:22]
	s_delay_alu instid0(VALU_DEP_2) | instskip(NEXT) | instid1(VALU_DEP_2)
	v_mul_f64 v[5:6], v[30:31], v[7:8]
	v_mul_f64 v[7:8], v[28:29], v[7:8]
	s_cbranch_execz .LBB228_107
	s_branch .LBB228_108
.LBB228_106:                            ;   in Loop: Header=BB228_94 Depth=1
                                        ; implicit-def: $vgpr7_vgpr8
.LBB228_107:                            ;   in Loop: Header=BB228_94 Depth=1
	v_div_scale_f64 v[5:6], null, v[17:18], v[17:18], v[19:20]
	v_div_scale_f64 v[30:31], vcc_lo, v[19:20], v[17:18], v[19:20]
	s_delay_alu instid0(VALU_DEP_2) | instskip(SKIP_2) | instid1(VALU_DEP_1)
	v_rcp_f64_e32 v[7:8], v[5:6]
	s_waitcnt_depctr 0xfff
	v_fma_f64 v[28:29], -v[5:6], v[7:8], 1.0
	v_fma_f64 v[7:8], v[7:8], v[28:29], v[7:8]
	s_delay_alu instid0(VALU_DEP_1) | instskip(NEXT) | instid1(VALU_DEP_1)
	v_fma_f64 v[28:29], -v[5:6], v[7:8], 1.0
	v_fma_f64 v[7:8], v[7:8], v[28:29], v[7:8]
	s_delay_alu instid0(VALU_DEP_1) | instskip(NEXT) | instid1(VALU_DEP_1)
	v_mul_f64 v[28:29], v[30:31], v[7:8]
	v_fma_f64 v[5:6], -v[5:6], v[28:29], v[30:31]
	s_delay_alu instid0(VALU_DEP_1) | instskip(NEXT) | instid1(VALU_DEP_1)
	v_div_fmas_f64 v[5:6], v[5:6], v[7:8], v[28:29]
	v_div_fixup_f64 v[5:6], v[5:6], v[17:18], v[19:20]
	s_delay_alu instid0(VALU_DEP_1) | instskip(NEXT) | instid1(VALU_DEP_1)
	v_fma_f64 v[7:8], v[19:20], v[5:6], v[17:18]
	v_div_scale_f64 v[17:18], null, v[7:8], v[7:8], 1.0
	v_div_scale_f64 v[30:31], vcc_lo, 1.0, v[7:8], 1.0
	s_delay_alu instid0(VALU_DEP_2) | instskip(SKIP_2) | instid1(VALU_DEP_1)
	v_rcp_f64_e32 v[19:20], v[17:18]
	s_waitcnt_depctr 0xfff
	v_fma_f64 v[28:29], -v[17:18], v[19:20], 1.0
	v_fma_f64 v[19:20], v[19:20], v[28:29], v[19:20]
	s_delay_alu instid0(VALU_DEP_1) | instskip(NEXT) | instid1(VALU_DEP_1)
	v_fma_f64 v[28:29], -v[17:18], v[19:20], 1.0
	v_fma_f64 v[19:20], v[19:20], v[28:29], v[19:20]
	s_delay_alu instid0(VALU_DEP_1) | instskip(NEXT) | instid1(VALU_DEP_1)
	v_mul_f64 v[28:29], v[30:31], v[19:20]
	v_fma_f64 v[17:18], -v[17:18], v[28:29], v[30:31]
	s_delay_alu instid0(VALU_DEP_1) | instskip(SKIP_1) | instid1(VALU_DEP_2)
	v_div_fmas_f64 v[17:18], v[17:18], v[19:20], v[28:29]
	v_fma_f64 v[19:20], v[5:6], v[23:24], v[21:22]
	v_div_fixup_f64 v[7:8], v[17:18], v[7:8], 1.0
	v_fma_f64 v[17:18], -v[5:6], v[21:22], v[23:24]
	s_delay_alu instid0(VALU_DEP_2) | instskip(NEXT) | instid1(VALU_DEP_2)
	v_mul_f64 v[5:6], v[19:20], v[7:8]
	v_mul_f64 v[7:8], v[17:18], v[7:8]
.LBB228_108:                            ;   in Loop: Header=BB228_94 Depth=1
	s_add_i32 s9, s6, s5
	s_add_i32 s6, s6, s8
	s_lshl_b32 s9, s9, 4
	s_lshl_b32 s6, s6, 4
	v_mov_b32_e32 v17, s9
	v_mov_b32_e32 v21, s6
	s_sub_i32 s6, s9, 32
	ds_store_b128 v27, v[5:8]
	ds_load_b128 v[17:20], v17
	ds_load_b128 v[21:24], v21
	s_waitcnt lgkmcnt(1)
	v_mul_f64 v[28:29], v[15:16], v[19:20]
	v_mul_f64 v[19:20], v[13:14], v[19:20]
	s_delay_alu instid0(VALU_DEP_2) | instskip(SKIP_1) | instid1(VALU_DEP_3)
	v_fma_f64 v[28:29], v[13:14], v[17:18], -v[28:29]
	v_mov_b32_e32 v13, s6
	v_fma_f64 v[32:33], v[15:16], v[17:18], v[19:20]
	s_add_i32 s6, s7, 0xfffffe70
	ds_load_b128 v[17:20], v13
	s_waitcnt lgkmcnt(1)
	v_mul_f64 v[30:31], v[11:12], v[23:24]
	v_mul_f64 v[23:24], v[9:10], v[23:24]
	v_mov_b32_e32 v13, s6
	ds_load_b128 v[13:16], v13
	s_waitcnt lgkmcnt(1)
	v_mul_f64 v[34:35], v[7:8], v[19:20]
	v_mul_f64 v[19:20], v[5:6], v[19:20]
	s_waitcnt lgkmcnt(0)
	v_cmp_gt_f64_e32 vcc_lo, 0, v[13:14]
	v_add_f64 v[1:2], v[1:2], -v[28:29]
	v_add_f64 v[3:4], v[3:4], -v[32:33]
	v_fma_f64 v[9:10], v[9:10], v[21:22], -v[30:31]
	v_fma_f64 v[11:12], v[11:12], v[21:22], v[23:24]
	v_fma_f64 v[21:22], v[5:6], v[17:18], -v[34:35]
	v_fma_f64 v[17:18], v[7:8], v[17:18], v[19:20]
	s_delay_alu instid0(VALU_DEP_4) | instskip(SKIP_4) | instid1(VALU_DEP_4)
	v_add_f64 v[1:2], v[1:2], -v[9:10]
	v_xor_b32_e32 v10, 0x80000000, v14
	v_add_f64 v[3:4], v[3:4], -v[11:12]
	v_xor_b32_e32 v12, 0x80000000, v16
	v_mov_b32_e32 v9, v13
	v_dual_mov_b32 v11, v15 :: v_dual_cndmask_b32 v10, v14, v10
	v_cmp_gt_f64_e32 vcc_lo, 0, v[15:16]
	s_delay_alu instid0(VALU_DEP_4) | instskip(NEXT) | instid1(VALU_DEP_1)
	v_cndmask_b32_e32 v12, v16, v12, vcc_lo
	v_cmp_ngt_f64_e32 vcc_lo, v[9:10], v[11:12]
	v_add_f64 v[9:10], v[1:2], -v[21:22]
	v_add_f64 v[11:12], v[3:4], -v[17:18]
	s_cbranch_vccz .LBB228_110
; %bb.109:                              ;   in Loop: Header=BB228_94 Depth=1
	v_div_scale_f64 v[1:2], null, v[15:16], v[15:16], v[13:14]
	v_div_scale_f64 v[7:8], vcc_lo, v[13:14], v[15:16], v[13:14]
	s_delay_alu instid0(VALU_DEP_2) | instskip(SKIP_2) | instid1(VALU_DEP_1)
	v_rcp_f64_e32 v[3:4], v[1:2]
	s_waitcnt_depctr 0xfff
	v_fma_f64 v[5:6], -v[1:2], v[3:4], 1.0
	v_fma_f64 v[3:4], v[3:4], v[5:6], v[3:4]
	s_delay_alu instid0(VALU_DEP_1) | instskip(NEXT) | instid1(VALU_DEP_1)
	v_fma_f64 v[5:6], -v[1:2], v[3:4], 1.0
	v_fma_f64 v[3:4], v[3:4], v[5:6], v[3:4]
	s_delay_alu instid0(VALU_DEP_1) | instskip(NEXT) | instid1(VALU_DEP_1)
	v_mul_f64 v[5:6], v[7:8], v[3:4]
	v_fma_f64 v[1:2], -v[1:2], v[5:6], v[7:8]
	s_delay_alu instid0(VALU_DEP_1) | instskip(NEXT) | instid1(VALU_DEP_1)
	v_div_fmas_f64 v[1:2], v[1:2], v[3:4], v[5:6]
	v_div_fixup_f64 v[1:2], v[1:2], v[15:16], v[13:14]
	s_delay_alu instid0(VALU_DEP_1) | instskip(NEXT) | instid1(VALU_DEP_1)
	v_fma_f64 v[3:4], v[13:14], v[1:2], v[15:16]
	v_div_scale_f64 v[5:6], null, v[3:4], v[3:4], 1.0
	v_div_scale_f64 v[19:20], vcc_lo, 1.0, v[3:4], 1.0
	s_delay_alu instid0(VALU_DEP_2) | instskip(SKIP_2) | instid1(VALU_DEP_1)
	v_rcp_f64_e32 v[7:8], v[5:6]
	s_waitcnt_depctr 0xfff
	v_fma_f64 v[17:18], -v[5:6], v[7:8], 1.0
	v_fma_f64 v[7:8], v[7:8], v[17:18], v[7:8]
	s_delay_alu instid0(VALU_DEP_1) | instskip(NEXT) | instid1(VALU_DEP_1)
	v_fma_f64 v[17:18], -v[5:6], v[7:8], 1.0
	v_fma_f64 v[7:8], v[7:8], v[17:18], v[7:8]
	s_delay_alu instid0(VALU_DEP_1) | instskip(NEXT) | instid1(VALU_DEP_1)
	v_mul_f64 v[17:18], v[19:20], v[7:8]
	v_fma_f64 v[5:6], -v[5:6], v[17:18], v[19:20]
	s_delay_alu instid0(VALU_DEP_1) | instskip(SKIP_1) | instid1(VALU_DEP_2)
	v_div_fmas_f64 v[5:6], v[5:6], v[7:8], v[17:18]
	v_fma_f64 v[7:8], v[1:2], v[9:10], v[11:12]
	v_div_fixup_f64 v[3:4], v[5:6], v[3:4], 1.0
	v_fma_f64 v[5:6], v[1:2], v[11:12], -v[9:10]
	s_delay_alu instid0(VALU_DEP_2) | instskip(NEXT) | instid1(VALU_DEP_2)
	v_mul_f64 v[1:2], v[7:8], v[3:4]
	v_mul_f64 v[3:4], v[5:6], v[3:4]
	s_cbranch_execz .LBB228_111
	s_branch .LBB228_112
.LBB228_110:                            ;   in Loop: Header=BB228_94 Depth=1
                                        ; implicit-def: $vgpr3_vgpr4
.LBB228_111:                            ;   in Loop: Header=BB228_94 Depth=1
	v_div_scale_f64 v[1:2], null, v[13:14], v[13:14], v[15:16]
	v_div_scale_f64 v[7:8], vcc_lo, v[15:16], v[13:14], v[15:16]
	s_delay_alu instid0(VALU_DEP_2) | instskip(SKIP_2) | instid1(VALU_DEP_1)
	v_rcp_f64_e32 v[3:4], v[1:2]
	s_waitcnt_depctr 0xfff
	v_fma_f64 v[5:6], -v[1:2], v[3:4], 1.0
	v_fma_f64 v[3:4], v[3:4], v[5:6], v[3:4]
	s_delay_alu instid0(VALU_DEP_1) | instskip(NEXT) | instid1(VALU_DEP_1)
	v_fma_f64 v[5:6], -v[1:2], v[3:4], 1.0
	v_fma_f64 v[3:4], v[3:4], v[5:6], v[3:4]
	s_delay_alu instid0(VALU_DEP_1) | instskip(NEXT) | instid1(VALU_DEP_1)
	v_mul_f64 v[5:6], v[7:8], v[3:4]
	v_fma_f64 v[1:2], -v[1:2], v[5:6], v[7:8]
	s_delay_alu instid0(VALU_DEP_1) | instskip(NEXT) | instid1(VALU_DEP_1)
	v_div_fmas_f64 v[1:2], v[1:2], v[3:4], v[5:6]
	v_div_fixup_f64 v[1:2], v[1:2], v[13:14], v[15:16]
	s_delay_alu instid0(VALU_DEP_1) | instskip(NEXT) | instid1(VALU_DEP_1)
	v_fma_f64 v[3:4], v[15:16], v[1:2], v[13:14]
	v_div_scale_f64 v[5:6], null, v[3:4], v[3:4], 1.0
	v_div_scale_f64 v[15:16], vcc_lo, 1.0, v[3:4], 1.0
	s_delay_alu instid0(VALU_DEP_2) | instskip(SKIP_2) | instid1(VALU_DEP_1)
	v_rcp_f64_e32 v[7:8], v[5:6]
	s_waitcnt_depctr 0xfff
	v_fma_f64 v[13:14], -v[5:6], v[7:8], 1.0
	v_fma_f64 v[7:8], v[7:8], v[13:14], v[7:8]
	s_delay_alu instid0(VALU_DEP_1) | instskip(NEXT) | instid1(VALU_DEP_1)
	v_fma_f64 v[13:14], -v[5:6], v[7:8], 1.0
	v_fma_f64 v[7:8], v[7:8], v[13:14], v[7:8]
	s_delay_alu instid0(VALU_DEP_1) | instskip(NEXT) | instid1(VALU_DEP_1)
	v_mul_f64 v[13:14], v[15:16], v[7:8]
	v_fma_f64 v[5:6], -v[5:6], v[13:14], v[15:16]
	s_delay_alu instid0(VALU_DEP_1) | instskip(SKIP_1) | instid1(VALU_DEP_2)
	v_div_fmas_f64 v[5:6], v[5:6], v[7:8], v[13:14]
	v_fma_f64 v[7:8], v[1:2], v[11:12], v[9:10]
	v_div_fixup_f64 v[3:4], v[5:6], v[3:4], 1.0
	v_fma_f64 v[5:6], -v[1:2], v[9:10], v[11:12]
	s_delay_alu instid0(VALU_DEP_2) | instskip(NEXT) | instid1(VALU_DEP_2)
	v_mul_f64 v[1:2], v[7:8], v[3:4]
	v_mul_f64 v[3:4], v[5:6], v[3:4]
.LBB228_112:                            ;   in Loop: Header=BB228_94 Depth=1
	s_add_i32 s6, s5, -4
	s_addk_i32 s4, 0xfa00
	s_cmp_lt_i32 s5, 7
	ds_store_b128 v26, v[1:4]
	s_cbranch_scc1 .LBB228_114
; %bb.113:                              ;   in Loop: Header=BB228_94 Depth=1
	s_mov_b32 s5, s6
	s_branch .LBB228_94
.LBB228_114:
	s_cmp_lt_i32 s6, 0
	s_cbranch_scc1 .LBB228_123
; %bb.115:
	v_lshlrev_b32_e32 v1, 4, v0
	s_mul_i32 s4, s6, 0x180
	s_lshl_b32 s5, s28, 4
	s_delay_alu instid0(VALU_DEP_1) | instskip(SKIP_1) | instid1(SALU_CYCLE_1)
	v_add3_u32 v13, s1, v1, 0x2280
	s_add_i32 s1, s4, s5
	s_add_i32 s1, s1, -16
	s_branch .LBB228_117
.LBB228_116:                            ;   in Loop: Header=BB228_117 Depth=1
	s_add_i32 s4, s6, -1
	s_addk_i32 s1, 0xfe80
	s_cmp_lt_i32 s6, 1
	s_mov_b32 s6, s4
	ds_store_b128 v14, v[9:12]
	s_cbranch_scc1 .LBB228_123
.LBB228_117:                            ; =>This Loop Header: Depth=1
                                        ;     Child Loop BB228_118 Depth 2
	s_mul_i32 s4, s6, 24
	v_mov_b32_e32 v6, v13
	v_add_lshl_u32 v5, s4, v0, 4
	s_cmp_le_i32 s29, s6
	s_mov_b32 s4, s1
	s_mov_b32 s5, s29
	ds_load_b128 v[1:4], v5 offset:9216
	s_cbranch_scc1 .LBB228_119
	.p2align	6
.LBB228_118:                            ;   Parent Loop BB228_117 Depth=1
                                        ; =>  This Inner Loop Header: Depth=2
	v_mov_b32_e32 v11, s4
	s_add_i32 s5, s5, -1
	s_add_i32 s4, s4, -16
	s_cmp_le_i32 s5, s6
	ds_load_b128 v[7:10], v6
	ds_load_b128 v[14:17], v11
	v_add_nc_u32_e32 v6, 0xfffffe80, v6
	s_waitcnt lgkmcnt(0)
	v_mul_f64 v[11:12], v[16:17], v[9:10]
	v_mul_f64 v[9:10], v[14:15], v[9:10]
	s_delay_alu instid0(VALU_DEP_2) | instskip(NEXT) | instid1(VALU_DEP_2)
	v_fma_f64 v[11:12], v[14:15], v[7:8], -v[11:12]
	v_fma_f64 v[7:8], v[16:17], v[7:8], v[9:10]
	s_delay_alu instid0(VALU_DEP_2) | instskip(NEXT) | instid1(VALU_DEP_2)
	v_add_f64 v[1:2], v[1:2], -v[11:12]
	v_add_f64 v[3:4], v[3:4], -v[7:8]
	s_cbranch_scc0 .LBB228_118
.LBB228_119:                            ;   in Loop: Header=BB228_117 Depth=1
	s_mul_i32 s4, s6, 0x190
	s_delay_alu instid0(SALU_CYCLE_1)
	v_dual_mov_b32 v5, s4 :: v_dual_add_nc_u32 v14, 0x2400, v5
	ds_load_b128 v[5:8], v5
	s_waitcnt lgkmcnt(0)
	v_cmp_gt_f64_e32 vcc_lo, 0, v[5:6]
	v_xor_b32_e32 v10, 0x80000000, v6
	v_mov_b32_e32 v9, v5
	v_xor_b32_e32 v11, 0x80000000, v8
	s_delay_alu instid0(VALU_DEP_3) | instskip(SKIP_1) | instid1(VALU_DEP_3)
	v_cndmask_b32_e32 v10, v6, v10, vcc_lo
	v_cmp_gt_f64_e32 vcc_lo, 0, v[7:8]
	v_dual_cndmask_b32 v12, v8, v11 :: v_dual_mov_b32 v11, v7
	s_delay_alu instid0(VALU_DEP_1)
	v_cmp_ngt_f64_e32 vcc_lo, v[9:10], v[11:12]
	s_cbranch_vccz .LBB228_121
; %bb.120:                              ;   in Loop: Header=BB228_117 Depth=1
	v_div_scale_f64 v[9:10], null, v[7:8], v[7:8], v[5:6]
	v_div_scale_f64 v[17:18], vcc_lo, v[5:6], v[7:8], v[5:6]
	s_delay_alu instid0(VALU_DEP_2) | instskip(SKIP_2) | instid1(VALU_DEP_1)
	v_rcp_f64_e32 v[11:12], v[9:10]
	s_waitcnt_depctr 0xfff
	v_fma_f64 v[15:16], -v[9:10], v[11:12], 1.0
	v_fma_f64 v[11:12], v[11:12], v[15:16], v[11:12]
	s_delay_alu instid0(VALU_DEP_1) | instskip(NEXT) | instid1(VALU_DEP_1)
	v_fma_f64 v[15:16], -v[9:10], v[11:12], 1.0
	v_fma_f64 v[11:12], v[11:12], v[15:16], v[11:12]
	s_delay_alu instid0(VALU_DEP_1) | instskip(NEXT) | instid1(VALU_DEP_1)
	v_mul_f64 v[15:16], v[17:18], v[11:12]
	v_fma_f64 v[9:10], -v[9:10], v[15:16], v[17:18]
	s_delay_alu instid0(VALU_DEP_1) | instskip(NEXT) | instid1(VALU_DEP_1)
	v_div_fmas_f64 v[9:10], v[9:10], v[11:12], v[15:16]
	v_div_fixup_f64 v[9:10], v[9:10], v[7:8], v[5:6]
	s_delay_alu instid0(VALU_DEP_1) | instskip(NEXT) | instid1(VALU_DEP_1)
	v_fma_f64 v[11:12], v[5:6], v[9:10], v[7:8]
	v_div_scale_f64 v[15:16], null, v[11:12], v[11:12], 1.0
	v_div_scale_f64 v[21:22], vcc_lo, 1.0, v[11:12], 1.0
	s_delay_alu instid0(VALU_DEP_2) | instskip(SKIP_2) | instid1(VALU_DEP_1)
	v_rcp_f64_e32 v[17:18], v[15:16]
	s_waitcnt_depctr 0xfff
	v_fma_f64 v[19:20], -v[15:16], v[17:18], 1.0
	v_fma_f64 v[17:18], v[17:18], v[19:20], v[17:18]
	s_delay_alu instid0(VALU_DEP_1) | instskip(NEXT) | instid1(VALU_DEP_1)
	v_fma_f64 v[19:20], -v[15:16], v[17:18], 1.0
	v_fma_f64 v[17:18], v[17:18], v[19:20], v[17:18]
	s_delay_alu instid0(VALU_DEP_1) | instskip(NEXT) | instid1(VALU_DEP_1)
	v_mul_f64 v[19:20], v[21:22], v[17:18]
	v_fma_f64 v[15:16], -v[15:16], v[19:20], v[21:22]
	s_delay_alu instid0(VALU_DEP_1) | instskip(SKIP_1) | instid1(VALU_DEP_2)
	v_div_fmas_f64 v[15:16], v[15:16], v[17:18], v[19:20]
	v_fma_f64 v[17:18], v[1:2], v[9:10], v[3:4]
	v_div_fixup_f64 v[11:12], v[15:16], v[11:12], 1.0
	v_fma_f64 v[15:16], v[3:4], v[9:10], -v[1:2]
	s_delay_alu instid0(VALU_DEP_2) | instskip(NEXT) | instid1(VALU_DEP_2)
	v_mul_f64 v[9:10], v[17:18], v[11:12]
	v_mul_f64 v[11:12], v[15:16], v[11:12]
	s_cbranch_execnz .LBB228_116
	s_branch .LBB228_122
.LBB228_121:                            ;   in Loop: Header=BB228_117 Depth=1
                                        ; implicit-def: $vgpr9_vgpr10
.LBB228_122:                            ;   in Loop: Header=BB228_117 Depth=1
	v_div_scale_f64 v[9:10], null, v[5:6], v[5:6], v[7:8]
	v_div_scale_f64 v[17:18], vcc_lo, v[7:8], v[5:6], v[7:8]
	s_delay_alu instid0(VALU_DEP_2) | instskip(SKIP_2) | instid1(VALU_DEP_1)
	v_rcp_f64_e32 v[11:12], v[9:10]
	s_waitcnt_depctr 0xfff
	v_fma_f64 v[15:16], -v[9:10], v[11:12], 1.0
	v_fma_f64 v[11:12], v[11:12], v[15:16], v[11:12]
	s_delay_alu instid0(VALU_DEP_1) | instskip(NEXT) | instid1(VALU_DEP_1)
	v_fma_f64 v[15:16], -v[9:10], v[11:12], 1.0
	v_fma_f64 v[11:12], v[11:12], v[15:16], v[11:12]
	s_delay_alu instid0(VALU_DEP_1) | instskip(NEXT) | instid1(VALU_DEP_1)
	v_mul_f64 v[15:16], v[17:18], v[11:12]
	v_fma_f64 v[9:10], -v[9:10], v[15:16], v[17:18]
	s_delay_alu instid0(VALU_DEP_1) | instskip(NEXT) | instid1(VALU_DEP_1)
	v_div_fmas_f64 v[9:10], v[9:10], v[11:12], v[15:16]
	v_div_fixup_f64 v[9:10], v[9:10], v[5:6], v[7:8]
	s_delay_alu instid0(VALU_DEP_1) | instskip(NEXT) | instid1(VALU_DEP_1)
	v_fma_f64 v[5:6], v[7:8], v[9:10], v[5:6]
	v_div_scale_f64 v[7:8], null, v[5:6], v[5:6], 1.0
	v_div_scale_f64 v[17:18], vcc_lo, 1.0, v[5:6], 1.0
	s_delay_alu instid0(VALU_DEP_2) | instskip(SKIP_2) | instid1(VALU_DEP_1)
	v_rcp_f64_e32 v[11:12], v[7:8]
	s_waitcnt_depctr 0xfff
	v_fma_f64 v[15:16], -v[7:8], v[11:12], 1.0
	v_fma_f64 v[11:12], v[11:12], v[15:16], v[11:12]
	s_delay_alu instid0(VALU_DEP_1) | instskip(NEXT) | instid1(VALU_DEP_1)
	v_fma_f64 v[15:16], -v[7:8], v[11:12], 1.0
	v_fma_f64 v[11:12], v[11:12], v[15:16], v[11:12]
	s_delay_alu instid0(VALU_DEP_1) | instskip(NEXT) | instid1(VALU_DEP_1)
	v_mul_f64 v[15:16], v[17:18], v[11:12]
	v_fma_f64 v[7:8], -v[7:8], v[15:16], v[17:18]
	s_delay_alu instid0(VALU_DEP_1) | instskip(SKIP_2) | instid1(VALU_DEP_3)
	v_div_fmas_f64 v[7:8], v[7:8], v[11:12], v[15:16]
	v_fma_f64 v[11:12], v[3:4], v[9:10], v[1:2]
	v_fma_f64 v[1:2], -v[1:2], v[9:10], v[3:4]
	v_div_fixup_f64 v[5:6], v[7:8], v[5:6], 1.0
	s_delay_alu instid0(VALU_DEP_1) | instskip(NEXT) | instid1(VALU_DEP_3)
	v_mul_f64 v[9:10], v[11:12], v[5:6]
	v_mul_f64 v[11:12], v[1:2], v[5:6]
	s_branch .LBB228_116
.LBB228_123:
	s_mov_b32 s5, 0
.LBB228_124:
	s_delay_alu instid0(SALU_CYCLE_1)
	s_and_not1_b32 vcc_lo, exec_lo, s5
	s_cbranch_vccnz .LBB228_163
; %bb.125:
	s_cmp_lt_i32 s15, 4
	s_mov_b32 s5, 0
	s_cbranch_scc1 .LBB228_148
; %bb.126:
	v_lshl_or_b32 v25, v0, 4, 0x2400
	s_mov_b32 s1, 0
	s_mov_b32 s4, 0
.LBB228_127:                            ; =>This Loop Header: Depth=1
                                        ;     Child Loop BB228_129 Depth 2
	s_delay_alu instid0(SALU_CYCLE_1) | instskip(NEXT) | instid1(SALU_CYCLE_1)
	s_mul_i32 s5, s4, 24
	s_add_i32 s8, s5, 24
	v_add_lshl_u32 v13, s5, v0, 4
	s_add_i32 s6, s5, 48
	v_add_lshl_u32 v14, s8, v0, 4
	s_addk_i32 s5, 0x48
	v_add_lshl_u32 v15, s6, v0, 4
	v_add_lshl_u32 v16, s5, v0, 4
	ds_load_b128 v[17:20], v13 offset:9216
	ds_load_b128 v[9:12], v14 offset:9216
	;; [unrolled: 1-line block ×4, first 2 shown]
	s_cmp_eq_u32 s4, 0
	s_cbranch_scc1 .LBB228_130
; %bb.128:                              ;   in Loop: Header=BB228_127 Depth=1
	v_mov_b32_e32 v21, v25
	s_mov_b32 s7, 0
	s_mov_b32 s9, s1
.LBB228_129:                            ;   Parent Loop BB228_127 Depth=1
                                        ; =>  This Inner Loop Header: Depth=2
	s_delay_alu instid0(SALU_CYCLE_1)
	v_mov_b32_e32 v22, s9
	s_add_i32 s7, s7, 2
	s_add_i32 s9, s9, 32
	s_cmp_ge_u32 s7, s4
	ds_load_b128 v[26:29], v21
	ds_load_b128 v[30:33], v22
	ds_load_b128 v[34:37], v22 offset:384
	ds_load_b128 v[38:41], v22 offset:768
	;; [unrolled: 1-line block ×8, first 2 shown]
	v_add_nc_u32_e32 v21, 0x300, v21
	s_waitcnt lgkmcnt(8)
	v_mul_f64 v[22:23], v[28:29], v[32:33]
	v_mul_f64 v[32:33], v[26:27], v[32:33]
	s_waitcnt lgkmcnt(7)
	v_mul_f64 v[66:67], v[28:29], v[36:37]
	v_mul_f64 v[36:37], v[26:27], v[36:37]
	;; [unrolled: 3-line block ×8, first 2 shown]
	v_fma_f64 v[22:23], v[26:27], v[30:31], -v[22:23]
	v_fma_f64 v[30:31], v[28:29], v[30:31], v[32:33]
	v_fma_f64 v[32:33], v[26:27], v[34:35], -v[66:67]
	v_fma_f64 v[34:35], v[28:29], v[34:35], v[36:37]
	;; [unrolled: 2-line block ×8, first 2 shown]
	v_add_f64 v[17:18], v[17:18], -v[22:23]
	v_add_f64 v[19:20], v[19:20], -v[30:31]
	;; [unrolled: 1-line block ×16, first 2 shown]
	s_cbranch_scc0 .LBB228_129
.LBB228_130:                            ;   in Loop: Header=BB228_127 Depth=1
	s_mul_i32 s7, s4, 0x190
	v_add_nc_u32_e32 v29, 0x2400, v13
	v_dual_mov_b32 v13, s7 :: v_dual_add_nc_u32 v28, 0x2400, v14
	v_add_nc_u32_e32 v27, 0x2400, v15
	ds_load_b128 v[21:24], v13
	s_waitcnt lgkmcnt(0)
	v_dual_mov_b32 v13, v21 :: v_dual_add_nc_u32 v26, 0x2400, v16
	v_cmp_gt_f64_e32 vcc_lo, 0, v[21:22]
	v_xor_b32_e32 v14, 0x80000000, v22
	v_xor_b32_e32 v15, 0x80000000, v24
	s_delay_alu instid0(VALU_DEP_2) | instskip(SKIP_1) | instid1(VALU_DEP_3)
	v_cndmask_b32_e32 v14, v22, v14, vcc_lo
	v_cmp_gt_f64_e32 vcc_lo, 0, v[23:24]
	v_dual_cndmask_b32 v16, v24, v15 :: v_dual_mov_b32 v15, v23
	s_delay_alu instid0(VALU_DEP_1)
	v_cmp_ngt_f64_e32 vcc_lo, v[13:14], v[15:16]
	s_cbranch_vccz .LBB228_132
; %bb.131:                              ;   in Loop: Header=BB228_127 Depth=1
	v_div_scale_f64 v[13:14], null, v[23:24], v[23:24], v[21:22]
	v_div_scale_f64 v[32:33], vcc_lo, v[21:22], v[23:24], v[21:22]
	s_delay_alu instid0(VALU_DEP_2) | instskip(SKIP_2) | instid1(VALU_DEP_1)
	v_rcp_f64_e32 v[15:16], v[13:14]
	s_waitcnt_depctr 0xfff
	v_fma_f64 v[30:31], -v[13:14], v[15:16], 1.0
	v_fma_f64 v[15:16], v[15:16], v[30:31], v[15:16]
	s_delay_alu instid0(VALU_DEP_1) | instskip(NEXT) | instid1(VALU_DEP_1)
	v_fma_f64 v[30:31], -v[13:14], v[15:16], 1.0
	v_fma_f64 v[15:16], v[15:16], v[30:31], v[15:16]
	s_delay_alu instid0(VALU_DEP_1) | instskip(NEXT) | instid1(VALU_DEP_1)
	v_mul_f64 v[30:31], v[32:33], v[15:16]
	v_fma_f64 v[13:14], -v[13:14], v[30:31], v[32:33]
	s_delay_alu instid0(VALU_DEP_1) | instskip(NEXT) | instid1(VALU_DEP_1)
	v_div_fmas_f64 v[13:14], v[13:14], v[15:16], v[30:31]
	v_div_fixup_f64 v[13:14], v[13:14], v[23:24], v[21:22]
	s_delay_alu instid0(VALU_DEP_1) | instskip(NEXT) | instid1(VALU_DEP_1)
	v_fma_f64 v[15:16], v[21:22], v[13:14], v[23:24]
	v_div_scale_f64 v[30:31], null, v[15:16], v[15:16], 1.0
	v_div_scale_f64 v[36:37], vcc_lo, 1.0, v[15:16], 1.0
	s_delay_alu instid0(VALU_DEP_2) | instskip(SKIP_2) | instid1(VALU_DEP_1)
	v_rcp_f64_e32 v[32:33], v[30:31]
	s_waitcnt_depctr 0xfff
	v_fma_f64 v[34:35], -v[30:31], v[32:33], 1.0
	v_fma_f64 v[32:33], v[32:33], v[34:35], v[32:33]
	s_delay_alu instid0(VALU_DEP_1) | instskip(NEXT) | instid1(VALU_DEP_1)
	v_fma_f64 v[34:35], -v[30:31], v[32:33], 1.0
	v_fma_f64 v[32:33], v[32:33], v[34:35], v[32:33]
	s_delay_alu instid0(VALU_DEP_1) | instskip(NEXT) | instid1(VALU_DEP_1)
	v_mul_f64 v[34:35], v[36:37], v[32:33]
	v_fma_f64 v[30:31], -v[30:31], v[34:35], v[36:37]
	s_delay_alu instid0(VALU_DEP_1) | instskip(SKIP_1) | instid1(VALU_DEP_2)
	v_div_fmas_f64 v[30:31], v[30:31], v[32:33], v[34:35]
	v_fma_f64 v[32:33], v[17:18], v[13:14], v[19:20]
	v_div_fixup_f64 v[15:16], v[30:31], v[15:16], 1.0
	v_fma_f64 v[30:31], v[19:20], v[13:14], -v[17:18]
	s_delay_alu instid0(VALU_DEP_2) | instskip(NEXT) | instid1(VALU_DEP_2)
	v_mul_f64 v[13:14], v[32:33], v[15:16]
	v_mul_f64 v[15:16], v[30:31], v[15:16]
	s_cbranch_execz .LBB228_133
	s_branch .LBB228_134
.LBB228_132:                            ;   in Loop: Header=BB228_127 Depth=1
                                        ; implicit-def: $vgpr15_vgpr16
.LBB228_133:                            ;   in Loop: Header=BB228_127 Depth=1
	v_div_scale_f64 v[13:14], null, v[21:22], v[21:22], v[23:24]
	v_div_scale_f64 v[32:33], vcc_lo, v[23:24], v[21:22], v[23:24]
	s_delay_alu instid0(VALU_DEP_2) | instskip(SKIP_2) | instid1(VALU_DEP_1)
	v_rcp_f64_e32 v[15:16], v[13:14]
	s_waitcnt_depctr 0xfff
	v_fma_f64 v[30:31], -v[13:14], v[15:16], 1.0
	v_fma_f64 v[15:16], v[15:16], v[30:31], v[15:16]
	s_delay_alu instid0(VALU_DEP_1) | instskip(NEXT) | instid1(VALU_DEP_1)
	v_fma_f64 v[30:31], -v[13:14], v[15:16], 1.0
	v_fma_f64 v[15:16], v[15:16], v[30:31], v[15:16]
	s_delay_alu instid0(VALU_DEP_1) | instskip(NEXT) | instid1(VALU_DEP_1)
	v_mul_f64 v[30:31], v[32:33], v[15:16]
	v_fma_f64 v[13:14], -v[13:14], v[30:31], v[32:33]
	s_delay_alu instid0(VALU_DEP_1) | instskip(NEXT) | instid1(VALU_DEP_1)
	v_div_fmas_f64 v[13:14], v[13:14], v[15:16], v[30:31]
	v_div_fixup_f64 v[13:14], v[13:14], v[21:22], v[23:24]
	s_delay_alu instid0(VALU_DEP_1) | instskip(NEXT) | instid1(VALU_DEP_1)
	v_fma_f64 v[15:16], v[23:24], v[13:14], v[21:22]
	v_div_scale_f64 v[21:22], null, v[15:16], v[15:16], 1.0
	v_div_scale_f64 v[32:33], vcc_lo, 1.0, v[15:16], 1.0
	s_delay_alu instid0(VALU_DEP_2) | instskip(SKIP_2) | instid1(VALU_DEP_1)
	v_rcp_f64_e32 v[23:24], v[21:22]
	s_waitcnt_depctr 0xfff
	v_fma_f64 v[30:31], -v[21:22], v[23:24], 1.0
	v_fma_f64 v[23:24], v[23:24], v[30:31], v[23:24]
	s_delay_alu instid0(VALU_DEP_1) | instskip(NEXT) | instid1(VALU_DEP_1)
	v_fma_f64 v[30:31], -v[21:22], v[23:24], 1.0
	v_fma_f64 v[23:24], v[23:24], v[30:31], v[23:24]
	s_delay_alu instid0(VALU_DEP_1) | instskip(NEXT) | instid1(VALU_DEP_1)
	v_mul_f64 v[30:31], v[32:33], v[23:24]
	v_fma_f64 v[21:22], -v[21:22], v[30:31], v[32:33]
	s_delay_alu instid0(VALU_DEP_1) | instskip(SKIP_2) | instid1(VALU_DEP_3)
	v_div_fmas_f64 v[21:22], v[21:22], v[23:24], v[30:31]
	v_fma_f64 v[23:24], v[19:20], v[13:14], v[17:18]
	v_fma_f64 v[17:18], -v[17:18], v[13:14], v[19:20]
	v_div_fixup_f64 v[15:16], v[21:22], v[15:16], 1.0
	s_delay_alu instid0(VALU_DEP_1) | instskip(NEXT) | instid1(VALU_DEP_3)
	v_mul_f64 v[13:14], v[23:24], v[15:16]
	v_mul_f64 v[15:16], v[17:18], v[15:16]
.LBB228_134:                            ;   in Loop: Header=BB228_127 Depth=1
	s_add_i32 s8, s8, s4
	ds_store_b128 v29, v[13:16]
	s_lshl_b32 s8, s8, 4
	s_delay_alu instid0(SALU_CYCLE_1)
	v_mov_b32_e32 v17, s8
	ds_load_b128 v[21:24], v17
	v_mov_b32_e32 v17, s7
	ds_load_b128 v[17:20], v17 offset:400
	s_waitcnt lgkmcnt(1)
	v_mul_f64 v[30:31], v[15:16], v[23:24]
	v_mul_f64 v[23:24], v[13:14], v[23:24]
	s_waitcnt lgkmcnt(0)
	v_cmp_gt_f64_e32 vcc_lo, 0, v[17:18]
	v_xor_b32_e32 v33, 0x80000000, v20
	v_mov_b32_e32 v32, v19
	v_fma_f64 v[30:31], v[13:14], v[21:22], -v[30:31]
	v_fma_f64 v[23:24], v[15:16], v[21:22], v[23:24]
	v_xor_b32_e32 v22, 0x80000000, v18
	s_delay_alu instid0(VALU_DEP_1) | instskip(SKIP_1) | instid1(VALU_DEP_4)
	v_dual_mov_b32 v21, v17 :: v_dual_cndmask_b32 v22, v18, v22
	v_cmp_gt_f64_e32 vcc_lo, 0, v[19:20]
	v_add_f64 v[23:24], v[11:12], -v[23:24]
	v_cndmask_b32_e32 v33, v20, v33, vcc_lo
	s_delay_alu instid0(VALU_DEP_1)
	v_cmp_ngt_f64_e32 vcc_lo, v[21:22], v[32:33]
	v_add_f64 v[21:22], v[9:10], -v[30:31]
	s_cbranch_vccz .LBB228_136
; %bb.135:                              ;   in Loop: Header=BB228_127 Depth=1
	v_div_scale_f64 v[9:10], null, v[19:20], v[19:20], v[17:18]
	v_div_scale_f64 v[31:32], vcc_lo, v[17:18], v[19:20], v[17:18]
	s_delay_alu instid0(VALU_DEP_2) | instskip(SKIP_2) | instid1(VALU_DEP_1)
	v_rcp_f64_e32 v[11:12], v[9:10]
	s_waitcnt_depctr 0xfff
	v_fma_f64 v[29:30], -v[9:10], v[11:12], 1.0
	v_fma_f64 v[11:12], v[11:12], v[29:30], v[11:12]
	s_delay_alu instid0(VALU_DEP_1) | instskip(NEXT) | instid1(VALU_DEP_1)
	v_fma_f64 v[29:30], -v[9:10], v[11:12], 1.0
	v_fma_f64 v[11:12], v[11:12], v[29:30], v[11:12]
	s_delay_alu instid0(VALU_DEP_1) | instskip(NEXT) | instid1(VALU_DEP_1)
	v_mul_f64 v[29:30], v[31:32], v[11:12]
	v_fma_f64 v[9:10], -v[9:10], v[29:30], v[31:32]
	s_delay_alu instid0(VALU_DEP_1) | instskip(NEXT) | instid1(VALU_DEP_1)
	v_div_fmas_f64 v[9:10], v[9:10], v[11:12], v[29:30]
	v_div_fixup_f64 v[9:10], v[9:10], v[19:20], v[17:18]
	s_delay_alu instid0(VALU_DEP_1) | instskip(NEXT) | instid1(VALU_DEP_1)
	v_fma_f64 v[11:12], v[17:18], v[9:10], v[19:20]
	v_div_scale_f64 v[29:30], null, v[11:12], v[11:12], 1.0
	v_div_scale_f64 v[35:36], vcc_lo, 1.0, v[11:12], 1.0
	s_delay_alu instid0(VALU_DEP_2) | instskip(SKIP_2) | instid1(VALU_DEP_1)
	v_rcp_f64_e32 v[31:32], v[29:30]
	s_waitcnt_depctr 0xfff
	v_fma_f64 v[33:34], -v[29:30], v[31:32], 1.0
	v_fma_f64 v[31:32], v[31:32], v[33:34], v[31:32]
	s_delay_alu instid0(VALU_DEP_1) | instskip(NEXT) | instid1(VALU_DEP_1)
	v_fma_f64 v[33:34], -v[29:30], v[31:32], 1.0
	v_fma_f64 v[31:32], v[31:32], v[33:34], v[31:32]
	s_delay_alu instid0(VALU_DEP_1) | instskip(NEXT) | instid1(VALU_DEP_1)
	v_mul_f64 v[33:34], v[35:36], v[31:32]
	v_fma_f64 v[29:30], -v[29:30], v[33:34], v[35:36]
	s_delay_alu instid0(VALU_DEP_1) | instskip(SKIP_1) | instid1(VALU_DEP_2)
	v_div_fmas_f64 v[29:30], v[29:30], v[31:32], v[33:34]
	v_fma_f64 v[31:32], v[9:10], v[21:22], v[23:24]
	v_div_fixup_f64 v[11:12], v[29:30], v[11:12], 1.0
	v_fma_f64 v[29:30], v[9:10], v[23:24], -v[21:22]
	s_delay_alu instid0(VALU_DEP_2) | instskip(NEXT) | instid1(VALU_DEP_2)
	v_mul_f64 v[9:10], v[31:32], v[11:12]
	v_mul_f64 v[11:12], v[29:30], v[11:12]
	s_cbranch_execz .LBB228_137
	s_branch .LBB228_138
.LBB228_136:                            ;   in Loop: Header=BB228_127 Depth=1
                                        ; implicit-def: $vgpr11_vgpr12
.LBB228_137:                            ;   in Loop: Header=BB228_127 Depth=1
	v_div_scale_f64 v[9:10], null, v[17:18], v[17:18], v[19:20]
	v_div_scale_f64 v[31:32], vcc_lo, v[19:20], v[17:18], v[19:20]
	s_delay_alu instid0(VALU_DEP_2) | instskip(SKIP_2) | instid1(VALU_DEP_1)
	v_rcp_f64_e32 v[11:12], v[9:10]
	s_waitcnt_depctr 0xfff
	v_fma_f64 v[29:30], -v[9:10], v[11:12], 1.0
	v_fma_f64 v[11:12], v[11:12], v[29:30], v[11:12]
	s_delay_alu instid0(VALU_DEP_1) | instskip(NEXT) | instid1(VALU_DEP_1)
	v_fma_f64 v[29:30], -v[9:10], v[11:12], 1.0
	v_fma_f64 v[11:12], v[11:12], v[29:30], v[11:12]
	s_delay_alu instid0(VALU_DEP_1) | instskip(NEXT) | instid1(VALU_DEP_1)
	v_mul_f64 v[29:30], v[31:32], v[11:12]
	v_fma_f64 v[9:10], -v[9:10], v[29:30], v[31:32]
	s_delay_alu instid0(VALU_DEP_1) | instskip(NEXT) | instid1(VALU_DEP_1)
	v_div_fmas_f64 v[9:10], v[9:10], v[11:12], v[29:30]
	v_div_fixup_f64 v[9:10], v[9:10], v[17:18], v[19:20]
	s_delay_alu instid0(VALU_DEP_1) | instskip(NEXT) | instid1(VALU_DEP_1)
	v_fma_f64 v[11:12], v[19:20], v[9:10], v[17:18]
	v_div_scale_f64 v[17:18], null, v[11:12], v[11:12], 1.0
	v_div_scale_f64 v[31:32], vcc_lo, 1.0, v[11:12], 1.0
	s_delay_alu instid0(VALU_DEP_2) | instskip(SKIP_2) | instid1(VALU_DEP_1)
	v_rcp_f64_e32 v[19:20], v[17:18]
	s_waitcnt_depctr 0xfff
	v_fma_f64 v[29:30], -v[17:18], v[19:20], 1.0
	v_fma_f64 v[19:20], v[19:20], v[29:30], v[19:20]
	s_delay_alu instid0(VALU_DEP_1) | instskip(NEXT) | instid1(VALU_DEP_1)
	v_fma_f64 v[29:30], -v[17:18], v[19:20], 1.0
	v_fma_f64 v[19:20], v[19:20], v[29:30], v[19:20]
	s_delay_alu instid0(VALU_DEP_1) | instskip(NEXT) | instid1(VALU_DEP_1)
	v_mul_f64 v[29:30], v[31:32], v[19:20]
	v_fma_f64 v[17:18], -v[17:18], v[29:30], v[31:32]
	s_delay_alu instid0(VALU_DEP_1) | instskip(SKIP_1) | instid1(VALU_DEP_2)
	v_div_fmas_f64 v[17:18], v[17:18], v[19:20], v[29:30]
	v_fma_f64 v[19:20], v[9:10], v[23:24], v[21:22]
	v_div_fixup_f64 v[11:12], v[17:18], v[11:12], 1.0
	v_fma_f64 v[17:18], -v[9:10], v[21:22], v[23:24]
	s_delay_alu instid0(VALU_DEP_2) | instskip(NEXT) | instid1(VALU_DEP_2)
	v_mul_f64 v[9:10], v[19:20], v[11:12]
	v_mul_f64 v[11:12], v[17:18], v[11:12]
.LBB228_138:                            ;   in Loop: Header=BB228_127 Depth=1
	s_add_i32 s6, s6, s4
	s_delay_alu instid0(SALU_CYCLE_1) | instskip(NEXT) | instid1(SALU_CYCLE_1)
	s_lshl_b32 s6, s6, 4
	v_mov_b32_e32 v21, s6
	ds_load_b128 v[17:20], v21
	ds_load_b128 v[21:24], v21 offset:16
	ds_store_b128 v28, v[9:12]
	s_waitcnt lgkmcnt(2)
	v_mul_f64 v[29:30], v[15:16], v[19:20]
	v_mul_f64 v[19:20], v[13:14], v[19:20]
	s_waitcnt lgkmcnt(1)
	v_mul_f64 v[31:32], v[11:12], v[23:24]
	v_mul_f64 v[23:24], v[9:10], v[23:24]
	s_delay_alu instid0(VALU_DEP_4) | instskip(NEXT) | instid1(VALU_DEP_4)
	v_fma_f64 v[29:30], v[13:14], v[17:18], -v[29:30]
	v_fma_f64 v[17:18], v[15:16], v[17:18], v[19:20]
	v_mov_b32_e32 v19, s7
	v_fma_f64 v[31:32], v[9:10], v[21:22], -v[31:32]
	v_fma_f64 v[23:24], v[11:12], v[21:22], v[23:24]
	v_add_f64 v[5:6], v[5:6], -v[29:30]
	v_add_f64 v[7:8], v[7:8], -v[17:18]
	ds_load_b128 v[17:20], v19 offset:800
	s_waitcnt lgkmcnt(0)
	v_cmp_gt_f64_e32 vcc_lo, 0, v[17:18]
	v_xor_b32_e32 v22, 0x80000000, v18
	v_xor_b32_e32 v30, 0x80000000, v20
	v_mov_b32_e32 v21, v17
	v_mov_b32_e32 v29, v19
	v_add_f64 v[23:24], v[7:8], -v[23:24]
	v_cndmask_b32_e32 v22, v18, v22, vcc_lo
	v_cmp_gt_f64_e32 vcc_lo, 0, v[19:20]
	v_cndmask_b32_e32 v30, v20, v30, vcc_lo
	s_delay_alu instid0(VALU_DEP_1)
	v_cmp_ngt_f64_e32 vcc_lo, v[21:22], v[29:30]
	v_add_f64 v[21:22], v[5:6], -v[31:32]
	s_cbranch_vccz .LBB228_140
; %bb.139:                              ;   in Loop: Header=BB228_127 Depth=1
	v_div_scale_f64 v[5:6], null, v[19:20], v[19:20], v[17:18]
	v_div_scale_f64 v[30:31], vcc_lo, v[17:18], v[19:20], v[17:18]
	s_delay_alu instid0(VALU_DEP_2) | instskip(SKIP_2) | instid1(VALU_DEP_1)
	v_rcp_f64_e32 v[7:8], v[5:6]
	s_waitcnt_depctr 0xfff
	v_fma_f64 v[28:29], -v[5:6], v[7:8], 1.0
	v_fma_f64 v[7:8], v[7:8], v[28:29], v[7:8]
	s_delay_alu instid0(VALU_DEP_1) | instskip(NEXT) | instid1(VALU_DEP_1)
	v_fma_f64 v[28:29], -v[5:6], v[7:8], 1.0
	v_fma_f64 v[7:8], v[7:8], v[28:29], v[7:8]
	s_delay_alu instid0(VALU_DEP_1) | instskip(NEXT) | instid1(VALU_DEP_1)
	v_mul_f64 v[28:29], v[30:31], v[7:8]
	v_fma_f64 v[5:6], -v[5:6], v[28:29], v[30:31]
	s_delay_alu instid0(VALU_DEP_1) | instskip(NEXT) | instid1(VALU_DEP_1)
	v_div_fmas_f64 v[5:6], v[5:6], v[7:8], v[28:29]
	v_div_fixup_f64 v[5:6], v[5:6], v[19:20], v[17:18]
	s_delay_alu instid0(VALU_DEP_1) | instskip(NEXT) | instid1(VALU_DEP_1)
	v_fma_f64 v[7:8], v[17:18], v[5:6], v[19:20]
	v_div_scale_f64 v[28:29], null, v[7:8], v[7:8], 1.0
	v_div_scale_f64 v[34:35], vcc_lo, 1.0, v[7:8], 1.0
	s_delay_alu instid0(VALU_DEP_2) | instskip(SKIP_2) | instid1(VALU_DEP_1)
	v_rcp_f64_e32 v[30:31], v[28:29]
	s_waitcnt_depctr 0xfff
	v_fma_f64 v[32:33], -v[28:29], v[30:31], 1.0
	v_fma_f64 v[30:31], v[30:31], v[32:33], v[30:31]
	s_delay_alu instid0(VALU_DEP_1) | instskip(NEXT) | instid1(VALU_DEP_1)
	v_fma_f64 v[32:33], -v[28:29], v[30:31], 1.0
	v_fma_f64 v[30:31], v[30:31], v[32:33], v[30:31]
	s_delay_alu instid0(VALU_DEP_1) | instskip(NEXT) | instid1(VALU_DEP_1)
	v_mul_f64 v[32:33], v[34:35], v[30:31]
	v_fma_f64 v[28:29], -v[28:29], v[32:33], v[34:35]
	s_delay_alu instid0(VALU_DEP_1) | instskip(SKIP_1) | instid1(VALU_DEP_2)
	v_div_fmas_f64 v[28:29], v[28:29], v[30:31], v[32:33]
	v_fma_f64 v[30:31], v[5:6], v[21:22], v[23:24]
	v_div_fixup_f64 v[7:8], v[28:29], v[7:8], 1.0
	v_fma_f64 v[28:29], v[5:6], v[23:24], -v[21:22]
	s_delay_alu instid0(VALU_DEP_2) | instskip(NEXT) | instid1(VALU_DEP_2)
	v_mul_f64 v[5:6], v[30:31], v[7:8]
	v_mul_f64 v[7:8], v[28:29], v[7:8]
	s_cbranch_execz .LBB228_141
	s_branch .LBB228_142
.LBB228_140:                            ;   in Loop: Header=BB228_127 Depth=1
                                        ; implicit-def: $vgpr7_vgpr8
.LBB228_141:                            ;   in Loop: Header=BB228_127 Depth=1
	v_div_scale_f64 v[5:6], null, v[17:18], v[17:18], v[19:20]
	v_div_scale_f64 v[30:31], vcc_lo, v[19:20], v[17:18], v[19:20]
	s_delay_alu instid0(VALU_DEP_2) | instskip(SKIP_2) | instid1(VALU_DEP_1)
	v_rcp_f64_e32 v[7:8], v[5:6]
	s_waitcnt_depctr 0xfff
	v_fma_f64 v[28:29], -v[5:6], v[7:8], 1.0
	v_fma_f64 v[7:8], v[7:8], v[28:29], v[7:8]
	s_delay_alu instid0(VALU_DEP_1) | instskip(NEXT) | instid1(VALU_DEP_1)
	v_fma_f64 v[28:29], -v[5:6], v[7:8], 1.0
	v_fma_f64 v[7:8], v[7:8], v[28:29], v[7:8]
	s_delay_alu instid0(VALU_DEP_1) | instskip(NEXT) | instid1(VALU_DEP_1)
	v_mul_f64 v[28:29], v[30:31], v[7:8]
	v_fma_f64 v[5:6], -v[5:6], v[28:29], v[30:31]
	s_delay_alu instid0(VALU_DEP_1) | instskip(NEXT) | instid1(VALU_DEP_1)
	v_div_fmas_f64 v[5:6], v[5:6], v[7:8], v[28:29]
	v_div_fixup_f64 v[5:6], v[5:6], v[17:18], v[19:20]
	s_delay_alu instid0(VALU_DEP_1) | instskip(NEXT) | instid1(VALU_DEP_1)
	v_fma_f64 v[7:8], v[19:20], v[5:6], v[17:18]
	v_div_scale_f64 v[17:18], null, v[7:8], v[7:8], 1.0
	v_div_scale_f64 v[30:31], vcc_lo, 1.0, v[7:8], 1.0
	s_delay_alu instid0(VALU_DEP_2) | instskip(SKIP_2) | instid1(VALU_DEP_1)
	v_rcp_f64_e32 v[19:20], v[17:18]
	s_waitcnt_depctr 0xfff
	v_fma_f64 v[28:29], -v[17:18], v[19:20], 1.0
	v_fma_f64 v[19:20], v[19:20], v[28:29], v[19:20]
	s_delay_alu instid0(VALU_DEP_1) | instskip(NEXT) | instid1(VALU_DEP_1)
	v_fma_f64 v[28:29], -v[17:18], v[19:20], 1.0
	v_fma_f64 v[19:20], v[19:20], v[28:29], v[19:20]
	s_delay_alu instid0(VALU_DEP_1) | instskip(NEXT) | instid1(VALU_DEP_1)
	v_mul_f64 v[28:29], v[30:31], v[19:20]
	v_fma_f64 v[17:18], -v[17:18], v[28:29], v[30:31]
	s_delay_alu instid0(VALU_DEP_1) | instskip(SKIP_1) | instid1(VALU_DEP_2)
	v_div_fmas_f64 v[17:18], v[17:18], v[19:20], v[28:29]
	v_fma_f64 v[19:20], v[5:6], v[23:24], v[21:22]
	v_div_fixup_f64 v[7:8], v[17:18], v[7:8], 1.0
	v_fma_f64 v[17:18], -v[5:6], v[21:22], v[23:24]
	s_delay_alu instid0(VALU_DEP_2) | instskip(NEXT) | instid1(VALU_DEP_2)
	v_mul_f64 v[5:6], v[19:20], v[7:8]
	v_mul_f64 v[7:8], v[17:18], v[7:8]
.LBB228_142:                            ;   in Loop: Header=BB228_127 Depth=1
	s_add_i32 s5, s5, s4
	s_delay_alu instid0(SALU_CYCLE_1) | instskip(NEXT) | instid1(SALU_CYCLE_1)
	s_lshl_b32 s5, s5, 4
	v_mov_b32_e32 v34, s5
	ds_load_b128 v[17:20], v34
	ds_load_b128 v[21:24], v34 offset:16
	ds_store_b128 v27, v[5:8]
	s_waitcnt lgkmcnt(2)
	v_mul_f64 v[28:29], v[15:16], v[19:20]
	v_mul_f64 v[19:20], v[13:14], v[19:20]
	s_waitcnt lgkmcnt(1)
	v_mul_f64 v[30:31], v[11:12], v[23:24]
	v_mul_f64 v[23:24], v[9:10], v[23:24]
	s_delay_alu instid0(VALU_DEP_4)
	v_fma_f64 v[28:29], v[13:14], v[17:18], -v[28:29]
	v_mov_b32_e32 v13, s7
	v_fma_f64 v[32:33], v[15:16], v[17:18], v[19:20]
	ds_load_b128 v[17:20], v34 offset:32
	v_fma_f64 v[9:10], v[9:10], v[21:22], -v[30:31]
	v_fma_f64 v[11:12], v[11:12], v[21:22], v[23:24]
	ds_load_b128 v[13:16], v13 offset:1200
	s_waitcnt lgkmcnt(1)
	v_mul_f64 v[34:35], v[7:8], v[19:20]
	v_mul_f64 v[19:20], v[5:6], v[19:20]
	s_waitcnt lgkmcnt(0)
	v_cmp_gt_f64_e32 vcc_lo, 0, v[13:14]
	v_add_f64 v[1:2], v[1:2], -v[28:29]
	v_add_f64 v[3:4], v[3:4], -v[32:33]
	v_fma_f64 v[21:22], v[5:6], v[17:18], -v[34:35]
	v_fma_f64 v[17:18], v[7:8], v[17:18], v[19:20]
	s_delay_alu instid0(VALU_DEP_4) | instskip(SKIP_4) | instid1(VALU_DEP_4)
	v_add_f64 v[1:2], v[1:2], -v[9:10]
	v_xor_b32_e32 v10, 0x80000000, v14
	v_mov_b32_e32 v9, v13
	v_add_f64 v[3:4], v[3:4], -v[11:12]
	v_xor_b32_e32 v12, 0x80000000, v16
	v_cndmask_b32_e32 v10, v14, v10, vcc_lo
	v_cmp_gt_f64_e32 vcc_lo, 0, v[15:16]
	s_delay_alu instid0(VALU_DEP_3) | instskip(NEXT) | instid1(VALU_DEP_1)
	v_dual_mov_b32 v11, v15 :: v_dual_cndmask_b32 v12, v16, v12
	v_cmp_ngt_f64_e32 vcc_lo, v[9:10], v[11:12]
	v_add_f64 v[9:10], v[1:2], -v[21:22]
	v_add_f64 v[11:12], v[3:4], -v[17:18]
	s_cbranch_vccz .LBB228_144
; %bb.143:                              ;   in Loop: Header=BB228_127 Depth=1
	v_div_scale_f64 v[1:2], null, v[15:16], v[15:16], v[13:14]
	v_div_scale_f64 v[7:8], vcc_lo, v[13:14], v[15:16], v[13:14]
	s_delay_alu instid0(VALU_DEP_2) | instskip(SKIP_2) | instid1(VALU_DEP_1)
	v_rcp_f64_e32 v[3:4], v[1:2]
	s_waitcnt_depctr 0xfff
	v_fma_f64 v[5:6], -v[1:2], v[3:4], 1.0
	v_fma_f64 v[3:4], v[3:4], v[5:6], v[3:4]
	s_delay_alu instid0(VALU_DEP_1) | instskip(NEXT) | instid1(VALU_DEP_1)
	v_fma_f64 v[5:6], -v[1:2], v[3:4], 1.0
	v_fma_f64 v[3:4], v[3:4], v[5:6], v[3:4]
	s_delay_alu instid0(VALU_DEP_1) | instskip(NEXT) | instid1(VALU_DEP_1)
	v_mul_f64 v[5:6], v[7:8], v[3:4]
	v_fma_f64 v[1:2], -v[1:2], v[5:6], v[7:8]
	s_delay_alu instid0(VALU_DEP_1) | instskip(NEXT) | instid1(VALU_DEP_1)
	v_div_fmas_f64 v[1:2], v[1:2], v[3:4], v[5:6]
	v_div_fixup_f64 v[1:2], v[1:2], v[15:16], v[13:14]
	s_delay_alu instid0(VALU_DEP_1) | instskip(NEXT) | instid1(VALU_DEP_1)
	v_fma_f64 v[3:4], v[13:14], v[1:2], v[15:16]
	v_div_scale_f64 v[5:6], null, v[3:4], v[3:4], 1.0
	v_div_scale_f64 v[19:20], vcc_lo, 1.0, v[3:4], 1.0
	s_delay_alu instid0(VALU_DEP_2) | instskip(SKIP_2) | instid1(VALU_DEP_1)
	v_rcp_f64_e32 v[7:8], v[5:6]
	s_waitcnt_depctr 0xfff
	v_fma_f64 v[17:18], -v[5:6], v[7:8], 1.0
	v_fma_f64 v[7:8], v[7:8], v[17:18], v[7:8]
	s_delay_alu instid0(VALU_DEP_1) | instskip(NEXT) | instid1(VALU_DEP_1)
	v_fma_f64 v[17:18], -v[5:6], v[7:8], 1.0
	v_fma_f64 v[7:8], v[7:8], v[17:18], v[7:8]
	s_delay_alu instid0(VALU_DEP_1) | instskip(NEXT) | instid1(VALU_DEP_1)
	v_mul_f64 v[17:18], v[19:20], v[7:8]
	v_fma_f64 v[5:6], -v[5:6], v[17:18], v[19:20]
	s_delay_alu instid0(VALU_DEP_1) | instskip(SKIP_1) | instid1(VALU_DEP_2)
	v_div_fmas_f64 v[5:6], v[5:6], v[7:8], v[17:18]
	v_fma_f64 v[7:8], v[1:2], v[9:10], v[11:12]
	v_div_fixup_f64 v[3:4], v[5:6], v[3:4], 1.0
	v_fma_f64 v[5:6], v[1:2], v[11:12], -v[9:10]
	s_delay_alu instid0(VALU_DEP_2) | instskip(NEXT) | instid1(VALU_DEP_2)
	v_mul_f64 v[1:2], v[7:8], v[3:4]
	v_mul_f64 v[3:4], v[5:6], v[3:4]
	s_cbranch_execz .LBB228_145
	s_branch .LBB228_146
.LBB228_144:                            ;   in Loop: Header=BB228_127 Depth=1
                                        ; implicit-def: $vgpr3_vgpr4
.LBB228_145:                            ;   in Loop: Header=BB228_127 Depth=1
	v_div_scale_f64 v[1:2], null, v[13:14], v[13:14], v[15:16]
	v_div_scale_f64 v[7:8], vcc_lo, v[15:16], v[13:14], v[15:16]
	s_delay_alu instid0(VALU_DEP_2) | instskip(SKIP_2) | instid1(VALU_DEP_1)
	v_rcp_f64_e32 v[3:4], v[1:2]
	s_waitcnt_depctr 0xfff
	v_fma_f64 v[5:6], -v[1:2], v[3:4], 1.0
	v_fma_f64 v[3:4], v[3:4], v[5:6], v[3:4]
	s_delay_alu instid0(VALU_DEP_1) | instskip(NEXT) | instid1(VALU_DEP_1)
	v_fma_f64 v[5:6], -v[1:2], v[3:4], 1.0
	v_fma_f64 v[3:4], v[3:4], v[5:6], v[3:4]
	s_delay_alu instid0(VALU_DEP_1) | instskip(NEXT) | instid1(VALU_DEP_1)
	v_mul_f64 v[5:6], v[7:8], v[3:4]
	v_fma_f64 v[1:2], -v[1:2], v[5:6], v[7:8]
	s_delay_alu instid0(VALU_DEP_1) | instskip(NEXT) | instid1(VALU_DEP_1)
	v_div_fmas_f64 v[1:2], v[1:2], v[3:4], v[5:6]
	v_div_fixup_f64 v[1:2], v[1:2], v[13:14], v[15:16]
	s_delay_alu instid0(VALU_DEP_1) | instskip(NEXT) | instid1(VALU_DEP_1)
	v_fma_f64 v[3:4], v[15:16], v[1:2], v[13:14]
	v_div_scale_f64 v[5:6], null, v[3:4], v[3:4], 1.0
	v_div_scale_f64 v[15:16], vcc_lo, 1.0, v[3:4], 1.0
	s_delay_alu instid0(VALU_DEP_2) | instskip(SKIP_2) | instid1(VALU_DEP_1)
	v_rcp_f64_e32 v[7:8], v[5:6]
	s_waitcnt_depctr 0xfff
	v_fma_f64 v[13:14], -v[5:6], v[7:8], 1.0
	v_fma_f64 v[7:8], v[7:8], v[13:14], v[7:8]
	s_delay_alu instid0(VALU_DEP_1) | instskip(NEXT) | instid1(VALU_DEP_1)
	v_fma_f64 v[13:14], -v[5:6], v[7:8], 1.0
	v_fma_f64 v[7:8], v[7:8], v[13:14], v[7:8]
	s_delay_alu instid0(VALU_DEP_1) | instskip(NEXT) | instid1(VALU_DEP_1)
	v_mul_f64 v[13:14], v[15:16], v[7:8]
	v_fma_f64 v[5:6], -v[5:6], v[13:14], v[15:16]
	s_delay_alu instid0(VALU_DEP_1) | instskip(SKIP_1) | instid1(VALU_DEP_2)
	v_div_fmas_f64 v[5:6], v[5:6], v[7:8], v[13:14]
	v_fma_f64 v[7:8], v[1:2], v[11:12], v[9:10]
	v_div_fixup_f64 v[3:4], v[5:6], v[3:4], 1.0
	v_fma_f64 v[5:6], -v[1:2], v[9:10], v[11:12]
	s_delay_alu instid0(VALU_DEP_2) | instskip(NEXT) | instid1(VALU_DEP_2)
	v_mul_f64 v[1:2], v[7:8], v[3:4]
	v_mul_f64 v[3:4], v[5:6], v[3:4]
.LBB228_146:                            ;   in Loop: Header=BB228_127 Depth=1
	s_add_i32 s5, s4, 4
	s_add_i32 s4, s4, 7
	s_addk_i32 s1, 0x600
	s_cmp_ge_i32 s4, s28
	ds_store_b128 v26, v[1:4]
	s_cbranch_scc1 .LBB228_148
; %bb.147:                              ;   in Loop: Header=BB228_127 Depth=1
	s_mov_b32 s4, s5
	s_branch .LBB228_127
.LBB228_148:
	s_cmp_ge_i32 s5, s28
	s_cbranch_scc1 .LBB228_163
; %bb.149:
	v_lshl_or_b32 v13, v0, 4, 0x2400
	s_add_i32 s1, s5, -1
	s_mul_i32 s4, s5, 0x180
	s_mov_b32 s6, 0
	s_mov_b32 s7, s5
	s_branch .LBB228_151
.LBB228_150:                            ;   in Loop: Header=BB228_151 Depth=1
	v_add_nc_u16 v1, s7, 1
	s_add_i32 s5, s5, 1
	s_add_i32 s6, s6, 1
	s_addk_i32 s4, 0x180
	s_cmp_ge_i32 s5, s28
	v_readfirstlane_b32 s7, v1
	ds_store_b128 v14, v[9:12]
	s_cbranch_scc1 .LBB228_163
.LBB228_151:                            ; =>This Loop Header: Depth=1
                                        ;     Child Loop BB228_154 Depth 2
                                        ;     Child Loop BB228_158 Depth 2
	s_mul_i32 s8, s5, 24
	s_cmp_eq_u32 s5, 0
	v_add_lshl_u32 v7, s8, v0, 4
	ds_load_b128 v[1:4], v7 offset:9216
	s_cbranch_scc1 .LBB228_159
; %bb.152:                              ;   in Loop: Header=BB228_151 Depth=1
	s_add_i32 s8, s1, s6
	s_delay_alu instid0(SALU_CYCLE_1)
	s_cmp_lt_u32 s8, 3
	s_cbranch_scc1 .LBB228_156
; %bb.153:                              ;   in Loop: Header=BB228_151 Depth=1
	v_mov_b32_e32 v5, v13
	s_and_b32 s8, s5, -4
	s_mov_b32 s9, 0
	s_mov_b32 s10, s4
.LBB228_154:                            ;   Parent Loop BB228_151 Depth=1
                                        ; =>  This Inner Loop Header: Depth=2
	s_delay_alu instid0(SALU_CYCLE_1)
	v_mov_b32_e32 v6, s10
	s_add_i32 s9, s9, 4
	s_add_i32 s10, s10, 64
	s_cmp_eq_u32 s8, s9
	ds_load_b128 v[8:11], v5
	ds_load_b128 v[14:17], v6
	ds_load_b128 v[18:21], v5 offset:384
	ds_load_b128 v[22:25], v6 offset:16
	s_waitcnt lgkmcnt(2)
	v_mul_f64 v[26:27], v[16:17], v[10:11]
	v_mul_f64 v[10:11], v[14:15], v[10:11]
	s_waitcnt lgkmcnt(0)
	v_mul_f64 v[34:35], v[24:25], v[20:21]
	v_mul_f64 v[20:21], v[22:23], v[20:21]
	s_delay_alu instid0(VALU_DEP_4) | instskip(NEXT) | instid1(VALU_DEP_4)
	v_fma_f64 v[36:37], v[14:15], v[8:9], -v[26:27]
	v_fma_f64 v[38:39], v[16:17], v[8:9], v[10:11]
	ds_load_b128 v[8:11], v5 offset:768
	ds_load_b128 v[14:17], v6 offset:32
	;; [unrolled: 1-line block ×4, first 2 shown]
	v_add_nc_u32_e32 v5, 0x600, v5
	v_fma_f64 v[22:23], v[22:23], v[18:19], -v[34:35]
	v_fma_f64 v[18:19], v[24:25], v[18:19], v[20:21]
	s_waitcnt lgkmcnt(2)
	v_mul_f64 v[40:41], v[16:17], v[10:11]
	v_mul_f64 v[10:11], v[14:15], v[10:11]
	s_waitcnt lgkmcnt(0)
	v_mul_f64 v[20:21], v[32:33], v[28:29]
	v_mul_f64 v[24:25], v[30:31], v[28:29]
	v_add_f64 v[1:2], v[1:2], -v[36:37]
	v_add_f64 v[3:4], v[3:4], -v[38:39]
	v_fma_f64 v[14:15], v[14:15], v[8:9], -v[40:41]
	v_fma_f64 v[8:9], v[16:17], v[8:9], v[10:11]
	v_fma_f64 v[10:11], v[30:31], v[26:27], -v[20:21]
	v_fma_f64 v[16:17], v[32:33], v[26:27], v[24:25]
	v_add_f64 v[1:2], v[1:2], -v[22:23]
	v_add_f64 v[3:4], v[3:4], -v[18:19]
	s_delay_alu instid0(VALU_DEP_2) | instskip(NEXT) | instid1(VALU_DEP_2)
	v_add_f64 v[1:2], v[1:2], -v[14:15]
	v_add_f64 v[3:4], v[3:4], -v[8:9]
	s_delay_alu instid0(VALU_DEP_2) | instskip(NEXT) | instid1(VALU_DEP_2)
	v_add_f64 v[1:2], v[1:2], -v[10:11]
	v_add_f64 v[3:4], v[3:4], -v[16:17]
	s_cbranch_scc0 .LBB228_154
; %bb.155:                              ;   in Loop: Header=BB228_151 Depth=1
	s_and_b32 s9, s5, 3
	s_delay_alu instid0(SALU_CYCLE_1)
	s_cmp_eq_u32 s9, 0
	s_cbranch_scc0 .LBB228_157
	s_branch .LBB228_159
.LBB228_156:                            ;   in Loop: Header=BB228_151 Depth=1
	s_mov_b32 s8, 0
	s_and_b32 s9, s5, 3
	s_delay_alu instid0(SALU_CYCLE_1)
	s_cmp_eq_u32 s9, 0
	s_cbranch_scc1 .LBB228_159
.LBB228_157:                            ;   in Loop: Header=BB228_151 Depth=1
	v_mad_u64_u32 v[5:6], null, 0x180, s8, v[13:14]
	s_and_b32 s9, s7, 3
	s_lshl_b32 s8, s8, 4
	.p2align	6
.LBB228_158:                            ;   Parent Loop BB228_151 Depth=1
                                        ; =>  This Inner Loop Header: Depth=2
	s_delay_alu instid0(SALU_CYCLE_1)
	s_add_i32 s10, s4, s8
	s_add_i32 s9, s9, -1
	v_mov_b32_e32 v6, s10
	s_add_i32 s8, s8, 16
	s_cmp_lg_u32 s9, 0
	ds_load_b128 v[8:11], v5
	ds_load_b128 v[14:17], v6
	v_add_nc_u32_e32 v5, 0x180, v5
	s_waitcnt lgkmcnt(0)
	v_mul_f64 v[18:19], v[16:17], v[10:11]
	v_mul_f64 v[10:11], v[14:15], v[10:11]
	s_delay_alu instid0(VALU_DEP_2) | instskip(NEXT) | instid1(VALU_DEP_2)
	v_fma_f64 v[14:15], v[14:15], v[8:9], -v[18:19]
	v_fma_f64 v[8:9], v[16:17], v[8:9], v[10:11]
	s_delay_alu instid0(VALU_DEP_2) | instskip(NEXT) | instid1(VALU_DEP_2)
	v_add_f64 v[1:2], v[1:2], -v[14:15]
	v_add_f64 v[3:4], v[3:4], -v[8:9]
	s_cbranch_scc1 .LBB228_158
.LBB228_159:                            ;   in Loop: Header=BB228_151 Depth=1
	s_mul_i32 s8, s5, 0x190
	s_delay_alu instid0(SALU_CYCLE_1)
	v_dual_mov_b32 v5, s8 :: v_dual_add_nc_u32 v14, 0x2400, v7
	ds_load_b128 v[5:8], v5
	s_waitcnt lgkmcnt(0)
	v_cmp_gt_f64_e32 vcc_lo, 0, v[5:6]
	v_xor_b32_e32 v10, 0x80000000, v6
	v_mov_b32_e32 v9, v5
	v_xor_b32_e32 v11, 0x80000000, v8
	s_delay_alu instid0(VALU_DEP_3) | instskip(SKIP_1) | instid1(VALU_DEP_3)
	v_cndmask_b32_e32 v10, v6, v10, vcc_lo
	v_cmp_gt_f64_e32 vcc_lo, 0, v[7:8]
	v_dual_cndmask_b32 v12, v8, v11 :: v_dual_mov_b32 v11, v7
	s_delay_alu instid0(VALU_DEP_1)
	v_cmp_ngt_f64_e32 vcc_lo, v[9:10], v[11:12]
	s_cbranch_vccz .LBB228_161
; %bb.160:                              ;   in Loop: Header=BB228_151 Depth=1
	v_div_scale_f64 v[9:10], null, v[7:8], v[7:8], v[5:6]
	v_div_scale_f64 v[17:18], vcc_lo, v[5:6], v[7:8], v[5:6]
	s_delay_alu instid0(VALU_DEP_2) | instskip(SKIP_2) | instid1(VALU_DEP_1)
	v_rcp_f64_e32 v[11:12], v[9:10]
	s_waitcnt_depctr 0xfff
	v_fma_f64 v[15:16], -v[9:10], v[11:12], 1.0
	v_fma_f64 v[11:12], v[11:12], v[15:16], v[11:12]
	s_delay_alu instid0(VALU_DEP_1) | instskip(NEXT) | instid1(VALU_DEP_1)
	v_fma_f64 v[15:16], -v[9:10], v[11:12], 1.0
	v_fma_f64 v[11:12], v[11:12], v[15:16], v[11:12]
	s_delay_alu instid0(VALU_DEP_1) | instskip(NEXT) | instid1(VALU_DEP_1)
	v_mul_f64 v[15:16], v[17:18], v[11:12]
	v_fma_f64 v[9:10], -v[9:10], v[15:16], v[17:18]
	s_delay_alu instid0(VALU_DEP_1) | instskip(NEXT) | instid1(VALU_DEP_1)
	v_div_fmas_f64 v[9:10], v[9:10], v[11:12], v[15:16]
	v_div_fixup_f64 v[9:10], v[9:10], v[7:8], v[5:6]
	s_delay_alu instid0(VALU_DEP_1) | instskip(NEXT) | instid1(VALU_DEP_1)
	v_fma_f64 v[11:12], v[5:6], v[9:10], v[7:8]
	v_div_scale_f64 v[15:16], null, v[11:12], v[11:12], 1.0
	v_div_scale_f64 v[21:22], vcc_lo, 1.0, v[11:12], 1.0
	s_delay_alu instid0(VALU_DEP_2) | instskip(SKIP_2) | instid1(VALU_DEP_1)
	v_rcp_f64_e32 v[17:18], v[15:16]
	s_waitcnt_depctr 0xfff
	v_fma_f64 v[19:20], -v[15:16], v[17:18], 1.0
	v_fma_f64 v[17:18], v[17:18], v[19:20], v[17:18]
	s_delay_alu instid0(VALU_DEP_1) | instskip(NEXT) | instid1(VALU_DEP_1)
	v_fma_f64 v[19:20], -v[15:16], v[17:18], 1.0
	v_fma_f64 v[17:18], v[17:18], v[19:20], v[17:18]
	s_delay_alu instid0(VALU_DEP_1) | instskip(NEXT) | instid1(VALU_DEP_1)
	v_mul_f64 v[19:20], v[21:22], v[17:18]
	v_fma_f64 v[15:16], -v[15:16], v[19:20], v[21:22]
	s_delay_alu instid0(VALU_DEP_1) | instskip(SKIP_1) | instid1(VALU_DEP_2)
	v_div_fmas_f64 v[15:16], v[15:16], v[17:18], v[19:20]
	v_fma_f64 v[17:18], v[1:2], v[9:10], v[3:4]
	v_div_fixup_f64 v[11:12], v[15:16], v[11:12], 1.0
	v_fma_f64 v[15:16], v[3:4], v[9:10], -v[1:2]
	s_delay_alu instid0(VALU_DEP_2) | instskip(NEXT) | instid1(VALU_DEP_2)
	v_mul_f64 v[9:10], v[17:18], v[11:12]
	v_mul_f64 v[11:12], v[15:16], v[11:12]
	s_cbranch_execnz .LBB228_150
	s_branch .LBB228_162
.LBB228_161:                            ;   in Loop: Header=BB228_151 Depth=1
                                        ; implicit-def: $vgpr9_vgpr10
.LBB228_162:                            ;   in Loop: Header=BB228_151 Depth=1
	v_div_scale_f64 v[9:10], null, v[5:6], v[5:6], v[7:8]
	v_div_scale_f64 v[17:18], vcc_lo, v[7:8], v[5:6], v[7:8]
	s_delay_alu instid0(VALU_DEP_2) | instskip(SKIP_2) | instid1(VALU_DEP_1)
	v_rcp_f64_e32 v[11:12], v[9:10]
	s_waitcnt_depctr 0xfff
	v_fma_f64 v[15:16], -v[9:10], v[11:12], 1.0
	v_fma_f64 v[11:12], v[11:12], v[15:16], v[11:12]
	s_delay_alu instid0(VALU_DEP_1) | instskip(NEXT) | instid1(VALU_DEP_1)
	v_fma_f64 v[15:16], -v[9:10], v[11:12], 1.0
	v_fma_f64 v[11:12], v[11:12], v[15:16], v[11:12]
	s_delay_alu instid0(VALU_DEP_1) | instskip(NEXT) | instid1(VALU_DEP_1)
	v_mul_f64 v[15:16], v[17:18], v[11:12]
	v_fma_f64 v[9:10], -v[9:10], v[15:16], v[17:18]
	s_delay_alu instid0(VALU_DEP_1) | instskip(NEXT) | instid1(VALU_DEP_1)
	v_div_fmas_f64 v[9:10], v[9:10], v[11:12], v[15:16]
	v_div_fixup_f64 v[9:10], v[9:10], v[5:6], v[7:8]
	s_delay_alu instid0(VALU_DEP_1) | instskip(NEXT) | instid1(VALU_DEP_1)
	v_fma_f64 v[5:6], v[7:8], v[9:10], v[5:6]
	v_div_scale_f64 v[7:8], null, v[5:6], v[5:6], 1.0
	v_div_scale_f64 v[17:18], vcc_lo, 1.0, v[5:6], 1.0
	s_delay_alu instid0(VALU_DEP_2) | instskip(SKIP_2) | instid1(VALU_DEP_1)
	v_rcp_f64_e32 v[11:12], v[7:8]
	s_waitcnt_depctr 0xfff
	v_fma_f64 v[15:16], -v[7:8], v[11:12], 1.0
	v_fma_f64 v[11:12], v[11:12], v[15:16], v[11:12]
	s_delay_alu instid0(VALU_DEP_1) | instskip(NEXT) | instid1(VALU_DEP_1)
	v_fma_f64 v[15:16], -v[7:8], v[11:12], 1.0
	v_fma_f64 v[11:12], v[11:12], v[15:16], v[11:12]
	s_delay_alu instid0(VALU_DEP_1) | instskip(NEXT) | instid1(VALU_DEP_1)
	v_mul_f64 v[15:16], v[17:18], v[11:12]
	v_fma_f64 v[7:8], -v[7:8], v[15:16], v[17:18]
	s_delay_alu instid0(VALU_DEP_1) | instskip(SKIP_2) | instid1(VALU_DEP_3)
	v_div_fmas_f64 v[7:8], v[7:8], v[11:12], v[15:16]
	v_fma_f64 v[11:12], v[3:4], v[9:10], v[1:2]
	v_fma_f64 v[1:2], -v[1:2], v[9:10], v[3:4]
	v_div_fixup_f64 v[5:6], v[7:8], v[5:6], 1.0
	s_delay_alu instid0(VALU_DEP_1) | instskip(NEXT) | instid1(VALU_DEP_3)
	v_mul_f64 v[9:10], v[11:12], v[5:6]
	v_mul_f64 v[11:12], v[1:2], v[5:6]
	s_branch .LBB228_150
.LBB228_163:
	s_and_saveexec_b32 s1, s21
	s_cbranch_execz .LBB228_170
; %bb.164:
	v_lshlrev_b32_e32 v3, 4, v0
	s_ashr_i32 s1, s0, 31
	s_cmp_lt_u32 s15, 4
	s_mov_b32 s10, 0
	s_cbranch_scc1 .LBB228_167
; %bb.165:
	v_add_co_u32 v1, s4, s19, v3
	s_delay_alu instid0(VALU_DEP_1)
	v_add_co_ci_u32_e64 v2, null, s20, 0, s4
	v_lshl_or_b32 v0, v0, 4, 0x2400
	s_and_b32 s10, s15, 0x7ffffffc
	s_mul_hi_i32 s11, s0, 48
	s_mul_i32 s16, s0, 48
	s_lshl_b64 s[4:5], s[0:1], 6
	s_lshl_b64 s[6:7], s[0:1], 5
	;; [unrolled: 1-line block ×3, first 2 shown]
	s_mov_b32 s17, 0
	s_set_inst_prefetch_distance 0x1
	.p2align	6
.LBB228_166:                            ; =>This Inner Loop Header: Depth=1
	ds_load_2addr_b64 v[4:7], v0 offset1:1
	ds_load_2addr_b64 v[8:11], v0 offset0:48 offset1:49
	ds_load_2addr_b64 v[12:15], v0 offset0:96 offset1:97
	;; [unrolled: 1-line block ×3, first 2 shown]
	v_add_co_u32 v20, vcc_lo, v1, s8
	v_add_co_ci_u32_e32 v21, vcc_lo, s9, v2, vcc_lo
	v_add_co_u32 v22, vcc_lo, v1, s6
	v_add_co_ci_u32_e32 v23, vcc_lo, s7, v2, vcc_lo
	;; [unrolled: 2-line block ×3, first 2 shown]
	v_add_nc_u32_e32 v0, 0x600, v0
	s_add_i32 s17, s17, 4
	s_delay_alu instid0(SALU_CYCLE_1)
	s_cmp_lg_u32 s10, s17
	s_waitcnt lgkmcnt(3)
	global_store_b128 v[1:2], v[4:7], off
	v_add_co_u32 v1, vcc_lo, v1, s4
	v_add_co_ci_u32_e32 v2, vcc_lo, s5, v2, vcc_lo
	s_waitcnt lgkmcnt(2)
	global_store_b128 v[20:21], v[8:11], off
	s_waitcnt lgkmcnt(1)
	global_store_b128 v[22:23], v[12:15], off
	;; [unrolled: 2-line block ×3, first 2 shown]
	s_cbranch_scc1 .LBB228_166
.LBB228_167:
	s_set_inst_prefetch_distance 0x2
	s_and_b32 s4, s15, 3
	s_delay_alu instid0(SALU_CYCLE_1)
	s_cmp_eq_u32 s4, 0
	s_cbranch_scc1 .LBB228_170
; %bb.168:
	s_mul_hi_i32 s7, s0, s10
	s_mul_i32 s6, s0, s10
	s_mul_i32 s5, s10, 0x180
	s_lshl_b64 s[6:7], s[6:7], 4
	v_add3_u32 v2, s5, v3, 0x2400
	s_add_u32 s6, s6, s18
	s_addc_u32 s7, s7, s14
	s_add_u32 s2, s6, s2
	s_addc_u32 s3, s7, s3
	;; [unrolled: 2-line block ×3, first 2 shown]
	v_add_co_u32 v0, s2, s2, v3
	s_delay_alu instid0(VALU_DEP_1)
	v_add_co_ci_u32_e64 v1, null, s3, 0, s2
	s_lshl_b64 s[0:1], s[0:1], 4
.LBB228_169:                            ; =>This Inner Loop Header: Depth=1
	ds_load_2addr_b64 v[3:6], v2 offset1:1
	v_add_nc_u32_e32 v2, 0x180, v2
	s_add_i32 s4, s4, -1
	s_delay_alu instid0(SALU_CYCLE_1)
	s_cmp_lg_u32 s4, 0
	s_waitcnt lgkmcnt(0)
	global_store_b128 v[0:1], v[3:6], off
	v_add_co_u32 v0, vcc_lo, v0, s0
	v_add_co_ci_u32_e32 v1, vcc_lo, s1, v1, vcc_lo
	s_cbranch_scc1 .LBB228_169
.LBB228_170:
	s_nop 0
	s_sendmsg sendmsg(MSG_DEALLOC_VGPRS)
	s_endpgm
	.section	.rodata,"a",@progbits
	.p2align	6, 0x0
	.amdhsa_kernel _ZL31rocblas_trsm_small_right_deviceI19rocblas_complex_numIdES1_PKPKS1_PKPS1_Li24EEv13rocblas_fill_18rocblas_operation_17rocblas_diagonal_iiT0_T1_lilT2_lili
		.amdhsa_group_segment_fixed_size 18432
		.amdhsa_private_segment_fixed_size 0
		.amdhsa_kernarg_size 368
		.amdhsa_user_sgpr_count 14
		.amdhsa_user_sgpr_dispatch_ptr 0
		.amdhsa_user_sgpr_queue_ptr 0
		.amdhsa_user_sgpr_kernarg_segment_ptr 1
		.amdhsa_user_sgpr_dispatch_id 0
		.amdhsa_user_sgpr_private_segment_size 0
		.amdhsa_wavefront_size32 1
		.amdhsa_uses_dynamic_stack 0
		.amdhsa_enable_private_segment 0
		.amdhsa_system_sgpr_workgroup_id_x 1
		.amdhsa_system_sgpr_workgroup_id_y 0
		.amdhsa_system_sgpr_workgroup_id_z 1
		.amdhsa_system_sgpr_workgroup_info 0
		.amdhsa_system_vgpr_workitem_id 0
		.amdhsa_next_free_vgpr 80
		.amdhsa_next_free_sgpr 32
		.amdhsa_reserve_vcc 1
		.amdhsa_float_round_mode_32 0
		.amdhsa_float_round_mode_16_64 0
		.amdhsa_float_denorm_mode_32 3
		.amdhsa_float_denorm_mode_16_64 3
		.amdhsa_dx10_clamp 1
		.amdhsa_ieee_mode 1
		.amdhsa_fp16_overflow 0
		.amdhsa_workgroup_processor_mode 1
		.amdhsa_memory_ordered 1
		.amdhsa_forward_progress 0
		.amdhsa_shared_vgpr_count 0
		.amdhsa_exception_fp_ieee_invalid_op 0
		.amdhsa_exception_fp_denorm_src 0
		.amdhsa_exception_fp_ieee_div_zero 0
		.amdhsa_exception_fp_ieee_overflow 0
		.amdhsa_exception_fp_ieee_underflow 0
		.amdhsa_exception_fp_ieee_inexact 0
		.amdhsa_exception_int_div_zero 0
	.end_amdhsa_kernel
	.section	.text._ZL31rocblas_trsm_small_right_deviceI19rocblas_complex_numIdES1_PKPKS1_PKPS1_Li24EEv13rocblas_fill_18rocblas_operation_17rocblas_diagonal_iiT0_T1_lilT2_lili,"axG",@progbits,_ZL31rocblas_trsm_small_right_deviceI19rocblas_complex_numIdES1_PKPKS1_PKPS1_Li24EEv13rocblas_fill_18rocblas_operation_17rocblas_diagonal_iiT0_T1_lilT2_lili,comdat
.Lfunc_end228:
	.size	_ZL31rocblas_trsm_small_right_deviceI19rocblas_complex_numIdES1_PKPKS1_PKPS1_Li24EEv13rocblas_fill_18rocblas_operation_17rocblas_diagonal_iiT0_T1_lilT2_lili, .Lfunc_end228-_ZL31rocblas_trsm_small_right_deviceI19rocblas_complex_numIdES1_PKPKS1_PKPS1_Li24EEv13rocblas_fill_18rocblas_operation_17rocblas_diagonal_iiT0_T1_lilT2_lili
                                        ; -- End function
	.section	.AMDGPU.csdata,"",@progbits
; Kernel info:
; codeLenInByte = 20380
; NumSgprs: 34
; NumVgprs: 80
; ScratchSize: 0
; MemoryBound: 0
; FloatMode: 240
; IeeeMode: 1
; LDSByteSize: 18432 bytes/workgroup (compile time only)
; SGPRBlocks: 4
; VGPRBlocks: 9
; NumSGPRsForWavesPerEU: 34
; NumVGPRsForWavesPerEU: 80
; Occupancy: 2
; WaveLimiterHint : 0
; COMPUTE_PGM_RSRC2:SCRATCH_EN: 0
; COMPUTE_PGM_RSRC2:USER_SGPR: 14
; COMPUTE_PGM_RSRC2:TRAP_HANDLER: 0
; COMPUTE_PGM_RSRC2:TGID_X_EN: 1
; COMPUTE_PGM_RSRC2:TGID_Y_EN: 0
; COMPUTE_PGM_RSRC2:TGID_Z_EN: 1
; COMPUTE_PGM_RSRC2:TIDIG_COMP_CNT: 0
	.section	.text._ZL38rocblas_trsm_small_left_device_sharedBILi28ELi28ELb0E19rocblas_complex_numIdES1_PKPKS1_PKPS1_Ev13rocblas_fill_18rocblas_operation_17rocblas_diagonal_iiT3_T4_lilT5_lili,"axG",@progbits,_ZL38rocblas_trsm_small_left_device_sharedBILi28ELi28ELb0E19rocblas_complex_numIdES1_PKPKS1_PKPS1_Ev13rocblas_fill_18rocblas_operation_17rocblas_diagonal_iiT3_T4_lilT5_lili,comdat
	.globl	_ZL38rocblas_trsm_small_left_device_sharedBILi28ELi28ELb0E19rocblas_complex_numIdES1_PKPKS1_PKPS1_Ev13rocblas_fill_18rocblas_operation_17rocblas_diagonal_iiT3_T4_lilT5_lili ; -- Begin function _ZL38rocblas_trsm_small_left_device_sharedBILi28ELi28ELb0E19rocblas_complex_numIdES1_PKPKS1_PKPS1_Ev13rocblas_fill_18rocblas_operation_17rocblas_diagonal_iiT3_T4_lilT5_lili
	.p2align	8
	.type	_ZL38rocblas_trsm_small_left_device_sharedBILi28ELi28ELb0E19rocblas_complex_numIdES1_PKPKS1_PKPS1_Ev13rocblas_fill_18rocblas_operation_17rocblas_diagonal_iiT3_T4_lilT5_lili,@function
_ZL38rocblas_trsm_small_left_device_sharedBILi28ELi28ELb0E19rocblas_complex_numIdES1_PKPKS1_PKPS1_Ev13rocblas_fill_18rocblas_operation_17rocblas_diagonal_iiT3_T4_lilT5_lili: ; @_ZL38rocblas_trsm_small_left_device_sharedBILi28ELi28ELb0E19rocblas_complex_numIdES1_PKPKS1_PKPS1_Ev13rocblas_fill_18rocblas_operation_17rocblas_diagonal_iiT3_T4_lilT5_lili
; %bb.0:
	s_clause 0x1
	s_load_b128 s[20:23], s[0:1], 0x48
	s_load_b128 s[16:19], s[0:1], 0x4
	s_mov_b32 s2, s15
	s_mov_b32 s3, 0
	s_load_b32 s29, s[0:1], 0x70
	s_lshl_b64 s[24:25], s[2:3], 3
	s_mov_b32 s30, exec_lo
	s_waitcnt lgkmcnt(0)
	s_add_u32 s12, s20, s24
	s_addc_u32 s13, s21, s25
	s_load_b256 s[4:11], s[0:1], 0x18
	s_load_b64 s[12:13], s[12:13], 0x0
	s_min_i32 s15, s18, 28
	s_delay_alu instid0(SALU_CYCLE_1)
	s_add_i32 s28, s15, -1
	v_cmpx_gt_i32_e64 s15, v0
	s_cbranch_execz .LBB229_15
; %bb.1:
	s_load_b32 s20, s[0:1], 0x38
	s_waitcnt lgkmcnt(0)
	s_ashr_i32 s21, s20, 31
	s_cmpk_eq_i32 s16, 0x71
	s_cselect_b32 vcc_lo, -1, 0
	s_add_u32 s8, s8, s24
	s_addc_u32 s9, s9, s25
	s_cmp_lt_u32 s28, 3
	s_load_b64 s[8:9], s[8:9], 0x0
	s_cbranch_scc1 .LBB229_4
; %bb.2:
	v_lshlrev_b32_e32 v1, 4, v0
	s_lshl_b64 s[24:25], s[10:11], 4
	s_and_b32 s3, s15, -4
	s_waitcnt lgkmcnt(0)
	s_add_u32 s2, s8, s24
	s_addc_u32 s24, s9, s25
	v_add_co_u32 v1, s2, s2, v1
	s_delay_alu instid0(VALU_DEP_1) | instskip(SKIP_1) | instid1(VALU_DEP_3)
	v_add_co_ci_u32_e64 v2, null, s24, 0, s2
	v_lshlrev_b32_e32 v3, 4, v0
	v_add_co_u32 v1, s2, v1, 8
	s_delay_alu instid0(VALU_DEP_1)
	v_add_co_ci_u32_e64 v2, s2, 0, v2, s2
	s_lshl_b64 s[24:25], s[20:21], 6
	s_lshl_b64 s[26:27], s[20:21], 4
	s_mov_b32 s31, 0
.LBB229_3:                              ; =>This Inner Loop Header: Depth=1
	v_add_co_u32 v8, s2, v1, s26
	s_delay_alu instid0(VALU_DEP_1) | instskip(SKIP_1) | instid1(VALU_DEP_2)
	v_add_co_ci_u32_e64 v9, s2, s27, v2, s2
	s_add_i32 s31, s31, 4
	v_add_co_u32 v12, s2, v8, s26
	s_delay_alu instid0(VALU_DEP_1) | instskip(SKIP_1) | instid1(VALU_DEP_2)
	v_add_co_ci_u32_e64 v13, s2, s27, v9, s2
	s_cmp_eq_u32 s3, s31
	v_add_co_u32 v16, s2, v12, s26
	s_delay_alu instid0(VALU_DEP_1)
	v_add_co_ci_u32_e64 v17, s2, s27, v13, s2
	s_clause 0x3
	global_load_b128 v[4:7], v[1:2], off offset:-8
	global_load_b128 v[8:11], v[8:9], off offset:-8
	;; [unrolled: 1-line block ×4, first 2 shown]
	v_add_co_u32 v1, s2, v1, s24
	s_delay_alu instid0(VALU_DEP_1)
	v_add_co_ci_u32_e64 v2, s2, s25, v2, s2
	s_waitcnt vmcnt(3)
	v_xor_b32_e32 v20, 0x80000000, v7
	s_waitcnt vmcnt(2)
	v_xor_b32_e32 v21, 0x80000000, v11
	;; [unrolled: 2-line block ×4, first 2 shown]
	v_cndmask_b32_e32 v7, v7, v20, vcc_lo
	v_cndmask_b32_e32 v11, v11, v21, vcc_lo
	;; [unrolled: 1-line block ×3, first 2 shown]
	s_delay_alu instid0(VALU_DEP_4)
	v_cndmask_b32_e32 v19, v19, v23, vcc_lo
	ds_store_b128 v3, v[4:7]
	ds_store_b128 v3, v[8:11] offset:448
	ds_store_b128 v3, v[12:15] offset:896
	;; [unrolled: 1-line block ×3, first 2 shown]
	v_add_nc_u32_e32 v3, 0x700, v3
	s_cbranch_scc0 .LBB229_3
.LBB229_4:
	s_and_b32 s24, s15, 3
	s_delay_alu instid0(SALU_CYCLE_1)
	s_cmp_eq_u32 s24, 0
	s_cbranch_scc1 .LBB229_7
; %bb.5:
	s_mul_i32 s2, s21, s3
	s_mul_hi_u32 s25, s20, s3
	s_mul_i32 s26, s20, s3
	s_add_i32 s27, s25, s2
	s_lshl_b64 s[10:11], s[10:11], 4
	s_lshl_b64 s[26:27], s[26:27], 4
	v_lshlrev_b32_e32 v1, 4, v0
	s_mul_i32 s2, s3, 0x1c0
	s_add_u32 s3, s26, s10
	s_addc_u32 s10, s27, s11
	s_waitcnt lgkmcnt(0)
	s_add_u32 s3, s8, s3
	s_addc_u32 s8, s9, s10
	v_add_co_u32 v1, s3, s3, v1
	s_delay_alu instid0(VALU_DEP_1) | instskip(SKIP_1) | instid1(VALU_DEP_3)
	v_add_co_ci_u32_e64 v2, null, s8, 0, s3
	v_lshl_add_u32 v3, v0, 4, s2
	v_add_co_u32 v1, s2, v1, 8
	s_delay_alu instid0(VALU_DEP_1)
	v_add_co_ci_u32_e64 v2, s2, 0, v2, s2
	s_lshl_b64 s[8:9], s[20:21], 4
.LBB229_6:                              ; =>This Inner Loop Header: Depth=1
	global_load_b128 v[4:7], v[1:2], off offset:-8
	v_add_co_u32 v1, s2, v1, s8
	s_delay_alu instid0(VALU_DEP_1) | instskip(SKIP_1) | instid1(SALU_CYCLE_1)
	v_add_co_ci_u32_e64 v2, s2, s9, v2, s2
	s_add_i32 s24, s24, -1
	s_cmp_lg_u32 s24, 0
	s_waitcnt vmcnt(0)
	v_xor_b32_e32 v8, 0x80000000, v7
	s_delay_alu instid0(VALU_DEP_1)
	v_cndmask_b32_e32 v7, v7, v8, vcc_lo
	ds_store_b128 v3, v[4:7]
	v_add_nc_u32_e32 v3, 0x1c0, v3
	s_cbranch_scc1 .LBB229_6
.LBB229_7:
	v_mul_u32_u24_e32 v1, 29, v0
	s_cmpk_lg_i32 s17, 0x84
	s_delay_alu instid0(VALU_DEP_1)
	v_lshlrev_b32_e32 v9, 4, v1
	s_cbranch_scc0 .LBB229_13
; %bb.8:
	ds_load_b128 v[1:4], v9
	s_waitcnt lgkmcnt(0)
	v_cmp_gt_f64_e32 vcc_lo, 0, v[1:2]
	v_xor_b32_e32 v6, 0x80000000, v2
	v_mov_b32_e32 v5, v1
	v_xor_b32_e32 v7, 0x80000000, v4
	s_delay_alu instid0(VALU_DEP_3) | instskip(SKIP_1) | instid1(VALU_DEP_3)
	v_cndmask_b32_e32 v6, v2, v6, vcc_lo
	v_cmp_gt_f64_e32 vcc_lo, 0, v[3:4]
	v_dual_cndmask_b32 v8, v4, v7 :: v_dual_mov_b32 v7, v3
	s_delay_alu instid0(VALU_DEP_1) | instskip(SKIP_1) | instid1(SALU_CYCLE_1)
	v_cmp_ngt_f64_e32 vcc_lo, v[5:6], v[7:8]
                                        ; implicit-def: $vgpr7_vgpr8
	s_and_saveexec_b32 s2, vcc_lo
	s_xor_b32 s2, exec_lo, s2
	s_cbranch_execz .LBB229_10
; %bb.9:
	v_div_scale_f64 v[5:6], null, v[3:4], v[3:4], v[1:2]
	v_div_scale_f64 v[12:13], vcc_lo, v[1:2], v[3:4], v[1:2]
	s_delay_alu instid0(VALU_DEP_2) | instskip(SKIP_2) | instid1(VALU_DEP_1)
	v_rcp_f64_e32 v[7:8], v[5:6]
	s_waitcnt_depctr 0xfff
	v_fma_f64 v[10:11], -v[5:6], v[7:8], 1.0
	v_fma_f64 v[7:8], v[7:8], v[10:11], v[7:8]
	s_delay_alu instid0(VALU_DEP_1) | instskip(NEXT) | instid1(VALU_DEP_1)
	v_fma_f64 v[10:11], -v[5:6], v[7:8], 1.0
	v_fma_f64 v[7:8], v[7:8], v[10:11], v[7:8]
	s_delay_alu instid0(VALU_DEP_1) | instskip(NEXT) | instid1(VALU_DEP_1)
	v_mul_f64 v[10:11], v[12:13], v[7:8]
	v_fma_f64 v[5:6], -v[5:6], v[10:11], v[12:13]
	s_delay_alu instid0(VALU_DEP_1) | instskip(NEXT) | instid1(VALU_DEP_1)
	v_div_fmas_f64 v[5:6], v[5:6], v[7:8], v[10:11]
	v_div_fixup_f64 v[5:6], v[5:6], v[3:4], v[1:2]
	s_delay_alu instid0(VALU_DEP_1) | instskip(NEXT) | instid1(VALU_DEP_1)
	v_fma_f64 v[1:2], v[1:2], v[5:6], v[3:4]
	v_div_scale_f64 v[3:4], null, v[1:2], v[1:2], 1.0
	v_div_scale_f64 v[12:13], vcc_lo, 1.0, v[1:2], 1.0
	s_delay_alu instid0(VALU_DEP_2) | instskip(SKIP_2) | instid1(VALU_DEP_1)
	v_rcp_f64_e32 v[7:8], v[3:4]
	s_waitcnt_depctr 0xfff
	v_fma_f64 v[10:11], -v[3:4], v[7:8], 1.0
	v_fma_f64 v[7:8], v[7:8], v[10:11], v[7:8]
	s_delay_alu instid0(VALU_DEP_1) | instskip(NEXT) | instid1(VALU_DEP_1)
	v_fma_f64 v[10:11], -v[3:4], v[7:8], 1.0
	v_fma_f64 v[7:8], v[7:8], v[10:11], v[7:8]
	s_delay_alu instid0(VALU_DEP_1) | instskip(NEXT) | instid1(VALU_DEP_1)
	v_mul_f64 v[10:11], v[12:13], v[7:8]
	v_fma_f64 v[3:4], -v[3:4], v[10:11], v[12:13]
	s_delay_alu instid0(VALU_DEP_1) | instskip(SKIP_1) | instid1(VALU_DEP_2)
	v_div_fmas_f64 v[3:4], v[3:4], v[7:8], v[10:11]
	v_add_f64 v[7:8], v[5:6], 0
	v_div_fixup_f64 v[1:2], v[3:4], v[1:2], 1.0
	v_fma_f64 v[3:4], v[5:6], 0, -1.0
	s_delay_alu instid0(VALU_DEP_2) | instskip(NEXT) | instid1(VALU_DEP_2)
	v_mul_f64 v[5:6], v[7:8], v[1:2]
	v_mul_f64 v[7:8], v[3:4], v[1:2]
                                        ; implicit-def: $vgpr1_vgpr2
.LBB229_10:
	s_and_not1_saveexec_b32 s2, s2
	s_cbranch_execz .LBB229_12
; %bb.11:
	v_div_scale_f64 v[5:6], null, v[1:2], v[1:2], v[3:4]
	v_div_scale_f64 v[12:13], vcc_lo, v[3:4], v[1:2], v[3:4]
	s_delay_alu instid0(VALU_DEP_2) | instskip(SKIP_2) | instid1(VALU_DEP_1)
	v_rcp_f64_e32 v[7:8], v[5:6]
	s_waitcnt_depctr 0xfff
	v_fma_f64 v[10:11], -v[5:6], v[7:8], 1.0
	v_fma_f64 v[7:8], v[7:8], v[10:11], v[7:8]
	s_delay_alu instid0(VALU_DEP_1) | instskip(NEXT) | instid1(VALU_DEP_1)
	v_fma_f64 v[10:11], -v[5:6], v[7:8], 1.0
	v_fma_f64 v[7:8], v[7:8], v[10:11], v[7:8]
	s_delay_alu instid0(VALU_DEP_1) | instskip(NEXT) | instid1(VALU_DEP_1)
	v_mul_f64 v[10:11], v[12:13], v[7:8]
	v_fma_f64 v[5:6], -v[5:6], v[10:11], v[12:13]
	s_delay_alu instid0(VALU_DEP_1) | instskip(NEXT) | instid1(VALU_DEP_1)
	v_div_fmas_f64 v[5:6], v[5:6], v[7:8], v[10:11]
	v_div_fixup_f64 v[5:6], v[5:6], v[1:2], v[3:4]
	s_delay_alu instid0(VALU_DEP_1) | instskip(NEXT) | instid1(VALU_DEP_1)
	v_fma_f64 v[1:2], v[3:4], v[5:6], v[1:2]
	v_div_scale_f64 v[3:4], null, v[1:2], v[1:2], 1.0
	v_div_scale_f64 v[12:13], vcc_lo, 1.0, v[1:2], 1.0
	s_delay_alu instid0(VALU_DEP_2) | instskip(SKIP_2) | instid1(VALU_DEP_1)
	v_rcp_f64_e32 v[7:8], v[3:4]
	s_waitcnt_depctr 0xfff
	v_fma_f64 v[10:11], -v[3:4], v[7:8], 1.0
	v_fma_f64 v[7:8], v[7:8], v[10:11], v[7:8]
	s_delay_alu instid0(VALU_DEP_1) | instskip(NEXT) | instid1(VALU_DEP_1)
	v_fma_f64 v[10:11], -v[3:4], v[7:8], 1.0
	v_fma_f64 v[7:8], v[7:8], v[10:11], v[7:8]
	s_delay_alu instid0(VALU_DEP_1) | instskip(NEXT) | instid1(VALU_DEP_1)
	v_mul_f64 v[10:11], v[12:13], v[7:8]
	v_fma_f64 v[3:4], -v[3:4], v[10:11], v[12:13]
	s_delay_alu instid0(VALU_DEP_1) | instskip(SKIP_1) | instid1(VALU_DEP_2)
	v_div_fmas_f64 v[3:4], v[3:4], v[7:8], v[10:11]
	v_fma_f64 v[7:8], v[5:6], 0, 1.0
	v_div_fixup_f64 v[1:2], v[3:4], v[1:2], 1.0
	v_add_f64 v[3:4], -v[5:6], 0
	s_delay_alu instid0(VALU_DEP_2) | instskip(NEXT) | instid1(VALU_DEP_2)
	v_mul_f64 v[5:6], v[7:8], v[1:2]
	v_mul_f64 v[7:8], v[3:4], v[1:2]
.LBB229_12:
	s_or_b32 exec_lo, exec_lo, s2
	s_branch .LBB229_14
.LBB229_13:
	v_mov_b32_e32 v5, 0
	v_dual_mov_b32 v6, 0x3ff00000 :: v_dual_mov_b32 v7, 0
	v_mov_b32_e32 v8, 0
.LBB229_14:
	ds_store_b128 v9, v[5:8]
.LBB229_15:
	s_or_b32 exec_lo, exec_lo, s30
	s_load_b32 s17, s[0:1], 0x58
	s_lshl_b64 s[0:1], s[22:23], 4
	s_mul_i32 s3, s14, 0xffffffe4
	s_mul_i32 s2, s14, 28
	s_waitcnt lgkmcnt(0)
	s_ashr_i32 s20, s17, 31
	s_add_u32 s10, s12, s0
	s_addc_u32 s11, s13, s1
	s_add_i32 s29, s29, -1
	s_add_i32 s3, s3, s19
	s_mul_hi_i32 s9, s17, s2
	s_cmp_ge_u32 s14, s29
	s_mul_i32 s8, s17, s2
	s_cselect_b32 s21, s3, 28
	s_lshl_b64 s[8:9], s[8:9], 4
	s_ashr_i32 s3, s2, 31
	s_add_u32 s14, s10, s8
	s_addc_u32 s19, s11, s9
	v_cmp_gt_i32_e32 vcc_lo, s21, v0
	s_cmp_gt_i32 s18, 0
	s_mov_b32 s8, 0
	s_cselect_b32 s9, -1, 0
	s_delay_alu instid0(SALU_CYCLE_1) | instskip(NEXT) | instid1(SALU_CYCLE_1)
	s_and_b32 s21, vcc_lo, s9
	s_and_saveexec_b32 s22, s21
	s_cbranch_execz .LBB229_22
; %bb.16:
	s_cmp_lt_i32 s18, 8
	s_cbranch_scc1 .LBB229_19
; %bb.17:
	v_mad_i64_i32 v[1:2], null, s17, v0, 0
	v_lshl_add_u32 v3, v0, 4, 0x3100
	s_lshl_b32 s8, s15, 4
	s_mov_b64 s[10:11], 0
	s_and_b32 s9, s8, 0x180
	s_mov_b32 s8, 0
	s_delay_alu instid0(VALU_DEP_2) | instskip(NEXT) | instid1(VALU_DEP_1)
	v_lshlrev_b64 v[1:2], 4, v[1:2]
	v_add_co_u32 v1, vcc_lo, s14, v1
	s_delay_alu instid0(VALU_DEP_2)
	v_add_co_ci_u32_e32 v2, vcc_lo, s19, v2, vcc_lo
.LBB229_18:                             ; =>This Inner Loop Header: Depth=1
	s_delay_alu instid0(VALU_DEP_2) | instskip(NEXT) | instid1(VALU_DEP_2)
	v_add_co_u32 v32, vcc_lo, v1, s10
	v_add_co_ci_u32_e32 v33, vcc_lo, s11, v2, vcc_lo
	s_add_i32 s8, s8, 8
	s_add_u32 s10, s10, 0x80
	s_addc_u32 s11, s11, 0
	s_clause 0x7
	global_load_b128 v[4:7], v[32:33], off
	global_load_b128 v[8:11], v[32:33], off offset:16
	global_load_b128 v[12:15], v[32:33], off offset:32
	;; [unrolled: 1-line block ×7, first 2 shown]
	s_cmp_lg_u32 s9, s10
	s_waitcnt vmcnt(7)
	v_mul_f64 v[36:37], s[6:7], v[6:7]
	v_mul_f64 v[6:7], s[4:5], v[6:7]
	s_waitcnt vmcnt(6)
	v_mul_f64 v[38:39], s[6:7], v[10:11]
	v_mul_f64 v[10:11], s[4:5], v[10:11]
	;; [unrolled: 3-line block ×8, first 2 shown]
	v_fma_f64 v[34:35], s[4:5], v[4:5], -v[36:37]
	v_fma_f64 v[36:37], s[6:7], v[4:5], v[6:7]
	v_fma_f64 v[4:5], s[4:5], v[8:9], -v[38:39]
	v_fma_f64 v[6:7], s[6:7], v[8:9], v[10:11]
	;; [unrolled: 2-line block ×8, first 2 shown]
	ds_store_b128 v3, v[34:37]
	ds_store_b128 v3, v[4:7] offset:448
	ds_store_b128 v3, v[8:11] offset:896
	;; [unrolled: 1-line block ×7, first 2 shown]
	v_add_nc_u32_e32 v3, 0xe00, v3
	s_cbranch_scc1 .LBB229_18
.LBB229_19:
	s_and_b32 s10, s15, 7
	s_mov_b32 s9, 0
	s_cmp_eq_u32 s10, 0
	s_cbranch_scc1 .LBB229_22
; %bb.20:
	v_lshlrev_b32_e32 v3, 4, v0
	s_lshl_b64 s[24:25], s[2:3], 4
	s_lshl_b64 s[26:27], s[8:9], 4
	s_mulk_i32 s8, 0x1c0
	s_delay_alu instid0(VALU_DEP_1) | instskip(NEXT) | instid1(VALU_DEP_1)
	v_add_co_u32 v4, s9, s24, v3
	v_add_co_ci_u32_e64 v5, null, s25, 0, s9
	s_add_u32 s9, s12, s26
	s_addc_u32 s11, s13, s27
	s_add_u32 s24, s9, s0
	s_addc_u32 s25, s11, s1
	v_mul_lo_u32 v5, v5, s17
	v_mad_u64_u32 v[1:2], null, v4, s17, s[24:25]
	v_mul_lo_u32 v4, v4, s20
	v_add3_u32 v3, s8, v3, 0x3100
	s_delay_alu instid0(VALU_DEP_3) | instskip(NEXT) | instid1(VALU_DEP_3)
	v_add_co_u32 v1, vcc_lo, v1, 8
	v_add3_u32 v2, v5, v2, v4
	s_delay_alu instid0(VALU_DEP_1)
	v_add_co_ci_u32_e32 v2, vcc_lo, 0, v2, vcc_lo
	.p2align	6
.LBB229_21:                             ; =>This Inner Loop Header: Depth=1
	global_load_b128 v[4:7], v[1:2], off offset:-8
	v_add_co_u32 v1, vcc_lo, v1, 16
	v_add_co_ci_u32_e32 v2, vcc_lo, 0, v2, vcc_lo
	s_add_i32 s10, s10, -1
	s_delay_alu instid0(SALU_CYCLE_1) | instskip(SKIP_3) | instid1(VALU_DEP_2)
	s_cmp_lg_u32 s10, 0
	s_waitcnt vmcnt(0)
	v_mul_f64 v[8:9], s[6:7], v[6:7]
	v_mul_f64 v[10:11], s[4:5], v[6:7]
	v_fma_f64 v[6:7], s[4:5], v[4:5], -v[8:9]
	s_delay_alu instid0(VALU_DEP_2)
	v_fma_f64 v[8:9], s[6:7], v[4:5], v[10:11]
	ds_store_b128 v3, v[6:9]
	v_add_nc_u32_e32 v3, 0x1c0, v3
	s_cbranch_scc1 .LBB229_21
.LBB229_22:
	s_or_b32 exec_lo, exec_lo, s22
	s_or_b32 s6, 0, 8
	s_cmpk_eq_i32 s16, 0x6f
	s_mov_b32 s4, -1
	s_waitcnt vmcnt(0) lgkmcnt(0)
	s_waitcnt_vscnt null, 0x0
	; wave barrier
	s_waitcnt lgkmcnt(0)
	buffer_gl0_inv
	s_cbranch_scc1 .LBB229_44
; %bb.23:
	v_lshl_add_u32 v5, v0, 4, 0x3100
	s_mov_b32 s5, 0
	s_delay_alu instid0(SALU_CYCLE_1)
	s_mov_b32 s4, s5
	s_mov_b32 s7, s5
	s_branch .LBB229_25
.LBB229_24:                             ;   in Loop: Header=BB229_25 Depth=1
	s_cmp_ge_i32 s7, s15
	s_cselect_b32 s8, -1, 0
	s_add_i32 s4, s4, 1
	s_delay_alu instid0(SALU_CYCLE_1) | instskip(SKIP_1) | instid1(SALU_CYCLE_1)
	s_cmp_eq_u32 s4, 3
	s_cselect_b32 s9, -1, 0
	s_or_b32 s8, s8, s9
	s_delay_alu instid0(SALU_CYCLE_1)
	s_and_not1_b32 vcc_lo, exec_lo, s8
	s_cbranch_vccz .LBB229_43
.LBB229_25:                             ; =>This Loop Header: Depth=1
                                        ;     Child Loop BB229_28 Depth 2
                                        ;       Child Loop BB229_29 Depth 3
                                        ;       Child Loop BB229_32 Depth 3
                                        ;         Child Loop BB229_33 Depth 4
                                        ;       Child Loop BB229_37 Depth 3
                                        ;         Child Loop BB229_39 Depth 4
	s_getpc_b64 s[8:9]
	s_add_u32 s8, s8, __const._ZL38rocblas_trsm_small_left_device_sharedBILi28ELi28ELb0E19rocblas_complex_numIdES1_PKPKS1_PKPS1_Ev13rocblas_fill_18rocblas_operation_17rocblas_diagonal_iiT3_T4_lilT5_lili.step_sizes@rel32@lo+4
	s_addc_u32 s9, s9, __const._ZL38rocblas_trsm_small_left_device_sharedBILi28ELi28ELb0E19rocblas_complex_numIdES1_PKPKS1_PKPS1_Ev13rocblas_fill_18rocblas_operation_17rocblas_diagonal_iiT3_T4_lilT5_lili.step_sizes@rel32@hi+12
	s_lshl_b64 s[10:11], s[4:5], 2
	s_delay_alu instid0(SALU_CYCLE_1) | instskip(SKIP_4) | instid1(SALU_CYCLE_1)
	s_add_u32 s8, s10, s8
	s_addc_u32 s9, s11, s9
	s_load_b32 s8, s[8:9], 0x0
	s_waitcnt lgkmcnt(0)
	s_add_i32 s9, s8, -1
	s_add_i32 s10, s9, s7
	s_delay_alu instid0(SALU_CYCLE_1)
	s_cmp_ge_i32 s10, s15
	s_cbranch_scc1 .LBB229_24
; %bb.26:                               ;   in Loop: Header=BB229_25 Depth=1
	s_mul_i32 s10, s7, 0x1c0
	s_max_i32 s11, s8, 1
	v_add_nc_u32_e32 v6, s10, v5
	s_mul_i32 s16, s8, 0x1c0
	s_mul_i32 s22, s7, 0x1d0
	;; [unrolled: 1-line block ×3, first 2 shown]
	s_branch .LBB229_28
.LBB229_27:                             ;   in Loop: Header=BB229_28 Depth=2
	s_add_i32 s7, s7, s8
	v_add_nc_u32_e32 v6, s16, v6
	s_add_i32 s24, s9, s7
	s_add_i32 s10, s10, s16
	;; [unrolled: 1-line block ×3, first 2 shown]
	s_cmp_ge_i32 s24, s15
	s_cbranch_scc1 .LBB229_24
.LBB229_28:                             ;   Parent Loop BB229_25 Depth=1
                                        ; =>  This Loop Header: Depth=2
                                        ;       Child Loop BB229_29 Depth 3
                                        ;       Child Loop BB229_32 Depth 3
                                        ;         Child Loop BB229_33 Depth 4
                                        ;       Child Loop BB229_37 Depth 3
                                        ;         Child Loop BB229_39 Depth 4
	v_dual_mov_b32 v1, 0 :: v_dual_mov_b32 v2, v6
	s_mov_b32 s24, s11
.LBB229_29:                             ;   Parent Loop BB229_25 Depth=1
                                        ;     Parent Loop BB229_28 Depth=2
                                        ; =>    This Inner Loop Header: Depth=3
	ds_load_b128 v[7:10], v2
	v_add_nc_u32_e32 v2, 0x1c0, v2
	s_add_i32 s24, s24, -1
	s_delay_alu instid0(SALU_CYCLE_1)
	s_cmp_eq_u32 s24, 0
	s_waitcnt lgkmcnt(0)
	scratch_store_b128 v1, v[7:10], off
	v_add_nc_u32_e32 v1, 16, v1
	s_cbranch_scc0 .LBB229_29
; %bb.30:                               ;   in Loop: Header=BB229_28 Depth=2
	s_cmp_lt_i32 s7, 1
	s_cbranch_scc1 .LBB229_35
; %bb.31:                               ;   in Loop: Header=BB229_28 Depth=2
	s_mov_b32 s24, 0
	s_mov_b32 s25, s10
	s_set_inst_prefetch_distance 0x1
	.p2align	6
.LBB229_32:                             ;   Parent Loop BB229_25 Depth=1
                                        ;     Parent Loop BB229_28 Depth=2
                                        ; =>    This Loop Header: Depth=3
                                        ;         Child Loop BB229_33 Depth 4
	s_mul_i32 s26, s24, 28
	s_mov_b32 s27, s25
	v_add_lshl_u32 v1, s26, v0, 4
	s_mov_b32 s26, s6
	s_mov_b32 s29, s11
	ds_load_b128 v[1:4], v1 offset:12544
	.p2align	6
.LBB229_33:                             ;   Parent Loop BB229_25 Depth=1
                                        ;     Parent Loop BB229_28 Depth=2
                                        ;       Parent Loop BB229_32 Depth=3
                                        ; =>      This Inner Loop Header: Depth=4
	scratch_load_b128 v[7:10], off, s26 offset:-8
	v_mov_b32_e32 v11, s27
	s_add_i32 s29, s29, -1
	s_addk_i32 s27, 0x1c0
	ds_load_b128 v[11:14], v11
	s_waitcnt lgkmcnt(0)
	v_mul_f64 v[15:16], v[3:4], v[13:14]
	v_mul_f64 v[13:14], v[1:2], v[13:14]
	s_delay_alu instid0(VALU_DEP_2) | instskip(NEXT) | instid1(VALU_DEP_2)
	v_fma_f64 v[15:16], v[1:2], v[11:12], -v[15:16]
	v_fma_f64 v[11:12], v[3:4], v[11:12], v[13:14]
	s_waitcnt vmcnt(0)
	s_delay_alu instid0(VALU_DEP_2) | instskip(NEXT) | instid1(VALU_DEP_2)
	v_add_f64 v[7:8], v[7:8], -v[15:16]
	v_add_f64 v[9:10], v[9:10], -v[11:12]
	scratch_store_b128 off, v[7:10], s26 offset:-8
	s_add_i32 s26, s26, 16
	s_cmp_eq_u32 s29, 0
	s_cbranch_scc0 .LBB229_33
; %bb.34:                               ;   in Loop: Header=BB229_32 Depth=3
	s_add_i32 s24, s24, 1
	s_add_i32 s25, s25, 16
	s_cmp_ge_i32 s24, s7
	s_cbranch_scc0 .LBB229_32
.LBB229_35:                             ;   in Loop: Header=BB229_28 Depth=2
	s_set_inst_prefetch_distance 0x2
	s_mul_i32 s24, s7, 28
	s_mov_b32 s25, 0
	s_mov_b32 s26, s22
	s_branch .LBB229_37
.LBB229_36:                             ;   in Loop: Header=BB229_37 Depth=3
	s_mulk_i32 s29, 0x1d0
	s_addk_i32 s26, 0x1c0
	v_mov_b32_e32 v7, s29
	s_lshl_b32 s29, s25, 4
	s_add_i32 s25, s25, 1
	ds_load_b128 v[7:10], v7
	s_waitcnt vmcnt(0) lgkmcnt(0)
	v_mul_f64 v[11:12], v[9:10], v[3:4]
	v_mul_f64 v[3:4], v[7:8], v[3:4]
	s_delay_alu instid0(VALU_DEP_2) | instskip(NEXT) | instid1(VALU_DEP_2)
	v_fma_f64 v[7:8], v[7:8], v[1:2], -v[11:12]
	v_fma_f64 v[9:10], v[9:10], v[1:2], v[3:4]
	v_add_lshl_u32 v1, s27, v0, 4
	s_add_i32 s27, s29, 0
	s_cmp_eq_u32 s25, s11
	scratch_store_b128 off, v[7:10], s27
	ds_store_b128 v1, v[7:10] offset:12544
	s_cbranch_scc1 .LBB229_27
.LBB229_37:                             ;   Parent Loop BB229_25 Depth=1
                                        ;     Parent Loop BB229_28 Depth=2
                                        ; =>    This Loop Header: Depth=3
                                        ;         Child Loop BB229_39 Depth 4
	s_cmp_lg_u32 s25, 0
	s_cbranch_scc0 .LBB229_41
; %bb.38:                               ;   in Loop: Header=BB229_37 Depth=3
	s_lshl_b32 s30, s25, 4
	s_add_i32 s29, s25, s7
	s_add_i32 s27, s30, 0
	v_add_nc_u32_e64 v7, s30, 0
	scratch_load_b128 v[1:4], off, s27
	s_mul_i32 s27, s29, 28
	s_mov_b32 s30, 0
	s_mov_b32 s31, s26
	;; [unrolled: 1-line block ×3, first 2 shown]
	.p2align	6
.LBB229_39:                             ;   Parent Loop BB229_25 Depth=1
                                        ;     Parent Loop BB229_28 Depth=2
                                        ;       Parent Loop BB229_37 Depth=3
                                        ; =>      This Inner Loop Header: Depth=4
	scratch_load_b128 v[8:11], off, s33 offset:-8
	v_mov_b32_e32 v12, s31
	s_add_i32 s30, s30, 1
	s_add_i32 s33, s33, 16
	;; [unrolled: 1-line block ×3, first 2 shown]
	s_cmp_ge_u32 s30, s25
	ds_load_b128 v[12:15], v12
	s_waitcnt vmcnt(0) lgkmcnt(0)
	v_mul_f64 v[16:17], v[14:15], v[10:11]
	v_mul_f64 v[10:11], v[12:13], v[10:11]
	s_delay_alu instid0(VALU_DEP_2) | instskip(NEXT) | instid1(VALU_DEP_2)
	v_fma_f64 v[12:13], v[12:13], v[8:9], -v[16:17]
	v_fma_f64 v[8:9], v[14:15], v[8:9], v[10:11]
	s_delay_alu instid0(VALU_DEP_2) | instskip(NEXT) | instid1(VALU_DEP_2)
	v_add_f64 v[1:2], v[1:2], -v[12:13]
	v_add_f64 v[3:4], v[3:4], -v[8:9]
	scratch_store_b128 v7, v[1:4], off
	s_cbranch_scc0 .LBB229_39
; %bb.40:                               ;   in Loop: Header=BB229_37 Depth=3
	s_branch .LBB229_36
.LBB229_41:                             ;   in Loop: Header=BB229_37 Depth=3
                                        ; implicit-def: $vgpr1_vgpr2
                                        ; implicit-def: $sgpr29
                                        ; implicit-def: $sgpr27
	s_cbranch_execz .LBB229_36
; %bb.42:                               ;   in Loop: Header=BB229_37 Depth=3
	scratch_load_b128 v[1:4], off, off
	s_mov_b32 s27, s24
	s_mov_b32 s29, s7
	s_branch .LBB229_36
.LBB229_43:
	s_mov_b32 s4, 0
.LBB229_44:
	s_delay_alu instid0(SALU_CYCLE_1)
	s_and_b32 vcc_lo, exec_lo, s4
	s_cbranch_vccz .LBB229_64
; %bb.45:
	v_lshl_add_u32 v5, v0, 4, 0x3100
	s_mul_i32 s7, s15, 0x1c0
	s_mov_b32 s5, 0
	s_addk_i32 s7, 0xfe40
	s_mov_b32 s4, s5
	s_mov_b32 s8, s28
	s_branch .LBB229_47
.LBB229_46:                             ;   in Loop: Header=BB229_47 Depth=1
	s_cmp_lt_i32 s8, 0
	s_cselect_b32 s9, -1, 0
	s_add_i32 s4, s4, 1
	s_delay_alu instid0(SALU_CYCLE_1) | instskip(SKIP_1) | instid1(SALU_CYCLE_1)
	s_cmp_eq_u32 s4, 3
	s_cselect_b32 s10, -1, 0
	s_or_b32 s9, s9, s10
	s_delay_alu instid0(SALU_CYCLE_1)
	s_and_b32 vcc_lo, exec_lo, s9
	s_cbranch_vccnz .LBB229_64
.LBB229_47:                             ; =>This Loop Header: Depth=1
                                        ;     Child Loop BB229_50 Depth 2
                                        ;       Child Loop BB229_51 Depth 3
                                        ;       Child Loop BB229_53 Depth 3
                                        ;         Child Loop BB229_54 Depth 4
                                        ;       Child Loop BB229_58 Depth 3
                                        ;         Child Loop BB229_60 Depth 4
	s_getpc_b64 s[10:11]
	s_add_u32 s10, s10, __const._ZL38rocblas_trsm_small_left_device_sharedBILi28ELi28ELb0E19rocblas_complex_numIdES1_PKPKS1_PKPS1_Ev13rocblas_fill_18rocblas_operation_17rocblas_diagonal_iiT3_T4_lilT5_lili.step_sizes@rel32@lo+4
	s_addc_u32 s11, s11, __const._ZL38rocblas_trsm_small_left_device_sharedBILi28ELi28ELb0E19rocblas_complex_numIdES1_PKPKS1_PKPS1_Ev13rocblas_fill_18rocblas_operation_17rocblas_diagonal_iiT3_T4_lilT5_lili.step_sizes@rel32@hi+12
	s_lshl_b64 s[22:23], s[4:5], 2
	s_delay_alu instid0(SALU_CYCLE_1) | instskip(SKIP_4) | instid1(SALU_CYCLE_1)
	s_add_u32 s10, s22, s10
	s_addc_u32 s11, s23, s11
	s_load_b32 s9, s[10:11], 0x0
	s_waitcnt lgkmcnt(0)
	s_add_i32 s10, s9, -1
	s_cmp_lt_i32 s8, s10
	s_cbranch_scc1 .LBB229_46
; %bb.48:                               ;   in Loop: Header=BB229_47 Depth=1
	v_mad_u64_u32 v[6:7], null, 0x1c0, s8, v[5:6]
	s_lshl_b32 s22, s8, 4
	s_lshl_b32 s23, s9, 4
	s_max_i32 s11, s9, 1
	s_mul_i32 s16, s9, 0xfffffe40
	s_add_i32 s22, s7, s22
	s_sub_i32 s23, 0, s23
	s_mul_i32 s24, s8, 0x1d0
	s_mul_i32 s25, s9, 0xfffffe30
	s_branch .LBB229_50
.LBB229_49:                             ;   in Loop: Header=BB229_50 Depth=2
	v_add_nc_u32_e32 v6, s16, v6
	s_sub_i32 s8, s8, s9
	s_add_i32 s22, s22, s23
	s_add_i32 s24, s24, s25
	s_cmp_lt_i32 s8, s10
	s_cbranch_scc1 .LBB229_46
.LBB229_50:                             ;   Parent Loop BB229_47 Depth=1
                                        ; =>  This Loop Header: Depth=2
                                        ;       Child Loop BB229_51 Depth 3
                                        ;       Child Loop BB229_53 Depth 3
                                        ;         Child Loop BB229_54 Depth 4
                                        ;       Child Loop BB229_58 Depth 3
                                        ;         Child Loop BB229_60 Depth 4
	v_dual_mov_b32 v1, 0 :: v_dual_mov_b32 v2, v6
	s_mov_b32 s26, s11
.LBB229_51:                             ;   Parent Loop BB229_47 Depth=1
                                        ;     Parent Loop BB229_50 Depth=2
                                        ; =>    This Inner Loop Header: Depth=3
	ds_load_b128 v[7:10], v2
	v_add_nc_u32_e32 v2, 0xfffffe40, v2
	s_add_i32 s26, s26, -1
	s_delay_alu instid0(SALU_CYCLE_1)
	s_cmp_eq_u32 s26, 0
	s_waitcnt lgkmcnt(0)
	scratch_store_b128 v1, v[7:10], off
	v_add_nc_u32_e32 v1, 16, v1
	s_cbranch_scc0 .LBB229_51
; %bb.52:                               ;   in Loop: Header=BB229_50 Depth=2
	s_cmp_le_i32 s28, s8
	s_mov_b32 s26, s22
	s_mov_b32 s27, s28
	s_cbranch_scc1 .LBB229_56
	.p2align	6
.LBB229_53:                             ;   Parent Loop BB229_47 Depth=1
                                        ;     Parent Loop BB229_50 Depth=2
                                        ; =>    This Loop Header: Depth=3
                                        ;         Child Loop BB229_54 Depth 4
	s_mul_i32 s29, s27, 28
	s_mov_b32 s30, s11
	v_add_lshl_u32 v1, s29, v0, 4
	s_mov_b32 s29, s6
	s_mov_b32 s31, s26
	ds_load_b128 v[1:4], v1 offset:12544
	.p2align	6
.LBB229_54:                             ;   Parent Loop BB229_47 Depth=1
                                        ;     Parent Loop BB229_50 Depth=2
                                        ;       Parent Loop BB229_53 Depth=3
                                        ; =>      This Inner Loop Header: Depth=4
	scratch_load_b128 v[7:10], off, s29 offset:-8
	v_mov_b32_e32 v11, s31
	s_add_i32 s30, s30, -1
	s_add_i32 s31, s31, -16
	ds_load_b128 v[11:14], v11
	s_waitcnt lgkmcnt(0)
	v_mul_f64 v[15:16], v[3:4], v[13:14]
	v_mul_f64 v[13:14], v[1:2], v[13:14]
	s_delay_alu instid0(VALU_DEP_2) | instskip(NEXT) | instid1(VALU_DEP_2)
	v_fma_f64 v[15:16], v[1:2], v[11:12], -v[15:16]
	v_fma_f64 v[11:12], v[3:4], v[11:12], v[13:14]
	s_waitcnt vmcnt(0)
	s_delay_alu instid0(VALU_DEP_2) | instskip(NEXT) | instid1(VALU_DEP_2)
	v_add_f64 v[7:8], v[7:8], -v[15:16]
	v_add_f64 v[9:10], v[9:10], -v[11:12]
	scratch_store_b128 off, v[7:10], s29 offset:-8
	s_add_i32 s29, s29, 16
	s_cmp_eq_u32 s30, 0
	s_cbranch_scc0 .LBB229_54
; %bb.55:                               ;   in Loop: Header=BB229_53 Depth=3
	s_add_i32 s27, s27, -1
	s_addk_i32 s26, 0xfe40
	s_cmp_le_i32 s27, s8
	s_cbranch_scc0 .LBB229_53
.LBB229_56:                             ;   in Loop: Header=BB229_50 Depth=2
	s_mov_b32 s26, 0
	s_mov_b32 s27, s24
	s_branch .LBB229_58
.LBB229_57:                             ;   in Loop: Header=BB229_58 Depth=3
	s_mul_i32 s30, s29, 0x1d0
	s_mul_i32 s29, s29, 28
	v_mov_b32_e32 v7, s30
	s_lshl_b32 s30, s26, 4
	s_add_i32 s26, s26, 1
	s_add_i32 s27, s27, -16
	ds_load_b128 v[7:10], v7
	s_waitcnt vmcnt(0) lgkmcnt(0)
	v_mul_f64 v[11:12], v[9:10], v[3:4]
	v_mul_f64 v[3:4], v[7:8], v[3:4]
	s_delay_alu instid0(VALU_DEP_2) | instskip(NEXT) | instid1(VALU_DEP_2)
	v_fma_f64 v[7:8], v[7:8], v[1:2], -v[11:12]
	v_fma_f64 v[9:10], v[9:10], v[1:2], v[3:4]
	v_add_lshl_u32 v1, s29, v0, 4
	s_add_i32 s29, s30, 0
	s_cmp_eq_u32 s26, s11
	scratch_store_b128 off, v[7:10], s29
	ds_store_b128 v1, v[7:10] offset:12544
	s_cbranch_scc1 .LBB229_49
.LBB229_58:                             ;   Parent Loop BB229_47 Depth=1
                                        ;     Parent Loop BB229_50 Depth=2
                                        ; =>    This Loop Header: Depth=3
                                        ;         Child Loop BB229_60 Depth 4
	s_cmp_lg_u32 s26, 0
	s_cbranch_scc0 .LBB229_62
; %bb.59:                               ;   in Loop: Header=BB229_58 Depth=3
	s_lshl_b32 s30, s26, 4
	s_mov_b32 s31, s6
	s_add_i32 s29, s30, 0
	v_add_nc_u32_e64 v7, s30, 0
	scratch_load_b128 v[1:4], off, s29
	s_sub_i32 s29, s8, s26
	s_mov_b32 s30, 0
	s_mov_b32 s33, s27
	.p2align	6
.LBB229_60:                             ;   Parent Loop BB229_47 Depth=1
                                        ;     Parent Loop BB229_50 Depth=2
                                        ;       Parent Loop BB229_58 Depth=3
                                        ; =>      This Inner Loop Header: Depth=4
	scratch_load_b128 v[8:11], off, s31 offset:-8
	v_mov_b32_e32 v12, s33
	s_add_i32 s30, s30, 1
	s_addk_i32 s33, 0xfe40
	s_add_i32 s31, s31, 16
	s_cmp_ge_u32 s30, s26
	ds_load_b128 v[12:15], v12
	s_waitcnt vmcnt(0) lgkmcnt(0)
	v_mul_f64 v[16:17], v[14:15], v[10:11]
	v_mul_f64 v[10:11], v[12:13], v[10:11]
	s_delay_alu instid0(VALU_DEP_2) | instskip(NEXT) | instid1(VALU_DEP_2)
	v_fma_f64 v[12:13], v[12:13], v[8:9], -v[16:17]
	v_fma_f64 v[8:9], v[14:15], v[8:9], v[10:11]
	s_delay_alu instid0(VALU_DEP_2) | instskip(NEXT) | instid1(VALU_DEP_2)
	v_add_f64 v[1:2], v[1:2], -v[12:13]
	v_add_f64 v[3:4], v[3:4], -v[8:9]
	scratch_store_b128 v7, v[1:4], off
	s_cbranch_scc0 .LBB229_60
; %bb.61:                               ;   in Loop: Header=BB229_58 Depth=3
	s_branch .LBB229_57
.LBB229_62:                             ;   in Loop: Header=BB229_58 Depth=3
                                        ; implicit-def: $vgpr1_vgpr2
                                        ; implicit-def: $sgpr29
	s_cbranch_execz .LBB229_57
; %bb.63:                               ;   in Loop: Header=BB229_58 Depth=3
	scratch_load_b128 v[1:4], off, off
	s_mov_b32 s29, s8
	s_branch .LBB229_57
.LBB229_64:
	s_waitcnt vmcnt(0) lgkmcnt(0)
	s_waitcnt_vscnt null, 0x0
	; wave barrier
	s_waitcnt lgkmcnt(0)
	s_waitcnt_vscnt null, 0x0
	buffer_gl0_inv
	s_and_saveexec_b32 s4, s21
	s_cbranch_execz .LBB229_71
; %bb.65:
	s_cmp_lt_i32 s18, 8
	s_mov_b32 s4, 0
	s_cbranch_scc1 .LBB229_68
; %bb.66:
	v_mad_i64_i32 v[1:2], null, s17, v0, 0
	v_lshl_add_u32 v3, v0, 4, 0x3100
	s_lshl_b32 s4, s15, 4
	s_mov_b64 s[6:7], 0
	s_and_b32 s5, s4, 0x180
	s_mov_b32 s4, 0
	s_delay_alu instid0(VALU_DEP_2) | instskip(NEXT) | instid1(VALU_DEP_1)
	v_lshlrev_b64 v[1:2], 4, v[1:2]
	v_add_co_u32 v1, vcc_lo, s14, v1
	s_delay_alu instid0(VALU_DEP_2)
	v_add_co_ci_u32_e32 v2, vcc_lo, s19, v2, vcc_lo
.LBB229_67:                             ; =>This Inner Loop Header: Depth=1
	v_add_nc_u32_e32 v24, 0x8c0, v3
	v_add_nc_u32_e32 v28, 0xa80, v3
	;; [unrolled: 1-line block ×3, first 2 shown]
	ds_load_2addr_b64 v[4:7], v3 offset1:1
	ds_load_2addr_b64 v[8:11], v3 offset0:56 offset1:57
	ds_load_2addr_b64 v[12:15], v3 offset0:112 offset1:113
	;; [unrolled: 1-line block ×4, first 2 shown]
	ds_load_2addr_b64 v[24:27], v24 offset1:1
	ds_load_2addr_b64 v[28:31], v28 offset1:1
	;; [unrolled: 1-line block ×3, first 2 shown]
	v_add_co_u32 v36, vcc_lo, v1, s6
	v_add_co_ci_u32_e32 v37, vcc_lo, s7, v2, vcc_lo
	s_add_i32 s4, s4, 8
	v_add_nc_u32_e32 v3, 0xe00, v3
	s_add_u32 s6, s6, 0x80
	s_addc_u32 s7, s7, 0
	s_cmp_lg_u32 s5, s6
	s_waitcnt lgkmcnt(7)
	global_store_b128 v[36:37], v[4:7], off
	s_waitcnt lgkmcnt(6)
	global_store_b128 v[36:37], v[8:11], off offset:16
	s_waitcnt lgkmcnt(5)
	global_store_b128 v[36:37], v[12:15], off offset:32
	;; [unrolled: 2-line block ×7, first 2 shown]
	s_cbranch_scc1 .LBB229_67
.LBB229_68:
	s_and_b32 s6, s15, 7
	s_mov_b32 s5, 0
	s_cmp_eq_u32 s6, 0
	s_cbranch_scc1 .LBB229_71
; %bb.69:
	v_lshlrev_b32_e32 v2, 4, v0
	s_lshl_b64 s[2:3], s[2:3], 4
	s_lshl_b64 s[8:9], s[4:5], 4
	s_delay_alu instid0(VALU_DEP_1) | instskip(NEXT) | instid1(VALU_DEP_1)
	v_add_co_u32 v3, s2, s2, v2
	v_add_co_ci_u32_e64 v4, null, s3, 0, s2
	s_add_u32 s2, s12, s8
	s_addc_u32 s3, s13, s9
	s_add_u32 s0, s2, s0
	s_addc_u32 s1, s3, s1
	v_mul_lo_u32 v4, v4, s17
	v_mad_u64_u32 v[0:1], null, v3, s17, s[0:1]
	v_mul_lo_u32 v3, v3, s20
	s_mul_i32 s0, s4, 0x1c0
	s_delay_alu instid0(SALU_CYCLE_1) | instskip(NEXT) | instid1(VALU_DEP_2)
	v_add3_u32 v2, s0, v2, 0x3100
	v_add3_u32 v1, v4, v1, v3
.LBB229_70:                             ; =>This Inner Loop Header: Depth=1
	ds_load_2addr_b64 v[3:6], v2 offset1:1
	v_add_nc_u32_e32 v2, 0x1c0, v2
	s_add_i32 s6, s6, -1
	s_delay_alu instid0(SALU_CYCLE_1)
	s_cmp_lg_u32 s6, 0
	s_waitcnt lgkmcnt(0)
	global_store_b128 v[0:1], v[3:6], off
	v_add_co_u32 v0, vcc_lo, v0, 16
	v_add_co_ci_u32_e32 v1, vcc_lo, 0, v1, vcc_lo
	s_cbranch_scc1 .LBB229_70
.LBB229_71:
	s_nop 0
	s_sendmsg sendmsg(MSG_DEALLOC_VGPRS)
	s_endpgm
	.section	.rodata,"a",@progbits
	.p2align	6, 0x0
	.amdhsa_kernel _ZL38rocblas_trsm_small_left_device_sharedBILi28ELi28ELb0E19rocblas_complex_numIdES1_PKPKS1_PKPS1_Ev13rocblas_fill_18rocblas_operation_17rocblas_diagonal_iiT3_T4_lilT5_lili
		.amdhsa_group_segment_fixed_size 25088
		.amdhsa_private_segment_fixed_size 464
		.amdhsa_kernarg_size 368
		.amdhsa_user_sgpr_count 14
		.amdhsa_user_sgpr_dispatch_ptr 0
		.amdhsa_user_sgpr_queue_ptr 0
		.amdhsa_user_sgpr_kernarg_segment_ptr 1
		.amdhsa_user_sgpr_dispatch_id 0
		.amdhsa_user_sgpr_private_segment_size 0
		.amdhsa_wavefront_size32 1
		.amdhsa_uses_dynamic_stack 0
		.amdhsa_enable_private_segment 1
		.amdhsa_system_sgpr_workgroup_id_x 1
		.amdhsa_system_sgpr_workgroup_id_y 0
		.amdhsa_system_sgpr_workgroup_id_z 1
		.amdhsa_system_sgpr_workgroup_info 0
		.amdhsa_system_vgpr_workitem_id 0
		.amdhsa_next_free_vgpr 54
		.amdhsa_next_free_sgpr 34
		.amdhsa_reserve_vcc 1
		.amdhsa_float_round_mode_32 0
		.amdhsa_float_round_mode_16_64 0
		.amdhsa_float_denorm_mode_32 3
		.amdhsa_float_denorm_mode_16_64 3
		.amdhsa_dx10_clamp 1
		.amdhsa_ieee_mode 1
		.amdhsa_fp16_overflow 0
		.amdhsa_workgroup_processor_mode 1
		.amdhsa_memory_ordered 1
		.amdhsa_forward_progress 0
		.amdhsa_shared_vgpr_count 0
		.amdhsa_exception_fp_ieee_invalid_op 0
		.amdhsa_exception_fp_denorm_src 0
		.amdhsa_exception_fp_ieee_div_zero 0
		.amdhsa_exception_fp_ieee_overflow 0
		.amdhsa_exception_fp_ieee_underflow 0
		.amdhsa_exception_fp_ieee_inexact 0
		.amdhsa_exception_int_div_zero 0
	.end_amdhsa_kernel
	.section	.text._ZL38rocblas_trsm_small_left_device_sharedBILi28ELi28ELb0E19rocblas_complex_numIdES1_PKPKS1_PKPS1_Ev13rocblas_fill_18rocblas_operation_17rocblas_diagonal_iiT3_T4_lilT5_lili,"axG",@progbits,_ZL38rocblas_trsm_small_left_device_sharedBILi28ELi28ELb0E19rocblas_complex_numIdES1_PKPKS1_PKPS1_Ev13rocblas_fill_18rocblas_operation_17rocblas_diagonal_iiT3_T4_lilT5_lili,comdat
.Lfunc_end229:
	.size	_ZL38rocblas_trsm_small_left_device_sharedBILi28ELi28ELb0E19rocblas_complex_numIdES1_PKPKS1_PKPS1_Ev13rocblas_fill_18rocblas_operation_17rocblas_diagonal_iiT3_T4_lilT5_lili, .Lfunc_end229-_ZL38rocblas_trsm_small_left_device_sharedBILi28ELi28ELb0E19rocblas_complex_numIdES1_PKPKS1_PKPS1_Ev13rocblas_fill_18rocblas_operation_17rocblas_diagonal_iiT3_T4_lilT5_lili
                                        ; -- End function
	.section	.AMDGPU.csdata,"",@progbits
; Kernel info:
; codeLenInByte = 4308
; NumSgprs: 36
; NumVgprs: 54
; ScratchSize: 464
; MemoryBound: 0
; FloatMode: 240
; IeeeMode: 1
; LDSByteSize: 25088 bytes/workgroup (compile time only)
; SGPRBlocks: 4
; VGPRBlocks: 6
; NumSGPRsForWavesPerEU: 36
; NumVGPRsForWavesPerEU: 54
; Occupancy: 2
; WaveLimiterHint : 1
; COMPUTE_PGM_RSRC2:SCRATCH_EN: 1
; COMPUTE_PGM_RSRC2:USER_SGPR: 14
; COMPUTE_PGM_RSRC2:TRAP_HANDLER: 0
; COMPUTE_PGM_RSRC2:TGID_X_EN: 1
; COMPUTE_PGM_RSRC2:TGID_Y_EN: 0
; COMPUTE_PGM_RSRC2:TGID_Z_EN: 1
; COMPUTE_PGM_RSRC2:TIDIG_COMP_CNT: 0
	.section	.text._ZL30rocblas_trsm_small_left_deviceILi28ELi28ELb0E19rocblas_complex_numIdES1_PKPKS1_PKPS1_Ev13rocblas_fill_18rocblas_operation_17rocblas_diagonal_iiT3_T4_lilT5_lili,"axG",@progbits,_ZL30rocblas_trsm_small_left_deviceILi28ELi28ELb0E19rocblas_complex_numIdES1_PKPKS1_PKPS1_Ev13rocblas_fill_18rocblas_operation_17rocblas_diagonal_iiT3_T4_lilT5_lili,comdat
	.globl	_ZL30rocblas_trsm_small_left_deviceILi28ELi28ELb0E19rocblas_complex_numIdES1_PKPKS1_PKPS1_Ev13rocblas_fill_18rocblas_operation_17rocblas_diagonal_iiT3_T4_lilT5_lili ; -- Begin function _ZL30rocblas_trsm_small_left_deviceILi28ELi28ELb0E19rocblas_complex_numIdES1_PKPKS1_PKPS1_Ev13rocblas_fill_18rocblas_operation_17rocblas_diagonal_iiT3_T4_lilT5_lili
	.p2align	8
	.type	_ZL30rocblas_trsm_small_left_deviceILi28ELi28ELb0E19rocblas_complex_numIdES1_PKPKS1_PKPS1_Ev13rocblas_fill_18rocblas_operation_17rocblas_diagonal_iiT3_T4_lilT5_lili,@function
_ZL30rocblas_trsm_small_left_deviceILi28ELi28ELb0E19rocblas_complex_numIdES1_PKPKS1_PKPS1_Ev13rocblas_fill_18rocblas_operation_17rocblas_diagonal_iiT3_T4_lilT5_lili: ; @_ZL30rocblas_trsm_small_left_deviceILi28ELi28ELb0E19rocblas_complex_numIdES1_PKPKS1_PKPS1_Ev13rocblas_fill_18rocblas_operation_17rocblas_diagonal_iiT3_T4_lilT5_lili
; %bb.0:
	s_clause 0x1
	s_load_b128 s[20:23], s[0:1], 0x48
	s_load_b128 s[16:19], s[0:1], 0x4
	s_mov_b32 s2, s15
	s_mov_b32 s3, 0
	s_load_b32 s15, s[0:1], 0x70
	s_lshl_b64 s[24:25], s[2:3], 3
	s_waitcnt lgkmcnt(0)
	s_add_u32 s12, s20, s24
	s_addc_u32 s13, s21, s25
	s_load_b256 s[4:11], s[0:1], 0x18
	s_load_b64 s[12:13], s[12:13], 0x0
	s_min_i32 s29, s18, 28
	s_mov_b32 s18, exec_lo
	s_add_i32 s28, s29, -1
	v_cmpx_gt_i32_e64 s29, v0
	s_cbranch_execz .LBB230_15
; %bb.1:
	s_load_b32 s20, s[0:1], 0x38
	v_lshlrev_b32_e32 v3, 4, v0
	s_waitcnt lgkmcnt(0)
	s_ashr_i32 s21, s20, 31
	s_cmpk_eq_i32 s16, 0x71
	s_cselect_b32 vcc_lo, -1, 0
	s_add_u32 s8, s8, s24
	s_addc_u32 s9, s9, s25
	s_cmp_lt_u32 s28, 3
	s_load_b64 s[8:9], s[8:9], 0x0
	s_cbranch_scc1 .LBB230_4
; %bb.2:
	v_dual_mov_b32 v4, v3 :: v_dual_lshlrev_b32 v1, 4, v0
	s_lshl_b64 s[24:25], s[10:11], 4
	s_and_b32 s3, s29, -4
	s_waitcnt lgkmcnt(0)
	s_add_u32 s2, s8, s24
	s_addc_u32 s24, s9, s25
	v_add_co_u32 v1, s2, s2, v1
	s_delay_alu instid0(VALU_DEP_1) | instskip(SKIP_1) | instid1(VALU_DEP_2)
	v_add_co_ci_u32_e64 v2, null, s24, 0, s2
	s_lshl_b64 s[24:25], s[20:21], 6
	v_add_co_u32 v1, s2, v1, 8
	s_delay_alu instid0(VALU_DEP_1)
	v_add_co_ci_u32_e64 v2, s2, 0, v2, s2
	s_lshl_b64 s[26:27], s[20:21], 4
	s_mov_b32 s30, 0
.LBB230_3:                              ; =>This Inner Loop Header: Depth=1
	s_delay_alu instid0(VALU_DEP_2) | instskip(NEXT) | instid1(VALU_DEP_1)
	v_add_co_u32 v9, s2, v1, s26
	v_add_co_ci_u32_e64 v10, s2, s27, v2, s2
	s_add_i32 s30, s30, 4
	s_delay_alu instid0(VALU_DEP_2) | instskip(NEXT) | instid1(VALU_DEP_1)
	v_add_co_u32 v13, s2, v9, s26
	v_add_co_ci_u32_e64 v14, s2, s27, v10, s2
	s_cmp_eq_u32 s3, s30
	s_delay_alu instid0(VALU_DEP_2) | instskip(NEXT) | instid1(VALU_DEP_1)
	v_add_co_u32 v17, s2, v13, s26
	v_add_co_ci_u32_e64 v18, s2, s27, v14, s2
	s_clause 0x3
	global_load_b128 v[5:8], v[1:2], off offset:-8
	global_load_b128 v[9:12], v[9:10], off offset:-8
	;; [unrolled: 1-line block ×4, first 2 shown]
	v_add_co_u32 v1, s2, v1, s24
	s_delay_alu instid0(VALU_DEP_1)
	v_add_co_ci_u32_e64 v2, s2, s25, v2, s2
	s_waitcnt vmcnt(3)
	v_xor_b32_e32 v21, 0x80000000, v8
	s_waitcnt vmcnt(2)
	v_xor_b32_e32 v22, 0x80000000, v12
	;; [unrolled: 2-line block ×4, first 2 shown]
	v_cndmask_b32_e32 v8, v8, v21, vcc_lo
	v_cndmask_b32_e32 v12, v12, v22, vcc_lo
	;; [unrolled: 1-line block ×3, first 2 shown]
	s_delay_alu instid0(VALU_DEP_4)
	v_cndmask_b32_e32 v20, v20, v24, vcc_lo
	ds_store_b128 v4, v[5:8]
	ds_store_b128 v4, v[9:12] offset:448
	ds_store_b128 v4, v[13:16] offset:896
	;; [unrolled: 1-line block ×3, first 2 shown]
	v_add_nc_u32_e32 v4, 0x700, v4
	s_cbranch_scc0 .LBB230_3
.LBB230_4:
	s_and_b32 s24, s29, 3
	s_delay_alu instid0(SALU_CYCLE_1)
	s_cmp_eq_u32 s24, 0
	s_cbranch_scc1 .LBB230_7
; %bb.5:
	s_mul_i32 s2, s21, s3
	s_mul_hi_u32 s25, s20, s3
	s_mul_i32 s26, s20, s3
	s_add_i32 s27, s25, s2
	s_lshl_b64 s[10:11], s[10:11], 4
	s_lshl_b64 s[26:27], s[26:27], 4
	s_mul_i32 s2, s3, 0x1c0
	s_add_u32 s3, s26, s10
	s_addc_u32 s10, s27, s11
	s_waitcnt lgkmcnt(0)
	s_add_u32 s3, s8, s3
	s_addc_u32 s8, s9, s10
	v_add_co_u32 v1, s3, s3, v3
	s_delay_alu instid0(VALU_DEP_1) | instskip(SKIP_1) | instid1(VALU_DEP_3)
	v_add_co_ci_u32_e64 v2, null, s8, 0, s3
	v_lshl_add_u32 v3, v0, 4, s2
	v_add_co_u32 v1, s2, v1, 8
	s_delay_alu instid0(VALU_DEP_1)
	v_add_co_ci_u32_e64 v2, s2, 0, v2, s2
	s_lshl_b64 s[8:9], s[20:21], 4
.LBB230_6:                              ; =>This Inner Loop Header: Depth=1
	global_load_b128 v[4:7], v[1:2], off offset:-8
	v_add_co_u32 v1, s2, v1, s8
	s_delay_alu instid0(VALU_DEP_1) | instskip(SKIP_1) | instid1(SALU_CYCLE_1)
	v_add_co_ci_u32_e64 v2, s2, s9, v2, s2
	s_add_i32 s24, s24, -1
	s_cmp_lg_u32 s24, 0
	s_waitcnt vmcnt(0)
	v_xor_b32_e32 v8, 0x80000000, v7
	s_delay_alu instid0(VALU_DEP_1)
	v_cndmask_b32_e32 v7, v7, v8, vcc_lo
	ds_store_b128 v3, v[4:7]
	v_add_nc_u32_e32 v3, 0x1c0, v3
	s_cbranch_scc1 .LBB230_6
.LBB230_7:
	v_mul_u32_u24_e32 v1, 29, v0
	s_cmpk_lg_i32 s17, 0x84
	s_delay_alu instid0(VALU_DEP_1)
	v_lshlrev_b32_e32 v9, 4, v1
	s_cbranch_scc0 .LBB230_13
; %bb.8:
	ds_load_b128 v[1:4], v9
	s_waitcnt lgkmcnt(0)
	v_cmp_gt_f64_e32 vcc_lo, 0, v[1:2]
	v_xor_b32_e32 v6, 0x80000000, v2
	v_mov_b32_e32 v5, v1
	v_xor_b32_e32 v7, 0x80000000, v4
	s_delay_alu instid0(VALU_DEP_3) | instskip(SKIP_1) | instid1(VALU_DEP_3)
	v_cndmask_b32_e32 v6, v2, v6, vcc_lo
	v_cmp_gt_f64_e32 vcc_lo, 0, v[3:4]
	v_dual_cndmask_b32 v8, v4, v7 :: v_dual_mov_b32 v7, v3
	s_delay_alu instid0(VALU_DEP_1) | instskip(SKIP_1) | instid1(SALU_CYCLE_1)
	v_cmp_ngt_f64_e32 vcc_lo, v[5:6], v[7:8]
                                        ; implicit-def: $vgpr7_vgpr8
	s_and_saveexec_b32 s2, vcc_lo
	s_xor_b32 s2, exec_lo, s2
	s_cbranch_execz .LBB230_10
; %bb.9:
	v_div_scale_f64 v[5:6], null, v[3:4], v[3:4], v[1:2]
	v_div_scale_f64 v[12:13], vcc_lo, v[1:2], v[3:4], v[1:2]
	s_delay_alu instid0(VALU_DEP_2) | instskip(SKIP_2) | instid1(VALU_DEP_1)
	v_rcp_f64_e32 v[7:8], v[5:6]
	s_waitcnt_depctr 0xfff
	v_fma_f64 v[10:11], -v[5:6], v[7:8], 1.0
	v_fma_f64 v[7:8], v[7:8], v[10:11], v[7:8]
	s_delay_alu instid0(VALU_DEP_1) | instskip(NEXT) | instid1(VALU_DEP_1)
	v_fma_f64 v[10:11], -v[5:6], v[7:8], 1.0
	v_fma_f64 v[7:8], v[7:8], v[10:11], v[7:8]
	s_delay_alu instid0(VALU_DEP_1) | instskip(NEXT) | instid1(VALU_DEP_1)
	v_mul_f64 v[10:11], v[12:13], v[7:8]
	v_fma_f64 v[5:6], -v[5:6], v[10:11], v[12:13]
	s_delay_alu instid0(VALU_DEP_1) | instskip(NEXT) | instid1(VALU_DEP_1)
	v_div_fmas_f64 v[5:6], v[5:6], v[7:8], v[10:11]
	v_div_fixup_f64 v[5:6], v[5:6], v[3:4], v[1:2]
	s_delay_alu instid0(VALU_DEP_1) | instskip(NEXT) | instid1(VALU_DEP_1)
	v_fma_f64 v[1:2], v[1:2], v[5:6], v[3:4]
	v_div_scale_f64 v[3:4], null, v[1:2], v[1:2], 1.0
	v_div_scale_f64 v[12:13], vcc_lo, 1.0, v[1:2], 1.0
	s_delay_alu instid0(VALU_DEP_2) | instskip(SKIP_2) | instid1(VALU_DEP_1)
	v_rcp_f64_e32 v[7:8], v[3:4]
	s_waitcnt_depctr 0xfff
	v_fma_f64 v[10:11], -v[3:4], v[7:8], 1.0
	v_fma_f64 v[7:8], v[7:8], v[10:11], v[7:8]
	s_delay_alu instid0(VALU_DEP_1) | instskip(NEXT) | instid1(VALU_DEP_1)
	v_fma_f64 v[10:11], -v[3:4], v[7:8], 1.0
	v_fma_f64 v[7:8], v[7:8], v[10:11], v[7:8]
	s_delay_alu instid0(VALU_DEP_1) | instskip(NEXT) | instid1(VALU_DEP_1)
	v_mul_f64 v[10:11], v[12:13], v[7:8]
	v_fma_f64 v[3:4], -v[3:4], v[10:11], v[12:13]
	s_delay_alu instid0(VALU_DEP_1) | instskip(SKIP_1) | instid1(VALU_DEP_2)
	v_div_fmas_f64 v[3:4], v[3:4], v[7:8], v[10:11]
	v_add_f64 v[7:8], v[5:6], 0
	v_div_fixup_f64 v[1:2], v[3:4], v[1:2], 1.0
	v_fma_f64 v[3:4], v[5:6], 0, -1.0
	s_delay_alu instid0(VALU_DEP_2) | instskip(NEXT) | instid1(VALU_DEP_2)
	v_mul_f64 v[5:6], v[7:8], v[1:2]
	v_mul_f64 v[7:8], v[3:4], v[1:2]
                                        ; implicit-def: $vgpr1_vgpr2
.LBB230_10:
	s_and_not1_saveexec_b32 s2, s2
	s_cbranch_execz .LBB230_12
; %bb.11:
	v_div_scale_f64 v[5:6], null, v[1:2], v[1:2], v[3:4]
	v_div_scale_f64 v[12:13], vcc_lo, v[3:4], v[1:2], v[3:4]
	s_delay_alu instid0(VALU_DEP_2) | instskip(SKIP_2) | instid1(VALU_DEP_1)
	v_rcp_f64_e32 v[7:8], v[5:6]
	s_waitcnt_depctr 0xfff
	v_fma_f64 v[10:11], -v[5:6], v[7:8], 1.0
	v_fma_f64 v[7:8], v[7:8], v[10:11], v[7:8]
	s_delay_alu instid0(VALU_DEP_1) | instskip(NEXT) | instid1(VALU_DEP_1)
	v_fma_f64 v[10:11], -v[5:6], v[7:8], 1.0
	v_fma_f64 v[7:8], v[7:8], v[10:11], v[7:8]
	s_delay_alu instid0(VALU_DEP_1) | instskip(NEXT) | instid1(VALU_DEP_1)
	v_mul_f64 v[10:11], v[12:13], v[7:8]
	v_fma_f64 v[5:6], -v[5:6], v[10:11], v[12:13]
	s_delay_alu instid0(VALU_DEP_1) | instskip(NEXT) | instid1(VALU_DEP_1)
	v_div_fmas_f64 v[5:6], v[5:6], v[7:8], v[10:11]
	v_div_fixup_f64 v[5:6], v[5:6], v[1:2], v[3:4]
	s_delay_alu instid0(VALU_DEP_1) | instskip(NEXT) | instid1(VALU_DEP_1)
	v_fma_f64 v[1:2], v[3:4], v[5:6], v[1:2]
	v_div_scale_f64 v[3:4], null, v[1:2], v[1:2], 1.0
	v_div_scale_f64 v[12:13], vcc_lo, 1.0, v[1:2], 1.0
	s_delay_alu instid0(VALU_DEP_2) | instskip(SKIP_2) | instid1(VALU_DEP_1)
	v_rcp_f64_e32 v[7:8], v[3:4]
	s_waitcnt_depctr 0xfff
	v_fma_f64 v[10:11], -v[3:4], v[7:8], 1.0
	v_fma_f64 v[7:8], v[7:8], v[10:11], v[7:8]
	s_delay_alu instid0(VALU_DEP_1) | instskip(NEXT) | instid1(VALU_DEP_1)
	v_fma_f64 v[10:11], -v[3:4], v[7:8], 1.0
	v_fma_f64 v[7:8], v[7:8], v[10:11], v[7:8]
	s_delay_alu instid0(VALU_DEP_1) | instskip(NEXT) | instid1(VALU_DEP_1)
	v_mul_f64 v[10:11], v[12:13], v[7:8]
	v_fma_f64 v[3:4], -v[3:4], v[10:11], v[12:13]
	s_delay_alu instid0(VALU_DEP_1) | instskip(SKIP_1) | instid1(VALU_DEP_2)
	v_div_fmas_f64 v[3:4], v[3:4], v[7:8], v[10:11]
	v_fma_f64 v[7:8], v[5:6], 0, 1.0
	v_div_fixup_f64 v[1:2], v[3:4], v[1:2], 1.0
	v_add_f64 v[3:4], -v[5:6], 0
	s_delay_alu instid0(VALU_DEP_2) | instskip(NEXT) | instid1(VALU_DEP_2)
	v_mul_f64 v[5:6], v[7:8], v[1:2]
	v_mul_f64 v[7:8], v[3:4], v[1:2]
.LBB230_12:
	s_or_b32 exec_lo, exec_lo, s2
	s_branch .LBB230_14
.LBB230_13:
	v_mov_b32_e32 v5, 0
	v_dual_mov_b32 v6, 0x3ff00000 :: v_dual_mov_b32 v7, 0
	v_mov_b32_e32 v8, 0
.LBB230_14:
	ds_store_b128 v9, v[5:8]
.LBB230_15:
	s_or_b32 exec_lo, exec_lo, s18
	s_mul_i32 s2, s14, 0xffffffe4
	s_add_i32 s15, s15, -1
	s_add_i32 s2, s2, s19
	s_cmp_ge_u32 s14, s15
	s_waitcnt lgkmcnt(0)
	s_cselect_b32 s2, s2, 28
	; wave barrier
	buffer_gl0_inv
	v_cmp_gt_i32_e32 vcc_lo, s2, v0
	s_mov_b32 s2, -1
	s_and_saveexec_b32 s3, vcc_lo
	s_cbranch_execz .LBB230_58
; %bb.16:
	s_load_b32 s0, s[0:1], 0x58
	v_mad_u64_u32 v[1:2], null, s14, 28, v[0:1]
	s_waitcnt lgkmcnt(0)
	s_delay_alu instid0(VALU_DEP_1) | instskip(SKIP_1) | instid1(SALU_CYCLE_1)
	v_mad_i64_i32 v[2:3], null, s0, v1, 0
	s_lshl_b64 s[0:1], s[22:23], 4
	s_add_u32 s3, s12, s0
	s_addc_u32 s8, s13, s1
	s_or_b32 s20, 0, 8
	s_cmpk_eq_i32 s16, 0x6f
	s_delay_alu instid0(VALU_DEP_1) | instskip(NEXT) | instid1(VALU_DEP_1)
	v_lshlrev_b64 v[4:5], 4, v[2:3]
	v_add_co_u32 v8, vcc_lo, s3, v4
	s_delay_alu instid0(VALU_DEP_2)
	v_add_co_ci_u32_e32 v9, vcc_lo, s8, v5, vcc_lo
	s_cbranch_scc1 .LBB230_38
; %bb.17:
	s_add_u32 s2, s12, s0
	s_addc_u32 s3, s13, s1
	v_add_co_u32 v0, vcc_lo, s2, v4
	v_add_co_ci_u32_e32 v1, vcc_lo, s3, v5, vcc_lo
	s_mov_b32 s3, 0
	s_delay_alu instid0(VALU_DEP_2) | instskip(NEXT) | instid1(VALU_DEP_2)
	v_add_co_u32 v10, vcc_lo, v0, 8
	v_add_co_ci_u32_e32 v11, vcc_lo, 0, v1, vcc_lo
	s_mov_b32 s8, s3
	s_mov_b32 s10, s3
	s_branch .LBB230_19
.LBB230_18:                             ;   in Loop: Header=BB230_19 Depth=1
	s_cmp_ge_i32 s10, s29
	s_cselect_b32 s2, -1, 0
	s_add_i32 s8, s8, 1
	s_delay_alu instid0(SALU_CYCLE_1) | instskip(SKIP_1) | instid1(SALU_CYCLE_1)
	s_cmp_eq_u32 s8, 3
	s_cselect_b32 s9, -1, 0
	s_or_b32 s2, s2, s9
	s_delay_alu instid0(SALU_CYCLE_1)
	s_and_not1_b32 vcc_lo, exec_lo, s2
	s_cbranch_vccz .LBB230_37
.LBB230_19:                             ; =>This Loop Header: Depth=1
                                        ;     Child Loop BB230_22 Depth 2
                                        ;       Child Loop BB230_23 Depth 3
                                        ;       Child Loop BB230_26 Depth 3
                                        ;         Child Loop BB230_27 Depth 4
                                        ;       Child Loop BB230_31 Depth 3
                                        ;         Child Loop BB230_33 Depth 4
	s_mov_b32 s9, s3
	s_getpc_b64 s[14:15]
	s_add_u32 s14, s14, __const._ZL30rocblas_trsm_small_left_deviceILi28ELi28ELb0E19rocblas_complex_numIdES1_PKPKS1_PKPS1_Ev13rocblas_fill_18rocblas_operation_17rocblas_diagonal_iiT3_T4_lilT5_lili.step_sizes@rel32@lo+4
	s_addc_u32 s15, s15, __const._ZL30rocblas_trsm_small_left_deviceILi28ELi28ELb0E19rocblas_complex_numIdES1_PKPKS1_PKPS1_Ev13rocblas_fill_18rocblas_operation_17rocblas_diagonal_iiT3_T4_lilT5_lili.step_sizes@rel32@hi+12
	s_lshl_b64 s[16:17], s[8:9], 2
	s_delay_alu instid0(SALU_CYCLE_1) | instskip(SKIP_4) | instid1(SALU_CYCLE_1)
	s_add_u32 s14, s16, s14
	s_addc_u32 s15, s17, s15
	s_load_b32 s14, s[14:15], 0x0
	s_waitcnt lgkmcnt(0)
	s_add_i32 s9, s14, -1
	s_add_i32 s2, s9, s10
	s_delay_alu instid0(SALU_CYCLE_1)
	s_cmp_ge_i32 s2, s29
	s_cbranch_scc1 .LBB230_18
; %bb.20:                               ;   in Loop: Header=BB230_19 Depth=1
	s_ashr_i32 s11, s10, 31
	s_ashr_i32 s15, s14, 31
	s_lshl_b64 s[16:17], s[10:11], 4
	s_max_i32 s21, s14, 1
	v_add_co_u32 v6, vcc_lo, v10, s16
	v_add_co_ci_u32_e32 v7, vcc_lo, s17, v11, vcc_lo
	s_lshl_b64 s[16:17], s[14:15], 4
	s_mul_i32 s11, s10, 0x1c0
	s_mul_i32 s15, s14, 0x1c0
	;; [unrolled: 1-line block ×4, first 2 shown]
	s_branch .LBB230_22
.LBB230_21:                             ;   in Loop: Header=BB230_22 Depth=2
	v_add_co_u32 v6, vcc_lo, v6, s16
	s_add_i32 s10, s10, s14
	v_add_co_ci_u32_e32 v7, vcc_lo, s17, v7, vcc_lo
	s_add_i32 s2, s9, s10
	s_add_i32 s11, s11, s15
	;; [unrolled: 1-line block ×3, first 2 shown]
	s_cmp_ge_i32 s2, s29
	s_cbranch_scc1 .LBB230_18
.LBB230_22:                             ;   Parent Loop BB230_19 Depth=1
                                        ; =>  This Loop Header: Depth=2
                                        ;       Child Loop BB230_23 Depth 3
                                        ;       Child Loop BB230_26 Depth 3
                                        ;         Child Loop BB230_27 Depth 4
                                        ;       Child Loop BB230_31 Depth 3
                                        ;         Child Loop BB230_33 Depth 4
	v_dual_mov_b32 v0, v6 :: v_dual_mov_b32 v1, v7
	s_mov_b32 s2, 8
	s_mov_b32 s18, s21
	.p2align	6
.LBB230_23:                             ;   Parent Loop BB230_19 Depth=1
                                        ;     Parent Loop BB230_22 Depth=2
                                        ; =>    This Inner Loop Header: Depth=3
	global_load_b128 v[12:15], v[0:1], off offset:-8
	v_add_co_u32 v0, vcc_lo, v0, 16
	v_add_co_ci_u32_e32 v1, vcc_lo, 0, v1, vcc_lo
	s_add_i32 s18, s18, -1
	s_add_i32 s19, s2, 0
	s_add_i32 s2, s2, 16
	s_cmp_eq_u32 s18, 0
	s_waitcnt vmcnt(0)
	v_mul_f64 v[2:3], s[6:7], v[14:15]
	v_mul_f64 v[16:17], s[4:5], v[14:15]
	s_delay_alu instid0(VALU_DEP_2) | instskip(NEXT) | instid1(VALU_DEP_2)
	v_fma_f64 v[14:15], s[4:5], v[12:13], -v[2:3]
	v_fma_f64 v[16:17], s[6:7], v[12:13], v[16:17]
	scratch_store_b128 off, v[14:17], s19 offset:-8
	s_cbranch_scc0 .LBB230_23
; %bb.24:                               ;   in Loop: Header=BB230_22 Depth=2
	s_cmp_lt_i32 s10, 1
	s_cbranch_scc1 .LBB230_29
; %bb.25:                               ;   in Loop: Header=BB230_22 Depth=2
	s_mov_b32 s2, 0
	s_mov_b32 s18, s11
	s_set_inst_prefetch_distance 0x1
	.p2align	6
.LBB230_26:                             ;   Parent Loop BB230_19 Depth=1
                                        ;     Parent Loop BB230_22 Depth=2
                                        ; =>    This Loop Header: Depth=3
                                        ;         Child Loop BB230_27 Depth 4
	s_lshl_b64 s[24:25], s[2:3], 4
	s_mov_b32 s19, s20
	v_add_co_u32 v0, vcc_lo, v8, s24
	v_add_co_ci_u32_e32 v1, vcc_lo, s25, v9, vcc_lo
	s_mov_b32 s24, s18
	s_mov_b32 s25, s21
	global_load_b128 v[0:3], v[0:1], off
	.p2align	6
.LBB230_27:                             ;   Parent Loop BB230_19 Depth=1
                                        ;     Parent Loop BB230_22 Depth=2
                                        ;       Parent Loop BB230_26 Depth=3
                                        ; =>      This Inner Loop Header: Depth=4
	scratch_load_b128 v[12:15], off, s19 offset:-8
	v_mov_b32_e32 v16, s24
	s_add_i32 s25, s25, -1
	s_addk_i32 s24, 0x1c0
	ds_load_b128 v[16:19], v16
	s_waitcnt vmcnt(1) lgkmcnt(0)
	v_mul_f64 v[20:21], v[2:3], v[18:19]
	v_mul_f64 v[18:19], v[0:1], v[18:19]
	s_delay_alu instid0(VALU_DEP_2) | instskip(NEXT) | instid1(VALU_DEP_2)
	v_fma_f64 v[20:21], v[0:1], v[16:17], -v[20:21]
	v_fma_f64 v[16:17], v[2:3], v[16:17], v[18:19]
	s_waitcnt vmcnt(0)
	s_delay_alu instid0(VALU_DEP_2) | instskip(NEXT) | instid1(VALU_DEP_2)
	v_add_f64 v[12:13], v[12:13], -v[20:21]
	v_add_f64 v[14:15], v[14:15], -v[16:17]
	scratch_store_b128 off, v[12:15], s19 offset:-8
	s_add_i32 s19, s19, 16
	s_cmp_eq_u32 s25, 0
	s_cbranch_scc0 .LBB230_27
; %bb.28:                               ;   in Loop: Header=BB230_26 Depth=3
	s_add_i32 s2, s2, 1
	s_add_i32 s18, s18, 16
	s_cmp_ge_i32 s2, s10
	s_cbranch_scc0 .LBB230_26
.LBB230_29:                             ;   in Loop: Header=BB230_22 Depth=2
	s_set_inst_prefetch_distance 0x2
	s_mov_b32 s2, 0
	s_mov_b32 s24, s22
	s_branch .LBB230_31
.LBB230_30:                             ;   in Loop: Header=BB230_31 Depth=3
	s_mul_i32 s19, s18, 0x1d0
	s_lshl_b32 s25, s2, 4
	v_mov_b32_e32 v12, s19
	s_ashr_i32 s19, s18, 31
	s_add_i32 s2, s2, 1
	s_lshl_b64 s[18:19], s[18:19], 4
	s_addk_i32 s24, 0x1c0
	ds_load_b128 v[12:15], v12
	s_waitcnt vmcnt(0) lgkmcnt(0)
	v_mul_f64 v[16:17], v[14:15], v[2:3]
	v_mul_f64 v[2:3], v[12:13], v[2:3]
	s_delay_alu instid0(VALU_DEP_2) | instskip(NEXT) | instid1(VALU_DEP_2)
	v_fma_f64 v[12:13], v[12:13], v[0:1], -v[16:17]
	v_fma_f64 v[14:15], v[14:15], v[0:1], v[2:3]
	v_add_co_u32 v0, vcc_lo, v8, s18
	v_add_co_ci_u32_e32 v1, vcc_lo, s19, v9, vcc_lo
	s_add_i32 s18, s25, 0
	s_cmp_eq_u32 s2, s21
	scratch_store_b128 off, v[12:15], s18
	global_store_b128 v[0:1], v[12:15], off
	s_cbranch_scc1 .LBB230_21
.LBB230_31:                             ;   Parent Loop BB230_19 Depth=1
                                        ;     Parent Loop BB230_22 Depth=2
                                        ; =>    This Loop Header: Depth=3
                                        ;         Child Loop BB230_33 Depth 4
	s_cmp_lg_u32 s2, 0
	s_cbranch_scc0 .LBB230_35
; %bb.32:                               ;   in Loop: Header=BB230_31 Depth=3
	s_lshl_b32 s19, s2, 4
	s_mov_b32 s25, s24
	s_add_i32 s18, s19, 0
	v_add_nc_u32_e64 v12, s19, 0
	scratch_load_b128 v[0:3], off, s18
	s_add_i32 s18, s2, s10
	s_mov_b32 s19, 0
	s_mov_b32 s26, s20
	.p2align	6
.LBB230_33:                             ;   Parent Loop BB230_19 Depth=1
                                        ;     Parent Loop BB230_22 Depth=2
                                        ;       Parent Loop BB230_31 Depth=3
                                        ; =>      This Inner Loop Header: Depth=4
	scratch_load_b128 v[13:16], off, s26 offset:-8
	v_mov_b32_e32 v17, s25
	s_add_i32 s19, s19, 1
	s_add_i32 s26, s26, 16
	;; [unrolled: 1-line block ×3, first 2 shown]
	s_cmp_ge_u32 s19, s2
	ds_load_b128 v[17:20], v17
	s_waitcnt vmcnt(0) lgkmcnt(0)
	v_mul_f64 v[21:22], v[19:20], v[15:16]
	v_mul_f64 v[15:16], v[17:18], v[15:16]
	s_delay_alu instid0(VALU_DEP_2) | instskip(NEXT) | instid1(VALU_DEP_2)
	v_fma_f64 v[17:18], v[17:18], v[13:14], -v[21:22]
	v_fma_f64 v[13:14], v[19:20], v[13:14], v[15:16]
	s_delay_alu instid0(VALU_DEP_2) | instskip(NEXT) | instid1(VALU_DEP_2)
	v_add_f64 v[0:1], v[0:1], -v[17:18]
	v_add_f64 v[2:3], v[2:3], -v[13:14]
	scratch_store_b128 v12, v[0:3], off
	s_cbranch_scc0 .LBB230_33
; %bb.34:                               ;   in Loop: Header=BB230_31 Depth=3
	s_branch .LBB230_30
.LBB230_35:                             ;   in Loop: Header=BB230_31 Depth=3
                                        ; implicit-def: $vgpr0_vgpr1
                                        ; implicit-def: $sgpr18
	s_cbranch_execz .LBB230_30
; %bb.36:                               ;   in Loop: Header=BB230_31 Depth=3
	scratch_load_b128 v[0:3], off, off
	s_mov_b32 s18, s10
	s_branch .LBB230_30
.LBB230_37:
	s_mov_b32 s2, 0
.LBB230_38:
	s_delay_alu instid0(SALU_CYCLE_1)
	s_and_b32 vcc_lo, exec_lo, s2
	s_cbranch_vccz .LBB230_58
; %bb.39:
	s_add_u32 s0, s12, s0
	s_addc_u32 s1, s13, s1
	v_add_co_u32 v0, vcc_lo, s0, v4
	v_add_co_ci_u32_e32 v1, vcc_lo, s1, v5, vcc_lo
	s_mul_i32 s12, s29, 0x1c0
	s_delay_alu instid0(VALU_DEP_2) | instskip(NEXT) | instid1(VALU_DEP_2)
	v_add_co_u32 v4, vcc_lo, v0, 8
	v_add_co_ci_u32_e32 v5, vcc_lo, 0, v1, vcc_lo
	s_mov_b32 s1, 0
	s_addk_i32 s12, 0xfe40
	s_mov_b32 s2, s28
	s_mov_b32 s0, s1
	s_branch .LBB230_41
.LBB230_40:                             ;   in Loop: Header=BB230_41 Depth=1
	s_cmp_lt_i32 s2, 0
	s_cselect_b32 s3, -1, 0
	s_add_i32 s0, s0, 1
	s_delay_alu instid0(SALU_CYCLE_1) | instskip(SKIP_1) | instid1(SALU_CYCLE_1)
	s_cmp_eq_u32 s0, 3
	s_cselect_b32 s8, -1, 0
	s_or_b32 s3, s3, s8
	s_delay_alu instid0(SALU_CYCLE_1)
	s_and_b32 vcc_lo, exec_lo, s3
	s_cbranch_vccnz .LBB230_58
.LBB230_41:                             ; =>This Loop Header: Depth=1
                                        ;     Child Loop BB230_44 Depth 2
                                        ;       Child Loop BB230_45 Depth 3
                                        ;       Child Loop BB230_47 Depth 3
                                        ;         Child Loop BB230_48 Depth 4
                                        ;       Child Loop BB230_52 Depth 3
                                        ;         Child Loop BB230_54 Depth 4
	s_getpc_b64 s[8:9]
	s_add_u32 s8, s8, __const._ZL30rocblas_trsm_small_left_deviceILi28ELi28ELb0E19rocblas_complex_numIdES1_PKPKS1_PKPS1_Ev13rocblas_fill_18rocblas_operation_17rocblas_diagonal_iiT3_T4_lilT5_lili.step_sizes@rel32@lo+4
	s_addc_u32 s9, s9, __const._ZL30rocblas_trsm_small_left_deviceILi28ELi28ELb0E19rocblas_complex_numIdES1_PKPKS1_PKPS1_Ev13rocblas_fill_18rocblas_operation_17rocblas_diagonal_iiT3_T4_lilT5_lili.step_sizes@rel32@hi+12
	s_lshl_b64 s[10:11], s[0:1], 2
	s_delay_alu instid0(SALU_CYCLE_1) | instskip(SKIP_4) | instid1(SALU_CYCLE_1)
	s_add_u32 s8, s10, s8
	s_addc_u32 s9, s11, s9
	s_load_b32 s13, s[8:9], 0x0
	s_waitcnt lgkmcnt(0)
	s_add_i32 s14, s13, -1
	s_cmp_lt_i32 s2, s14
	s_cbranch_scc1 .LBB230_40
; %bb.42:                               ;   in Loop: Header=BB230_41 Depth=1
	s_lshl_b32 s3, s2, 4
	s_lshl_b32 s8, s13, 4
	s_max_i32 s15, s13, 1
	s_add_i32 s16, s12, s3
	s_sub_i32 s17, 0, s8
	s_mul_i32 s18, s2, 0x1d0
	s_mul_i32 s19, s13, 0xfffffe30
	s_branch .LBB230_44
.LBB230_43:                             ;   in Loop: Header=BB230_44 Depth=2
	s_sub_i32 s2, s2, s13
	s_add_i32 s16, s16, s17
	s_add_i32 s18, s18, s19
	s_cmp_lt_i32 s2, s14
	s_cbranch_scc1 .LBB230_40
.LBB230_44:                             ;   Parent Loop BB230_41 Depth=1
                                        ; =>  This Loop Header: Depth=2
                                        ;       Child Loop BB230_45 Depth 3
                                        ;       Child Loop BB230_47 Depth 3
                                        ;         Child Loop BB230_48 Depth 4
                                        ;       Child Loop BB230_52 Depth 3
                                        ;         Child Loop BB230_54 Depth 4
	s_ashr_i32 s3, s2, 31
	s_delay_alu instid0(SALU_CYCLE_1) | instskip(NEXT) | instid1(SALU_CYCLE_1)
	s_lshl_b64 s[8:9], s[2:3], 4
	v_add_co_u32 v0, vcc_lo, v4, s8
	v_add_co_ci_u32_e32 v1, vcc_lo, s9, v5, vcc_lo
	s_mov_b32 s8, 8
	s_mov_b32 s9, s15
	.p2align	6
.LBB230_45:                             ;   Parent Loop BB230_41 Depth=1
                                        ;     Parent Loop BB230_44 Depth=2
                                        ; =>    This Inner Loop Header: Depth=3
	global_load_b128 v[10:13], v[0:1], off offset:-8
	v_add_co_u32 v0, vcc_lo, v0, -16
	v_add_co_ci_u32_e32 v1, vcc_lo, -1, v1, vcc_lo
	s_add_i32 s9, s9, -1
	s_add_i32 s10, s8, 0
	s_add_i32 s8, s8, 16
	s_cmp_eq_u32 s9, 0
	s_waitcnt vmcnt(0)
	v_mul_f64 v[2:3], s[6:7], v[12:13]
	v_mul_f64 v[6:7], s[4:5], v[12:13]
	s_delay_alu instid0(VALU_DEP_2) | instskip(NEXT) | instid1(VALU_DEP_2)
	v_fma_f64 v[12:13], s[4:5], v[10:11], -v[2:3]
	v_fma_f64 v[14:15], s[6:7], v[10:11], v[6:7]
	scratch_store_b128 off, v[12:15], s10 offset:-8
	s_cbranch_scc0 .LBB230_45
; %bb.46:                               ;   in Loop: Header=BB230_44 Depth=2
	s_cmp_le_i32 s28, s2
	s_mov_b32 s10, s16
	s_mov_b32 s8, s28
	s_cbranch_scc1 .LBB230_50
	.p2align	6
.LBB230_47:                             ;   Parent Loop BB230_41 Depth=1
                                        ;     Parent Loop BB230_44 Depth=2
                                        ; =>    This Loop Header: Depth=3
                                        ;         Child Loop BB230_48 Depth 4
	s_ashr_i32 s9, s8, 31
	s_mov_b32 s11, s15
	s_lshl_b64 s[22:23], s[8:9], 4
	s_mov_b32 s9, s20
	v_add_co_u32 v0, vcc_lo, v8, s22
	v_add_co_ci_u32_e32 v1, vcc_lo, s23, v9, vcc_lo
	s_mov_b32 s21, s10
	global_load_b128 v[0:3], v[0:1], off
	.p2align	6
.LBB230_48:                             ;   Parent Loop BB230_41 Depth=1
                                        ;     Parent Loop BB230_44 Depth=2
                                        ;       Parent Loop BB230_47 Depth=3
                                        ; =>      This Inner Loop Header: Depth=4
	scratch_load_b128 v[10:13], off, s9 offset:-8
	v_mov_b32_e32 v6, s21
	s_add_i32 s11, s11, -1
	s_add_i32 s21, s21, -16
	ds_load_b128 v[14:17], v6
	s_waitcnt vmcnt(1) lgkmcnt(0)
	v_mul_f64 v[6:7], v[2:3], v[16:17]
	v_mul_f64 v[16:17], v[0:1], v[16:17]
	s_delay_alu instid0(VALU_DEP_2) | instskip(NEXT) | instid1(VALU_DEP_2)
	v_fma_f64 v[6:7], v[0:1], v[14:15], -v[6:7]
	v_fma_f64 v[14:15], v[2:3], v[14:15], v[16:17]
	s_waitcnt vmcnt(0)
	s_delay_alu instid0(VALU_DEP_2) | instskip(NEXT) | instid1(VALU_DEP_2)
	v_add_f64 v[10:11], v[10:11], -v[6:7]
	v_add_f64 v[12:13], v[12:13], -v[14:15]
	scratch_store_b128 off, v[10:13], s9 offset:-8
	s_add_i32 s9, s9, 16
	s_cmp_eq_u32 s11, 0
	s_cbranch_scc0 .LBB230_48
; %bb.49:                               ;   in Loop: Header=BB230_47 Depth=3
	s_add_i32 s8, s8, -1
	s_addk_i32 s10, 0xfe40
	s_cmp_le_i32 s8, s2
	s_cbranch_scc0 .LBB230_47
.LBB230_50:                             ;   in Loop: Header=BB230_44 Depth=2
	s_mov_b32 s21, 0
	s_mov_b32 s22, s18
	s_branch .LBB230_52
.LBB230_51:                             ;   in Loop: Header=BB230_52 Depth=3
	s_mulk_i32 s10, 0x1d0
	s_lshl_b64 s[8:9], s[8:9], 4
	v_mov_b32_e32 v6, s10
	s_lshl_b32 s10, s21, 4
	s_add_i32 s21, s21, 1
	s_add_i32 s22, s22, -16
	ds_load_b128 v[10:13], v6
	s_waitcnt vmcnt(0) lgkmcnt(0)
	v_mul_f64 v[6:7], v[12:13], v[2:3]
	v_mul_f64 v[2:3], v[10:11], v[2:3]
	s_delay_alu instid0(VALU_DEP_2) | instskip(NEXT) | instid1(VALU_DEP_2)
	v_fma_f64 v[10:11], v[10:11], v[0:1], -v[6:7]
	v_fma_f64 v[12:13], v[12:13], v[0:1], v[2:3]
	v_add_co_u32 v0, vcc_lo, v8, s8
	v_add_co_ci_u32_e32 v1, vcc_lo, s9, v9, vcc_lo
	s_add_i32 s8, s10, 0
	s_cmp_eq_u32 s21, s15
	scratch_store_b128 off, v[10:13], s8
	global_store_b128 v[0:1], v[10:13], off
	s_cbranch_scc1 .LBB230_43
.LBB230_52:                             ;   Parent Loop BB230_41 Depth=1
                                        ;     Parent Loop BB230_44 Depth=2
                                        ; =>    This Loop Header: Depth=3
                                        ;         Child Loop BB230_54 Depth 4
	s_cmp_lg_u32 s21, 0
	s_cbranch_scc0 .LBB230_56
; %bb.53:                               ;   in Loop: Header=BB230_52 Depth=3
	s_lshl_b32 s8, s21, 4
	s_mov_b32 s10, s22
	s_add_i32 s9, s8, 0
	v_add_nc_u32_e64 v6, s8, 0
	scratch_load_b128 v[0:3], off, s9
	s_mov_b32 s8, 0
	s_mov_b32 s9, s20
	.p2align	6
.LBB230_54:                             ;   Parent Loop BB230_41 Depth=1
                                        ;     Parent Loop BB230_44 Depth=2
                                        ;       Parent Loop BB230_52 Depth=3
                                        ; =>      This Inner Loop Header: Depth=4
	scratch_load_b128 v[10:13], off, s9 offset:-8
	v_mov_b32_e32 v7, s10
	s_add_i32 s8, s8, 1
	s_addk_i32 s10, 0xfe40
	s_add_i32 s9, s9, 16
	s_cmp_ge_u32 s8, s21
	ds_load_b128 v[14:17], v7
	s_waitcnt vmcnt(0) lgkmcnt(0)
	v_mul_f64 v[18:19], v[16:17], v[12:13]
	v_mul_f64 v[12:13], v[14:15], v[12:13]
	s_delay_alu instid0(VALU_DEP_2) | instskip(NEXT) | instid1(VALU_DEP_2)
	v_fma_f64 v[14:15], v[14:15], v[10:11], -v[18:19]
	v_fma_f64 v[10:11], v[16:17], v[10:11], v[12:13]
	s_delay_alu instid0(VALU_DEP_2) | instskip(NEXT) | instid1(VALU_DEP_2)
	v_add_f64 v[0:1], v[0:1], -v[14:15]
	v_add_f64 v[2:3], v[2:3], -v[10:11]
	scratch_store_b128 v6, v[0:3], off
	s_cbranch_scc0 .LBB230_54
; %bb.55:                               ;   in Loop: Header=BB230_52 Depth=3
	s_sub_i32 s10, s2, s21
	s_delay_alu instid0(SALU_CYCLE_1) | instskip(NEXT) | instid1(SALU_CYCLE_1)
	s_ashr_i32 s11, s10, 31
	s_mov_b64 s[8:9], s[10:11]
	s_branch .LBB230_51
.LBB230_56:                             ;   in Loop: Header=BB230_52 Depth=3
                                        ; implicit-def: $vgpr0_vgpr1
                                        ; implicit-def: $sgpr10
                                        ; implicit-def: $sgpr8_sgpr9
	s_cbranch_execz .LBB230_51
; %bb.57:                               ;   in Loop: Header=BB230_52 Depth=3
	scratch_load_b128 v[0:3], off, off
	s_mov_b64 s[8:9], s[2:3]
	s_mov_b32 s10, s2
	s_branch .LBB230_51
.LBB230_58:
	s_endpgm
	.section	.rodata,"a",@progbits
	.p2align	6, 0x0
	.amdhsa_kernel _ZL30rocblas_trsm_small_left_deviceILi28ELi28ELb0E19rocblas_complex_numIdES1_PKPKS1_PKPS1_Ev13rocblas_fill_18rocblas_operation_17rocblas_diagonal_iiT3_T4_lilT5_lili
		.amdhsa_group_segment_fixed_size 12544
		.amdhsa_private_segment_fixed_size 464
		.amdhsa_kernarg_size 368
		.amdhsa_user_sgpr_count 14
		.amdhsa_user_sgpr_dispatch_ptr 0
		.amdhsa_user_sgpr_queue_ptr 0
		.amdhsa_user_sgpr_kernarg_segment_ptr 1
		.amdhsa_user_sgpr_dispatch_id 0
		.amdhsa_user_sgpr_private_segment_size 0
		.amdhsa_wavefront_size32 1
		.amdhsa_uses_dynamic_stack 0
		.amdhsa_enable_private_segment 1
		.amdhsa_system_sgpr_workgroup_id_x 1
		.amdhsa_system_sgpr_workgroup_id_y 0
		.amdhsa_system_sgpr_workgroup_id_z 1
		.amdhsa_system_sgpr_workgroup_info 0
		.amdhsa_system_vgpr_workitem_id 0
		.amdhsa_next_free_vgpr 25
		.amdhsa_next_free_sgpr 31
		.amdhsa_reserve_vcc 1
		.amdhsa_float_round_mode_32 0
		.amdhsa_float_round_mode_16_64 0
		.amdhsa_float_denorm_mode_32 3
		.amdhsa_float_denorm_mode_16_64 3
		.amdhsa_dx10_clamp 1
		.amdhsa_ieee_mode 1
		.amdhsa_fp16_overflow 0
		.amdhsa_workgroup_processor_mode 1
		.amdhsa_memory_ordered 1
		.amdhsa_forward_progress 0
		.amdhsa_shared_vgpr_count 0
		.amdhsa_exception_fp_ieee_invalid_op 0
		.amdhsa_exception_fp_denorm_src 0
		.amdhsa_exception_fp_ieee_div_zero 0
		.amdhsa_exception_fp_ieee_overflow 0
		.amdhsa_exception_fp_ieee_underflow 0
		.amdhsa_exception_fp_ieee_inexact 0
		.amdhsa_exception_int_div_zero 0
	.end_amdhsa_kernel
	.section	.text._ZL30rocblas_trsm_small_left_deviceILi28ELi28ELb0E19rocblas_complex_numIdES1_PKPKS1_PKPS1_Ev13rocblas_fill_18rocblas_operation_17rocblas_diagonal_iiT3_T4_lilT5_lili,"axG",@progbits,_ZL30rocblas_trsm_small_left_deviceILi28ELi28ELb0E19rocblas_complex_numIdES1_PKPKS1_PKPS1_Ev13rocblas_fill_18rocblas_operation_17rocblas_diagonal_iiT3_T4_lilT5_lili,comdat
.Lfunc_end230:
	.size	_ZL30rocblas_trsm_small_left_deviceILi28ELi28ELb0E19rocblas_complex_numIdES1_PKPKS1_PKPS1_Ev13rocblas_fill_18rocblas_operation_17rocblas_diagonal_iiT3_T4_lilT5_lili, .Lfunc_end230-_ZL30rocblas_trsm_small_left_deviceILi28ELi28ELb0E19rocblas_complex_numIdES1_PKPKS1_PKPS1_Ev13rocblas_fill_18rocblas_operation_17rocblas_diagonal_iiT3_T4_lilT5_lili
                                        ; -- End function
	.section	.AMDGPU.csdata,"",@progbits
; Kernel info:
; codeLenInByte = 3188
; NumSgprs: 33
; NumVgprs: 25
; ScratchSize: 464
; MemoryBound: 0
; FloatMode: 240
; IeeeMode: 1
; LDSByteSize: 12544 bytes/workgroup (compile time only)
; SGPRBlocks: 4
; VGPRBlocks: 3
; NumSGPRsForWavesPerEU: 33
; NumVGPRsForWavesPerEU: 25
; Occupancy: 3
; WaveLimiterHint : 1
; COMPUTE_PGM_RSRC2:SCRATCH_EN: 1
; COMPUTE_PGM_RSRC2:USER_SGPR: 14
; COMPUTE_PGM_RSRC2:TRAP_HANDLER: 0
; COMPUTE_PGM_RSRC2:TGID_X_EN: 1
; COMPUTE_PGM_RSRC2:TGID_Y_EN: 0
; COMPUTE_PGM_RSRC2:TGID_Z_EN: 1
; COMPUTE_PGM_RSRC2:TIDIG_COMP_CNT: 0
	.section	.text._ZL38rocblas_trsm_small_left_device_sharedBILi28ELi28ELb1E19rocblas_complex_numIdES1_PKPKS1_PKPS1_Ev13rocblas_fill_18rocblas_operation_17rocblas_diagonal_iiT3_T4_lilT5_lili,"axG",@progbits,_ZL38rocblas_trsm_small_left_device_sharedBILi28ELi28ELb1E19rocblas_complex_numIdES1_PKPKS1_PKPS1_Ev13rocblas_fill_18rocblas_operation_17rocblas_diagonal_iiT3_T4_lilT5_lili,comdat
	.globl	_ZL38rocblas_trsm_small_left_device_sharedBILi28ELi28ELb1E19rocblas_complex_numIdES1_PKPKS1_PKPS1_Ev13rocblas_fill_18rocblas_operation_17rocblas_diagonal_iiT3_T4_lilT5_lili ; -- Begin function _ZL38rocblas_trsm_small_left_device_sharedBILi28ELi28ELb1E19rocblas_complex_numIdES1_PKPKS1_PKPS1_Ev13rocblas_fill_18rocblas_operation_17rocblas_diagonal_iiT3_T4_lilT5_lili
	.p2align	8
	.type	_ZL38rocblas_trsm_small_left_device_sharedBILi28ELi28ELb1E19rocblas_complex_numIdES1_PKPKS1_PKPS1_Ev13rocblas_fill_18rocblas_operation_17rocblas_diagonal_iiT3_T4_lilT5_lili,@function
_ZL38rocblas_trsm_small_left_device_sharedBILi28ELi28ELb1E19rocblas_complex_numIdES1_PKPKS1_PKPS1_Ev13rocblas_fill_18rocblas_operation_17rocblas_diagonal_iiT3_T4_lilT5_lili: ; @_ZL38rocblas_trsm_small_left_device_sharedBILi28ELi28ELb1E19rocblas_complex_numIdES1_PKPKS1_PKPS1_Ev13rocblas_fill_18rocblas_operation_17rocblas_diagonal_iiT3_T4_lilT5_lili
; %bb.0:
	s_clause 0x1
	s_load_b128 s[20:23], s[0:1], 0x48
	s_load_b128 s[16:19], s[0:1], 0x4
	s_mov_b32 s2, s15
	s_mov_b32 s3, 0
	s_load_b32 s29, s[0:1], 0x70
	s_lshl_b64 s[24:25], s[2:3], 3
	s_mov_b32 s30, exec_lo
	s_waitcnt lgkmcnt(0)
	s_add_u32 s12, s20, s24
	s_addc_u32 s13, s21, s25
	s_load_b256 s[4:11], s[0:1], 0x18
	s_load_b64 s[12:13], s[12:13], 0x0
	s_min_i32 s15, s18, 28
	s_delay_alu instid0(SALU_CYCLE_1)
	s_add_i32 s28, s15, -1
	v_cmpx_gt_i32_e64 s15, v0
	s_cbranch_execz .LBB231_15
; %bb.1:
	s_load_b32 s20, s[0:1], 0x38
	s_waitcnt lgkmcnt(0)
	s_ashr_i32 s21, s20, 31
	s_cmpk_eq_i32 s16, 0x71
	s_cselect_b32 vcc_lo, -1, 0
	s_add_u32 s8, s8, s24
	s_addc_u32 s9, s9, s25
	s_cmp_lt_u32 s28, 3
	s_load_b64 s[8:9], s[8:9], 0x0
	s_cbranch_scc1 .LBB231_4
; %bb.2:
	v_lshlrev_b32_e32 v1, 4, v0
	s_lshl_b64 s[24:25], s[10:11], 4
	s_and_b32 s3, s15, -4
	s_waitcnt lgkmcnt(0)
	s_add_u32 s2, s8, s24
	s_addc_u32 s24, s9, s25
	v_add_co_u32 v1, s2, s2, v1
	s_delay_alu instid0(VALU_DEP_1) | instskip(SKIP_1) | instid1(VALU_DEP_3)
	v_add_co_ci_u32_e64 v2, null, s24, 0, s2
	v_lshlrev_b32_e32 v3, 4, v0
	v_add_co_u32 v1, s2, v1, 8
	s_delay_alu instid0(VALU_DEP_1)
	v_add_co_ci_u32_e64 v2, s2, 0, v2, s2
	s_lshl_b64 s[24:25], s[20:21], 6
	s_lshl_b64 s[26:27], s[20:21], 4
	s_mov_b32 s31, 0
.LBB231_3:                              ; =>This Inner Loop Header: Depth=1
	v_add_co_u32 v8, s2, v1, s26
	s_delay_alu instid0(VALU_DEP_1) | instskip(SKIP_1) | instid1(VALU_DEP_2)
	v_add_co_ci_u32_e64 v9, s2, s27, v2, s2
	s_add_i32 s31, s31, 4
	v_add_co_u32 v12, s2, v8, s26
	s_delay_alu instid0(VALU_DEP_1) | instskip(SKIP_1) | instid1(VALU_DEP_2)
	v_add_co_ci_u32_e64 v13, s2, s27, v9, s2
	s_cmp_eq_u32 s3, s31
	v_add_co_u32 v16, s2, v12, s26
	s_delay_alu instid0(VALU_DEP_1)
	v_add_co_ci_u32_e64 v17, s2, s27, v13, s2
	s_clause 0x3
	global_load_b128 v[4:7], v[1:2], off offset:-8
	global_load_b128 v[8:11], v[8:9], off offset:-8
	;; [unrolled: 1-line block ×4, first 2 shown]
	v_add_co_u32 v1, s2, v1, s24
	s_delay_alu instid0(VALU_DEP_1)
	v_add_co_ci_u32_e64 v2, s2, s25, v2, s2
	s_waitcnt vmcnt(3)
	v_xor_b32_e32 v20, 0x80000000, v7
	s_waitcnt vmcnt(2)
	v_xor_b32_e32 v21, 0x80000000, v11
	;; [unrolled: 2-line block ×4, first 2 shown]
	v_cndmask_b32_e32 v7, v7, v20, vcc_lo
	v_cndmask_b32_e32 v11, v11, v21, vcc_lo
	;; [unrolled: 1-line block ×3, first 2 shown]
	s_delay_alu instid0(VALU_DEP_4)
	v_cndmask_b32_e32 v19, v19, v23, vcc_lo
	ds_store_b128 v3, v[4:7]
	ds_store_b128 v3, v[8:11] offset:448
	ds_store_b128 v3, v[12:15] offset:896
	;; [unrolled: 1-line block ×3, first 2 shown]
	v_add_nc_u32_e32 v3, 0x700, v3
	s_cbranch_scc0 .LBB231_3
.LBB231_4:
	s_and_b32 s24, s15, 3
	s_delay_alu instid0(SALU_CYCLE_1)
	s_cmp_eq_u32 s24, 0
	s_cbranch_scc1 .LBB231_7
; %bb.5:
	s_mul_i32 s2, s21, s3
	s_mul_hi_u32 s25, s20, s3
	s_mul_i32 s26, s20, s3
	s_add_i32 s27, s25, s2
	s_lshl_b64 s[10:11], s[10:11], 4
	s_lshl_b64 s[26:27], s[26:27], 4
	v_lshlrev_b32_e32 v1, 4, v0
	s_mul_i32 s2, s3, 0x1c0
	s_add_u32 s3, s26, s10
	s_addc_u32 s10, s27, s11
	s_waitcnt lgkmcnt(0)
	s_add_u32 s3, s8, s3
	s_addc_u32 s8, s9, s10
	v_add_co_u32 v1, s3, s3, v1
	s_delay_alu instid0(VALU_DEP_1) | instskip(SKIP_1) | instid1(VALU_DEP_3)
	v_add_co_ci_u32_e64 v2, null, s8, 0, s3
	v_lshl_add_u32 v3, v0, 4, s2
	v_add_co_u32 v1, s2, v1, 8
	s_delay_alu instid0(VALU_DEP_1)
	v_add_co_ci_u32_e64 v2, s2, 0, v2, s2
	s_lshl_b64 s[8:9], s[20:21], 4
.LBB231_6:                              ; =>This Inner Loop Header: Depth=1
	global_load_b128 v[4:7], v[1:2], off offset:-8
	v_add_co_u32 v1, s2, v1, s8
	s_delay_alu instid0(VALU_DEP_1) | instskip(SKIP_1) | instid1(SALU_CYCLE_1)
	v_add_co_ci_u32_e64 v2, s2, s9, v2, s2
	s_add_i32 s24, s24, -1
	s_cmp_lg_u32 s24, 0
	s_waitcnt vmcnt(0)
	v_xor_b32_e32 v8, 0x80000000, v7
	s_delay_alu instid0(VALU_DEP_1)
	v_cndmask_b32_e32 v7, v7, v8, vcc_lo
	ds_store_b128 v3, v[4:7]
	v_add_nc_u32_e32 v3, 0x1c0, v3
	s_cbranch_scc1 .LBB231_6
.LBB231_7:
	v_mul_u32_u24_e32 v1, 29, v0
	s_cmpk_lg_i32 s17, 0x84
	s_delay_alu instid0(VALU_DEP_1)
	v_lshlrev_b32_e32 v9, 4, v1
	s_cbranch_scc0 .LBB231_13
; %bb.8:
	ds_load_b128 v[1:4], v9
	s_waitcnt lgkmcnt(0)
	v_cmp_gt_f64_e32 vcc_lo, 0, v[1:2]
	v_xor_b32_e32 v6, 0x80000000, v2
	v_mov_b32_e32 v5, v1
	v_xor_b32_e32 v7, 0x80000000, v4
	s_delay_alu instid0(VALU_DEP_3) | instskip(SKIP_1) | instid1(VALU_DEP_3)
	v_cndmask_b32_e32 v6, v2, v6, vcc_lo
	v_cmp_gt_f64_e32 vcc_lo, 0, v[3:4]
	v_dual_cndmask_b32 v8, v4, v7 :: v_dual_mov_b32 v7, v3
	s_delay_alu instid0(VALU_DEP_1) | instskip(SKIP_1) | instid1(SALU_CYCLE_1)
	v_cmp_ngt_f64_e32 vcc_lo, v[5:6], v[7:8]
                                        ; implicit-def: $vgpr7_vgpr8
	s_and_saveexec_b32 s2, vcc_lo
	s_xor_b32 s2, exec_lo, s2
	s_cbranch_execz .LBB231_10
; %bb.9:
	v_div_scale_f64 v[5:6], null, v[3:4], v[3:4], v[1:2]
	v_div_scale_f64 v[12:13], vcc_lo, v[1:2], v[3:4], v[1:2]
	s_delay_alu instid0(VALU_DEP_2) | instskip(SKIP_2) | instid1(VALU_DEP_1)
	v_rcp_f64_e32 v[7:8], v[5:6]
	s_waitcnt_depctr 0xfff
	v_fma_f64 v[10:11], -v[5:6], v[7:8], 1.0
	v_fma_f64 v[7:8], v[7:8], v[10:11], v[7:8]
	s_delay_alu instid0(VALU_DEP_1) | instskip(NEXT) | instid1(VALU_DEP_1)
	v_fma_f64 v[10:11], -v[5:6], v[7:8], 1.0
	v_fma_f64 v[7:8], v[7:8], v[10:11], v[7:8]
	s_delay_alu instid0(VALU_DEP_1) | instskip(NEXT) | instid1(VALU_DEP_1)
	v_mul_f64 v[10:11], v[12:13], v[7:8]
	v_fma_f64 v[5:6], -v[5:6], v[10:11], v[12:13]
	s_delay_alu instid0(VALU_DEP_1) | instskip(NEXT) | instid1(VALU_DEP_1)
	v_div_fmas_f64 v[5:6], v[5:6], v[7:8], v[10:11]
	v_div_fixup_f64 v[5:6], v[5:6], v[3:4], v[1:2]
	s_delay_alu instid0(VALU_DEP_1) | instskip(NEXT) | instid1(VALU_DEP_1)
	v_fma_f64 v[1:2], v[1:2], v[5:6], v[3:4]
	v_div_scale_f64 v[3:4], null, v[1:2], v[1:2], 1.0
	v_div_scale_f64 v[12:13], vcc_lo, 1.0, v[1:2], 1.0
	s_delay_alu instid0(VALU_DEP_2) | instskip(SKIP_2) | instid1(VALU_DEP_1)
	v_rcp_f64_e32 v[7:8], v[3:4]
	s_waitcnt_depctr 0xfff
	v_fma_f64 v[10:11], -v[3:4], v[7:8], 1.0
	v_fma_f64 v[7:8], v[7:8], v[10:11], v[7:8]
	s_delay_alu instid0(VALU_DEP_1) | instskip(NEXT) | instid1(VALU_DEP_1)
	v_fma_f64 v[10:11], -v[3:4], v[7:8], 1.0
	v_fma_f64 v[7:8], v[7:8], v[10:11], v[7:8]
	s_delay_alu instid0(VALU_DEP_1) | instskip(NEXT) | instid1(VALU_DEP_1)
	v_mul_f64 v[10:11], v[12:13], v[7:8]
	v_fma_f64 v[3:4], -v[3:4], v[10:11], v[12:13]
	s_delay_alu instid0(VALU_DEP_1) | instskip(SKIP_1) | instid1(VALU_DEP_2)
	v_div_fmas_f64 v[3:4], v[3:4], v[7:8], v[10:11]
	v_add_f64 v[7:8], v[5:6], 0
	v_div_fixup_f64 v[1:2], v[3:4], v[1:2], 1.0
	v_fma_f64 v[3:4], v[5:6], 0, -1.0
	s_delay_alu instid0(VALU_DEP_2) | instskip(NEXT) | instid1(VALU_DEP_2)
	v_mul_f64 v[5:6], v[7:8], v[1:2]
	v_mul_f64 v[7:8], v[3:4], v[1:2]
                                        ; implicit-def: $vgpr1_vgpr2
.LBB231_10:
	s_and_not1_saveexec_b32 s2, s2
	s_cbranch_execz .LBB231_12
; %bb.11:
	v_div_scale_f64 v[5:6], null, v[1:2], v[1:2], v[3:4]
	v_div_scale_f64 v[12:13], vcc_lo, v[3:4], v[1:2], v[3:4]
	s_delay_alu instid0(VALU_DEP_2) | instskip(SKIP_2) | instid1(VALU_DEP_1)
	v_rcp_f64_e32 v[7:8], v[5:6]
	s_waitcnt_depctr 0xfff
	v_fma_f64 v[10:11], -v[5:6], v[7:8], 1.0
	v_fma_f64 v[7:8], v[7:8], v[10:11], v[7:8]
	s_delay_alu instid0(VALU_DEP_1) | instskip(NEXT) | instid1(VALU_DEP_1)
	v_fma_f64 v[10:11], -v[5:6], v[7:8], 1.0
	v_fma_f64 v[7:8], v[7:8], v[10:11], v[7:8]
	s_delay_alu instid0(VALU_DEP_1) | instskip(NEXT) | instid1(VALU_DEP_1)
	v_mul_f64 v[10:11], v[12:13], v[7:8]
	v_fma_f64 v[5:6], -v[5:6], v[10:11], v[12:13]
	s_delay_alu instid0(VALU_DEP_1) | instskip(NEXT) | instid1(VALU_DEP_1)
	v_div_fmas_f64 v[5:6], v[5:6], v[7:8], v[10:11]
	v_div_fixup_f64 v[5:6], v[5:6], v[1:2], v[3:4]
	s_delay_alu instid0(VALU_DEP_1) | instskip(NEXT) | instid1(VALU_DEP_1)
	v_fma_f64 v[1:2], v[3:4], v[5:6], v[1:2]
	v_div_scale_f64 v[3:4], null, v[1:2], v[1:2], 1.0
	v_div_scale_f64 v[12:13], vcc_lo, 1.0, v[1:2], 1.0
	s_delay_alu instid0(VALU_DEP_2) | instskip(SKIP_2) | instid1(VALU_DEP_1)
	v_rcp_f64_e32 v[7:8], v[3:4]
	s_waitcnt_depctr 0xfff
	v_fma_f64 v[10:11], -v[3:4], v[7:8], 1.0
	v_fma_f64 v[7:8], v[7:8], v[10:11], v[7:8]
	s_delay_alu instid0(VALU_DEP_1) | instskip(NEXT) | instid1(VALU_DEP_1)
	v_fma_f64 v[10:11], -v[3:4], v[7:8], 1.0
	v_fma_f64 v[7:8], v[7:8], v[10:11], v[7:8]
	s_delay_alu instid0(VALU_DEP_1) | instskip(NEXT) | instid1(VALU_DEP_1)
	v_mul_f64 v[10:11], v[12:13], v[7:8]
	v_fma_f64 v[3:4], -v[3:4], v[10:11], v[12:13]
	s_delay_alu instid0(VALU_DEP_1) | instskip(SKIP_1) | instid1(VALU_DEP_2)
	v_div_fmas_f64 v[3:4], v[3:4], v[7:8], v[10:11]
	v_fma_f64 v[7:8], v[5:6], 0, 1.0
	v_div_fixup_f64 v[1:2], v[3:4], v[1:2], 1.0
	v_add_f64 v[3:4], -v[5:6], 0
	s_delay_alu instid0(VALU_DEP_2) | instskip(NEXT) | instid1(VALU_DEP_2)
	v_mul_f64 v[5:6], v[7:8], v[1:2]
	v_mul_f64 v[7:8], v[3:4], v[1:2]
.LBB231_12:
	s_or_b32 exec_lo, exec_lo, s2
	s_branch .LBB231_14
.LBB231_13:
	v_mov_b32_e32 v5, 0
	v_dual_mov_b32 v6, 0x3ff00000 :: v_dual_mov_b32 v7, 0
	v_mov_b32_e32 v8, 0
.LBB231_14:
	ds_store_b128 v9, v[5:8]
.LBB231_15:
	s_or_b32 exec_lo, exec_lo, s30
	s_load_b32 s17, s[0:1], 0x58
	s_lshl_b64 s[0:1], s[22:23], 4
	s_mul_i32 s3, s14, 0xffffffe4
	s_mul_i32 s2, s14, 28
	s_waitcnt lgkmcnt(0)
	s_ashr_i32 s20, s17, 31
	s_add_u32 s10, s12, s0
	s_addc_u32 s11, s13, s1
	s_add_i32 s29, s29, -1
	s_add_i32 s3, s3, s19
	s_mul_hi_i32 s9, s17, s2
	s_cmp_ge_u32 s14, s29
	s_mul_i32 s8, s17, s2
	s_cselect_b32 s21, s3, 28
	s_lshl_b64 s[8:9], s[8:9], 4
	s_ashr_i32 s3, s2, 31
	s_add_u32 s14, s10, s8
	s_addc_u32 s19, s11, s9
	v_cmp_gt_i32_e32 vcc_lo, s21, v0
	s_cmp_gt_i32 s18, 0
	s_mov_b32 s8, 0
	s_cselect_b32 s9, -1, 0
	s_delay_alu instid0(SALU_CYCLE_1) | instskip(NEXT) | instid1(SALU_CYCLE_1)
	s_and_b32 s21, vcc_lo, s9
	s_and_saveexec_b32 s22, s21
	s_cbranch_execz .LBB231_22
; %bb.16:
	s_cmp_lt_i32 s18, 8
	s_cbranch_scc1 .LBB231_19
; %bb.17:
	v_mad_i64_i32 v[1:2], null, s17, v0, 0
	v_lshl_add_u32 v3, v0, 4, 0x3100
	s_lshl_b32 s8, s15, 4
	s_mov_b64 s[10:11], 0
	s_and_b32 s9, s8, 0x180
	s_mov_b32 s8, 0
	s_delay_alu instid0(VALU_DEP_2) | instskip(NEXT) | instid1(VALU_DEP_1)
	v_lshlrev_b64 v[1:2], 4, v[1:2]
	v_add_co_u32 v1, vcc_lo, s14, v1
	s_delay_alu instid0(VALU_DEP_2)
	v_add_co_ci_u32_e32 v2, vcc_lo, s19, v2, vcc_lo
.LBB231_18:                             ; =>This Inner Loop Header: Depth=1
	s_delay_alu instid0(VALU_DEP_2) | instskip(NEXT) | instid1(VALU_DEP_2)
	v_add_co_u32 v32, vcc_lo, v1, s10
	v_add_co_ci_u32_e32 v33, vcc_lo, s11, v2, vcc_lo
	s_add_i32 s8, s8, 8
	s_add_u32 s10, s10, 0x80
	s_addc_u32 s11, s11, 0
	s_clause 0x7
	global_load_b128 v[4:7], v[32:33], off
	global_load_b128 v[8:11], v[32:33], off offset:16
	global_load_b128 v[12:15], v[32:33], off offset:32
	global_load_b128 v[16:19], v[32:33], off offset:48
	global_load_b128 v[20:23], v[32:33], off offset:64
	global_load_b128 v[24:27], v[32:33], off offset:80
	global_load_b128 v[28:31], v[32:33], off offset:96
	global_load_b128 v[32:35], v[32:33], off offset:112
	s_cmp_lg_u32 s9, s10
	s_waitcnt vmcnt(7)
	v_mul_f64 v[36:37], s[6:7], v[6:7]
	v_mul_f64 v[6:7], s[4:5], v[6:7]
	s_waitcnt vmcnt(6)
	v_mul_f64 v[38:39], s[6:7], v[10:11]
	v_mul_f64 v[10:11], s[4:5], v[10:11]
	;; [unrolled: 3-line block ×8, first 2 shown]
	v_fma_f64 v[34:35], s[4:5], v[4:5], -v[36:37]
	v_fma_f64 v[36:37], s[6:7], v[4:5], v[6:7]
	v_fma_f64 v[4:5], s[4:5], v[8:9], -v[38:39]
	v_fma_f64 v[6:7], s[6:7], v[8:9], v[10:11]
	;; [unrolled: 2-line block ×8, first 2 shown]
	ds_store_b128 v3, v[34:37]
	ds_store_b128 v3, v[4:7] offset:448
	ds_store_b128 v3, v[8:11] offset:896
	;; [unrolled: 1-line block ×7, first 2 shown]
	v_add_nc_u32_e32 v3, 0xe00, v3
	s_cbranch_scc1 .LBB231_18
.LBB231_19:
	s_and_b32 s10, s15, 7
	s_mov_b32 s9, 0
	s_cmp_eq_u32 s10, 0
	s_cbranch_scc1 .LBB231_22
; %bb.20:
	v_lshlrev_b32_e32 v3, 4, v0
	s_lshl_b64 s[24:25], s[2:3], 4
	s_lshl_b64 s[26:27], s[8:9], 4
	s_mulk_i32 s8, 0x1c0
	s_delay_alu instid0(VALU_DEP_1) | instskip(NEXT) | instid1(VALU_DEP_1)
	v_add_co_u32 v4, s9, s24, v3
	v_add_co_ci_u32_e64 v5, null, s25, 0, s9
	s_add_u32 s9, s12, s26
	s_addc_u32 s11, s13, s27
	s_add_u32 s24, s9, s0
	s_addc_u32 s25, s11, s1
	v_mul_lo_u32 v5, v5, s17
	v_mad_u64_u32 v[1:2], null, v4, s17, s[24:25]
	v_mul_lo_u32 v4, v4, s20
	v_add3_u32 v3, s8, v3, 0x3100
	s_delay_alu instid0(VALU_DEP_3) | instskip(NEXT) | instid1(VALU_DEP_3)
	v_add_co_u32 v1, vcc_lo, v1, 8
	v_add3_u32 v2, v5, v2, v4
	s_delay_alu instid0(VALU_DEP_1)
	v_add_co_ci_u32_e32 v2, vcc_lo, 0, v2, vcc_lo
	.p2align	6
.LBB231_21:                             ; =>This Inner Loop Header: Depth=1
	global_load_b128 v[4:7], v[1:2], off offset:-8
	v_add_co_u32 v1, vcc_lo, v1, 16
	v_add_co_ci_u32_e32 v2, vcc_lo, 0, v2, vcc_lo
	s_add_i32 s10, s10, -1
	s_delay_alu instid0(SALU_CYCLE_1) | instskip(SKIP_3) | instid1(VALU_DEP_2)
	s_cmp_lg_u32 s10, 0
	s_waitcnt vmcnt(0)
	v_mul_f64 v[8:9], s[6:7], v[6:7]
	v_mul_f64 v[10:11], s[4:5], v[6:7]
	v_fma_f64 v[6:7], s[4:5], v[4:5], -v[8:9]
	s_delay_alu instid0(VALU_DEP_2)
	v_fma_f64 v[8:9], s[6:7], v[4:5], v[10:11]
	ds_store_b128 v3, v[6:9]
	v_add_nc_u32_e32 v3, 0x1c0, v3
	s_cbranch_scc1 .LBB231_21
.LBB231_22:
	s_or_b32 exec_lo, exec_lo, s22
	s_or_b32 s6, 0, 8
	s_cmpk_eq_i32 s16, 0x6f
	s_mov_b32 s4, -1
	s_waitcnt vmcnt(0) lgkmcnt(0)
	s_waitcnt_vscnt null, 0x0
	; wave barrier
	s_waitcnt lgkmcnt(0)
	buffer_gl0_inv
	s_cbranch_scc1 .LBB231_43
; %bb.23:
	v_lshl_add_u32 v5, v0, 4, 0x3100
	s_lshl_b32 s7, s15, 4
	s_mov_b32 s5, 0
	s_add_i32 s7, s7, -16
	s_mov_b32 s4, s5
	s_mov_b32 s8, s28
	s_branch .LBB231_25
.LBB231_24:                             ;   in Loop: Header=BB231_25 Depth=1
	s_cmp_lt_i32 s8, 0
	s_cselect_b32 s9, -1, 0
	s_add_i32 s4, s4, 1
	s_delay_alu instid0(SALU_CYCLE_1) | instskip(SKIP_1) | instid1(SALU_CYCLE_1)
	s_cmp_eq_u32 s4, 3
	s_cselect_b32 s10, -1, 0
	s_or_b32 s9, s9, s10
	s_delay_alu instid0(SALU_CYCLE_1)
	s_and_not1_b32 vcc_lo, exec_lo, s9
	s_cbranch_vccz .LBB231_42
.LBB231_25:                             ; =>This Loop Header: Depth=1
                                        ;     Child Loop BB231_28 Depth 2
                                        ;       Child Loop BB231_29 Depth 3
                                        ;       Child Loop BB231_31 Depth 3
                                        ;         Child Loop BB231_32 Depth 4
                                        ;       Child Loop BB231_36 Depth 3
                                        ;         Child Loop BB231_38 Depth 4
	s_getpc_b64 s[10:11]
	s_add_u32 s10, s10, __const._ZL38rocblas_trsm_small_left_device_sharedBILi28ELi28ELb1E19rocblas_complex_numIdES1_PKPKS1_PKPS1_Ev13rocblas_fill_18rocblas_operation_17rocblas_diagonal_iiT3_T4_lilT5_lili.step_sizes@rel32@lo+4
	s_addc_u32 s11, s11, __const._ZL38rocblas_trsm_small_left_device_sharedBILi28ELi28ELb1E19rocblas_complex_numIdES1_PKPKS1_PKPS1_Ev13rocblas_fill_18rocblas_operation_17rocblas_diagonal_iiT3_T4_lilT5_lili.step_sizes@rel32@hi+12
	s_lshl_b64 s[22:23], s[4:5], 2
	s_delay_alu instid0(SALU_CYCLE_1) | instskip(SKIP_4) | instid1(SALU_CYCLE_1)
	s_add_u32 s10, s22, s10
	s_addc_u32 s11, s23, s11
	s_load_b32 s9, s[10:11], 0x0
	s_waitcnt lgkmcnt(0)
	s_add_i32 s10, s9, -1
	s_cmp_lt_i32 s8, s10
	s_cbranch_scc1 .LBB231_24
; %bb.26:                               ;   in Loop: Header=BB231_25 Depth=1
	s_mul_i32 s22, s8, 0x1c0
	s_max_i32 s11, s9, 1
	v_add_nc_u32_e32 v6, s22, v5
	s_mul_i32 s16, s9, 0xfffffe40
	s_add_i32 s22, s7, s22
	s_mul_i32 s23, s8, 0x1d0
	s_mul_i32 s24, s9, 0xfffffe30
	s_branch .LBB231_28
.LBB231_27:                             ;   in Loop: Header=BB231_28 Depth=2
	v_add_nc_u32_e32 v6, s16, v6
	s_sub_i32 s8, s8, s9
	s_add_i32 s22, s22, s16
	s_add_i32 s23, s23, s24
	s_cmp_lt_i32 s8, s10
	s_cbranch_scc1 .LBB231_24
.LBB231_28:                             ;   Parent Loop BB231_25 Depth=1
                                        ; =>  This Loop Header: Depth=2
                                        ;       Child Loop BB231_29 Depth 3
                                        ;       Child Loop BB231_31 Depth 3
                                        ;         Child Loop BB231_32 Depth 4
                                        ;       Child Loop BB231_36 Depth 3
                                        ;         Child Loop BB231_38 Depth 4
	v_dual_mov_b32 v1, 0 :: v_dual_mov_b32 v2, v6
	s_mov_b32 s25, s11
.LBB231_29:                             ;   Parent Loop BB231_25 Depth=1
                                        ;     Parent Loop BB231_28 Depth=2
                                        ; =>    This Inner Loop Header: Depth=3
	ds_load_b128 v[7:10], v2
	v_add_nc_u32_e32 v2, 0xfffffe40, v2
	s_add_i32 s25, s25, -1
	s_delay_alu instid0(SALU_CYCLE_1)
	s_cmp_eq_u32 s25, 0
	s_waitcnt lgkmcnt(0)
	scratch_store_b128 v1, v[7:10], off
	v_add_nc_u32_e32 v1, 16, v1
	s_cbranch_scc0 .LBB231_29
; %bb.30:                               ;   in Loop: Header=BB231_28 Depth=2
	s_cmp_le_i32 s28, s8
	s_mov_b32 s25, s22
	s_mov_b32 s26, s28
	s_cbranch_scc1 .LBB231_34
	.p2align	6
.LBB231_31:                             ;   Parent Loop BB231_25 Depth=1
                                        ;     Parent Loop BB231_28 Depth=2
                                        ; =>    This Loop Header: Depth=3
                                        ;         Child Loop BB231_32 Depth 4
	s_mul_i32 s27, s26, 28
	s_mov_b32 s29, s25
	v_add_lshl_u32 v1, s27, v0, 4
	s_mov_b32 s27, s6
	s_mov_b32 s30, s11
	ds_load_b128 v[1:4], v1 offset:12544
	.p2align	6
.LBB231_32:                             ;   Parent Loop BB231_25 Depth=1
                                        ;     Parent Loop BB231_28 Depth=2
                                        ;       Parent Loop BB231_31 Depth=3
                                        ; =>      This Inner Loop Header: Depth=4
	scratch_load_b128 v[7:10], off, s27 offset:-8
	v_mov_b32_e32 v11, s29
	s_add_i32 s30, s30, -1
	s_addk_i32 s29, 0xfe40
	ds_load_b128 v[11:14], v11
	s_waitcnt lgkmcnt(0)
	v_mul_f64 v[15:16], v[3:4], v[13:14]
	v_mul_f64 v[13:14], v[1:2], v[13:14]
	s_delay_alu instid0(VALU_DEP_2) | instskip(NEXT) | instid1(VALU_DEP_2)
	v_fma_f64 v[15:16], v[1:2], v[11:12], -v[15:16]
	v_fma_f64 v[11:12], v[3:4], v[11:12], v[13:14]
	s_waitcnt vmcnt(0)
	s_delay_alu instid0(VALU_DEP_2) | instskip(NEXT) | instid1(VALU_DEP_2)
	v_add_f64 v[7:8], v[7:8], -v[15:16]
	v_add_f64 v[9:10], v[9:10], -v[11:12]
	scratch_store_b128 off, v[7:10], s27 offset:-8
	s_add_i32 s27, s27, 16
	s_cmp_eq_u32 s30, 0
	s_cbranch_scc0 .LBB231_32
; %bb.33:                               ;   in Loop: Header=BB231_31 Depth=3
	s_add_i32 s26, s26, -1
	s_add_i32 s25, s25, -16
	s_cmp_le_i32 s26, s8
	s_cbranch_scc0 .LBB231_31
.LBB231_34:                             ;   in Loop: Header=BB231_28 Depth=2
	s_mul_i32 s25, s8, 28
	s_mov_b32 s26, 0
	s_mov_b32 s27, s23
	s_branch .LBB231_36
.LBB231_35:                             ;   in Loop: Header=BB231_36 Depth=3
	s_mulk_i32 s30, 0x1d0
	s_addk_i32 s27, 0xfe40
	v_mov_b32_e32 v7, s30
	s_lshl_b32 s30, s26, 4
	s_add_i32 s26, s26, 1
	ds_load_b128 v[7:10], v7
	s_waitcnt vmcnt(0) lgkmcnt(0)
	v_mul_f64 v[11:12], v[9:10], v[3:4]
	v_mul_f64 v[3:4], v[7:8], v[3:4]
	s_delay_alu instid0(VALU_DEP_2) | instskip(NEXT) | instid1(VALU_DEP_2)
	v_fma_f64 v[7:8], v[7:8], v[1:2], -v[11:12]
	v_fma_f64 v[9:10], v[9:10], v[1:2], v[3:4]
	v_add_lshl_u32 v1, s29, v0, 4
	s_add_i32 s29, s30, 0
	s_cmp_eq_u32 s26, s11
	scratch_store_b128 off, v[7:10], s29
	ds_store_b128 v1, v[7:10] offset:12544
	s_cbranch_scc1 .LBB231_27
.LBB231_36:                             ;   Parent Loop BB231_25 Depth=1
                                        ;     Parent Loop BB231_28 Depth=2
                                        ; =>    This Loop Header: Depth=3
                                        ;         Child Loop BB231_38 Depth 4
	s_cmp_lg_u32 s26, 0
	s_cbranch_scc0 .LBB231_40
; %bb.37:                               ;   in Loop: Header=BB231_36 Depth=3
	s_lshl_b32 s31, s26, 4
	s_sub_i32 s30, s8, s26
	s_add_i32 s29, s31, 0
	v_add_nc_u32_e64 v7, s31, 0
	scratch_load_b128 v[1:4], off, s29
	s_mul_i32 s29, s30, 28
	s_mov_b32 s31, 0
	s_mov_b32 s33, s6
	;; [unrolled: 1-line block ×3, first 2 shown]
	.p2align	6
.LBB231_38:                             ;   Parent Loop BB231_25 Depth=1
                                        ;     Parent Loop BB231_28 Depth=2
                                        ;       Parent Loop BB231_36 Depth=3
                                        ; =>      This Inner Loop Header: Depth=4
	scratch_load_b128 v[8:11], off, s33 offset:-8
	v_mov_b32_e32 v12, s34
	s_add_i32 s31, s31, 1
	s_add_i32 s34, s34, -16
	s_add_i32 s33, s33, 16
	s_cmp_ge_u32 s31, s26
	ds_load_b128 v[12:15], v12
	s_waitcnt vmcnt(0) lgkmcnt(0)
	v_mul_f64 v[16:17], v[14:15], v[10:11]
	v_mul_f64 v[10:11], v[12:13], v[10:11]
	s_delay_alu instid0(VALU_DEP_2) | instskip(NEXT) | instid1(VALU_DEP_2)
	v_fma_f64 v[12:13], v[12:13], v[8:9], -v[16:17]
	v_fma_f64 v[8:9], v[14:15], v[8:9], v[10:11]
	s_delay_alu instid0(VALU_DEP_2) | instskip(NEXT) | instid1(VALU_DEP_2)
	v_add_f64 v[1:2], v[1:2], -v[12:13]
	v_add_f64 v[3:4], v[3:4], -v[8:9]
	scratch_store_b128 v7, v[1:4], off
	s_cbranch_scc0 .LBB231_38
; %bb.39:                               ;   in Loop: Header=BB231_36 Depth=3
	s_branch .LBB231_35
.LBB231_40:                             ;   in Loop: Header=BB231_36 Depth=3
                                        ; implicit-def: $vgpr1_vgpr2
                                        ; implicit-def: $sgpr30
                                        ; implicit-def: $sgpr29
	s_cbranch_execz .LBB231_35
; %bb.41:                               ;   in Loop: Header=BB231_36 Depth=3
	scratch_load_b128 v[1:4], off, off
	s_mov_b32 s29, s25
	s_mov_b32 s30, s8
	s_branch .LBB231_35
.LBB231_42:
	s_mov_b32 s4, 0
.LBB231_43:
	s_delay_alu instid0(SALU_CYCLE_1)
	s_and_b32 vcc_lo, exec_lo, s4
	s_cbranch_vccz .LBB231_64
; %bb.44:
	v_lshl_add_u32 v5, v0, 4, 0x3100
	s_mov_b32 s5, 0
	s_delay_alu instid0(SALU_CYCLE_1)
	s_mov_b32 s4, s5
	s_mov_b32 s7, s5
	s_branch .LBB231_46
.LBB231_45:                             ;   in Loop: Header=BB231_46 Depth=1
	s_cmp_ge_i32 s7, s15
	s_cselect_b32 s8, -1, 0
	s_add_i32 s4, s4, 1
	s_delay_alu instid0(SALU_CYCLE_1) | instskip(SKIP_1) | instid1(SALU_CYCLE_1)
	s_cmp_eq_u32 s4, 3
	s_cselect_b32 s9, -1, 0
	s_or_b32 s8, s8, s9
	s_delay_alu instid0(SALU_CYCLE_1)
	s_and_b32 vcc_lo, exec_lo, s8
	s_cbranch_vccnz .LBB231_64
.LBB231_46:                             ; =>This Loop Header: Depth=1
                                        ;     Child Loop BB231_49 Depth 2
                                        ;       Child Loop BB231_50 Depth 3
                                        ;       Child Loop BB231_53 Depth 3
                                        ;         Child Loop BB231_54 Depth 4
                                        ;       Child Loop BB231_58 Depth 3
                                        ;         Child Loop BB231_60 Depth 4
	s_getpc_b64 s[8:9]
	s_add_u32 s8, s8, __const._ZL38rocblas_trsm_small_left_device_sharedBILi28ELi28ELb1E19rocblas_complex_numIdES1_PKPKS1_PKPS1_Ev13rocblas_fill_18rocblas_operation_17rocblas_diagonal_iiT3_T4_lilT5_lili.step_sizes@rel32@lo+4
	s_addc_u32 s9, s9, __const._ZL38rocblas_trsm_small_left_device_sharedBILi28ELi28ELb1E19rocblas_complex_numIdES1_PKPKS1_PKPS1_Ev13rocblas_fill_18rocblas_operation_17rocblas_diagonal_iiT3_T4_lilT5_lili.step_sizes@rel32@hi+12
	s_lshl_b64 s[10:11], s[4:5], 2
	s_delay_alu instid0(SALU_CYCLE_1) | instskip(SKIP_4) | instid1(SALU_CYCLE_1)
	s_add_u32 s8, s10, s8
	s_addc_u32 s9, s11, s9
	s_load_b32 s8, s[8:9], 0x0
	s_waitcnt lgkmcnt(0)
	s_add_i32 s9, s8, -1
	s_add_i32 s10, s9, s7
	s_delay_alu instid0(SALU_CYCLE_1)
	s_cmp_ge_i32 s10, s15
	s_cbranch_scc1 .LBB231_45
; %bb.47:                               ;   in Loop: Header=BB231_46 Depth=1
	v_mad_u64_u32 v[6:7], null, 0x1c0, s7, v[5:6]
	s_max_i32 s10, s8, 1
	s_mul_i32 s11, s8, 0x1c0
	s_lshl_b32 s16, s7, 4
	s_lshl_b32 s22, s8, 4
	s_mul_i32 s23, s7, 0x1d0
	s_mul_i32 s24, s8, 0x1d0
	s_branch .LBB231_49
.LBB231_48:                             ;   in Loop: Header=BB231_49 Depth=2
	s_add_i32 s7, s7, s8
	v_add_nc_u32_e32 v6, s11, v6
	s_add_i32 s25, s9, s7
	s_add_i32 s16, s16, s22
	;; [unrolled: 1-line block ×3, first 2 shown]
	s_cmp_ge_i32 s25, s15
	s_cbranch_scc1 .LBB231_45
.LBB231_49:                             ;   Parent Loop BB231_46 Depth=1
                                        ; =>  This Loop Header: Depth=2
                                        ;       Child Loop BB231_50 Depth 3
                                        ;       Child Loop BB231_53 Depth 3
                                        ;         Child Loop BB231_54 Depth 4
                                        ;       Child Loop BB231_58 Depth 3
                                        ;         Child Loop BB231_60 Depth 4
	v_dual_mov_b32 v1, 0 :: v_dual_mov_b32 v2, v6
	s_mov_b32 s25, s10
.LBB231_50:                             ;   Parent Loop BB231_46 Depth=1
                                        ;     Parent Loop BB231_49 Depth=2
                                        ; =>    This Inner Loop Header: Depth=3
	ds_load_b128 v[7:10], v2
	v_add_nc_u32_e32 v2, 0x1c0, v2
	s_add_i32 s25, s25, -1
	s_delay_alu instid0(SALU_CYCLE_1)
	s_cmp_eq_u32 s25, 0
	s_waitcnt lgkmcnt(0)
	scratch_store_b128 v1, v[7:10], off
	v_add_nc_u32_e32 v1, 16, v1
	s_cbranch_scc0 .LBB231_50
; %bb.51:                               ;   in Loop: Header=BB231_49 Depth=2
	s_cmp_lt_i32 s7, 1
	s_cbranch_scc1 .LBB231_56
; %bb.52:                               ;   in Loop: Header=BB231_49 Depth=2
	s_mov_b32 s25, 0
	s_mov_b32 s26, s16
	s_set_inst_prefetch_distance 0x1
	.p2align	6
.LBB231_53:                             ;   Parent Loop BB231_46 Depth=1
                                        ;     Parent Loop BB231_49 Depth=2
                                        ; =>    This Loop Header: Depth=3
                                        ;         Child Loop BB231_54 Depth 4
	s_mul_i32 s27, s25, 28
	s_mov_b32 s28, s26
	v_add_lshl_u32 v1, s27, v0, 4
	s_mov_b32 s27, s6
	s_mov_b32 s29, s10
	ds_load_b128 v[1:4], v1 offset:12544
	.p2align	6
.LBB231_54:                             ;   Parent Loop BB231_46 Depth=1
                                        ;     Parent Loop BB231_49 Depth=2
                                        ;       Parent Loop BB231_53 Depth=3
                                        ; =>      This Inner Loop Header: Depth=4
	scratch_load_b128 v[7:10], off, s27 offset:-8
	v_mov_b32_e32 v11, s28
	s_add_i32 s29, s29, -1
	s_add_i32 s28, s28, 16
	ds_load_b128 v[11:14], v11
	s_waitcnt lgkmcnt(0)
	v_mul_f64 v[15:16], v[3:4], v[13:14]
	v_mul_f64 v[13:14], v[1:2], v[13:14]
	s_delay_alu instid0(VALU_DEP_2) | instskip(NEXT) | instid1(VALU_DEP_2)
	v_fma_f64 v[15:16], v[1:2], v[11:12], -v[15:16]
	v_fma_f64 v[11:12], v[3:4], v[11:12], v[13:14]
	s_waitcnt vmcnt(0)
	s_delay_alu instid0(VALU_DEP_2) | instskip(NEXT) | instid1(VALU_DEP_2)
	v_add_f64 v[7:8], v[7:8], -v[15:16]
	v_add_f64 v[9:10], v[9:10], -v[11:12]
	scratch_store_b128 off, v[7:10], s27 offset:-8
	s_add_i32 s27, s27, 16
	s_cmp_eq_u32 s29, 0
	s_cbranch_scc0 .LBB231_54
; %bb.55:                               ;   in Loop: Header=BB231_53 Depth=3
	s_add_i32 s25, s25, 1
	s_addk_i32 s26, 0x1c0
	s_cmp_ge_i32 s25, s7
	s_cbranch_scc0 .LBB231_53
.LBB231_56:                             ;   in Loop: Header=BB231_49 Depth=2
	s_set_inst_prefetch_distance 0x2
	s_mov_b32 s25, 0
	s_mov_b32 s26, s23
	s_branch .LBB231_58
.LBB231_57:                             ;   in Loop: Header=BB231_58 Depth=3
	s_mul_i32 s28, s27, 0x1d0
	s_mul_i32 s27, s27, 28
	v_mov_b32_e32 v7, s28
	s_lshl_b32 s28, s25, 4
	s_add_i32 s25, s25, 1
	s_add_i32 s26, s26, 16
	ds_load_b128 v[7:10], v7
	s_waitcnt vmcnt(0) lgkmcnt(0)
	v_mul_f64 v[11:12], v[9:10], v[3:4]
	v_mul_f64 v[3:4], v[7:8], v[3:4]
	s_delay_alu instid0(VALU_DEP_2) | instskip(NEXT) | instid1(VALU_DEP_2)
	v_fma_f64 v[7:8], v[7:8], v[1:2], -v[11:12]
	v_fma_f64 v[9:10], v[9:10], v[1:2], v[3:4]
	v_add_lshl_u32 v1, s27, v0, 4
	s_add_i32 s27, s28, 0
	s_cmp_eq_u32 s25, s10
	scratch_store_b128 off, v[7:10], s27
	ds_store_b128 v1, v[7:10] offset:12544
	s_cbranch_scc1 .LBB231_48
.LBB231_58:                             ;   Parent Loop BB231_46 Depth=1
                                        ;     Parent Loop BB231_49 Depth=2
                                        ; =>    This Loop Header: Depth=3
                                        ;         Child Loop BB231_60 Depth 4
	s_cmp_lg_u32 s25, 0
	s_cbranch_scc0 .LBB231_62
; %bb.59:                               ;   in Loop: Header=BB231_58 Depth=3
	s_lshl_b32 s28, s25, 4
	s_mov_b32 s29, s6
	s_add_i32 s27, s28, 0
	v_add_nc_u32_e64 v7, s28, 0
	scratch_load_b128 v[1:4], off, s27
	s_add_i32 s27, s25, s7
	s_mov_b32 s28, 0
	s_mov_b32 s30, s26
	.p2align	6
.LBB231_60:                             ;   Parent Loop BB231_46 Depth=1
                                        ;     Parent Loop BB231_49 Depth=2
                                        ;       Parent Loop BB231_58 Depth=3
                                        ; =>      This Inner Loop Header: Depth=4
	scratch_load_b128 v[8:11], off, s29 offset:-8
	v_mov_b32_e32 v12, s30
	s_add_i32 s28, s28, 1
	s_addk_i32 s30, 0x1c0
	s_add_i32 s29, s29, 16
	s_cmp_ge_u32 s28, s25
	ds_load_b128 v[12:15], v12
	s_waitcnt vmcnt(0) lgkmcnt(0)
	v_mul_f64 v[16:17], v[14:15], v[10:11]
	v_mul_f64 v[10:11], v[12:13], v[10:11]
	s_delay_alu instid0(VALU_DEP_2) | instskip(NEXT) | instid1(VALU_DEP_2)
	v_fma_f64 v[12:13], v[12:13], v[8:9], -v[16:17]
	v_fma_f64 v[8:9], v[14:15], v[8:9], v[10:11]
	s_delay_alu instid0(VALU_DEP_2) | instskip(NEXT) | instid1(VALU_DEP_2)
	v_add_f64 v[1:2], v[1:2], -v[12:13]
	v_add_f64 v[3:4], v[3:4], -v[8:9]
	scratch_store_b128 v7, v[1:4], off
	s_cbranch_scc0 .LBB231_60
; %bb.61:                               ;   in Loop: Header=BB231_58 Depth=3
	s_branch .LBB231_57
.LBB231_62:                             ;   in Loop: Header=BB231_58 Depth=3
                                        ; implicit-def: $vgpr1_vgpr2
                                        ; implicit-def: $sgpr27
	s_cbranch_execz .LBB231_57
; %bb.63:                               ;   in Loop: Header=BB231_58 Depth=3
	scratch_load_b128 v[1:4], off, off
	s_mov_b32 s27, s7
	s_branch .LBB231_57
.LBB231_64:
	s_waitcnt vmcnt(0) lgkmcnt(0)
	s_waitcnt_vscnt null, 0x0
	; wave barrier
	s_waitcnt lgkmcnt(0)
	s_waitcnt_vscnt null, 0x0
	buffer_gl0_inv
	s_and_saveexec_b32 s4, s21
	s_cbranch_execz .LBB231_71
; %bb.65:
	s_cmp_lt_i32 s18, 8
	s_mov_b32 s4, 0
	s_cbranch_scc1 .LBB231_68
; %bb.66:
	v_mad_i64_i32 v[1:2], null, s17, v0, 0
	v_lshl_add_u32 v3, v0, 4, 0x3100
	s_lshl_b32 s4, s15, 4
	s_mov_b64 s[6:7], 0
	s_and_b32 s5, s4, 0x180
	s_mov_b32 s4, 0
	s_delay_alu instid0(VALU_DEP_2) | instskip(NEXT) | instid1(VALU_DEP_1)
	v_lshlrev_b64 v[1:2], 4, v[1:2]
	v_add_co_u32 v1, vcc_lo, s14, v1
	s_delay_alu instid0(VALU_DEP_2)
	v_add_co_ci_u32_e32 v2, vcc_lo, s19, v2, vcc_lo
.LBB231_67:                             ; =>This Inner Loop Header: Depth=1
	v_add_nc_u32_e32 v24, 0x8c0, v3
	v_add_nc_u32_e32 v28, 0xa80, v3
	;; [unrolled: 1-line block ×3, first 2 shown]
	ds_load_2addr_b64 v[4:7], v3 offset1:1
	ds_load_2addr_b64 v[8:11], v3 offset0:56 offset1:57
	ds_load_2addr_b64 v[12:15], v3 offset0:112 offset1:113
	ds_load_2addr_b64 v[16:19], v3 offset0:168 offset1:169
	ds_load_2addr_b64 v[20:23], v3 offset0:224 offset1:225
	ds_load_2addr_b64 v[24:27], v24 offset1:1
	ds_load_2addr_b64 v[28:31], v28 offset1:1
	;; [unrolled: 1-line block ×3, first 2 shown]
	v_add_co_u32 v36, vcc_lo, v1, s6
	v_add_co_ci_u32_e32 v37, vcc_lo, s7, v2, vcc_lo
	s_add_i32 s4, s4, 8
	v_add_nc_u32_e32 v3, 0xe00, v3
	s_add_u32 s6, s6, 0x80
	s_addc_u32 s7, s7, 0
	s_cmp_lg_u32 s5, s6
	s_waitcnt lgkmcnt(7)
	global_store_b128 v[36:37], v[4:7], off
	s_waitcnt lgkmcnt(6)
	global_store_b128 v[36:37], v[8:11], off offset:16
	s_waitcnt lgkmcnt(5)
	global_store_b128 v[36:37], v[12:15], off offset:32
	;; [unrolled: 2-line block ×7, first 2 shown]
	s_cbranch_scc1 .LBB231_67
.LBB231_68:
	s_and_b32 s6, s15, 7
	s_mov_b32 s5, 0
	s_cmp_eq_u32 s6, 0
	s_cbranch_scc1 .LBB231_71
; %bb.69:
	v_lshlrev_b32_e32 v2, 4, v0
	s_lshl_b64 s[2:3], s[2:3], 4
	s_lshl_b64 s[8:9], s[4:5], 4
	s_delay_alu instid0(VALU_DEP_1) | instskip(NEXT) | instid1(VALU_DEP_1)
	v_add_co_u32 v3, s2, s2, v2
	v_add_co_ci_u32_e64 v4, null, s3, 0, s2
	s_add_u32 s2, s12, s8
	s_addc_u32 s3, s13, s9
	s_add_u32 s0, s2, s0
	s_addc_u32 s1, s3, s1
	v_mul_lo_u32 v4, v4, s17
	v_mad_u64_u32 v[0:1], null, v3, s17, s[0:1]
	v_mul_lo_u32 v3, v3, s20
	s_mul_i32 s0, s4, 0x1c0
	s_delay_alu instid0(SALU_CYCLE_1) | instskip(NEXT) | instid1(VALU_DEP_2)
	v_add3_u32 v2, s0, v2, 0x3100
	v_add3_u32 v1, v4, v1, v3
.LBB231_70:                             ; =>This Inner Loop Header: Depth=1
	ds_load_2addr_b64 v[3:6], v2 offset1:1
	v_add_nc_u32_e32 v2, 0x1c0, v2
	s_add_i32 s6, s6, -1
	s_delay_alu instid0(SALU_CYCLE_1)
	s_cmp_lg_u32 s6, 0
	s_waitcnt lgkmcnt(0)
	global_store_b128 v[0:1], v[3:6], off
	v_add_co_u32 v0, vcc_lo, v0, 16
	v_add_co_ci_u32_e32 v1, vcc_lo, 0, v1, vcc_lo
	s_cbranch_scc1 .LBB231_70
.LBB231_71:
	s_nop 0
	s_sendmsg sendmsg(MSG_DEALLOC_VGPRS)
	s_endpgm
	.section	.rodata,"a",@progbits
	.p2align	6, 0x0
	.amdhsa_kernel _ZL38rocblas_trsm_small_left_device_sharedBILi28ELi28ELb1E19rocblas_complex_numIdES1_PKPKS1_PKPS1_Ev13rocblas_fill_18rocblas_operation_17rocblas_diagonal_iiT3_T4_lilT5_lili
		.amdhsa_group_segment_fixed_size 25088
		.amdhsa_private_segment_fixed_size 464
		.amdhsa_kernarg_size 368
		.amdhsa_user_sgpr_count 14
		.amdhsa_user_sgpr_dispatch_ptr 0
		.amdhsa_user_sgpr_queue_ptr 0
		.amdhsa_user_sgpr_kernarg_segment_ptr 1
		.amdhsa_user_sgpr_dispatch_id 0
		.amdhsa_user_sgpr_private_segment_size 0
		.amdhsa_wavefront_size32 1
		.amdhsa_uses_dynamic_stack 0
		.amdhsa_enable_private_segment 1
		.amdhsa_system_sgpr_workgroup_id_x 1
		.amdhsa_system_sgpr_workgroup_id_y 0
		.amdhsa_system_sgpr_workgroup_id_z 1
		.amdhsa_system_sgpr_workgroup_info 0
		.amdhsa_system_vgpr_workitem_id 0
		.amdhsa_next_free_vgpr 54
		.amdhsa_next_free_sgpr 35
		.amdhsa_reserve_vcc 1
		.amdhsa_float_round_mode_32 0
		.amdhsa_float_round_mode_16_64 0
		.amdhsa_float_denorm_mode_32 3
		.amdhsa_float_denorm_mode_16_64 3
		.amdhsa_dx10_clamp 1
		.amdhsa_ieee_mode 1
		.amdhsa_fp16_overflow 0
		.amdhsa_workgroup_processor_mode 1
		.amdhsa_memory_ordered 1
		.amdhsa_forward_progress 0
		.amdhsa_shared_vgpr_count 0
		.amdhsa_exception_fp_ieee_invalid_op 0
		.amdhsa_exception_fp_denorm_src 0
		.amdhsa_exception_fp_ieee_div_zero 0
		.amdhsa_exception_fp_ieee_overflow 0
		.amdhsa_exception_fp_ieee_underflow 0
		.amdhsa_exception_fp_ieee_inexact 0
		.amdhsa_exception_int_div_zero 0
	.end_amdhsa_kernel
	.section	.text._ZL38rocblas_trsm_small_left_device_sharedBILi28ELi28ELb1E19rocblas_complex_numIdES1_PKPKS1_PKPS1_Ev13rocblas_fill_18rocblas_operation_17rocblas_diagonal_iiT3_T4_lilT5_lili,"axG",@progbits,_ZL38rocblas_trsm_small_left_device_sharedBILi28ELi28ELb1E19rocblas_complex_numIdES1_PKPKS1_PKPS1_Ev13rocblas_fill_18rocblas_operation_17rocblas_diagonal_iiT3_T4_lilT5_lili,comdat
.Lfunc_end231:
	.size	_ZL38rocblas_trsm_small_left_device_sharedBILi28ELi28ELb1E19rocblas_complex_numIdES1_PKPKS1_PKPS1_Ev13rocblas_fill_18rocblas_operation_17rocblas_diagonal_iiT3_T4_lilT5_lili, .Lfunc_end231-_ZL38rocblas_trsm_small_left_device_sharedBILi28ELi28ELb1E19rocblas_complex_numIdES1_PKPKS1_PKPS1_Ev13rocblas_fill_18rocblas_operation_17rocblas_diagonal_iiT3_T4_lilT5_lili
                                        ; -- End function
	.section	.AMDGPU.csdata,"",@progbits
; Kernel info:
; codeLenInByte = 4300
; NumSgprs: 37
; NumVgprs: 54
; ScratchSize: 464
; MemoryBound: 0
; FloatMode: 240
; IeeeMode: 1
; LDSByteSize: 25088 bytes/workgroup (compile time only)
; SGPRBlocks: 4
; VGPRBlocks: 6
; NumSGPRsForWavesPerEU: 37
; NumVGPRsForWavesPerEU: 54
; Occupancy: 2
; WaveLimiterHint : 1
; COMPUTE_PGM_RSRC2:SCRATCH_EN: 1
; COMPUTE_PGM_RSRC2:USER_SGPR: 14
; COMPUTE_PGM_RSRC2:TRAP_HANDLER: 0
; COMPUTE_PGM_RSRC2:TGID_X_EN: 1
; COMPUTE_PGM_RSRC2:TGID_Y_EN: 0
; COMPUTE_PGM_RSRC2:TGID_Z_EN: 1
; COMPUTE_PGM_RSRC2:TIDIG_COMP_CNT: 0
	.section	.text._ZL30rocblas_trsm_small_left_deviceILi28ELi28ELb1E19rocblas_complex_numIdES1_PKPKS1_PKPS1_Ev13rocblas_fill_18rocblas_operation_17rocblas_diagonal_iiT3_T4_lilT5_lili,"axG",@progbits,_ZL30rocblas_trsm_small_left_deviceILi28ELi28ELb1E19rocblas_complex_numIdES1_PKPKS1_PKPS1_Ev13rocblas_fill_18rocblas_operation_17rocblas_diagonal_iiT3_T4_lilT5_lili,comdat
	.globl	_ZL30rocblas_trsm_small_left_deviceILi28ELi28ELb1E19rocblas_complex_numIdES1_PKPKS1_PKPS1_Ev13rocblas_fill_18rocblas_operation_17rocblas_diagonal_iiT3_T4_lilT5_lili ; -- Begin function _ZL30rocblas_trsm_small_left_deviceILi28ELi28ELb1E19rocblas_complex_numIdES1_PKPKS1_PKPS1_Ev13rocblas_fill_18rocblas_operation_17rocblas_diagonal_iiT3_T4_lilT5_lili
	.p2align	8
	.type	_ZL30rocblas_trsm_small_left_deviceILi28ELi28ELb1E19rocblas_complex_numIdES1_PKPKS1_PKPS1_Ev13rocblas_fill_18rocblas_operation_17rocblas_diagonal_iiT3_T4_lilT5_lili,@function
_ZL30rocblas_trsm_small_left_deviceILi28ELi28ELb1E19rocblas_complex_numIdES1_PKPKS1_PKPS1_Ev13rocblas_fill_18rocblas_operation_17rocblas_diagonal_iiT3_T4_lilT5_lili: ; @_ZL30rocblas_trsm_small_left_deviceILi28ELi28ELb1E19rocblas_complex_numIdES1_PKPKS1_PKPS1_Ev13rocblas_fill_18rocblas_operation_17rocblas_diagonal_iiT3_T4_lilT5_lili
; %bb.0:
	s_clause 0x1
	s_load_b128 s[20:23], s[0:1], 0x48
	s_load_b128 s[16:19], s[0:1], 0x4
	s_mov_b32 s2, s15
	s_mov_b32 s3, 0
	s_load_b32 s15, s[0:1], 0x70
	s_lshl_b64 s[24:25], s[2:3], 3
	s_mov_b32 s29, exec_lo
	s_waitcnt lgkmcnt(0)
	s_add_u32 s12, s20, s24
	s_addc_u32 s13, s21, s25
	s_load_b256 s[4:11], s[0:1], 0x18
	s_load_b64 s[12:13], s[12:13], 0x0
	s_min_i32 s18, s18, 28
	s_delay_alu instid0(SALU_CYCLE_1)
	s_add_i32 s28, s18, -1
	v_cmpx_gt_i32_e64 s18, v0
	s_cbranch_execz .LBB232_15
; %bb.1:
	s_load_b32 s20, s[0:1], 0x38
	v_lshlrev_b32_e32 v3, 4, v0
	s_waitcnt lgkmcnt(0)
	s_ashr_i32 s21, s20, 31
	s_cmpk_eq_i32 s16, 0x71
	s_cselect_b32 vcc_lo, -1, 0
	s_add_u32 s8, s8, s24
	s_addc_u32 s9, s9, s25
	s_cmp_lt_u32 s28, 3
	s_load_b64 s[8:9], s[8:9], 0x0
	s_cbranch_scc1 .LBB232_4
; %bb.2:
	v_dual_mov_b32 v4, v3 :: v_dual_lshlrev_b32 v1, 4, v0
	s_lshl_b64 s[24:25], s[10:11], 4
	s_and_b32 s3, s18, -4
	s_waitcnt lgkmcnt(0)
	s_add_u32 s2, s8, s24
	s_addc_u32 s24, s9, s25
	v_add_co_u32 v1, s2, s2, v1
	s_delay_alu instid0(VALU_DEP_1) | instskip(SKIP_1) | instid1(VALU_DEP_2)
	v_add_co_ci_u32_e64 v2, null, s24, 0, s2
	s_lshl_b64 s[24:25], s[20:21], 6
	v_add_co_u32 v1, s2, v1, 8
	s_delay_alu instid0(VALU_DEP_1)
	v_add_co_ci_u32_e64 v2, s2, 0, v2, s2
	s_lshl_b64 s[26:27], s[20:21], 4
	s_mov_b32 s30, 0
.LBB232_3:                              ; =>This Inner Loop Header: Depth=1
	s_delay_alu instid0(VALU_DEP_2) | instskip(NEXT) | instid1(VALU_DEP_1)
	v_add_co_u32 v9, s2, v1, s26
	v_add_co_ci_u32_e64 v10, s2, s27, v2, s2
	s_add_i32 s30, s30, 4
	s_delay_alu instid0(VALU_DEP_2) | instskip(NEXT) | instid1(VALU_DEP_1)
	v_add_co_u32 v13, s2, v9, s26
	v_add_co_ci_u32_e64 v14, s2, s27, v10, s2
	s_cmp_eq_u32 s3, s30
	s_delay_alu instid0(VALU_DEP_2) | instskip(NEXT) | instid1(VALU_DEP_1)
	v_add_co_u32 v17, s2, v13, s26
	v_add_co_ci_u32_e64 v18, s2, s27, v14, s2
	s_clause 0x3
	global_load_b128 v[5:8], v[1:2], off offset:-8
	global_load_b128 v[9:12], v[9:10], off offset:-8
	;; [unrolled: 1-line block ×4, first 2 shown]
	v_add_co_u32 v1, s2, v1, s24
	s_delay_alu instid0(VALU_DEP_1)
	v_add_co_ci_u32_e64 v2, s2, s25, v2, s2
	s_waitcnt vmcnt(3)
	v_xor_b32_e32 v21, 0x80000000, v8
	s_waitcnt vmcnt(2)
	v_xor_b32_e32 v22, 0x80000000, v12
	;; [unrolled: 2-line block ×4, first 2 shown]
	v_cndmask_b32_e32 v8, v8, v21, vcc_lo
	v_cndmask_b32_e32 v12, v12, v22, vcc_lo
	v_cndmask_b32_e32 v16, v16, v23, vcc_lo
	s_delay_alu instid0(VALU_DEP_4)
	v_cndmask_b32_e32 v20, v20, v24, vcc_lo
	ds_store_b128 v4, v[5:8]
	ds_store_b128 v4, v[9:12] offset:448
	ds_store_b128 v4, v[13:16] offset:896
	;; [unrolled: 1-line block ×3, first 2 shown]
	v_add_nc_u32_e32 v4, 0x700, v4
	s_cbranch_scc0 .LBB232_3
.LBB232_4:
	s_and_b32 s24, s18, 3
	s_delay_alu instid0(SALU_CYCLE_1)
	s_cmp_eq_u32 s24, 0
	s_cbranch_scc1 .LBB232_7
; %bb.5:
	s_mul_i32 s2, s21, s3
	s_mul_hi_u32 s25, s20, s3
	s_mul_i32 s26, s20, s3
	s_add_i32 s27, s25, s2
	s_lshl_b64 s[10:11], s[10:11], 4
	s_lshl_b64 s[26:27], s[26:27], 4
	s_mul_i32 s2, s3, 0x1c0
	s_add_u32 s3, s26, s10
	s_addc_u32 s10, s27, s11
	s_waitcnt lgkmcnt(0)
	s_add_u32 s3, s8, s3
	s_addc_u32 s8, s9, s10
	v_add_co_u32 v1, s3, s3, v3
	s_delay_alu instid0(VALU_DEP_1) | instskip(SKIP_1) | instid1(VALU_DEP_3)
	v_add_co_ci_u32_e64 v2, null, s8, 0, s3
	v_lshl_add_u32 v3, v0, 4, s2
	v_add_co_u32 v1, s2, v1, 8
	s_delay_alu instid0(VALU_DEP_1)
	v_add_co_ci_u32_e64 v2, s2, 0, v2, s2
	s_lshl_b64 s[8:9], s[20:21], 4
.LBB232_6:                              ; =>This Inner Loop Header: Depth=1
	global_load_b128 v[4:7], v[1:2], off offset:-8
	v_add_co_u32 v1, s2, v1, s8
	s_delay_alu instid0(VALU_DEP_1) | instskip(SKIP_1) | instid1(SALU_CYCLE_1)
	v_add_co_ci_u32_e64 v2, s2, s9, v2, s2
	s_add_i32 s24, s24, -1
	s_cmp_lg_u32 s24, 0
	s_waitcnt vmcnt(0)
	v_xor_b32_e32 v8, 0x80000000, v7
	s_delay_alu instid0(VALU_DEP_1)
	v_cndmask_b32_e32 v7, v7, v8, vcc_lo
	ds_store_b128 v3, v[4:7]
	v_add_nc_u32_e32 v3, 0x1c0, v3
	s_cbranch_scc1 .LBB232_6
.LBB232_7:
	v_mul_u32_u24_e32 v1, 29, v0
	s_cmpk_lg_i32 s17, 0x84
	s_delay_alu instid0(VALU_DEP_1)
	v_lshlrev_b32_e32 v9, 4, v1
	s_cbranch_scc0 .LBB232_13
; %bb.8:
	ds_load_b128 v[1:4], v9
	s_waitcnt lgkmcnt(0)
	v_cmp_gt_f64_e32 vcc_lo, 0, v[1:2]
	v_xor_b32_e32 v6, 0x80000000, v2
	v_mov_b32_e32 v5, v1
	v_xor_b32_e32 v7, 0x80000000, v4
	s_delay_alu instid0(VALU_DEP_3) | instskip(SKIP_1) | instid1(VALU_DEP_3)
	v_cndmask_b32_e32 v6, v2, v6, vcc_lo
	v_cmp_gt_f64_e32 vcc_lo, 0, v[3:4]
	v_dual_cndmask_b32 v8, v4, v7 :: v_dual_mov_b32 v7, v3
	s_delay_alu instid0(VALU_DEP_1) | instskip(SKIP_1) | instid1(SALU_CYCLE_1)
	v_cmp_ngt_f64_e32 vcc_lo, v[5:6], v[7:8]
                                        ; implicit-def: $vgpr7_vgpr8
	s_and_saveexec_b32 s2, vcc_lo
	s_xor_b32 s2, exec_lo, s2
	s_cbranch_execz .LBB232_10
; %bb.9:
	v_div_scale_f64 v[5:6], null, v[3:4], v[3:4], v[1:2]
	v_div_scale_f64 v[12:13], vcc_lo, v[1:2], v[3:4], v[1:2]
	s_delay_alu instid0(VALU_DEP_2) | instskip(SKIP_2) | instid1(VALU_DEP_1)
	v_rcp_f64_e32 v[7:8], v[5:6]
	s_waitcnt_depctr 0xfff
	v_fma_f64 v[10:11], -v[5:6], v[7:8], 1.0
	v_fma_f64 v[7:8], v[7:8], v[10:11], v[7:8]
	s_delay_alu instid0(VALU_DEP_1) | instskip(NEXT) | instid1(VALU_DEP_1)
	v_fma_f64 v[10:11], -v[5:6], v[7:8], 1.0
	v_fma_f64 v[7:8], v[7:8], v[10:11], v[7:8]
	s_delay_alu instid0(VALU_DEP_1) | instskip(NEXT) | instid1(VALU_DEP_1)
	v_mul_f64 v[10:11], v[12:13], v[7:8]
	v_fma_f64 v[5:6], -v[5:6], v[10:11], v[12:13]
	s_delay_alu instid0(VALU_DEP_1) | instskip(NEXT) | instid1(VALU_DEP_1)
	v_div_fmas_f64 v[5:6], v[5:6], v[7:8], v[10:11]
	v_div_fixup_f64 v[5:6], v[5:6], v[3:4], v[1:2]
	s_delay_alu instid0(VALU_DEP_1) | instskip(NEXT) | instid1(VALU_DEP_1)
	v_fma_f64 v[1:2], v[1:2], v[5:6], v[3:4]
	v_div_scale_f64 v[3:4], null, v[1:2], v[1:2], 1.0
	v_div_scale_f64 v[12:13], vcc_lo, 1.0, v[1:2], 1.0
	s_delay_alu instid0(VALU_DEP_2) | instskip(SKIP_2) | instid1(VALU_DEP_1)
	v_rcp_f64_e32 v[7:8], v[3:4]
	s_waitcnt_depctr 0xfff
	v_fma_f64 v[10:11], -v[3:4], v[7:8], 1.0
	v_fma_f64 v[7:8], v[7:8], v[10:11], v[7:8]
	s_delay_alu instid0(VALU_DEP_1) | instskip(NEXT) | instid1(VALU_DEP_1)
	v_fma_f64 v[10:11], -v[3:4], v[7:8], 1.0
	v_fma_f64 v[7:8], v[7:8], v[10:11], v[7:8]
	s_delay_alu instid0(VALU_DEP_1) | instskip(NEXT) | instid1(VALU_DEP_1)
	v_mul_f64 v[10:11], v[12:13], v[7:8]
	v_fma_f64 v[3:4], -v[3:4], v[10:11], v[12:13]
	s_delay_alu instid0(VALU_DEP_1) | instskip(SKIP_1) | instid1(VALU_DEP_2)
	v_div_fmas_f64 v[3:4], v[3:4], v[7:8], v[10:11]
	v_add_f64 v[7:8], v[5:6], 0
	v_div_fixup_f64 v[1:2], v[3:4], v[1:2], 1.0
	v_fma_f64 v[3:4], v[5:6], 0, -1.0
	s_delay_alu instid0(VALU_DEP_2) | instskip(NEXT) | instid1(VALU_DEP_2)
	v_mul_f64 v[5:6], v[7:8], v[1:2]
	v_mul_f64 v[7:8], v[3:4], v[1:2]
                                        ; implicit-def: $vgpr1_vgpr2
.LBB232_10:
	s_and_not1_saveexec_b32 s2, s2
	s_cbranch_execz .LBB232_12
; %bb.11:
	v_div_scale_f64 v[5:6], null, v[1:2], v[1:2], v[3:4]
	v_div_scale_f64 v[12:13], vcc_lo, v[3:4], v[1:2], v[3:4]
	s_delay_alu instid0(VALU_DEP_2) | instskip(SKIP_2) | instid1(VALU_DEP_1)
	v_rcp_f64_e32 v[7:8], v[5:6]
	s_waitcnt_depctr 0xfff
	v_fma_f64 v[10:11], -v[5:6], v[7:8], 1.0
	v_fma_f64 v[7:8], v[7:8], v[10:11], v[7:8]
	s_delay_alu instid0(VALU_DEP_1) | instskip(NEXT) | instid1(VALU_DEP_1)
	v_fma_f64 v[10:11], -v[5:6], v[7:8], 1.0
	v_fma_f64 v[7:8], v[7:8], v[10:11], v[7:8]
	s_delay_alu instid0(VALU_DEP_1) | instskip(NEXT) | instid1(VALU_DEP_1)
	v_mul_f64 v[10:11], v[12:13], v[7:8]
	v_fma_f64 v[5:6], -v[5:6], v[10:11], v[12:13]
	s_delay_alu instid0(VALU_DEP_1) | instskip(NEXT) | instid1(VALU_DEP_1)
	v_div_fmas_f64 v[5:6], v[5:6], v[7:8], v[10:11]
	v_div_fixup_f64 v[5:6], v[5:6], v[1:2], v[3:4]
	s_delay_alu instid0(VALU_DEP_1) | instskip(NEXT) | instid1(VALU_DEP_1)
	v_fma_f64 v[1:2], v[3:4], v[5:6], v[1:2]
	v_div_scale_f64 v[3:4], null, v[1:2], v[1:2], 1.0
	v_div_scale_f64 v[12:13], vcc_lo, 1.0, v[1:2], 1.0
	s_delay_alu instid0(VALU_DEP_2) | instskip(SKIP_2) | instid1(VALU_DEP_1)
	v_rcp_f64_e32 v[7:8], v[3:4]
	s_waitcnt_depctr 0xfff
	v_fma_f64 v[10:11], -v[3:4], v[7:8], 1.0
	v_fma_f64 v[7:8], v[7:8], v[10:11], v[7:8]
	s_delay_alu instid0(VALU_DEP_1) | instskip(NEXT) | instid1(VALU_DEP_1)
	v_fma_f64 v[10:11], -v[3:4], v[7:8], 1.0
	v_fma_f64 v[7:8], v[7:8], v[10:11], v[7:8]
	s_delay_alu instid0(VALU_DEP_1) | instskip(NEXT) | instid1(VALU_DEP_1)
	v_mul_f64 v[10:11], v[12:13], v[7:8]
	v_fma_f64 v[3:4], -v[3:4], v[10:11], v[12:13]
	s_delay_alu instid0(VALU_DEP_1) | instskip(SKIP_1) | instid1(VALU_DEP_2)
	v_div_fmas_f64 v[3:4], v[3:4], v[7:8], v[10:11]
	v_fma_f64 v[7:8], v[5:6], 0, 1.0
	v_div_fixup_f64 v[1:2], v[3:4], v[1:2], 1.0
	v_add_f64 v[3:4], -v[5:6], 0
	s_delay_alu instid0(VALU_DEP_2) | instskip(NEXT) | instid1(VALU_DEP_2)
	v_mul_f64 v[5:6], v[7:8], v[1:2]
	v_mul_f64 v[7:8], v[3:4], v[1:2]
.LBB232_12:
	s_or_b32 exec_lo, exec_lo, s2
	s_branch .LBB232_14
.LBB232_13:
	v_mov_b32_e32 v5, 0
	v_dual_mov_b32 v6, 0x3ff00000 :: v_dual_mov_b32 v7, 0
	v_mov_b32_e32 v8, 0
.LBB232_14:
	ds_store_b128 v9, v[5:8]
.LBB232_15:
	s_or_b32 exec_lo, exec_lo, s29
	s_mul_i32 s2, s14, 0xffffffe4
	s_add_i32 s15, s15, -1
	s_add_i32 s2, s2, s19
	s_cmp_ge_u32 s14, s15
	s_waitcnt lgkmcnt(0)
	s_cselect_b32 s2, s2, 28
	; wave barrier
	buffer_gl0_inv
	v_cmp_gt_i32_e32 vcc_lo, s2, v0
	s_mov_b32 s2, -1
	s_and_saveexec_b32 s3, vcc_lo
	s_cbranch_execz .LBB232_58
; %bb.16:
	s_load_b32 s0, s[0:1], 0x58
	v_mad_u64_u32 v[1:2], null, s14, 28, v[0:1]
	s_waitcnt lgkmcnt(0)
	s_delay_alu instid0(VALU_DEP_1) | instskip(SKIP_1) | instid1(SALU_CYCLE_1)
	v_mad_i64_i32 v[2:3], null, s0, v1, 0
	s_lshl_b64 s[0:1], s[22:23], 4
	s_add_u32 s3, s12, s0
	s_addc_u32 s8, s13, s1
	s_or_b32 s17, 0, 8
	s_cmpk_eq_i32 s16, 0x6f
	s_delay_alu instid0(VALU_DEP_1) | instskip(NEXT) | instid1(VALU_DEP_1)
	v_lshlrev_b64 v[4:5], 4, v[2:3]
	v_add_co_u32 v6, vcc_lo, s3, v4
	s_delay_alu instid0(VALU_DEP_2)
	v_add_co_ci_u32_e32 v7, vcc_lo, s8, v5, vcc_lo
	s_cbranch_scc1 .LBB232_37
; %bb.17:
	s_add_u32 s2, s12, s0
	s_addc_u32 s3, s13, s1
	v_add_co_u32 v0, vcc_lo, s2, v4
	v_add_co_ci_u32_e32 v1, vcc_lo, s3, v5, vcc_lo
	s_lshl_b32 s16, s18, 4
	s_delay_alu instid0(VALU_DEP_2) | instskip(NEXT) | instid1(VALU_DEP_2)
	v_add_co_u32 v8, vcc_lo, v0, 8
	v_add_co_ci_u32_e32 v9, vcc_lo, 0, v1, vcc_lo
	s_mov_b32 s3, 0
	s_add_i32 s16, s16, -16
	s_mov_b32 s2, s3
	s_mov_b32 s8, s28
	s_branch .LBB232_19
.LBB232_18:                             ;   in Loop: Header=BB232_19 Depth=1
	s_cmp_lt_i32 s8, 0
	s_cselect_b32 s9, -1, 0
	s_add_i32 s2, s2, 1
	s_delay_alu instid0(SALU_CYCLE_1) | instskip(SKIP_1) | instid1(SALU_CYCLE_1)
	s_cmp_eq_u32 s2, 3
	s_cselect_b32 s10, -1, 0
	s_or_b32 s9, s9, s10
	s_delay_alu instid0(SALU_CYCLE_1)
	s_and_not1_b32 vcc_lo, exec_lo, s9
	s_cbranch_vccz .LBB232_36
.LBB232_19:                             ; =>This Loop Header: Depth=1
                                        ;     Child Loop BB232_22 Depth 2
                                        ;       Child Loop BB232_23 Depth 3
                                        ;       Child Loop BB232_25 Depth 3
                                        ;         Child Loop BB232_26 Depth 4
                                        ;       Child Loop BB232_30 Depth 3
                                        ;         Child Loop BB232_32 Depth 4
	s_getpc_b64 s[10:11]
	s_add_u32 s10, s10, __const._ZL30rocblas_trsm_small_left_deviceILi28ELi28ELb1E19rocblas_complex_numIdES1_PKPKS1_PKPS1_Ev13rocblas_fill_18rocblas_operation_17rocblas_diagonal_iiT3_T4_lilT5_lili.step_sizes@rel32@lo+4
	s_addc_u32 s11, s11, __const._ZL30rocblas_trsm_small_left_deviceILi28ELi28ELb1E19rocblas_complex_numIdES1_PKPKS1_PKPS1_Ev13rocblas_fill_18rocblas_operation_17rocblas_diagonal_iiT3_T4_lilT5_lili.step_sizes@rel32@hi+12
	s_lshl_b64 s[14:15], s[2:3], 2
	s_delay_alu instid0(SALU_CYCLE_1) | instskip(SKIP_4) | instid1(SALU_CYCLE_1)
	s_add_u32 s10, s14, s10
	s_addc_u32 s11, s15, s11
	s_load_b32 s19, s[10:11], 0x0
	s_waitcnt lgkmcnt(0)
	s_add_i32 s20, s19, -1
	s_cmp_lt_i32 s8, s20
	s_cbranch_scc1 .LBB232_18
; %bb.20:                               ;   in Loop: Header=BB232_19 Depth=1
	s_mul_i32 s9, s8, 0x1c0
	s_max_i32 s21, s19, 1
	s_add_i32 s22, s16, s9
	s_mul_i32 s23, s19, 0xfffffe40
	s_mul_i32 s24, s8, 0x1d0
	;; [unrolled: 1-line block ×3, first 2 shown]
	s_branch .LBB232_22
.LBB232_21:                             ;   in Loop: Header=BB232_22 Depth=2
	s_sub_i32 s8, s8, s19
	s_add_i32 s22, s22, s23
	s_add_i32 s24, s24, s25
	s_cmp_lt_i32 s8, s20
	s_cbranch_scc1 .LBB232_18
.LBB232_22:                             ;   Parent Loop BB232_19 Depth=1
                                        ; =>  This Loop Header: Depth=2
                                        ;       Child Loop BB232_23 Depth 3
                                        ;       Child Loop BB232_25 Depth 3
                                        ;         Child Loop BB232_26 Depth 4
                                        ;       Child Loop BB232_30 Depth 3
                                        ;         Child Loop BB232_32 Depth 4
	s_ashr_i32 s9, s8, 31
	s_delay_alu instid0(SALU_CYCLE_1) | instskip(NEXT) | instid1(SALU_CYCLE_1)
	s_lshl_b64 s[10:11], s[8:9], 4
	v_add_co_u32 v0, vcc_lo, v8, s10
	v_add_co_ci_u32_e32 v1, vcc_lo, s11, v9, vcc_lo
	s_mov_b32 s10, 8
	s_mov_b32 s11, s21
	.p2align	6
.LBB232_23:                             ;   Parent Loop BB232_19 Depth=1
                                        ;     Parent Loop BB232_22 Depth=2
                                        ; =>    This Inner Loop Header: Depth=3
	global_load_b128 v[10:13], v[0:1], off offset:-8
	v_add_co_u32 v0, vcc_lo, v0, -16
	v_add_co_ci_u32_e32 v1, vcc_lo, -1, v1, vcc_lo
	s_add_i32 s11, s11, -1
	s_add_i32 s14, s10, 0
	s_add_i32 s10, s10, 16
	s_cmp_eq_u32 s11, 0
	s_waitcnt vmcnt(0)
	v_mul_f64 v[2:3], s[6:7], v[12:13]
	v_mul_f64 v[14:15], s[4:5], v[12:13]
	s_delay_alu instid0(VALU_DEP_2) | instskip(NEXT) | instid1(VALU_DEP_2)
	v_fma_f64 v[12:13], s[4:5], v[10:11], -v[2:3]
	v_fma_f64 v[14:15], s[6:7], v[10:11], v[14:15]
	scratch_store_b128 off, v[12:15], s14 offset:-8
	s_cbranch_scc0 .LBB232_23
; %bb.24:                               ;   in Loop: Header=BB232_22 Depth=2
	s_cmp_le_i32 s28, s8
	s_mov_b32 s14, s22
	s_mov_b32 s10, s28
	s_cbranch_scc1 .LBB232_28
	.p2align	6
.LBB232_25:                             ;   Parent Loop BB232_19 Depth=1
                                        ;     Parent Loop BB232_22 Depth=2
                                        ; =>    This Loop Header: Depth=3
                                        ;         Child Loop BB232_26 Depth 4
	s_ashr_i32 s11, s10, 31
	s_mov_b32 s15, s14
	s_lshl_b64 s[26:27], s[10:11], 4
	s_mov_b32 s11, s17
	v_add_co_u32 v0, vcc_lo, v6, s26
	v_add_co_ci_u32_e32 v1, vcc_lo, s27, v7, vcc_lo
	s_mov_b32 s26, s21
	global_load_b128 v[0:3], v[0:1], off
	.p2align	6
.LBB232_26:                             ;   Parent Loop BB232_19 Depth=1
                                        ;     Parent Loop BB232_22 Depth=2
                                        ;       Parent Loop BB232_25 Depth=3
                                        ; =>      This Inner Loop Header: Depth=4
	scratch_load_b128 v[10:13], off, s11 offset:-8
	v_mov_b32_e32 v14, s15
	s_add_i32 s26, s26, -1
	s_addk_i32 s15, 0xfe40
	ds_load_b128 v[14:17], v14
	s_waitcnt vmcnt(1) lgkmcnt(0)
	v_mul_f64 v[18:19], v[2:3], v[16:17]
	v_mul_f64 v[16:17], v[0:1], v[16:17]
	s_delay_alu instid0(VALU_DEP_2) | instskip(NEXT) | instid1(VALU_DEP_2)
	v_fma_f64 v[18:19], v[0:1], v[14:15], -v[18:19]
	v_fma_f64 v[14:15], v[2:3], v[14:15], v[16:17]
	s_waitcnt vmcnt(0)
	s_delay_alu instid0(VALU_DEP_2) | instskip(NEXT) | instid1(VALU_DEP_2)
	v_add_f64 v[10:11], v[10:11], -v[18:19]
	v_add_f64 v[12:13], v[12:13], -v[14:15]
	scratch_store_b128 off, v[10:13], s11 offset:-8
	s_add_i32 s11, s11, 16
	s_cmp_eq_u32 s26, 0
	s_cbranch_scc0 .LBB232_26
; %bb.27:                               ;   in Loop: Header=BB232_25 Depth=3
	s_add_i32 s10, s10, -1
	s_add_i32 s14, s14, -16
	s_cmp_le_i32 s10, s8
	s_cbranch_scc0 .LBB232_25
.LBB232_28:                             ;   in Loop: Header=BB232_22 Depth=2
	s_mov_b32 s26, 0
	s_mov_b32 s27, s24
	s_branch .LBB232_30
.LBB232_29:                             ;   in Loop: Header=BB232_30 Depth=3
	s_mulk_i32 s14, 0x1d0
	s_lshl_b64 s[10:11], s[10:11], 4
	v_mov_b32_e32 v10, s14
	s_lshl_b32 s14, s26, 4
	s_add_i32 s26, s26, 1
	s_addk_i32 s27, 0xfe40
	ds_load_b128 v[10:13], v10
	s_waitcnt vmcnt(0) lgkmcnt(0)
	v_mul_f64 v[14:15], v[12:13], v[2:3]
	v_mul_f64 v[2:3], v[10:11], v[2:3]
	s_delay_alu instid0(VALU_DEP_2) | instskip(NEXT) | instid1(VALU_DEP_2)
	v_fma_f64 v[10:11], v[10:11], v[0:1], -v[14:15]
	v_fma_f64 v[12:13], v[12:13], v[0:1], v[2:3]
	v_add_co_u32 v0, vcc_lo, v6, s10
	v_add_co_ci_u32_e32 v1, vcc_lo, s11, v7, vcc_lo
	s_add_i32 s10, s14, 0
	s_cmp_eq_u32 s26, s21
	scratch_store_b128 off, v[10:13], s10
	global_store_b128 v[0:1], v[10:13], off
	s_cbranch_scc1 .LBB232_21
.LBB232_30:                             ;   Parent Loop BB232_19 Depth=1
                                        ;     Parent Loop BB232_22 Depth=2
                                        ; =>    This Loop Header: Depth=3
                                        ;         Child Loop BB232_32 Depth 4
	s_cmp_lg_u32 s26, 0
	s_cbranch_scc0 .LBB232_34
; %bb.31:                               ;   in Loop: Header=BB232_30 Depth=3
	s_lshl_b32 s10, s26, 4
	s_mov_b32 s14, s27
	s_add_i32 s11, s10, 0
	v_add_nc_u32_e64 v10, s10, 0
	scratch_load_b128 v[0:3], off, s11
	s_mov_b32 s10, 0
	s_mov_b32 s11, s17
	.p2align	6
.LBB232_32:                             ;   Parent Loop BB232_19 Depth=1
                                        ;     Parent Loop BB232_22 Depth=2
                                        ;       Parent Loop BB232_30 Depth=3
                                        ; =>      This Inner Loop Header: Depth=4
	scratch_load_b128 v[11:14], off, s11 offset:-8
	v_mov_b32_e32 v15, s14
	s_add_i32 s10, s10, 1
	s_add_i32 s14, s14, -16
	s_add_i32 s11, s11, 16
	s_cmp_ge_u32 s10, s26
	ds_load_b128 v[15:18], v15
	s_waitcnt vmcnt(0) lgkmcnt(0)
	v_mul_f64 v[19:20], v[17:18], v[13:14]
	v_mul_f64 v[13:14], v[15:16], v[13:14]
	s_delay_alu instid0(VALU_DEP_2) | instskip(NEXT) | instid1(VALU_DEP_2)
	v_fma_f64 v[15:16], v[15:16], v[11:12], -v[19:20]
	v_fma_f64 v[11:12], v[17:18], v[11:12], v[13:14]
	s_delay_alu instid0(VALU_DEP_2) | instskip(NEXT) | instid1(VALU_DEP_2)
	v_add_f64 v[0:1], v[0:1], -v[15:16]
	v_add_f64 v[2:3], v[2:3], -v[11:12]
	scratch_store_b128 v10, v[0:3], off
	s_cbranch_scc0 .LBB232_32
; %bb.33:                               ;   in Loop: Header=BB232_30 Depth=3
	s_sub_i32 s14, s8, s26
	s_delay_alu instid0(SALU_CYCLE_1) | instskip(NEXT) | instid1(SALU_CYCLE_1)
	s_ashr_i32 s15, s14, 31
	s_mov_b64 s[10:11], s[14:15]
	s_branch .LBB232_29
.LBB232_34:                             ;   in Loop: Header=BB232_30 Depth=3
                                        ; implicit-def: $vgpr0_vgpr1
                                        ; implicit-def: $sgpr14
                                        ; implicit-def: $sgpr10_sgpr11
	s_cbranch_execz .LBB232_29
; %bb.35:                               ;   in Loop: Header=BB232_30 Depth=3
	scratch_load_b128 v[0:3], off, off
	s_mov_b64 s[10:11], s[8:9]
	s_mov_b32 s14, s8
	s_branch .LBB232_29
.LBB232_36:
	s_mov_b32 s2, 0
.LBB232_37:
	s_delay_alu instid0(SALU_CYCLE_1)
	s_and_b32 vcc_lo, exec_lo, s2
	s_cbranch_vccz .LBB232_58
; %bb.38:
	s_add_u32 s0, s12, s0
	s_addc_u32 s1, s13, s1
	v_add_co_u32 v0, vcc_lo, s0, v4
	v_add_co_ci_u32_e32 v1, vcc_lo, s1, v5, vcc_lo
	s_mov_b32 s1, 0
	s_delay_alu instid0(VALU_DEP_2) | instskip(NEXT) | instid1(VALU_DEP_2)
	v_add_co_u32 v8, vcc_lo, v0, 8
	v_add_co_ci_u32_e32 v9, vcc_lo, 0, v1, vcc_lo
	s_mov_b32 s2, s1
	s_mov_b32 s8, s1
	s_branch .LBB232_40
.LBB232_39:                             ;   in Loop: Header=BB232_40 Depth=1
	s_cmp_ge_i32 s2, s18
	s_cselect_b32 s0, -1, 0
	s_add_i32 s8, s8, 1
	s_delay_alu instid0(SALU_CYCLE_1) | instskip(SKIP_1) | instid1(SALU_CYCLE_1)
	s_cmp_eq_u32 s8, 3
	s_cselect_b32 s3, -1, 0
	s_or_b32 s0, s0, s3
	s_delay_alu instid0(SALU_CYCLE_1)
	s_and_b32 vcc_lo, exec_lo, s0
	s_cbranch_vccnz .LBB232_58
.LBB232_40:                             ; =>This Loop Header: Depth=1
                                        ;     Child Loop BB232_43 Depth 2
                                        ;       Child Loop BB232_44 Depth 3
                                        ;       Child Loop BB232_47 Depth 3
                                        ;         Child Loop BB232_48 Depth 4
                                        ;       Child Loop BB232_52 Depth 3
                                        ;         Child Loop BB232_54 Depth 4
	s_mov_b32 s9, s1
	s_getpc_b64 s[10:11]
	s_add_u32 s10, s10, __const._ZL30rocblas_trsm_small_left_deviceILi28ELi28ELb1E19rocblas_complex_numIdES1_PKPKS1_PKPS1_Ev13rocblas_fill_18rocblas_operation_17rocblas_diagonal_iiT3_T4_lilT5_lili.step_sizes@rel32@lo+4
	s_addc_u32 s11, s11, __const._ZL30rocblas_trsm_small_left_deviceILi28ELi28ELb1E19rocblas_complex_numIdES1_PKPKS1_PKPS1_Ev13rocblas_fill_18rocblas_operation_17rocblas_diagonal_iiT3_T4_lilT5_lili.step_sizes@rel32@hi+12
	s_lshl_b64 s[12:13], s[8:9], 2
	s_delay_alu instid0(SALU_CYCLE_1) | instskip(SKIP_4) | instid1(SALU_CYCLE_1)
	s_add_u32 s10, s12, s10
	s_addc_u32 s11, s13, s11
	s_load_b32 s10, s[10:11], 0x0
	s_waitcnt lgkmcnt(0)
	s_add_i32 s9, s10, -1
	s_add_i32 s0, s9, s2
	s_delay_alu instid0(SALU_CYCLE_1)
	s_cmp_ge_i32 s0, s18
	s_cbranch_scc1 .LBB232_39
; %bb.41:                               ;   in Loop: Header=BB232_40 Depth=1
	s_ashr_i32 s3, s2, 31
	s_ashr_i32 s11, s10, 31
	s_lshl_b64 s[12:13], s[2:3], 4
	s_max_i32 s16, s10, 1
	v_add_co_u32 v4, vcc_lo, v8, s12
	v_add_co_ci_u32_e32 v5, vcc_lo, s13, v9, vcc_lo
	s_lshl_b64 s[12:13], s[10:11], 4
	s_lshl_b32 s3, s2, 4
	s_lshl_b32 s11, s10, 4
	s_mul_i32 s19, s2, 0x1d0
	s_mul_i32 s20, s10, 0x1d0
	s_branch .LBB232_43
.LBB232_42:                             ;   in Loop: Header=BB232_43 Depth=2
	v_add_co_u32 v4, vcc_lo, v4, s12
	s_add_i32 s2, s2, s10
	v_add_co_ci_u32_e32 v5, vcc_lo, s13, v5, vcc_lo
	s_add_i32 s0, s9, s2
	s_add_i32 s3, s3, s11
	;; [unrolled: 1-line block ×3, first 2 shown]
	s_cmp_ge_i32 s0, s18
	s_cbranch_scc1 .LBB232_39
.LBB232_43:                             ;   Parent Loop BB232_40 Depth=1
                                        ; =>  This Loop Header: Depth=2
                                        ;       Child Loop BB232_44 Depth 3
                                        ;       Child Loop BB232_47 Depth 3
                                        ;         Child Loop BB232_48 Depth 4
                                        ;       Child Loop BB232_52 Depth 3
                                        ;         Child Loop BB232_54 Depth 4
	v_dual_mov_b32 v0, v4 :: v_dual_mov_b32 v1, v5
	s_mov_b32 s0, 8
	s_mov_b32 s14, s16
	.p2align	6
.LBB232_44:                             ;   Parent Loop BB232_40 Depth=1
                                        ;     Parent Loop BB232_43 Depth=2
                                        ; =>    This Inner Loop Header: Depth=3
	global_load_b128 v[10:13], v[0:1], off offset:-8
	v_add_co_u32 v0, vcc_lo, v0, 16
	v_add_co_ci_u32_e32 v1, vcc_lo, 0, v1, vcc_lo
	s_add_i32 s14, s14, -1
	s_add_i32 s15, s0, 0
	s_add_i32 s0, s0, 16
	s_cmp_eq_u32 s14, 0
	s_waitcnt vmcnt(0)
	v_mul_f64 v[2:3], s[6:7], v[12:13]
	v_mul_f64 v[14:15], s[4:5], v[12:13]
	s_delay_alu instid0(VALU_DEP_2) | instskip(NEXT) | instid1(VALU_DEP_2)
	v_fma_f64 v[12:13], s[4:5], v[10:11], -v[2:3]
	v_fma_f64 v[14:15], s[6:7], v[10:11], v[14:15]
	scratch_store_b128 off, v[12:15], s15 offset:-8
	s_cbranch_scc0 .LBB232_44
; %bb.45:                               ;   in Loop: Header=BB232_43 Depth=2
	s_cmp_lt_i32 s2, 1
	s_cbranch_scc1 .LBB232_50
; %bb.46:                               ;   in Loop: Header=BB232_43 Depth=2
	s_mov_b32 s0, 0
	s_mov_b32 s14, s3
	s_set_inst_prefetch_distance 0x1
	.p2align	6
.LBB232_47:                             ;   Parent Loop BB232_40 Depth=1
                                        ;     Parent Loop BB232_43 Depth=2
                                        ; =>    This Loop Header: Depth=3
                                        ;         Child Loop BB232_48 Depth 4
	s_lshl_b64 s[22:23], s[0:1], 4
	s_mov_b32 s15, s17
	v_add_co_u32 v0, vcc_lo, v6, s22
	v_add_co_ci_u32_e32 v1, vcc_lo, s23, v7, vcc_lo
	s_mov_b32 s21, s14
	s_mov_b32 s22, s16
	global_load_b128 v[0:3], v[0:1], off
	.p2align	6
.LBB232_48:                             ;   Parent Loop BB232_40 Depth=1
                                        ;     Parent Loop BB232_43 Depth=2
                                        ;       Parent Loop BB232_47 Depth=3
                                        ; =>      This Inner Loop Header: Depth=4
	scratch_load_b128 v[10:13], off, s15 offset:-8
	v_mov_b32_e32 v14, s21
	s_add_i32 s22, s22, -1
	s_add_i32 s21, s21, 16
	ds_load_b128 v[14:17], v14
	s_waitcnt vmcnt(1) lgkmcnt(0)
	v_mul_f64 v[18:19], v[2:3], v[16:17]
	v_mul_f64 v[16:17], v[0:1], v[16:17]
	s_delay_alu instid0(VALU_DEP_2) | instskip(NEXT) | instid1(VALU_DEP_2)
	v_fma_f64 v[18:19], v[0:1], v[14:15], -v[18:19]
	v_fma_f64 v[14:15], v[2:3], v[14:15], v[16:17]
	s_waitcnt vmcnt(0)
	s_delay_alu instid0(VALU_DEP_2) | instskip(NEXT) | instid1(VALU_DEP_2)
	v_add_f64 v[10:11], v[10:11], -v[18:19]
	v_add_f64 v[12:13], v[12:13], -v[14:15]
	scratch_store_b128 off, v[10:13], s15 offset:-8
	s_add_i32 s15, s15, 16
	s_cmp_eq_u32 s22, 0
	s_cbranch_scc0 .LBB232_48
; %bb.49:                               ;   in Loop: Header=BB232_47 Depth=3
	s_add_i32 s0, s0, 1
	s_addk_i32 s14, 0x1c0
	s_cmp_ge_i32 s0, s2
	s_cbranch_scc0 .LBB232_47
.LBB232_50:                             ;   in Loop: Header=BB232_43 Depth=2
	s_set_inst_prefetch_distance 0x2
	s_mov_b32 s0, 0
	s_mov_b32 s21, s19
	s_branch .LBB232_52
.LBB232_51:                             ;   in Loop: Header=BB232_52 Depth=3
	s_mul_i32 s15, s14, 0x1d0
	s_lshl_b32 s22, s0, 4
	v_mov_b32_e32 v10, s15
	s_ashr_i32 s15, s14, 31
	s_add_i32 s0, s0, 1
	s_lshl_b64 s[14:15], s[14:15], 4
	s_add_i32 s21, s21, 16
	ds_load_b128 v[10:13], v10
	s_waitcnt vmcnt(0) lgkmcnt(0)
	v_mul_f64 v[14:15], v[12:13], v[2:3]
	v_mul_f64 v[2:3], v[10:11], v[2:3]
	s_delay_alu instid0(VALU_DEP_2) | instskip(NEXT) | instid1(VALU_DEP_2)
	v_fma_f64 v[10:11], v[10:11], v[0:1], -v[14:15]
	v_fma_f64 v[12:13], v[12:13], v[0:1], v[2:3]
	v_add_co_u32 v0, vcc_lo, v6, s14
	v_add_co_ci_u32_e32 v1, vcc_lo, s15, v7, vcc_lo
	s_add_i32 s14, s22, 0
	s_cmp_eq_u32 s0, s16
	scratch_store_b128 off, v[10:13], s14
	global_store_b128 v[0:1], v[10:13], off
	s_cbranch_scc1 .LBB232_42
.LBB232_52:                             ;   Parent Loop BB232_40 Depth=1
                                        ;     Parent Loop BB232_43 Depth=2
                                        ; =>    This Loop Header: Depth=3
                                        ;         Child Loop BB232_54 Depth 4
	s_cmp_lg_u32 s0, 0
	s_cbranch_scc0 .LBB232_56
; %bb.53:                               ;   in Loop: Header=BB232_52 Depth=3
	s_lshl_b32 s15, s0, 4
	s_mov_b32 s22, s17
	s_add_i32 s14, s15, 0
	v_add_nc_u32_e64 v10, s15, 0
	scratch_load_b128 v[0:3], off, s14
	s_add_i32 s14, s0, s2
	s_mov_b32 s15, 0
	s_mov_b32 s23, s21
	.p2align	6
.LBB232_54:                             ;   Parent Loop BB232_40 Depth=1
                                        ;     Parent Loop BB232_43 Depth=2
                                        ;       Parent Loop BB232_52 Depth=3
                                        ; =>      This Inner Loop Header: Depth=4
	scratch_load_b128 v[11:14], off, s22 offset:-8
	v_mov_b32_e32 v15, s23
	s_add_i32 s15, s15, 1
	s_addk_i32 s23, 0x1c0
	s_add_i32 s22, s22, 16
	s_cmp_ge_u32 s15, s0
	ds_load_b128 v[15:18], v15
	s_waitcnt vmcnt(0) lgkmcnt(0)
	v_mul_f64 v[19:20], v[17:18], v[13:14]
	v_mul_f64 v[13:14], v[15:16], v[13:14]
	s_delay_alu instid0(VALU_DEP_2) | instskip(NEXT) | instid1(VALU_DEP_2)
	v_fma_f64 v[15:16], v[15:16], v[11:12], -v[19:20]
	v_fma_f64 v[11:12], v[17:18], v[11:12], v[13:14]
	s_delay_alu instid0(VALU_DEP_2) | instskip(NEXT) | instid1(VALU_DEP_2)
	v_add_f64 v[0:1], v[0:1], -v[15:16]
	v_add_f64 v[2:3], v[2:3], -v[11:12]
	scratch_store_b128 v10, v[0:3], off
	s_cbranch_scc0 .LBB232_54
; %bb.55:                               ;   in Loop: Header=BB232_52 Depth=3
	s_branch .LBB232_51
.LBB232_56:                             ;   in Loop: Header=BB232_52 Depth=3
                                        ; implicit-def: $vgpr0_vgpr1
                                        ; implicit-def: $sgpr14
	s_cbranch_execz .LBB232_51
; %bb.57:                               ;   in Loop: Header=BB232_52 Depth=3
	scratch_load_b128 v[0:3], off, off
	s_mov_b32 s14, s2
	s_branch .LBB232_51
.LBB232_58:
	s_endpgm
	.section	.rodata,"a",@progbits
	.p2align	6, 0x0
	.amdhsa_kernel _ZL30rocblas_trsm_small_left_deviceILi28ELi28ELb1E19rocblas_complex_numIdES1_PKPKS1_PKPS1_Ev13rocblas_fill_18rocblas_operation_17rocblas_diagonal_iiT3_T4_lilT5_lili
		.amdhsa_group_segment_fixed_size 12544
		.amdhsa_private_segment_fixed_size 464
		.amdhsa_kernarg_size 368
		.amdhsa_user_sgpr_count 14
		.amdhsa_user_sgpr_dispatch_ptr 0
		.amdhsa_user_sgpr_queue_ptr 0
		.amdhsa_user_sgpr_kernarg_segment_ptr 1
		.amdhsa_user_sgpr_dispatch_id 0
		.amdhsa_user_sgpr_private_segment_size 0
		.amdhsa_wavefront_size32 1
		.amdhsa_uses_dynamic_stack 0
		.amdhsa_enable_private_segment 1
		.amdhsa_system_sgpr_workgroup_id_x 1
		.amdhsa_system_sgpr_workgroup_id_y 0
		.amdhsa_system_sgpr_workgroup_id_z 1
		.amdhsa_system_sgpr_workgroup_info 0
		.amdhsa_system_vgpr_workitem_id 0
		.amdhsa_next_free_vgpr 25
		.amdhsa_next_free_sgpr 31
		.amdhsa_reserve_vcc 1
		.amdhsa_float_round_mode_32 0
		.amdhsa_float_round_mode_16_64 0
		.amdhsa_float_denorm_mode_32 3
		.amdhsa_float_denorm_mode_16_64 3
		.amdhsa_dx10_clamp 1
		.amdhsa_ieee_mode 1
		.amdhsa_fp16_overflow 0
		.amdhsa_workgroup_processor_mode 1
		.amdhsa_memory_ordered 1
		.amdhsa_forward_progress 0
		.amdhsa_shared_vgpr_count 0
		.amdhsa_exception_fp_ieee_invalid_op 0
		.amdhsa_exception_fp_denorm_src 0
		.amdhsa_exception_fp_ieee_div_zero 0
		.amdhsa_exception_fp_ieee_overflow 0
		.amdhsa_exception_fp_ieee_underflow 0
		.amdhsa_exception_fp_ieee_inexact 0
		.amdhsa_exception_int_div_zero 0
	.end_amdhsa_kernel
	.section	.text._ZL30rocblas_trsm_small_left_deviceILi28ELi28ELb1E19rocblas_complex_numIdES1_PKPKS1_PKPS1_Ev13rocblas_fill_18rocblas_operation_17rocblas_diagonal_iiT3_T4_lilT5_lili,"axG",@progbits,_ZL30rocblas_trsm_small_left_deviceILi28ELi28ELb1E19rocblas_complex_numIdES1_PKPKS1_PKPS1_Ev13rocblas_fill_18rocblas_operation_17rocblas_diagonal_iiT3_T4_lilT5_lili,comdat
.Lfunc_end232:
	.size	_ZL30rocblas_trsm_small_left_deviceILi28ELi28ELb1E19rocblas_complex_numIdES1_PKPKS1_PKPS1_Ev13rocblas_fill_18rocblas_operation_17rocblas_diagonal_iiT3_T4_lilT5_lili, .Lfunc_end232-_ZL30rocblas_trsm_small_left_deviceILi28ELi28ELb1E19rocblas_complex_numIdES1_PKPKS1_PKPS1_Ev13rocblas_fill_18rocblas_operation_17rocblas_diagonal_iiT3_T4_lilT5_lili
                                        ; -- End function
	.section	.AMDGPU.csdata,"",@progbits
; Kernel info:
; codeLenInByte = 3184
; NumSgprs: 33
; NumVgprs: 25
; ScratchSize: 464
; MemoryBound: 0
; FloatMode: 240
; IeeeMode: 1
; LDSByteSize: 12544 bytes/workgroup (compile time only)
; SGPRBlocks: 4
; VGPRBlocks: 3
; NumSGPRsForWavesPerEU: 33
; NumVGPRsForWavesPerEU: 25
; Occupancy: 3
; WaveLimiterHint : 1
; COMPUTE_PGM_RSRC2:SCRATCH_EN: 1
; COMPUTE_PGM_RSRC2:USER_SGPR: 14
; COMPUTE_PGM_RSRC2:TRAP_HANDLER: 0
; COMPUTE_PGM_RSRC2:TGID_X_EN: 1
; COMPUTE_PGM_RSRC2:TGID_Y_EN: 0
; COMPUTE_PGM_RSRC2:TGID_Z_EN: 1
; COMPUTE_PGM_RSRC2:TIDIG_COMP_CNT: 0
	.section	.text._ZL31rocblas_trsm_small_right_deviceI19rocblas_complex_numIdES1_PKPKS1_PKPS1_Li28EEv13rocblas_fill_18rocblas_operation_17rocblas_diagonal_iiT0_T1_lilT2_lili,"axG",@progbits,_ZL31rocblas_trsm_small_right_deviceI19rocblas_complex_numIdES1_PKPKS1_PKPS1_Li28EEv13rocblas_fill_18rocblas_operation_17rocblas_diagonal_iiT0_T1_lilT2_lili,comdat
	.globl	_ZL31rocblas_trsm_small_right_deviceI19rocblas_complex_numIdES1_PKPKS1_PKPS1_Li28EEv13rocblas_fill_18rocblas_operation_17rocblas_diagonal_iiT0_T1_lilT2_lili ; -- Begin function _ZL31rocblas_trsm_small_right_deviceI19rocblas_complex_numIdES1_PKPKS1_PKPS1_Li28EEv13rocblas_fill_18rocblas_operation_17rocblas_diagonal_iiT0_T1_lilT2_lili
	.p2align	8
	.type	_ZL31rocblas_trsm_small_right_deviceI19rocblas_complex_numIdES1_PKPKS1_PKPS1_Li28EEv13rocblas_fill_18rocblas_operation_17rocblas_diagonal_iiT0_T1_lilT2_lili,@function
_ZL31rocblas_trsm_small_right_deviceI19rocblas_complex_numIdES1_PKPKS1_PKPS1_Li28EEv13rocblas_fill_18rocblas_operation_17rocblas_diagonal_iiT0_T1_lilT2_lili: ; @_ZL31rocblas_trsm_small_right_deviceI19rocblas_complex_numIdES1_PKPKS1_PKPS1_Li28EEv13rocblas_fill_18rocblas_operation_17rocblas_diagonal_iiT0_T1_lilT2_lili
; %bb.0:
	s_mov_b32 s2, s15
	s_clause 0x1
	s_load_b128 s[20:23], s[0:1], 0x48
	s_load_b32 s15, s[0:1], 0x10
	s_mov_b32 s3, 0
	s_load_b128 s[16:19], s[0:1], 0x0
	s_lshl_b64 s[24:25], s[2:3], 3
	s_mov_b32 s30, exec_lo
	s_waitcnt lgkmcnt(0)
	s_add_u32 s12, s20, s24
	s_addc_u32 s13, s21, s25
	s_load_b256 s[4:11], s[0:1], 0x18
	s_load_b64 s[12:13], s[12:13], 0x0
	s_min_i32 s28, s15, 28
	s_delay_alu instid0(SALU_CYCLE_1)
	s_add_i32 s29, s28, -1
	v_cmpx_gt_i32_e64 s28, v0
	s_cbranch_execz .LBB233_9
; %bb.1:
	s_load_b32 s20, s[0:1], 0x38
	s_waitcnt lgkmcnt(0)
	s_ashr_i32 s21, s20, 31
	s_cmpk_eq_i32 s17, 0x71
	s_cselect_b32 vcc_lo, -1, 0
	s_add_u32 s8, s8, s24
	s_addc_u32 s9, s9, s25
	s_cmp_lt_u32 s29, 3
	s_load_b64 s[8:9], s[8:9], 0x0
	s_cbranch_scc1 .LBB233_4
; %bb.2:
	v_lshlrev_b32_e32 v1, 4, v0
	s_lshl_b64 s[24:25], s[10:11], 4
	s_and_b32 s3, s28, -4
	s_waitcnt lgkmcnt(0)
	s_add_u32 s2, s8, s24
	s_addc_u32 s24, s9, s25
	v_add_co_u32 v1, s2, s2, v1
	s_delay_alu instid0(VALU_DEP_1) | instskip(SKIP_1) | instid1(VALU_DEP_3)
	v_add_co_ci_u32_e64 v2, null, s24, 0, s2
	v_lshlrev_b32_e32 v3, 4, v0
	v_add_co_u32 v1, s2, v1, 8
	s_delay_alu instid0(VALU_DEP_1)
	v_add_co_ci_u32_e64 v2, s2, 0, v2, s2
	s_lshl_b64 s[24:25], s[20:21], 6
	s_lshl_b64 s[26:27], s[20:21], 4
	s_mov_b32 s31, 0
.LBB233_3:                              ; =>This Inner Loop Header: Depth=1
	v_add_co_u32 v8, s2, v1, s26
	s_delay_alu instid0(VALU_DEP_1) | instskip(SKIP_1) | instid1(VALU_DEP_2)
	v_add_co_ci_u32_e64 v9, s2, s27, v2, s2
	s_add_i32 s31, s31, 4
	v_add_co_u32 v12, s2, v8, s26
	s_delay_alu instid0(VALU_DEP_1) | instskip(SKIP_1) | instid1(VALU_DEP_2)
	v_add_co_ci_u32_e64 v13, s2, s27, v9, s2
	s_cmp_eq_u32 s3, s31
	v_add_co_u32 v16, s2, v12, s26
	s_delay_alu instid0(VALU_DEP_1)
	v_add_co_ci_u32_e64 v17, s2, s27, v13, s2
	s_clause 0x3
	global_load_b128 v[4:7], v[1:2], off offset:-8
	global_load_b128 v[8:11], v[8:9], off offset:-8
	;; [unrolled: 1-line block ×4, first 2 shown]
	v_add_co_u32 v1, s2, v1, s24
	s_delay_alu instid0(VALU_DEP_1)
	v_add_co_ci_u32_e64 v2, s2, s25, v2, s2
	s_waitcnt vmcnt(3)
	v_xor_b32_e32 v20, 0x80000000, v7
	s_waitcnt vmcnt(2)
	v_xor_b32_e32 v21, 0x80000000, v11
	;; [unrolled: 2-line block ×4, first 2 shown]
	v_cndmask_b32_e32 v7, v7, v20, vcc_lo
	v_cndmask_b32_e32 v11, v11, v21, vcc_lo
	;; [unrolled: 1-line block ×3, first 2 shown]
	s_delay_alu instid0(VALU_DEP_4)
	v_cndmask_b32_e32 v19, v19, v23, vcc_lo
	ds_store_b128 v3, v[4:7]
	ds_store_b128 v3, v[8:11] offset:448
	ds_store_b128 v3, v[12:15] offset:896
	;; [unrolled: 1-line block ×3, first 2 shown]
	v_add_nc_u32_e32 v3, 0x700, v3
	s_cbranch_scc0 .LBB233_3
.LBB233_4:
	s_and_b32 s24, s28, 3
	s_delay_alu instid0(SALU_CYCLE_1)
	s_cmp_eq_u32 s24, 0
	s_cbranch_scc1 .LBB233_7
; %bb.5:
	s_mul_i32 s2, s21, s3
	s_mul_hi_u32 s25, s20, s3
	s_mul_i32 s26, s20, s3
	s_add_i32 s27, s25, s2
	s_lshl_b64 s[10:11], s[10:11], 4
	s_lshl_b64 s[26:27], s[26:27], 4
	v_lshlrev_b32_e32 v1, 4, v0
	s_mul_i32 s2, s3, 0x1c0
	s_add_u32 s3, s26, s10
	s_addc_u32 s10, s27, s11
	s_waitcnt lgkmcnt(0)
	s_add_u32 s3, s8, s3
	s_addc_u32 s8, s9, s10
	v_add_co_u32 v1, s3, s3, v1
	s_delay_alu instid0(VALU_DEP_1) | instskip(SKIP_1) | instid1(VALU_DEP_3)
	v_add_co_ci_u32_e64 v2, null, s8, 0, s3
	v_lshl_add_u32 v3, v0, 4, s2
	v_add_co_u32 v1, s2, v1, 8
	s_delay_alu instid0(VALU_DEP_1)
	v_add_co_ci_u32_e64 v2, s2, 0, v2, s2
	s_lshl_b64 s[8:9], s[20:21], 4
.LBB233_6:                              ; =>This Inner Loop Header: Depth=1
	global_load_b128 v[4:7], v[1:2], off offset:-8
	v_add_co_u32 v1, s2, v1, s8
	s_delay_alu instid0(VALU_DEP_1) | instskip(SKIP_1) | instid1(SALU_CYCLE_1)
	v_add_co_ci_u32_e64 v2, s2, s9, v2, s2
	s_add_i32 s24, s24, -1
	s_cmp_lg_u32 s24, 0
	s_waitcnt vmcnt(0)
	v_xor_b32_e32 v8, 0x80000000, v7
	s_delay_alu instid0(VALU_DEP_1)
	v_cndmask_b32_e32 v7, v7, v8, vcc_lo
	ds_store_b128 v3, v[4:7]
	v_add_nc_u32_e32 v3, 0x1c0, v3
	s_cbranch_scc1 .LBB233_6
.LBB233_7:
	s_cmpk_eq_i32 s18, 0x84
	s_cbranch_scc0 .LBB233_9
; %bb.8:
	v_mul_u32_u24_e32 v3, 29, v0
	v_dual_mov_b32 v1, 0 :: v_dual_mov_b32 v2, 0x3ff00000
	s_delay_alu instid0(VALU_DEP_1)
	v_dual_mov_b32 v4, v1 :: v_dual_lshlrev_b32 v5, 4, v3
	v_mov_b32_e32 v3, v1
	ds_store_b128 v5, v[1:4]
.LBB233_9:
	s_or_b32 exec_lo, exec_lo, s30
	s_waitcnt lgkmcnt(0)
	s_clause 0x1
	s_load_b32 s8, s[0:1], 0x70
	s_load_b32 s0, s[0:1], 0x58
	s_lshl_b64 s[2:3], s[22:23], 4
	s_mul_i32 s10, s14, 0xffffffe4
	s_add_u32 s1, s12, s2
	s_addc_u32 s9, s13, s3
	s_add_i32 s10, s10, s19
	s_mul_i32 s18, s14, 0x1c0
	s_mov_b32 s23, 0
	s_waitcnt lgkmcnt(0)
	s_add_i32 s8, s8, -1
	s_delay_alu instid0(SALU_CYCLE_1)
	s_cmp_ge_u32 s14, s8
	s_mul_hi_i32 s14, s14, 0x1c0
	s_cselect_b32 s8, s10, 28
	s_add_u32 s19, s1, s18
	s_addc_u32 s20, s9, s14
	v_cmp_gt_i32_e32 vcc_lo, s8, v0
	s_cmp_gt_i32 s15, 0
	s_cselect_b32 s1, -1, 0
	s_delay_alu instid0(SALU_CYCLE_1) | instskip(NEXT) | instid1(SALU_CYCLE_1)
	s_and_b32 s21, vcc_lo, s1
	s_and_saveexec_b32 s22, s21
	s_cbranch_execz .LBB233_16
; %bb.10:
	s_ashr_i32 s1, s0, 31
	s_cmp_lt_u32 s15, 4
	s_cbranch_scc1 .LBB233_13
; %bb.11:
	v_lshlrev_b32_e32 v1, 4, v0
	v_lshl_add_u32 v3, v0, 4, 0x3100
	s_and_b32 s23, s15, 0x7ffffffc
	s_lshl_b64 s[10:11], s[0:1], 4
	s_mov_b32 s24, 0
	v_add_co_u32 v1, s8, s19, v1
	s_delay_alu instid0(VALU_DEP_1)
	v_add_co_ci_u32_e64 v2, null, s20, 0, s8
	s_lshl_b64 s[8:9], s[0:1], 6
.LBB233_12:                             ; =>This Inner Loop Header: Depth=1
	s_delay_alu instid0(VALU_DEP_2) | instskip(NEXT) | instid1(VALU_DEP_2)
	v_add_co_u32 v8, vcc_lo, v1, s10
	v_add_co_ci_u32_e32 v9, vcc_lo, s11, v2, vcc_lo
	global_load_b128 v[4:7], v[1:2], off
	v_add_co_u32 v12, vcc_lo, v8, s10
	v_add_co_ci_u32_e32 v13, vcc_lo, s11, v9, vcc_lo
	global_load_b128 v[8:11], v[8:9], off
	v_add_co_u32 v16, vcc_lo, v12, s10
	v_add_co_ci_u32_e32 v17, vcc_lo, s11, v13, vcc_lo
	v_add_co_u32 v1, vcc_lo, v1, s8
	s_clause 0x1
	global_load_b128 v[12:15], v[12:13], off
	global_load_b128 v[16:19], v[16:17], off
	v_add_co_ci_u32_e32 v2, vcc_lo, s9, v2, vcc_lo
	s_add_i32 s24, s24, 4
	s_delay_alu instid0(SALU_CYCLE_1)
	s_cmp_lg_u32 s23, s24
	s_waitcnt vmcnt(3)
	v_mul_f64 v[20:21], s[6:7], v[6:7]
	v_mul_f64 v[6:7], s[4:5], v[6:7]
	s_waitcnt vmcnt(2)
	v_mul_f64 v[22:23], s[6:7], v[10:11]
	v_mul_f64 v[10:11], s[4:5], v[10:11]
	;; [unrolled: 3-line block ×4, first 2 shown]
	v_fma_f64 v[18:19], s[4:5], v[4:5], -v[20:21]
	v_fma_f64 v[20:21], s[6:7], v[4:5], v[6:7]
	v_fma_f64 v[4:5], s[4:5], v[8:9], -v[22:23]
	v_fma_f64 v[6:7], s[6:7], v[8:9], v[10:11]
	;; [unrolled: 2-line block ×4, first 2 shown]
	ds_store_b128 v3, v[18:21]
	ds_store_b128 v3, v[4:7] offset:448
	ds_store_b128 v3, v[8:11] offset:896
	ds_store_b128 v3, v[12:15] offset:1344
	v_add_nc_u32_e32 v3, 0x700, v3
	s_cbranch_scc1 .LBB233_12
.LBB233_13:
	s_and_b32 s10, s15, 3
	s_delay_alu instid0(SALU_CYCLE_1)
	s_cmp_eq_u32 s10, 0
	s_cbranch_scc1 .LBB233_16
; %bb.14:
	s_mul_hi_i32 s9, s0, s23
	s_mul_i32 s8, s0, s23
	v_lshlrev_b32_e32 v1, 4, v0
	s_lshl_b64 s[8:9], s[8:9], 4
	s_mul_i32 s11, s23, 0x1c0
	s_add_u32 s8, s8, s18
	s_addc_u32 s9, s9, s14
	s_add_u32 s8, s8, s2
	s_addc_u32 s9, s9, s3
	;; [unrolled: 2-line block ×3, first 2 shown]
	v_add_co_u32 v2, s8, s8, v1
	s_delay_alu instid0(VALU_DEP_1) | instskip(SKIP_1) | instid1(VALU_DEP_3)
	v_add_co_ci_u32_e64 v4, null, s9, 0, s8
	v_add3_u32 v3, s11, v1, 0x3100
	v_add_co_u32 v1, vcc_lo, v2, 8
	s_delay_alu instid0(VALU_DEP_3)
	v_add_co_ci_u32_e32 v2, vcc_lo, 0, v4, vcc_lo
	s_lshl_b64 s[8:9], s[0:1], 4
	.p2align	6
.LBB233_15:                             ; =>This Inner Loop Header: Depth=1
	global_load_b128 v[4:7], v[1:2], off offset:-8
	v_add_co_u32 v1, vcc_lo, v1, s8
	v_add_co_ci_u32_e32 v2, vcc_lo, s9, v2, vcc_lo
	s_add_i32 s10, s10, -1
	s_delay_alu instid0(SALU_CYCLE_1) | instskip(SKIP_3) | instid1(VALU_DEP_2)
	s_cmp_lg_u32 s10, 0
	s_waitcnt vmcnt(0)
	v_mul_f64 v[8:9], s[6:7], v[6:7]
	v_mul_f64 v[10:11], s[4:5], v[6:7]
	v_fma_f64 v[6:7], s[4:5], v[4:5], -v[8:9]
	s_delay_alu instid0(VALU_DEP_2)
	v_fma_f64 v[8:9], s[6:7], v[4:5], v[10:11]
	ds_store_b128 v3, v[6:9]
	v_add_nc_u32_e32 v3, 0x1c0, v3
	s_cbranch_scc1 .LBB233_15
.LBB233_16:
	s_or_b32 exec_lo, exec_lo, s22
	s_cmpk_eq_i32 s17, 0x6f
	s_waitcnt lgkmcnt(0)
	s_cselect_b32 s1, -1, 0
	s_cmpk_eq_i32 s16, 0x79
	; wave barrier
	buffer_gl0_inv
	s_cselect_b32 s5, -1, 0
	s_cmpk_lg_i32 s16, 0x79
	s_cselect_b32 s4, -1, 0
	s_and_b32 s5, s5, s1
	s_delay_alu instid0(SALU_CYCLE_1)
	s_and_not1_b32 vcc_lo, exec_lo, s5
	s_mov_b32 s5, -1
	s_cbranch_vccz .LBB233_124
; %bb.17:
	s_cmpk_lg_i32 s16, 0x7a
	s_cselect_b32 s5, -1, 0
	s_xor_b32 s1, s1, -1
	s_delay_alu instid0(SALU_CYCLE_1)
	s_or_b32 s5, s5, s1
	s_cmp_gt_i32 s15, 3
	s_cselect_b32 s1, -1, 0
	s_and_b32 vcc_lo, exec_lo, s5
	s_mov_b32 s5, -1
	s_cbranch_vccz .LBB233_91
; %bb.18:
	s_and_not1_b32 vcc_lo, exec_lo, s4
	s_mov_b32 s4, -1
	s_cbranch_vccnz .LBB233_58
; %bb.19:
	s_and_not1_b32 vcc_lo, exec_lo, s1
	s_mov_b32 s6, 0
	s_cbranch_vccnz .LBB233_42
; %bb.20:
	v_lshl_add_u32 v25, v0, 4, 0x3100
	s_mov_b32 s4, 0
	s_mov_b32 s5, 0
.LBB233_21:                             ; =>This Loop Header: Depth=1
                                        ;     Child Loop BB233_23 Depth 2
	s_delay_alu instid0(SALU_CYCLE_1) | instskip(NEXT) | instid1(SALU_CYCLE_1)
	s_mul_i32 s6, s5, 28
	s_add_i32 s7, s6, 28
	v_add_lshl_u32 v13, s6, v0, 4
	s_add_i32 s6, s6, 56
	v_add_lshl_u32 v14, s7, v0, 4
	v_add_lshl_u32 v15, s6, v0, 4
	s_cmp_eq_u32 s5, 0
	ds_load_b128 v[17:20], v13 offset:12544
	ds_load_b128 v[9:12], v14 offset:12544
	;; [unrolled: 1-line block ×4, first 2 shown]
	s_cbranch_scc1 .LBB233_24
; %bb.22:                               ;   in Loop: Header=BB233_21 Depth=1
	v_mov_b32_e32 v16, v25
	s_mov_b32 s8, 0
	s_mov_b32 s9, s4
.LBB233_23:                             ;   Parent Loop BB233_21 Depth=1
                                        ; =>  This Inner Loop Header: Depth=2
	s_delay_alu instid0(SALU_CYCLE_1)
	v_mov_b32_e32 v58, s9
	s_add_i32 s8, s8, 2
	s_addk_i32 s9, 0x380
	s_cmp_ge_u32 s8, s5
	ds_load_b128 v[21:24], v16
	ds_load_b128 v[26:29], v58
	ds_load_b128 v[30:33], v58 offset:16
	ds_load_b128 v[34:37], v58 offset:32
	;; [unrolled: 1-line block ×8, first 2 shown]
	v_add_nc_u32_e32 v16, 0x380, v16
	s_waitcnt lgkmcnt(8)
	v_mul_f64 v[62:63], v[23:24], v[28:29]
	v_mul_f64 v[28:29], v[21:22], v[28:29]
	s_waitcnt lgkmcnt(7)
	v_mul_f64 v[64:65], v[23:24], v[32:33]
	v_mul_f64 v[32:33], v[21:22], v[32:33]
	;; [unrolled: 3-line block ×8, first 2 shown]
	v_fma_f64 v[62:63], v[21:22], v[26:27], -v[62:63]
	v_fma_f64 v[26:27], v[23:24], v[26:27], v[28:29]
	v_fma_f64 v[28:29], v[21:22], v[30:31], -v[64:65]
	v_fma_f64 v[30:31], v[23:24], v[30:31], v[32:33]
	;; [unrolled: 2-line block ×8, first 2 shown]
	v_add_f64 v[17:18], v[17:18], -v[62:63]
	v_add_f64 v[19:20], v[19:20], -v[26:27]
	;; [unrolled: 1-line block ×16, first 2 shown]
	s_cbranch_scc0 .LBB233_23
.LBB233_24:                             ;   in Loop: Header=BB233_21 Depth=1
	s_mul_i32 s8, s5, 0x1d0
	s_delay_alu instid0(SALU_CYCLE_1)
	v_dual_mov_b32 v13, s8 :: v_dual_add_nc_u32 v28, 0x3100, v13
	ds_load_b128 v[21:24], v13
	s_waitcnt lgkmcnt(0)
	v_dual_mov_b32 v13, v21 :: v_dual_add_nc_u32 v26, 0x3100, v15
	v_cmp_gt_f64_e32 vcc_lo, 0, v[21:22]
	v_xor_b32_e32 v15, 0x80000000, v24
	v_add_nc_u32_e32 v27, 0x3100, v14
	v_xor_b32_e32 v14, 0x80000000, v22
	s_delay_alu instid0(VALU_DEP_1) | instskip(SKIP_2) | instid1(VALU_DEP_1)
	v_cndmask_b32_e32 v14, v22, v14, vcc_lo
	v_cmp_gt_f64_e32 vcc_lo, 0, v[23:24]
	v_dual_cndmask_b32 v16, v24, v15 :: v_dual_mov_b32 v15, v23
	v_cmp_ngt_f64_e32 vcc_lo, v[13:14], v[15:16]
	s_cbranch_vccz .LBB233_26
; %bb.25:                               ;   in Loop: Header=BB233_21 Depth=1
	v_div_scale_f64 v[13:14], null, v[23:24], v[23:24], v[21:22]
	v_div_scale_f64 v[31:32], vcc_lo, v[21:22], v[23:24], v[21:22]
	s_delay_alu instid0(VALU_DEP_2) | instskip(SKIP_2) | instid1(VALU_DEP_1)
	v_rcp_f64_e32 v[15:16], v[13:14]
	s_waitcnt_depctr 0xfff
	v_fma_f64 v[29:30], -v[13:14], v[15:16], 1.0
	v_fma_f64 v[15:16], v[15:16], v[29:30], v[15:16]
	s_delay_alu instid0(VALU_DEP_1) | instskip(NEXT) | instid1(VALU_DEP_1)
	v_fma_f64 v[29:30], -v[13:14], v[15:16], 1.0
	v_fma_f64 v[15:16], v[15:16], v[29:30], v[15:16]
	s_delay_alu instid0(VALU_DEP_1) | instskip(NEXT) | instid1(VALU_DEP_1)
	v_mul_f64 v[29:30], v[31:32], v[15:16]
	v_fma_f64 v[13:14], -v[13:14], v[29:30], v[31:32]
	s_delay_alu instid0(VALU_DEP_1) | instskip(NEXT) | instid1(VALU_DEP_1)
	v_div_fmas_f64 v[13:14], v[13:14], v[15:16], v[29:30]
	v_div_fixup_f64 v[13:14], v[13:14], v[23:24], v[21:22]
	s_delay_alu instid0(VALU_DEP_1) | instskip(NEXT) | instid1(VALU_DEP_1)
	v_fma_f64 v[15:16], v[21:22], v[13:14], v[23:24]
	v_div_scale_f64 v[29:30], null, v[15:16], v[15:16], 1.0
	v_div_scale_f64 v[35:36], vcc_lo, 1.0, v[15:16], 1.0
	s_delay_alu instid0(VALU_DEP_2) | instskip(SKIP_2) | instid1(VALU_DEP_1)
	v_rcp_f64_e32 v[31:32], v[29:30]
	s_waitcnt_depctr 0xfff
	v_fma_f64 v[33:34], -v[29:30], v[31:32], 1.0
	v_fma_f64 v[31:32], v[31:32], v[33:34], v[31:32]
	s_delay_alu instid0(VALU_DEP_1) | instskip(NEXT) | instid1(VALU_DEP_1)
	v_fma_f64 v[33:34], -v[29:30], v[31:32], 1.0
	v_fma_f64 v[31:32], v[31:32], v[33:34], v[31:32]
	s_delay_alu instid0(VALU_DEP_1) | instskip(NEXT) | instid1(VALU_DEP_1)
	v_mul_f64 v[33:34], v[35:36], v[31:32]
	v_fma_f64 v[29:30], -v[29:30], v[33:34], v[35:36]
	s_delay_alu instid0(VALU_DEP_1) | instskip(SKIP_1) | instid1(VALU_DEP_2)
	v_div_fmas_f64 v[29:30], v[29:30], v[31:32], v[33:34]
	v_fma_f64 v[31:32], v[17:18], v[13:14], v[19:20]
	v_div_fixup_f64 v[15:16], v[29:30], v[15:16], 1.0
	v_fma_f64 v[29:30], v[19:20], v[13:14], -v[17:18]
	s_delay_alu instid0(VALU_DEP_2) | instskip(NEXT) | instid1(VALU_DEP_2)
	v_mul_f64 v[13:14], v[31:32], v[15:16]
	v_mul_f64 v[15:16], v[29:30], v[15:16]
	s_cbranch_execz .LBB233_27
	s_branch .LBB233_28
.LBB233_26:                             ;   in Loop: Header=BB233_21 Depth=1
                                        ; implicit-def: $vgpr15_vgpr16
.LBB233_27:                             ;   in Loop: Header=BB233_21 Depth=1
	v_div_scale_f64 v[13:14], null, v[21:22], v[21:22], v[23:24]
	v_div_scale_f64 v[31:32], vcc_lo, v[23:24], v[21:22], v[23:24]
	s_delay_alu instid0(VALU_DEP_2) | instskip(SKIP_2) | instid1(VALU_DEP_1)
	v_rcp_f64_e32 v[15:16], v[13:14]
	s_waitcnt_depctr 0xfff
	v_fma_f64 v[29:30], -v[13:14], v[15:16], 1.0
	v_fma_f64 v[15:16], v[15:16], v[29:30], v[15:16]
	s_delay_alu instid0(VALU_DEP_1) | instskip(NEXT) | instid1(VALU_DEP_1)
	v_fma_f64 v[29:30], -v[13:14], v[15:16], 1.0
	v_fma_f64 v[15:16], v[15:16], v[29:30], v[15:16]
	s_delay_alu instid0(VALU_DEP_1) | instskip(NEXT) | instid1(VALU_DEP_1)
	v_mul_f64 v[29:30], v[31:32], v[15:16]
	v_fma_f64 v[13:14], -v[13:14], v[29:30], v[31:32]
	s_delay_alu instid0(VALU_DEP_1) | instskip(NEXT) | instid1(VALU_DEP_1)
	v_div_fmas_f64 v[13:14], v[13:14], v[15:16], v[29:30]
	v_div_fixup_f64 v[13:14], v[13:14], v[21:22], v[23:24]
	s_delay_alu instid0(VALU_DEP_1) | instskip(NEXT) | instid1(VALU_DEP_1)
	v_fma_f64 v[15:16], v[23:24], v[13:14], v[21:22]
	v_div_scale_f64 v[21:22], null, v[15:16], v[15:16], 1.0
	v_div_scale_f64 v[31:32], vcc_lo, 1.0, v[15:16], 1.0
	s_delay_alu instid0(VALU_DEP_2) | instskip(SKIP_2) | instid1(VALU_DEP_1)
	v_rcp_f64_e32 v[23:24], v[21:22]
	s_waitcnt_depctr 0xfff
	v_fma_f64 v[29:30], -v[21:22], v[23:24], 1.0
	v_fma_f64 v[23:24], v[23:24], v[29:30], v[23:24]
	s_delay_alu instid0(VALU_DEP_1) | instskip(NEXT) | instid1(VALU_DEP_1)
	v_fma_f64 v[29:30], -v[21:22], v[23:24], 1.0
	v_fma_f64 v[23:24], v[23:24], v[29:30], v[23:24]
	s_delay_alu instid0(VALU_DEP_1) | instskip(NEXT) | instid1(VALU_DEP_1)
	v_mul_f64 v[29:30], v[31:32], v[23:24]
	v_fma_f64 v[21:22], -v[21:22], v[29:30], v[31:32]
	s_delay_alu instid0(VALU_DEP_1) | instskip(SKIP_2) | instid1(VALU_DEP_3)
	v_div_fmas_f64 v[21:22], v[21:22], v[23:24], v[29:30]
	v_fma_f64 v[23:24], v[19:20], v[13:14], v[17:18]
	v_fma_f64 v[17:18], -v[17:18], v[13:14], v[19:20]
	v_div_fixup_f64 v[15:16], v[21:22], v[15:16], 1.0
	s_delay_alu instid0(VALU_DEP_1) | instskip(NEXT) | instid1(VALU_DEP_3)
	v_mul_f64 v[13:14], v[23:24], v[15:16]
	v_mul_f64 v[15:16], v[17:18], v[15:16]
.LBB233_28:                             ;   in Loop: Header=BB233_21 Depth=1
	v_mov_b32_e32 v17, s8
	ds_load_b128 v[21:24], v17 offset:16
	ds_load_b128 v[17:20], v17 offset:464
	ds_store_b128 v28, v[13:16]
	s_waitcnt lgkmcnt(2)
	v_mul_f64 v[29:30], v[15:16], v[23:24]
	v_mul_f64 v[23:24], v[13:14], v[23:24]
	s_waitcnt lgkmcnt(1)
	v_cmp_gt_f64_e32 vcc_lo, 0, v[17:18]
	v_xor_b32_e32 v32, 0x80000000, v20
	v_mov_b32_e32 v31, v19
	v_fma_f64 v[29:30], v[13:14], v[21:22], -v[29:30]
	v_fma_f64 v[23:24], v[15:16], v[21:22], v[23:24]
	v_xor_b32_e32 v22, 0x80000000, v18
	s_delay_alu instid0(VALU_DEP_1) | instskip(SKIP_4) | instid1(VALU_DEP_1)
	v_cndmask_b32_e32 v22, v18, v22, vcc_lo
	v_cmp_gt_f64_e32 vcc_lo, 0, v[19:20]
	v_mov_b32_e32 v21, v17
	v_add_f64 v[23:24], v[11:12], -v[23:24]
	v_cndmask_b32_e32 v32, v20, v32, vcc_lo
	v_cmp_ngt_f64_e32 vcc_lo, v[21:22], v[31:32]
	v_add_f64 v[21:22], v[9:10], -v[29:30]
	s_cbranch_vccz .LBB233_30
; %bb.29:                               ;   in Loop: Header=BB233_21 Depth=1
	v_div_scale_f64 v[9:10], null, v[19:20], v[19:20], v[17:18]
	v_div_scale_f64 v[30:31], vcc_lo, v[17:18], v[19:20], v[17:18]
	s_delay_alu instid0(VALU_DEP_2) | instskip(SKIP_2) | instid1(VALU_DEP_1)
	v_rcp_f64_e32 v[11:12], v[9:10]
	s_waitcnt_depctr 0xfff
	v_fma_f64 v[28:29], -v[9:10], v[11:12], 1.0
	v_fma_f64 v[11:12], v[11:12], v[28:29], v[11:12]
	s_delay_alu instid0(VALU_DEP_1) | instskip(NEXT) | instid1(VALU_DEP_1)
	v_fma_f64 v[28:29], -v[9:10], v[11:12], 1.0
	v_fma_f64 v[11:12], v[11:12], v[28:29], v[11:12]
	s_delay_alu instid0(VALU_DEP_1) | instskip(NEXT) | instid1(VALU_DEP_1)
	v_mul_f64 v[28:29], v[30:31], v[11:12]
	v_fma_f64 v[9:10], -v[9:10], v[28:29], v[30:31]
	s_delay_alu instid0(VALU_DEP_1) | instskip(NEXT) | instid1(VALU_DEP_1)
	v_div_fmas_f64 v[9:10], v[9:10], v[11:12], v[28:29]
	v_div_fixup_f64 v[9:10], v[9:10], v[19:20], v[17:18]
	s_delay_alu instid0(VALU_DEP_1) | instskip(NEXT) | instid1(VALU_DEP_1)
	v_fma_f64 v[11:12], v[17:18], v[9:10], v[19:20]
	v_div_scale_f64 v[28:29], null, v[11:12], v[11:12], 1.0
	v_div_scale_f64 v[34:35], vcc_lo, 1.0, v[11:12], 1.0
	s_delay_alu instid0(VALU_DEP_2) | instskip(SKIP_2) | instid1(VALU_DEP_1)
	v_rcp_f64_e32 v[30:31], v[28:29]
	s_waitcnt_depctr 0xfff
	v_fma_f64 v[32:33], -v[28:29], v[30:31], 1.0
	v_fma_f64 v[30:31], v[30:31], v[32:33], v[30:31]
	s_delay_alu instid0(VALU_DEP_1) | instskip(NEXT) | instid1(VALU_DEP_1)
	v_fma_f64 v[32:33], -v[28:29], v[30:31], 1.0
	v_fma_f64 v[30:31], v[30:31], v[32:33], v[30:31]
	s_delay_alu instid0(VALU_DEP_1) | instskip(NEXT) | instid1(VALU_DEP_1)
	v_mul_f64 v[32:33], v[34:35], v[30:31]
	v_fma_f64 v[28:29], -v[28:29], v[32:33], v[34:35]
	s_delay_alu instid0(VALU_DEP_1) | instskip(SKIP_1) | instid1(VALU_DEP_2)
	v_div_fmas_f64 v[28:29], v[28:29], v[30:31], v[32:33]
	v_fma_f64 v[30:31], v[9:10], v[21:22], v[23:24]
	v_div_fixup_f64 v[11:12], v[28:29], v[11:12], 1.0
	v_fma_f64 v[28:29], v[9:10], v[23:24], -v[21:22]
	s_delay_alu instid0(VALU_DEP_2) | instskip(NEXT) | instid1(VALU_DEP_2)
	v_mul_f64 v[9:10], v[30:31], v[11:12]
	v_mul_f64 v[11:12], v[28:29], v[11:12]
	s_cbranch_execz .LBB233_31
	s_branch .LBB233_32
.LBB233_30:                             ;   in Loop: Header=BB233_21 Depth=1
                                        ; implicit-def: $vgpr11_vgpr12
.LBB233_31:                             ;   in Loop: Header=BB233_21 Depth=1
	v_div_scale_f64 v[9:10], null, v[17:18], v[17:18], v[19:20]
	v_div_scale_f64 v[30:31], vcc_lo, v[19:20], v[17:18], v[19:20]
	s_delay_alu instid0(VALU_DEP_2) | instskip(SKIP_2) | instid1(VALU_DEP_1)
	v_rcp_f64_e32 v[11:12], v[9:10]
	s_waitcnt_depctr 0xfff
	v_fma_f64 v[28:29], -v[9:10], v[11:12], 1.0
	v_fma_f64 v[11:12], v[11:12], v[28:29], v[11:12]
	s_delay_alu instid0(VALU_DEP_1) | instskip(NEXT) | instid1(VALU_DEP_1)
	v_fma_f64 v[28:29], -v[9:10], v[11:12], 1.0
	v_fma_f64 v[11:12], v[11:12], v[28:29], v[11:12]
	s_delay_alu instid0(VALU_DEP_1) | instskip(NEXT) | instid1(VALU_DEP_1)
	v_mul_f64 v[28:29], v[30:31], v[11:12]
	v_fma_f64 v[9:10], -v[9:10], v[28:29], v[30:31]
	s_delay_alu instid0(VALU_DEP_1) | instskip(NEXT) | instid1(VALU_DEP_1)
	v_div_fmas_f64 v[9:10], v[9:10], v[11:12], v[28:29]
	v_div_fixup_f64 v[9:10], v[9:10], v[17:18], v[19:20]
	s_delay_alu instid0(VALU_DEP_1) | instskip(NEXT) | instid1(VALU_DEP_1)
	v_fma_f64 v[11:12], v[19:20], v[9:10], v[17:18]
	v_div_scale_f64 v[17:18], null, v[11:12], v[11:12], 1.0
	v_div_scale_f64 v[30:31], vcc_lo, 1.0, v[11:12], 1.0
	s_delay_alu instid0(VALU_DEP_2) | instskip(SKIP_2) | instid1(VALU_DEP_1)
	v_rcp_f64_e32 v[19:20], v[17:18]
	s_waitcnt_depctr 0xfff
	v_fma_f64 v[28:29], -v[17:18], v[19:20], 1.0
	v_fma_f64 v[19:20], v[19:20], v[28:29], v[19:20]
	s_delay_alu instid0(VALU_DEP_1) | instskip(NEXT) | instid1(VALU_DEP_1)
	v_fma_f64 v[28:29], -v[17:18], v[19:20], 1.0
	v_fma_f64 v[19:20], v[19:20], v[28:29], v[19:20]
	s_delay_alu instid0(VALU_DEP_1) | instskip(NEXT) | instid1(VALU_DEP_1)
	v_mul_f64 v[28:29], v[30:31], v[19:20]
	v_fma_f64 v[17:18], -v[17:18], v[28:29], v[30:31]
	s_delay_alu instid0(VALU_DEP_1) | instskip(SKIP_1) | instid1(VALU_DEP_2)
	v_div_fmas_f64 v[17:18], v[17:18], v[19:20], v[28:29]
	v_fma_f64 v[19:20], v[9:10], v[23:24], v[21:22]
	v_div_fixup_f64 v[11:12], v[17:18], v[11:12], 1.0
	v_fma_f64 v[17:18], -v[9:10], v[21:22], v[23:24]
	s_delay_alu instid0(VALU_DEP_2) | instskip(NEXT) | instid1(VALU_DEP_2)
	v_mul_f64 v[9:10], v[19:20], v[11:12]
	v_mul_f64 v[11:12], v[17:18], v[11:12]
.LBB233_32:                             ;   in Loop: Header=BB233_21 Depth=1
	s_add_i32 s7, s7, s5
	s_delay_alu instid0(SALU_CYCLE_1) | instskip(NEXT) | instid1(SALU_CYCLE_1)
	s_lshl_b32 s7, s7, 4
	v_dual_mov_b32 v17, s8 :: v_dual_mov_b32 v28, s7
	ds_load_b128 v[21:24], v17 offset:32
	ds_load_b128 v[17:20], v17 offset:928
	;; [unrolled: 1-line block ×3, first 2 shown]
	ds_store_b128 v27, v[9:12]
	s_waitcnt lgkmcnt(3)
	v_mul_f64 v[32:33], v[15:16], v[23:24]
	v_mul_f64 v[23:24], v[13:14], v[23:24]
	s_waitcnt lgkmcnt(1)
	v_mul_f64 v[34:35], v[11:12], v[30:31]
	v_mul_f64 v[30:31], v[9:10], v[30:31]
	v_cmp_gt_f64_e32 vcc_lo, 0, v[17:18]
	v_fma_f64 v[32:33], v[13:14], v[21:22], -v[32:33]
	v_fma_f64 v[21:22], v[15:16], v[21:22], v[23:24]
	v_fma_f64 v[23:24], v[9:10], v[28:29], -v[34:35]
	v_fma_f64 v[28:29], v[11:12], v[28:29], v[30:31]
	v_xor_b32_e32 v31, 0x80000000, v20
	v_mov_b32_e32 v30, v19
	v_add_f64 v[5:6], v[5:6], -v[32:33]
	v_add_f64 v[7:8], v[7:8], -v[21:22]
	v_xor_b32_e32 v22, 0x80000000, v18
	s_delay_alu instid0(VALU_DEP_1) | instskip(SKIP_2) | instid1(VALU_DEP_1)
	v_dual_mov_b32 v21, v17 :: v_dual_cndmask_b32 v22, v18, v22
	v_cmp_gt_f64_e32 vcc_lo, 0, v[19:20]
	v_cndmask_b32_e32 v31, v20, v31, vcc_lo
	v_cmp_ngt_f64_e32 vcc_lo, v[21:22], v[30:31]
	v_add_f64 v[21:22], v[5:6], -v[23:24]
	v_add_f64 v[23:24], v[7:8], -v[28:29]
	s_cbranch_vccz .LBB233_34
; %bb.33:                               ;   in Loop: Header=BB233_21 Depth=1
	v_div_scale_f64 v[5:6], null, v[19:20], v[19:20], v[17:18]
	v_div_scale_f64 v[29:30], vcc_lo, v[17:18], v[19:20], v[17:18]
	s_delay_alu instid0(VALU_DEP_2) | instskip(SKIP_2) | instid1(VALU_DEP_1)
	v_rcp_f64_e32 v[7:8], v[5:6]
	s_waitcnt_depctr 0xfff
	v_fma_f64 v[27:28], -v[5:6], v[7:8], 1.0
	v_fma_f64 v[7:8], v[7:8], v[27:28], v[7:8]
	s_delay_alu instid0(VALU_DEP_1) | instskip(NEXT) | instid1(VALU_DEP_1)
	v_fma_f64 v[27:28], -v[5:6], v[7:8], 1.0
	v_fma_f64 v[7:8], v[7:8], v[27:28], v[7:8]
	s_delay_alu instid0(VALU_DEP_1) | instskip(NEXT) | instid1(VALU_DEP_1)
	v_mul_f64 v[27:28], v[29:30], v[7:8]
	v_fma_f64 v[5:6], -v[5:6], v[27:28], v[29:30]
	s_delay_alu instid0(VALU_DEP_1) | instskip(NEXT) | instid1(VALU_DEP_1)
	v_div_fmas_f64 v[5:6], v[5:6], v[7:8], v[27:28]
	v_div_fixup_f64 v[5:6], v[5:6], v[19:20], v[17:18]
	s_delay_alu instid0(VALU_DEP_1) | instskip(NEXT) | instid1(VALU_DEP_1)
	v_fma_f64 v[7:8], v[17:18], v[5:6], v[19:20]
	v_div_scale_f64 v[27:28], null, v[7:8], v[7:8], 1.0
	v_div_scale_f64 v[33:34], vcc_lo, 1.0, v[7:8], 1.0
	s_delay_alu instid0(VALU_DEP_2) | instskip(SKIP_2) | instid1(VALU_DEP_1)
	v_rcp_f64_e32 v[29:30], v[27:28]
	s_waitcnt_depctr 0xfff
	v_fma_f64 v[31:32], -v[27:28], v[29:30], 1.0
	v_fma_f64 v[29:30], v[29:30], v[31:32], v[29:30]
	s_delay_alu instid0(VALU_DEP_1) | instskip(NEXT) | instid1(VALU_DEP_1)
	v_fma_f64 v[31:32], -v[27:28], v[29:30], 1.0
	v_fma_f64 v[29:30], v[29:30], v[31:32], v[29:30]
	s_delay_alu instid0(VALU_DEP_1) | instskip(NEXT) | instid1(VALU_DEP_1)
	v_mul_f64 v[31:32], v[33:34], v[29:30]
	v_fma_f64 v[27:28], -v[27:28], v[31:32], v[33:34]
	s_delay_alu instid0(VALU_DEP_1) | instskip(SKIP_1) | instid1(VALU_DEP_2)
	v_div_fmas_f64 v[27:28], v[27:28], v[29:30], v[31:32]
	v_fma_f64 v[29:30], v[5:6], v[21:22], v[23:24]
	v_div_fixup_f64 v[7:8], v[27:28], v[7:8], 1.0
	v_fma_f64 v[27:28], v[5:6], v[23:24], -v[21:22]
	s_delay_alu instid0(VALU_DEP_2) | instskip(NEXT) | instid1(VALU_DEP_2)
	v_mul_f64 v[5:6], v[29:30], v[7:8]
	v_mul_f64 v[7:8], v[27:28], v[7:8]
	s_cbranch_execz .LBB233_35
	s_branch .LBB233_36
.LBB233_34:                             ;   in Loop: Header=BB233_21 Depth=1
                                        ; implicit-def: $vgpr7_vgpr8
.LBB233_35:                             ;   in Loop: Header=BB233_21 Depth=1
	v_div_scale_f64 v[5:6], null, v[17:18], v[17:18], v[19:20]
	v_div_scale_f64 v[29:30], vcc_lo, v[19:20], v[17:18], v[19:20]
	s_delay_alu instid0(VALU_DEP_2) | instskip(SKIP_2) | instid1(VALU_DEP_1)
	v_rcp_f64_e32 v[7:8], v[5:6]
	s_waitcnt_depctr 0xfff
	v_fma_f64 v[27:28], -v[5:6], v[7:8], 1.0
	v_fma_f64 v[7:8], v[7:8], v[27:28], v[7:8]
	s_delay_alu instid0(VALU_DEP_1) | instskip(NEXT) | instid1(VALU_DEP_1)
	v_fma_f64 v[27:28], -v[5:6], v[7:8], 1.0
	v_fma_f64 v[7:8], v[7:8], v[27:28], v[7:8]
	s_delay_alu instid0(VALU_DEP_1) | instskip(NEXT) | instid1(VALU_DEP_1)
	v_mul_f64 v[27:28], v[29:30], v[7:8]
	v_fma_f64 v[5:6], -v[5:6], v[27:28], v[29:30]
	s_delay_alu instid0(VALU_DEP_1) | instskip(NEXT) | instid1(VALU_DEP_1)
	v_div_fmas_f64 v[5:6], v[5:6], v[7:8], v[27:28]
	v_div_fixup_f64 v[5:6], v[5:6], v[17:18], v[19:20]
	s_delay_alu instid0(VALU_DEP_1) | instskip(NEXT) | instid1(VALU_DEP_1)
	v_fma_f64 v[7:8], v[19:20], v[5:6], v[17:18]
	v_div_scale_f64 v[17:18], null, v[7:8], v[7:8], 1.0
	v_div_scale_f64 v[29:30], vcc_lo, 1.0, v[7:8], 1.0
	s_delay_alu instid0(VALU_DEP_2) | instskip(SKIP_2) | instid1(VALU_DEP_1)
	v_rcp_f64_e32 v[19:20], v[17:18]
	s_waitcnt_depctr 0xfff
	v_fma_f64 v[27:28], -v[17:18], v[19:20], 1.0
	v_fma_f64 v[19:20], v[19:20], v[27:28], v[19:20]
	s_delay_alu instid0(VALU_DEP_1) | instskip(NEXT) | instid1(VALU_DEP_1)
	v_fma_f64 v[27:28], -v[17:18], v[19:20], 1.0
	v_fma_f64 v[19:20], v[19:20], v[27:28], v[19:20]
	s_delay_alu instid0(VALU_DEP_1) | instskip(NEXT) | instid1(VALU_DEP_1)
	v_mul_f64 v[27:28], v[29:30], v[19:20]
	v_fma_f64 v[17:18], -v[17:18], v[27:28], v[29:30]
	s_delay_alu instid0(VALU_DEP_1) | instskip(SKIP_1) | instid1(VALU_DEP_2)
	v_div_fmas_f64 v[17:18], v[17:18], v[19:20], v[27:28]
	v_fma_f64 v[19:20], v[5:6], v[23:24], v[21:22]
	v_div_fixup_f64 v[7:8], v[17:18], v[7:8], 1.0
	v_fma_f64 v[17:18], -v[5:6], v[21:22], v[23:24]
	s_delay_alu instid0(VALU_DEP_2) | instskip(NEXT) | instid1(VALU_DEP_2)
	v_mul_f64 v[5:6], v[19:20], v[7:8]
	v_mul_f64 v[7:8], v[17:18], v[7:8]
.LBB233_36:                             ;   in Loop: Header=BB233_21 Depth=1
	v_mov_b32_e32 v17, s8
	s_add_i32 s6, s6, s5
	ds_load_b128 v[21:24], v17 offset:48
	ds_load_b128 v[17:20], v17 offset:1392
	v_mov_b32_e32 v27, s7
	s_lshl_b32 s6, s6, 4
	ds_store_b128 v26, v[5:8]
	v_mov_b32_e32 v31, s6
	ds_load_b128 v[27:30], v27 offset:48
	ds_load_b128 v[31:34], v31 offset:48
	s_waitcnt lgkmcnt(4)
	v_mul_f64 v[35:36], v[15:16], v[23:24]
	v_mul_f64 v[23:24], v[13:14], v[23:24]
	s_waitcnt lgkmcnt(3)
	v_cmp_gt_f64_e32 vcc_lo, 0, v[17:18]
	s_waitcnt lgkmcnt(1)
	v_mul_f64 v[37:38], v[11:12], v[29:30]
	v_mul_f64 v[29:30], v[9:10], v[29:30]
	v_fma_f64 v[13:14], v[13:14], v[21:22], -v[35:36]
	v_fma_f64 v[15:16], v[15:16], v[21:22], v[23:24]
	s_waitcnt lgkmcnt(0)
	v_mul_f64 v[21:22], v[7:8], v[33:34]
	v_mul_f64 v[23:24], v[5:6], v[33:34]
	v_fma_f64 v[9:10], v[9:10], v[27:28], -v[37:38]
	v_fma_f64 v[11:12], v[11:12], v[27:28], v[29:30]
	v_add_f64 v[1:2], v[1:2], -v[13:14]
	v_add_f64 v[3:4], v[3:4], -v[15:16]
	v_fma_f64 v[13:14], v[5:6], v[31:32], -v[21:22]
	v_fma_f64 v[15:16], v[7:8], v[31:32], v[23:24]
	s_delay_alu instid0(VALU_DEP_4) | instskip(SKIP_4) | instid1(VALU_DEP_4)
	v_add_f64 v[1:2], v[1:2], -v[9:10]
	v_xor_b32_e32 v10, 0x80000000, v18
	v_add_f64 v[3:4], v[3:4], -v[11:12]
	v_xor_b32_e32 v12, 0x80000000, v20
	v_mov_b32_e32 v9, v17
	v_dual_mov_b32 v11, v19 :: v_dual_cndmask_b32 v10, v18, v10
	v_cmp_gt_f64_e32 vcc_lo, 0, v[19:20]
	s_delay_alu instid0(VALU_DEP_4) | instskip(NEXT) | instid1(VALU_DEP_1)
	v_cndmask_b32_e32 v12, v20, v12, vcc_lo
	v_cmp_ngt_f64_e32 vcc_lo, v[9:10], v[11:12]
	v_add_f64 v[9:10], v[1:2], -v[13:14]
	v_add_f64 v[11:12], v[3:4], -v[15:16]
	s_cbranch_vccz .LBB233_38
; %bb.37:                               ;   in Loop: Header=BB233_21 Depth=1
	v_div_scale_f64 v[1:2], null, v[19:20], v[19:20], v[17:18]
	v_div_scale_f64 v[7:8], vcc_lo, v[17:18], v[19:20], v[17:18]
	s_delay_alu instid0(VALU_DEP_2) | instskip(SKIP_2) | instid1(VALU_DEP_1)
	v_rcp_f64_e32 v[3:4], v[1:2]
	s_waitcnt_depctr 0xfff
	v_fma_f64 v[5:6], -v[1:2], v[3:4], 1.0
	v_fma_f64 v[3:4], v[3:4], v[5:6], v[3:4]
	s_delay_alu instid0(VALU_DEP_1) | instskip(NEXT) | instid1(VALU_DEP_1)
	v_fma_f64 v[5:6], -v[1:2], v[3:4], 1.0
	v_fma_f64 v[3:4], v[3:4], v[5:6], v[3:4]
	s_delay_alu instid0(VALU_DEP_1) | instskip(NEXT) | instid1(VALU_DEP_1)
	v_mul_f64 v[5:6], v[7:8], v[3:4]
	v_fma_f64 v[1:2], -v[1:2], v[5:6], v[7:8]
	s_delay_alu instid0(VALU_DEP_1) | instskip(NEXT) | instid1(VALU_DEP_1)
	v_div_fmas_f64 v[1:2], v[1:2], v[3:4], v[5:6]
	v_div_fixup_f64 v[1:2], v[1:2], v[19:20], v[17:18]
	s_delay_alu instid0(VALU_DEP_1) | instskip(NEXT) | instid1(VALU_DEP_1)
	v_fma_f64 v[3:4], v[17:18], v[1:2], v[19:20]
	v_div_scale_f64 v[5:6], null, v[3:4], v[3:4], 1.0
	v_div_scale_f64 v[15:16], vcc_lo, 1.0, v[3:4], 1.0
	s_delay_alu instid0(VALU_DEP_2) | instskip(SKIP_2) | instid1(VALU_DEP_1)
	v_rcp_f64_e32 v[7:8], v[5:6]
	s_waitcnt_depctr 0xfff
	v_fma_f64 v[13:14], -v[5:6], v[7:8], 1.0
	v_fma_f64 v[7:8], v[7:8], v[13:14], v[7:8]
	s_delay_alu instid0(VALU_DEP_1) | instskip(NEXT) | instid1(VALU_DEP_1)
	v_fma_f64 v[13:14], -v[5:6], v[7:8], 1.0
	v_fma_f64 v[7:8], v[7:8], v[13:14], v[7:8]
	s_delay_alu instid0(VALU_DEP_1) | instskip(NEXT) | instid1(VALU_DEP_1)
	v_mul_f64 v[13:14], v[15:16], v[7:8]
	v_fma_f64 v[5:6], -v[5:6], v[13:14], v[15:16]
	s_delay_alu instid0(VALU_DEP_1) | instskip(SKIP_1) | instid1(VALU_DEP_2)
	v_div_fmas_f64 v[5:6], v[5:6], v[7:8], v[13:14]
	v_fma_f64 v[7:8], v[1:2], v[9:10], v[11:12]
	v_div_fixup_f64 v[3:4], v[5:6], v[3:4], 1.0
	v_fma_f64 v[5:6], v[1:2], v[11:12], -v[9:10]
	s_delay_alu instid0(VALU_DEP_2) | instskip(NEXT) | instid1(VALU_DEP_2)
	v_mul_f64 v[1:2], v[7:8], v[3:4]
	v_mul_f64 v[3:4], v[5:6], v[3:4]
	s_cbranch_execz .LBB233_39
	s_branch .LBB233_40
.LBB233_38:                             ;   in Loop: Header=BB233_21 Depth=1
                                        ; implicit-def: $vgpr3_vgpr4
.LBB233_39:                             ;   in Loop: Header=BB233_21 Depth=1
	v_div_scale_f64 v[1:2], null, v[17:18], v[17:18], v[19:20]
	v_div_scale_f64 v[7:8], vcc_lo, v[19:20], v[17:18], v[19:20]
	s_delay_alu instid0(VALU_DEP_2) | instskip(SKIP_2) | instid1(VALU_DEP_1)
	v_rcp_f64_e32 v[3:4], v[1:2]
	s_waitcnt_depctr 0xfff
	v_fma_f64 v[5:6], -v[1:2], v[3:4], 1.0
	v_fma_f64 v[3:4], v[3:4], v[5:6], v[3:4]
	s_delay_alu instid0(VALU_DEP_1) | instskip(NEXT) | instid1(VALU_DEP_1)
	v_fma_f64 v[5:6], -v[1:2], v[3:4], 1.0
	v_fma_f64 v[3:4], v[3:4], v[5:6], v[3:4]
	s_delay_alu instid0(VALU_DEP_1) | instskip(NEXT) | instid1(VALU_DEP_1)
	v_mul_f64 v[5:6], v[7:8], v[3:4]
	v_fma_f64 v[1:2], -v[1:2], v[5:6], v[7:8]
	s_delay_alu instid0(VALU_DEP_1) | instskip(NEXT) | instid1(VALU_DEP_1)
	v_div_fmas_f64 v[1:2], v[1:2], v[3:4], v[5:6]
	v_div_fixup_f64 v[1:2], v[1:2], v[17:18], v[19:20]
	s_delay_alu instid0(VALU_DEP_1) | instskip(NEXT) | instid1(VALU_DEP_1)
	v_fma_f64 v[3:4], v[19:20], v[1:2], v[17:18]
	v_div_scale_f64 v[5:6], null, v[3:4], v[3:4], 1.0
	v_div_scale_f64 v[15:16], vcc_lo, 1.0, v[3:4], 1.0
	s_delay_alu instid0(VALU_DEP_2) | instskip(SKIP_2) | instid1(VALU_DEP_1)
	v_rcp_f64_e32 v[7:8], v[5:6]
	s_waitcnt_depctr 0xfff
	v_fma_f64 v[13:14], -v[5:6], v[7:8], 1.0
	v_fma_f64 v[7:8], v[7:8], v[13:14], v[7:8]
	s_delay_alu instid0(VALU_DEP_1) | instskip(NEXT) | instid1(VALU_DEP_1)
	v_fma_f64 v[13:14], -v[5:6], v[7:8], 1.0
	v_fma_f64 v[7:8], v[7:8], v[13:14], v[7:8]
	s_delay_alu instid0(VALU_DEP_1) | instskip(NEXT) | instid1(VALU_DEP_1)
	v_mul_f64 v[13:14], v[15:16], v[7:8]
	v_fma_f64 v[5:6], -v[5:6], v[13:14], v[15:16]
	s_delay_alu instid0(VALU_DEP_1) | instskip(SKIP_1) | instid1(VALU_DEP_2)
	v_div_fmas_f64 v[5:6], v[5:6], v[7:8], v[13:14]
	v_fma_f64 v[7:8], v[1:2], v[11:12], v[9:10]
	v_div_fixup_f64 v[3:4], v[5:6], v[3:4], 1.0
	v_fma_f64 v[5:6], -v[1:2], v[9:10], v[11:12]
	s_delay_alu instid0(VALU_DEP_2) | instskip(NEXT) | instid1(VALU_DEP_2)
	v_mul_f64 v[1:2], v[7:8], v[3:4]
	v_mul_f64 v[3:4], v[5:6], v[3:4]
.LBB233_40:                             ;   in Loop: Header=BB233_21 Depth=1
	s_add_i32 s6, s5, 4
	s_add_i32 s5, s5, 7
	;; [unrolled: 1-line block ×3, first 2 shown]
	s_cmp_ge_i32 s5, s28
	ds_store_b128 v26, v[1:4] offset:448
	s_cbranch_scc1 .LBB233_42
; %bb.41:                               ;   in Loop: Header=BB233_21 Depth=1
	s_mov_b32 s5, s6
	s_branch .LBB233_21
.LBB233_42:
	s_cmp_ge_i32 s6, s28
	s_cbranch_scc1 .LBB233_57
; %bb.43:
	v_lshl_add_u32 v13, v0, 4, 0x3100
	s_add_i32 s4, s6, -1
	s_lshl_b32 s5, s6, 4
	s_mov_b32 s7, 0
	s_mov_b32 s8, s6
	s_branch .LBB233_45
.LBB233_44:                             ;   in Loop: Header=BB233_45 Depth=1
	v_add_nc_u16 v1, s8, 1
	s_add_i32 s6, s6, 1
	s_add_i32 s7, s7, 1
	s_add_i32 s5, s5, 16
	s_cmp_ge_i32 s6, s28
	v_readfirstlane_b32 s8, v1
	ds_store_b128 v14, v[9:12]
	s_cbranch_scc1 .LBB233_57
.LBB233_45:                             ; =>This Loop Header: Depth=1
                                        ;     Child Loop BB233_48 Depth 2
                                        ;     Child Loop BB233_52 Depth 2
	s_mul_i32 s9, s6, 28
	s_cmp_eq_u32 s6, 0
	v_add_lshl_u32 v5, s9, v0, 4
	ds_load_b128 v[1:4], v5 offset:12544
	s_cbranch_scc1 .LBB233_53
; %bb.46:                               ;   in Loop: Header=BB233_45 Depth=1
	s_add_i32 s9, s4, s7
	s_delay_alu instid0(SALU_CYCLE_1)
	s_cmp_lt_u32 s9, 3
	s_cbranch_scc1 .LBB233_50
; %bb.47:                               ;   in Loop: Header=BB233_45 Depth=1
	v_mov_b32_e32 v6, v13
	s_and_b32 s9, s6, -4
	s_mov_b32 s10, 0
	s_mov_b32 s11, s5
.LBB233_48:                             ;   Parent Loop BB233_45 Depth=1
                                        ; =>  This Inner Loop Header: Depth=2
	s_delay_alu instid0(SALU_CYCLE_1)
	v_mov_b32_e32 v30, s11
	s_add_i32 s10, s10, 4
	s_addk_i32 s11, 0x700
	s_cmp_eq_u32 s9, s10
	ds_load_b128 v[7:10], v6
	ds_load_b128 v[14:17], v30
	ds_load_b128 v[18:21], v6 offset:448
	ds_load_b128 v[22:25], v30 offset:448
	s_waitcnt lgkmcnt(2)
	v_mul_f64 v[11:12], v[16:17], v[9:10]
	v_mul_f64 v[9:10], v[14:15], v[9:10]
	s_waitcnt lgkmcnt(0)
	v_mul_f64 v[34:35], v[24:25], v[20:21]
	v_mul_f64 v[20:21], v[22:23], v[20:21]
	s_delay_alu instid0(VALU_DEP_4) | instskip(NEXT) | instid1(VALU_DEP_4)
	v_fma_f64 v[11:12], v[14:15], v[7:8], -v[11:12]
	v_fma_f64 v[36:37], v[16:17], v[7:8], v[9:10]
	ds_load_b128 v[7:10], v6 offset:896
	ds_load_b128 v[14:17], v30 offset:896
	;; [unrolled: 1-line block ×4, first 2 shown]
	v_fma_f64 v[22:23], v[22:23], v[18:19], -v[34:35]
	v_fma_f64 v[18:19], v[24:25], v[18:19], v[20:21]
	v_add_nc_u32_e32 v6, 0x700, v6
	s_waitcnt lgkmcnt(2)
	v_mul_f64 v[38:39], v[16:17], v[9:10]
	v_mul_f64 v[9:10], v[14:15], v[9:10]
	s_waitcnt lgkmcnt(0)
	v_mul_f64 v[20:21], v[30:31], v[28:29]
	v_add_f64 v[1:2], v[1:2], -v[11:12]
	v_add_f64 v[3:4], v[3:4], -v[36:37]
	v_mul_f64 v[11:12], v[32:33], v[28:29]
	v_fma_f64 v[14:15], v[14:15], v[7:8], -v[38:39]
	v_fma_f64 v[7:8], v[16:17], v[7:8], v[9:10]
	v_add_f64 v[1:2], v[1:2], -v[22:23]
	v_add_f64 v[3:4], v[3:4], -v[18:19]
	v_fma_f64 v[9:10], v[30:31], v[26:27], -v[11:12]
	v_fma_f64 v[11:12], v[32:33], v[26:27], v[20:21]
	s_delay_alu instid0(VALU_DEP_4) | instskip(NEXT) | instid1(VALU_DEP_4)
	v_add_f64 v[1:2], v[1:2], -v[14:15]
	v_add_f64 v[3:4], v[3:4], -v[7:8]
	s_delay_alu instid0(VALU_DEP_2) | instskip(NEXT) | instid1(VALU_DEP_2)
	v_add_f64 v[1:2], v[1:2], -v[9:10]
	v_add_f64 v[3:4], v[3:4], -v[11:12]
	s_cbranch_scc0 .LBB233_48
; %bb.49:                               ;   in Loop: Header=BB233_45 Depth=1
	s_and_b32 s10, s6, 3
	s_delay_alu instid0(SALU_CYCLE_1)
	s_cmp_eq_u32 s10, 0
	s_cbranch_scc0 .LBB233_51
	s_branch .LBB233_53
.LBB233_50:                             ;   in Loop: Header=BB233_45 Depth=1
	s_mov_b32 s9, 0
	s_and_b32 s10, s6, 3
	s_delay_alu instid0(SALU_CYCLE_1)
	s_cmp_eq_u32 s10, 0
	s_cbranch_scc1 .LBB233_53
.LBB233_51:                             ;   in Loop: Header=BB233_45 Depth=1
	s_and_b32 s10, s8, 3
	s_mulk_i32 s9, 0x1c0
	.p2align	6
.LBB233_52:                             ;   Parent Loop BB233_45 Depth=1
                                        ; =>  This Inner Loop Header: Depth=2
	s_delay_alu instid0(SALU_CYCLE_1)
	s_add_i32 s11, s5, s9
	v_add_nc_u32_e32 v6, s9, v13
	v_mov_b32_e32 v10, s11
	s_add_i32 s10, s10, -1
	s_addk_i32 s9, 0x1c0
	s_cmp_lg_u32 s10, 0
	ds_load_b128 v[6:9], v6
	ds_load_b128 v[14:17], v10
	s_waitcnt lgkmcnt(0)
	v_mul_f64 v[10:11], v[16:17], v[8:9]
	v_mul_f64 v[8:9], v[14:15], v[8:9]
	s_delay_alu instid0(VALU_DEP_2) | instskip(NEXT) | instid1(VALU_DEP_2)
	v_fma_f64 v[10:11], v[14:15], v[6:7], -v[10:11]
	v_fma_f64 v[6:7], v[16:17], v[6:7], v[8:9]
	s_delay_alu instid0(VALU_DEP_2) | instskip(NEXT) | instid1(VALU_DEP_2)
	v_add_f64 v[1:2], v[1:2], -v[10:11]
	v_add_f64 v[3:4], v[3:4], -v[6:7]
	s_cbranch_scc1 .LBB233_52
.LBB233_53:                             ;   in Loop: Header=BB233_45 Depth=1
	s_mul_i32 s9, s6, 0x1d0
	s_delay_alu instid0(SALU_CYCLE_1)
	v_dual_mov_b32 v5, s9 :: v_dual_add_nc_u32 v14, 0x3100, v5
	ds_load_b128 v[5:8], v5
	s_waitcnt lgkmcnt(0)
	v_cmp_gt_f64_e32 vcc_lo, 0, v[5:6]
	v_xor_b32_e32 v10, 0x80000000, v6
	v_mov_b32_e32 v9, v5
	v_xor_b32_e32 v11, 0x80000000, v8
	s_delay_alu instid0(VALU_DEP_3) | instskip(SKIP_1) | instid1(VALU_DEP_3)
	v_cndmask_b32_e32 v10, v6, v10, vcc_lo
	v_cmp_gt_f64_e32 vcc_lo, 0, v[7:8]
	v_dual_cndmask_b32 v12, v8, v11 :: v_dual_mov_b32 v11, v7
	s_delay_alu instid0(VALU_DEP_1)
	v_cmp_ngt_f64_e32 vcc_lo, v[9:10], v[11:12]
	s_cbranch_vccz .LBB233_55
; %bb.54:                               ;   in Loop: Header=BB233_45 Depth=1
	v_div_scale_f64 v[9:10], null, v[7:8], v[7:8], v[5:6]
	v_div_scale_f64 v[17:18], vcc_lo, v[5:6], v[7:8], v[5:6]
	s_delay_alu instid0(VALU_DEP_2) | instskip(SKIP_2) | instid1(VALU_DEP_1)
	v_rcp_f64_e32 v[11:12], v[9:10]
	s_waitcnt_depctr 0xfff
	v_fma_f64 v[15:16], -v[9:10], v[11:12], 1.0
	v_fma_f64 v[11:12], v[11:12], v[15:16], v[11:12]
	s_delay_alu instid0(VALU_DEP_1) | instskip(NEXT) | instid1(VALU_DEP_1)
	v_fma_f64 v[15:16], -v[9:10], v[11:12], 1.0
	v_fma_f64 v[11:12], v[11:12], v[15:16], v[11:12]
	s_delay_alu instid0(VALU_DEP_1) | instskip(NEXT) | instid1(VALU_DEP_1)
	v_mul_f64 v[15:16], v[17:18], v[11:12]
	v_fma_f64 v[9:10], -v[9:10], v[15:16], v[17:18]
	s_delay_alu instid0(VALU_DEP_1) | instskip(NEXT) | instid1(VALU_DEP_1)
	v_div_fmas_f64 v[9:10], v[9:10], v[11:12], v[15:16]
	v_div_fixup_f64 v[9:10], v[9:10], v[7:8], v[5:6]
	s_delay_alu instid0(VALU_DEP_1) | instskip(NEXT) | instid1(VALU_DEP_1)
	v_fma_f64 v[11:12], v[5:6], v[9:10], v[7:8]
	v_div_scale_f64 v[15:16], null, v[11:12], v[11:12], 1.0
	v_div_scale_f64 v[21:22], vcc_lo, 1.0, v[11:12], 1.0
	s_delay_alu instid0(VALU_DEP_2) | instskip(SKIP_2) | instid1(VALU_DEP_1)
	v_rcp_f64_e32 v[17:18], v[15:16]
	s_waitcnt_depctr 0xfff
	v_fma_f64 v[19:20], -v[15:16], v[17:18], 1.0
	v_fma_f64 v[17:18], v[17:18], v[19:20], v[17:18]
	s_delay_alu instid0(VALU_DEP_1) | instskip(NEXT) | instid1(VALU_DEP_1)
	v_fma_f64 v[19:20], -v[15:16], v[17:18], 1.0
	v_fma_f64 v[17:18], v[17:18], v[19:20], v[17:18]
	s_delay_alu instid0(VALU_DEP_1) | instskip(NEXT) | instid1(VALU_DEP_1)
	v_mul_f64 v[19:20], v[21:22], v[17:18]
	v_fma_f64 v[15:16], -v[15:16], v[19:20], v[21:22]
	s_delay_alu instid0(VALU_DEP_1) | instskip(SKIP_1) | instid1(VALU_DEP_2)
	v_div_fmas_f64 v[15:16], v[15:16], v[17:18], v[19:20]
	v_fma_f64 v[17:18], v[1:2], v[9:10], v[3:4]
	v_div_fixup_f64 v[11:12], v[15:16], v[11:12], 1.0
	v_fma_f64 v[15:16], v[3:4], v[9:10], -v[1:2]
	s_delay_alu instid0(VALU_DEP_2) | instskip(NEXT) | instid1(VALU_DEP_2)
	v_mul_f64 v[9:10], v[17:18], v[11:12]
	v_mul_f64 v[11:12], v[15:16], v[11:12]
	s_cbranch_execnz .LBB233_44
	s_branch .LBB233_56
.LBB233_55:                             ;   in Loop: Header=BB233_45 Depth=1
                                        ; implicit-def: $vgpr9_vgpr10
.LBB233_56:                             ;   in Loop: Header=BB233_45 Depth=1
	v_div_scale_f64 v[9:10], null, v[5:6], v[5:6], v[7:8]
	v_div_scale_f64 v[17:18], vcc_lo, v[7:8], v[5:6], v[7:8]
	s_delay_alu instid0(VALU_DEP_2) | instskip(SKIP_2) | instid1(VALU_DEP_1)
	v_rcp_f64_e32 v[11:12], v[9:10]
	s_waitcnt_depctr 0xfff
	v_fma_f64 v[15:16], -v[9:10], v[11:12], 1.0
	v_fma_f64 v[11:12], v[11:12], v[15:16], v[11:12]
	s_delay_alu instid0(VALU_DEP_1) | instskip(NEXT) | instid1(VALU_DEP_1)
	v_fma_f64 v[15:16], -v[9:10], v[11:12], 1.0
	v_fma_f64 v[11:12], v[11:12], v[15:16], v[11:12]
	s_delay_alu instid0(VALU_DEP_1) | instskip(NEXT) | instid1(VALU_DEP_1)
	v_mul_f64 v[15:16], v[17:18], v[11:12]
	v_fma_f64 v[9:10], -v[9:10], v[15:16], v[17:18]
	s_delay_alu instid0(VALU_DEP_1) | instskip(NEXT) | instid1(VALU_DEP_1)
	v_div_fmas_f64 v[9:10], v[9:10], v[11:12], v[15:16]
	v_div_fixup_f64 v[9:10], v[9:10], v[5:6], v[7:8]
	s_delay_alu instid0(VALU_DEP_1) | instskip(NEXT) | instid1(VALU_DEP_1)
	v_fma_f64 v[5:6], v[7:8], v[9:10], v[5:6]
	v_div_scale_f64 v[7:8], null, v[5:6], v[5:6], 1.0
	v_div_scale_f64 v[17:18], vcc_lo, 1.0, v[5:6], 1.0
	s_delay_alu instid0(VALU_DEP_2) | instskip(SKIP_2) | instid1(VALU_DEP_1)
	v_rcp_f64_e32 v[11:12], v[7:8]
	s_waitcnt_depctr 0xfff
	v_fma_f64 v[15:16], -v[7:8], v[11:12], 1.0
	v_fma_f64 v[11:12], v[11:12], v[15:16], v[11:12]
	s_delay_alu instid0(VALU_DEP_1) | instskip(NEXT) | instid1(VALU_DEP_1)
	v_fma_f64 v[15:16], -v[7:8], v[11:12], 1.0
	v_fma_f64 v[11:12], v[11:12], v[15:16], v[11:12]
	s_delay_alu instid0(VALU_DEP_1) | instskip(NEXT) | instid1(VALU_DEP_1)
	v_mul_f64 v[15:16], v[17:18], v[11:12]
	v_fma_f64 v[7:8], -v[7:8], v[15:16], v[17:18]
	s_delay_alu instid0(VALU_DEP_1) | instskip(SKIP_2) | instid1(VALU_DEP_3)
	v_div_fmas_f64 v[7:8], v[7:8], v[11:12], v[15:16]
	v_fma_f64 v[11:12], v[3:4], v[9:10], v[1:2]
	v_fma_f64 v[1:2], -v[1:2], v[9:10], v[3:4]
	v_div_fixup_f64 v[5:6], v[7:8], v[5:6], 1.0
	s_delay_alu instid0(VALU_DEP_1) | instskip(NEXT) | instid1(VALU_DEP_3)
	v_mul_f64 v[9:10], v[11:12], v[5:6]
	v_mul_f64 v[11:12], v[1:2], v[5:6]
	s_branch .LBB233_44
.LBB233_57:
	s_mov_b32 s4, 0
.LBB233_58:
	s_delay_alu instid0(SALU_CYCLE_1)
	s_and_b32 vcc_lo, exec_lo, s4
	s_cbranch_vccz .LBB233_90
; %bb.59:
	s_and_not1_b32 vcc_lo, exec_lo, s1
	s_mov_b32 s6, s29
	s_cbranch_vccnz .LBB233_81
; %bb.60:
	v_lshlrev_b32_e32 v1, 4, v0
	s_mul_i32 s4, s28, 0x1c0
	s_mov_b32 s5, s29
	s_delay_alu instid0(VALU_DEP_1) | instskip(SKIP_1) | instid1(SALU_CYCLE_1)
	v_add3_u32 v25, s4, v1, 0x2d80
	s_mul_i32 s4, s28, 0x1d0
	s_addk_i32 s4, 0xfc40
.LBB233_61:                             ; =>This Loop Header: Depth=1
                                        ;     Child Loop BB233_62 Depth 2
	s_mul_i32 s8, s5, 28
	s_delay_alu instid0(VALU_DEP_1)
	v_mov_b32_e32 v16, v25
	s_sub_i32 s7, s8, 28
	v_add_lshl_u32 v13, s8, v0, 4
	s_sub_i32 s6, s8, 56
	v_add_lshl_u32 v15, s7, v0, 4
	v_add_lshl_u32 v14, s6, v0, 4
	s_cmp_le_i32 s29, s5
	ds_load_b128 v[17:20], v13 offset:12544
	ds_load_b128 v[9:12], v15 offset:12544
	;; [unrolled: 1-line block ×4, first 2 shown]
	s_mov_b32 s9, s4
	s_mov_b32 s10, s29
	s_cbranch_scc1 .LBB233_63
.LBB233_62:                             ;   Parent Loop BB233_61 Depth=1
                                        ; =>  This Inner Loop Header: Depth=2
	v_mov_b32_e32 v58, s9
	s_add_i32 s10, s10, -2
	s_addk_i32 s9, 0xfc80
	s_cmp_le_i32 s10, s5
	ds_load_b128 v[21:24], v16 offset:448
	ds_load_b128 v[26:29], v58 offset:496
	ds_load_b128 v[30:33], v58 offset:480
	ds_load_b128 v[34:37], v58 offset:464
	ds_load_b128 v[38:41], v58 offset:448
	ds_load_b128 v[42:45], v16
	ds_load_b128 v[46:49], v58 offset:48
	ds_load_b128 v[50:53], v58 offset:32
	;; [unrolled: 1-line block ×3, first 2 shown]
	ds_load_b128 v[58:61], v58
	v_add_nc_u32_e32 v16, 0xfffffc80, v16
	s_waitcnt lgkmcnt(8)
	v_mul_f64 v[62:63], v[23:24], v[28:29]
	v_mul_f64 v[28:29], v[21:22], v[28:29]
	s_waitcnt lgkmcnt(7)
	v_mul_f64 v[64:65], v[23:24], v[32:33]
	v_mul_f64 v[32:33], v[21:22], v[32:33]
	;; [unrolled: 3-line block ×8, first 2 shown]
	v_fma_f64 v[62:63], v[21:22], v[26:27], -v[62:63]
	v_fma_f64 v[26:27], v[23:24], v[26:27], v[28:29]
	v_fma_f64 v[28:29], v[21:22], v[30:31], -v[64:65]
	v_fma_f64 v[30:31], v[23:24], v[30:31], v[32:33]
	;; [unrolled: 2-line block ×8, first 2 shown]
	v_add_f64 v[17:18], v[17:18], -v[62:63]
	v_add_f64 v[19:20], v[19:20], -v[26:27]
	;; [unrolled: 1-line block ×16, first 2 shown]
	s_cbranch_scc0 .LBB233_62
.LBB233_63:                             ;   in Loop: Header=BB233_61 Depth=1
	s_mul_i32 s9, s5, 0x1d0
	v_add_nc_u32_e32 v29, 0x3100, v13
	v_dual_mov_b32 v13, s9 :: v_dual_add_nc_u32 v28, 0x3100, v15
	ds_load_b128 v[21:24], v13
	s_waitcnt lgkmcnt(0)
	v_dual_mov_b32 v13, v21 :: v_dual_add_nc_u32 v26, 0x2f40, v14
	v_cmp_gt_f64_e32 vcc_lo, 0, v[21:22]
	v_xor_b32_e32 v15, 0x80000000, v24
	v_add_nc_u32_e32 v27, 0x3100, v14
	v_xor_b32_e32 v14, 0x80000000, v22
	s_delay_alu instid0(VALU_DEP_1) | instskip(SKIP_2) | instid1(VALU_DEP_1)
	v_cndmask_b32_e32 v14, v22, v14, vcc_lo
	v_cmp_gt_f64_e32 vcc_lo, 0, v[23:24]
	v_dual_cndmask_b32 v16, v24, v15 :: v_dual_mov_b32 v15, v23
	v_cmp_ngt_f64_e32 vcc_lo, v[13:14], v[15:16]
	s_cbranch_vccz .LBB233_65
; %bb.64:                               ;   in Loop: Header=BB233_61 Depth=1
	v_div_scale_f64 v[13:14], null, v[23:24], v[23:24], v[21:22]
	v_div_scale_f64 v[32:33], vcc_lo, v[21:22], v[23:24], v[21:22]
	s_delay_alu instid0(VALU_DEP_2) | instskip(SKIP_2) | instid1(VALU_DEP_1)
	v_rcp_f64_e32 v[15:16], v[13:14]
	s_waitcnt_depctr 0xfff
	v_fma_f64 v[30:31], -v[13:14], v[15:16], 1.0
	v_fma_f64 v[15:16], v[15:16], v[30:31], v[15:16]
	s_delay_alu instid0(VALU_DEP_1) | instskip(NEXT) | instid1(VALU_DEP_1)
	v_fma_f64 v[30:31], -v[13:14], v[15:16], 1.0
	v_fma_f64 v[15:16], v[15:16], v[30:31], v[15:16]
	s_delay_alu instid0(VALU_DEP_1) | instskip(NEXT) | instid1(VALU_DEP_1)
	v_mul_f64 v[30:31], v[32:33], v[15:16]
	v_fma_f64 v[13:14], -v[13:14], v[30:31], v[32:33]
	s_delay_alu instid0(VALU_DEP_1) | instskip(NEXT) | instid1(VALU_DEP_1)
	v_div_fmas_f64 v[13:14], v[13:14], v[15:16], v[30:31]
	v_div_fixup_f64 v[13:14], v[13:14], v[23:24], v[21:22]
	s_delay_alu instid0(VALU_DEP_1) | instskip(NEXT) | instid1(VALU_DEP_1)
	v_fma_f64 v[15:16], v[21:22], v[13:14], v[23:24]
	v_div_scale_f64 v[30:31], null, v[15:16], v[15:16], 1.0
	v_div_scale_f64 v[36:37], vcc_lo, 1.0, v[15:16], 1.0
	s_delay_alu instid0(VALU_DEP_2) | instskip(SKIP_2) | instid1(VALU_DEP_1)
	v_rcp_f64_e32 v[32:33], v[30:31]
	s_waitcnt_depctr 0xfff
	v_fma_f64 v[34:35], -v[30:31], v[32:33], 1.0
	v_fma_f64 v[32:33], v[32:33], v[34:35], v[32:33]
	s_delay_alu instid0(VALU_DEP_1) | instskip(NEXT) | instid1(VALU_DEP_1)
	v_fma_f64 v[34:35], -v[30:31], v[32:33], 1.0
	v_fma_f64 v[32:33], v[32:33], v[34:35], v[32:33]
	s_delay_alu instid0(VALU_DEP_1) | instskip(NEXT) | instid1(VALU_DEP_1)
	v_mul_f64 v[34:35], v[36:37], v[32:33]
	v_fma_f64 v[30:31], -v[30:31], v[34:35], v[36:37]
	s_delay_alu instid0(VALU_DEP_1) | instskip(SKIP_1) | instid1(VALU_DEP_2)
	v_div_fmas_f64 v[30:31], v[30:31], v[32:33], v[34:35]
	v_fma_f64 v[32:33], v[17:18], v[13:14], v[19:20]
	v_div_fixup_f64 v[15:16], v[30:31], v[15:16], 1.0
	v_fma_f64 v[30:31], v[19:20], v[13:14], -v[17:18]
	s_delay_alu instid0(VALU_DEP_2) | instskip(NEXT) | instid1(VALU_DEP_2)
	v_mul_f64 v[13:14], v[32:33], v[15:16]
	v_mul_f64 v[15:16], v[30:31], v[15:16]
	s_cbranch_execz .LBB233_66
	s_branch .LBB233_67
.LBB233_65:                             ;   in Loop: Header=BB233_61 Depth=1
                                        ; implicit-def: $vgpr15_vgpr16
.LBB233_66:                             ;   in Loop: Header=BB233_61 Depth=1
	v_div_scale_f64 v[13:14], null, v[21:22], v[21:22], v[23:24]
	v_div_scale_f64 v[32:33], vcc_lo, v[23:24], v[21:22], v[23:24]
	s_delay_alu instid0(VALU_DEP_2) | instskip(SKIP_2) | instid1(VALU_DEP_1)
	v_rcp_f64_e32 v[15:16], v[13:14]
	s_waitcnt_depctr 0xfff
	v_fma_f64 v[30:31], -v[13:14], v[15:16], 1.0
	v_fma_f64 v[15:16], v[15:16], v[30:31], v[15:16]
	s_delay_alu instid0(VALU_DEP_1) | instskip(NEXT) | instid1(VALU_DEP_1)
	v_fma_f64 v[30:31], -v[13:14], v[15:16], 1.0
	v_fma_f64 v[15:16], v[15:16], v[30:31], v[15:16]
	s_delay_alu instid0(VALU_DEP_1) | instskip(NEXT) | instid1(VALU_DEP_1)
	v_mul_f64 v[30:31], v[32:33], v[15:16]
	v_fma_f64 v[13:14], -v[13:14], v[30:31], v[32:33]
	s_delay_alu instid0(VALU_DEP_1) | instskip(NEXT) | instid1(VALU_DEP_1)
	v_div_fmas_f64 v[13:14], v[13:14], v[15:16], v[30:31]
	v_div_fixup_f64 v[13:14], v[13:14], v[21:22], v[23:24]
	s_delay_alu instid0(VALU_DEP_1) | instskip(NEXT) | instid1(VALU_DEP_1)
	v_fma_f64 v[15:16], v[23:24], v[13:14], v[21:22]
	v_div_scale_f64 v[21:22], null, v[15:16], v[15:16], 1.0
	v_div_scale_f64 v[32:33], vcc_lo, 1.0, v[15:16], 1.0
	s_delay_alu instid0(VALU_DEP_2) | instskip(SKIP_2) | instid1(VALU_DEP_1)
	v_rcp_f64_e32 v[23:24], v[21:22]
	s_waitcnt_depctr 0xfff
	v_fma_f64 v[30:31], -v[21:22], v[23:24], 1.0
	v_fma_f64 v[23:24], v[23:24], v[30:31], v[23:24]
	s_delay_alu instid0(VALU_DEP_1) | instskip(NEXT) | instid1(VALU_DEP_1)
	v_fma_f64 v[30:31], -v[21:22], v[23:24], 1.0
	v_fma_f64 v[23:24], v[23:24], v[30:31], v[23:24]
	s_delay_alu instid0(VALU_DEP_1) | instskip(NEXT) | instid1(VALU_DEP_1)
	v_mul_f64 v[30:31], v[32:33], v[23:24]
	v_fma_f64 v[21:22], -v[21:22], v[30:31], v[32:33]
	s_delay_alu instid0(VALU_DEP_1) | instskip(SKIP_2) | instid1(VALU_DEP_3)
	v_div_fmas_f64 v[21:22], v[21:22], v[23:24], v[30:31]
	v_fma_f64 v[23:24], v[19:20], v[13:14], v[17:18]
	v_fma_f64 v[17:18], -v[17:18], v[13:14], v[19:20]
	v_div_fixup_f64 v[15:16], v[21:22], v[15:16], 1.0
	s_delay_alu instid0(VALU_DEP_1) | instskip(NEXT) | instid1(VALU_DEP_3)
	v_mul_f64 v[13:14], v[23:24], v[15:16]
	v_mul_f64 v[15:16], v[17:18], v[15:16]
.LBB233_67:                             ;   in Loop: Header=BB233_61 Depth=1
	s_add_i32 s10, s5, s8
	s_addk_i32 s9, 0xfe30
	s_lshl_b32 s10, s10, 4
	ds_store_b128 v29, v[13:16]
	s_add_i32 s10, s10, -16
	s_delay_alu instid0(SALU_CYCLE_1)
	v_mov_b32_e32 v17, s10
	ds_load_b128 v[21:24], v17
	v_mov_b32_e32 v17, s9
	ds_load_b128 v[17:20], v17
	s_waitcnt lgkmcnt(1)
	v_mul_f64 v[30:31], v[15:16], v[23:24]
	v_mul_f64 v[23:24], v[13:14], v[23:24]
	s_waitcnt lgkmcnt(0)
	v_cmp_gt_f64_e32 vcc_lo, 0, v[17:18]
	v_xor_b32_e32 v33, 0x80000000, v20
	v_mov_b32_e32 v32, v19
	v_fma_f64 v[30:31], v[13:14], v[21:22], -v[30:31]
	v_fma_f64 v[23:24], v[15:16], v[21:22], v[23:24]
	v_xor_b32_e32 v22, 0x80000000, v18
	s_delay_alu instid0(VALU_DEP_1) | instskip(SKIP_1) | instid1(VALU_DEP_4)
	v_dual_mov_b32 v21, v17 :: v_dual_cndmask_b32 v22, v18, v22
	v_cmp_gt_f64_e32 vcc_lo, 0, v[19:20]
	v_add_f64 v[23:24], v[11:12], -v[23:24]
	v_cndmask_b32_e32 v33, v20, v33, vcc_lo
	s_delay_alu instid0(VALU_DEP_1)
	v_cmp_ngt_f64_e32 vcc_lo, v[21:22], v[32:33]
	v_add_f64 v[21:22], v[9:10], -v[30:31]
	s_cbranch_vccz .LBB233_69
; %bb.68:                               ;   in Loop: Header=BB233_61 Depth=1
	v_div_scale_f64 v[9:10], null, v[19:20], v[19:20], v[17:18]
	v_div_scale_f64 v[31:32], vcc_lo, v[17:18], v[19:20], v[17:18]
	s_delay_alu instid0(VALU_DEP_2) | instskip(SKIP_2) | instid1(VALU_DEP_1)
	v_rcp_f64_e32 v[11:12], v[9:10]
	s_waitcnt_depctr 0xfff
	v_fma_f64 v[29:30], -v[9:10], v[11:12], 1.0
	v_fma_f64 v[11:12], v[11:12], v[29:30], v[11:12]
	s_delay_alu instid0(VALU_DEP_1) | instskip(NEXT) | instid1(VALU_DEP_1)
	v_fma_f64 v[29:30], -v[9:10], v[11:12], 1.0
	v_fma_f64 v[11:12], v[11:12], v[29:30], v[11:12]
	s_delay_alu instid0(VALU_DEP_1) | instskip(NEXT) | instid1(VALU_DEP_1)
	v_mul_f64 v[29:30], v[31:32], v[11:12]
	v_fma_f64 v[9:10], -v[9:10], v[29:30], v[31:32]
	s_delay_alu instid0(VALU_DEP_1) | instskip(NEXT) | instid1(VALU_DEP_1)
	v_div_fmas_f64 v[9:10], v[9:10], v[11:12], v[29:30]
	v_div_fixup_f64 v[9:10], v[9:10], v[19:20], v[17:18]
	s_delay_alu instid0(VALU_DEP_1) | instskip(NEXT) | instid1(VALU_DEP_1)
	v_fma_f64 v[11:12], v[17:18], v[9:10], v[19:20]
	v_div_scale_f64 v[29:30], null, v[11:12], v[11:12], 1.0
	v_div_scale_f64 v[35:36], vcc_lo, 1.0, v[11:12], 1.0
	s_delay_alu instid0(VALU_DEP_2) | instskip(SKIP_2) | instid1(VALU_DEP_1)
	v_rcp_f64_e32 v[31:32], v[29:30]
	s_waitcnt_depctr 0xfff
	v_fma_f64 v[33:34], -v[29:30], v[31:32], 1.0
	v_fma_f64 v[31:32], v[31:32], v[33:34], v[31:32]
	s_delay_alu instid0(VALU_DEP_1) | instskip(NEXT) | instid1(VALU_DEP_1)
	v_fma_f64 v[33:34], -v[29:30], v[31:32], 1.0
	v_fma_f64 v[31:32], v[31:32], v[33:34], v[31:32]
	s_delay_alu instid0(VALU_DEP_1) | instskip(NEXT) | instid1(VALU_DEP_1)
	v_mul_f64 v[33:34], v[35:36], v[31:32]
	v_fma_f64 v[29:30], -v[29:30], v[33:34], v[35:36]
	s_delay_alu instid0(VALU_DEP_1) | instskip(SKIP_1) | instid1(VALU_DEP_2)
	v_div_fmas_f64 v[29:30], v[29:30], v[31:32], v[33:34]
	v_fma_f64 v[31:32], v[9:10], v[21:22], v[23:24]
	v_div_fixup_f64 v[11:12], v[29:30], v[11:12], 1.0
	v_fma_f64 v[29:30], v[9:10], v[23:24], -v[21:22]
	s_delay_alu instid0(VALU_DEP_2) | instskip(NEXT) | instid1(VALU_DEP_2)
	v_mul_f64 v[9:10], v[31:32], v[11:12]
	v_mul_f64 v[11:12], v[29:30], v[11:12]
	s_cbranch_execz .LBB233_70
	s_branch .LBB233_71
.LBB233_69:                             ;   in Loop: Header=BB233_61 Depth=1
                                        ; implicit-def: $vgpr11_vgpr12
.LBB233_70:                             ;   in Loop: Header=BB233_61 Depth=1
	v_div_scale_f64 v[9:10], null, v[17:18], v[17:18], v[19:20]
	v_div_scale_f64 v[31:32], vcc_lo, v[19:20], v[17:18], v[19:20]
	s_delay_alu instid0(VALU_DEP_2) | instskip(SKIP_2) | instid1(VALU_DEP_1)
	v_rcp_f64_e32 v[11:12], v[9:10]
	s_waitcnt_depctr 0xfff
	v_fma_f64 v[29:30], -v[9:10], v[11:12], 1.0
	v_fma_f64 v[11:12], v[11:12], v[29:30], v[11:12]
	s_delay_alu instid0(VALU_DEP_1) | instskip(NEXT) | instid1(VALU_DEP_1)
	v_fma_f64 v[29:30], -v[9:10], v[11:12], 1.0
	v_fma_f64 v[11:12], v[11:12], v[29:30], v[11:12]
	s_delay_alu instid0(VALU_DEP_1) | instskip(NEXT) | instid1(VALU_DEP_1)
	v_mul_f64 v[29:30], v[31:32], v[11:12]
	v_fma_f64 v[9:10], -v[9:10], v[29:30], v[31:32]
	s_delay_alu instid0(VALU_DEP_1) | instskip(NEXT) | instid1(VALU_DEP_1)
	v_div_fmas_f64 v[9:10], v[9:10], v[11:12], v[29:30]
	v_div_fixup_f64 v[9:10], v[9:10], v[17:18], v[19:20]
	s_delay_alu instid0(VALU_DEP_1) | instskip(NEXT) | instid1(VALU_DEP_1)
	v_fma_f64 v[11:12], v[19:20], v[9:10], v[17:18]
	v_div_scale_f64 v[17:18], null, v[11:12], v[11:12], 1.0
	v_div_scale_f64 v[31:32], vcc_lo, 1.0, v[11:12], 1.0
	s_delay_alu instid0(VALU_DEP_2) | instskip(SKIP_2) | instid1(VALU_DEP_1)
	v_rcp_f64_e32 v[19:20], v[17:18]
	s_waitcnt_depctr 0xfff
	v_fma_f64 v[29:30], -v[17:18], v[19:20], 1.0
	v_fma_f64 v[19:20], v[19:20], v[29:30], v[19:20]
	s_delay_alu instid0(VALU_DEP_1) | instskip(NEXT) | instid1(VALU_DEP_1)
	v_fma_f64 v[29:30], -v[17:18], v[19:20], 1.0
	v_fma_f64 v[19:20], v[19:20], v[29:30], v[19:20]
	s_delay_alu instid0(VALU_DEP_1) | instskip(NEXT) | instid1(VALU_DEP_1)
	v_mul_f64 v[29:30], v[31:32], v[19:20]
	v_fma_f64 v[17:18], -v[17:18], v[29:30], v[31:32]
	s_delay_alu instid0(VALU_DEP_1) | instskip(SKIP_1) | instid1(VALU_DEP_2)
	v_div_fmas_f64 v[17:18], v[17:18], v[19:20], v[29:30]
	v_fma_f64 v[19:20], v[9:10], v[23:24], v[21:22]
	v_div_fixup_f64 v[11:12], v[17:18], v[11:12], 1.0
	v_fma_f64 v[17:18], -v[9:10], v[21:22], v[23:24]
	s_delay_alu instid0(VALU_DEP_2) | instskip(NEXT) | instid1(VALU_DEP_2)
	v_mul_f64 v[9:10], v[19:20], v[11:12]
	v_mul_f64 v[11:12], v[17:18], v[11:12]
.LBB233_71:                             ;   in Loop: Header=BB233_61 Depth=1
	s_add_i32 s10, s5, -2
	s_addk_i32 s9, 0xfe30
	s_add_i32 s11, s8, s10
	s_add_i32 s10, s7, s10
	s_lshl_b32 s11, s11, 4
	s_lshl_b32 s10, s10, 4
	v_mov_b32_e32 v17, s11
	v_mov_b32_e32 v21, s10
	ds_store_b128 v28, v[9:12]
	ds_load_b128 v[17:20], v17
	ds_load_b128 v[21:24], v21
	s_waitcnt lgkmcnt(1)
	v_mul_f64 v[29:30], v[15:16], v[19:20]
	v_mul_f64 v[19:20], v[13:14], v[19:20]
	s_waitcnt lgkmcnt(0)
	v_mul_f64 v[31:32], v[11:12], v[23:24]
	v_mul_f64 v[23:24], v[9:10], v[23:24]
	s_delay_alu instid0(VALU_DEP_4) | instskip(NEXT) | instid1(VALU_DEP_4)
	v_fma_f64 v[29:30], v[13:14], v[17:18], -v[29:30]
	v_fma_f64 v[17:18], v[15:16], v[17:18], v[19:20]
	v_mov_b32_e32 v19, s9
	v_fma_f64 v[31:32], v[9:10], v[21:22], -v[31:32]
	v_fma_f64 v[23:24], v[11:12], v[21:22], v[23:24]
	v_add_f64 v[5:6], v[5:6], -v[29:30]
	v_add_f64 v[7:8], v[7:8], -v[17:18]
	ds_load_b128 v[17:20], v19
	s_waitcnt lgkmcnt(0)
	v_cmp_gt_f64_e32 vcc_lo, 0, v[17:18]
	v_xor_b32_e32 v22, 0x80000000, v18
	v_xor_b32_e32 v30, 0x80000000, v20
	v_mov_b32_e32 v21, v17
	v_mov_b32_e32 v29, v19
	v_add_f64 v[23:24], v[7:8], -v[23:24]
	v_cndmask_b32_e32 v22, v18, v22, vcc_lo
	v_cmp_gt_f64_e32 vcc_lo, 0, v[19:20]
	v_cndmask_b32_e32 v30, v20, v30, vcc_lo
	s_delay_alu instid0(VALU_DEP_1)
	v_cmp_ngt_f64_e32 vcc_lo, v[21:22], v[29:30]
	v_add_f64 v[21:22], v[5:6], -v[31:32]
	s_cbranch_vccz .LBB233_73
; %bb.72:                               ;   in Loop: Header=BB233_61 Depth=1
	v_div_scale_f64 v[5:6], null, v[19:20], v[19:20], v[17:18]
	v_div_scale_f64 v[30:31], vcc_lo, v[17:18], v[19:20], v[17:18]
	s_delay_alu instid0(VALU_DEP_2) | instskip(SKIP_2) | instid1(VALU_DEP_1)
	v_rcp_f64_e32 v[7:8], v[5:6]
	s_waitcnt_depctr 0xfff
	v_fma_f64 v[28:29], -v[5:6], v[7:8], 1.0
	v_fma_f64 v[7:8], v[7:8], v[28:29], v[7:8]
	s_delay_alu instid0(VALU_DEP_1) | instskip(NEXT) | instid1(VALU_DEP_1)
	v_fma_f64 v[28:29], -v[5:6], v[7:8], 1.0
	v_fma_f64 v[7:8], v[7:8], v[28:29], v[7:8]
	s_delay_alu instid0(VALU_DEP_1) | instskip(NEXT) | instid1(VALU_DEP_1)
	v_mul_f64 v[28:29], v[30:31], v[7:8]
	v_fma_f64 v[5:6], -v[5:6], v[28:29], v[30:31]
	s_delay_alu instid0(VALU_DEP_1) | instskip(NEXT) | instid1(VALU_DEP_1)
	v_div_fmas_f64 v[5:6], v[5:6], v[7:8], v[28:29]
	v_div_fixup_f64 v[5:6], v[5:6], v[19:20], v[17:18]
	s_delay_alu instid0(VALU_DEP_1) | instskip(NEXT) | instid1(VALU_DEP_1)
	v_fma_f64 v[7:8], v[17:18], v[5:6], v[19:20]
	v_div_scale_f64 v[28:29], null, v[7:8], v[7:8], 1.0
	v_div_scale_f64 v[34:35], vcc_lo, 1.0, v[7:8], 1.0
	s_delay_alu instid0(VALU_DEP_2) | instskip(SKIP_2) | instid1(VALU_DEP_1)
	v_rcp_f64_e32 v[30:31], v[28:29]
	s_waitcnt_depctr 0xfff
	v_fma_f64 v[32:33], -v[28:29], v[30:31], 1.0
	v_fma_f64 v[30:31], v[30:31], v[32:33], v[30:31]
	s_delay_alu instid0(VALU_DEP_1) | instskip(NEXT) | instid1(VALU_DEP_1)
	v_fma_f64 v[32:33], -v[28:29], v[30:31], 1.0
	v_fma_f64 v[30:31], v[30:31], v[32:33], v[30:31]
	s_delay_alu instid0(VALU_DEP_1) | instskip(NEXT) | instid1(VALU_DEP_1)
	v_mul_f64 v[32:33], v[34:35], v[30:31]
	v_fma_f64 v[28:29], -v[28:29], v[32:33], v[34:35]
	s_delay_alu instid0(VALU_DEP_1) | instskip(SKIP_1) | instid1(VALU_DEP_2)
	v_div_fmas_f64 v[28:29], v[28:29], v[30:31], v[32:33]
	v_fma_f64 v[30:31], v[5:6], v[21:22], v[23:24]
	v_div_fixup_f64 v[7:8], v[28:29], v[7:8], 1.0
	v_fma_f64 v[28:29], v[5:6], v[23:24], -v[21:22]
	s_delay_alu instid0(VALU_DEP_2) | instskip(NEXT) | instid1(VALU_DEP_2)
	v_mul_f64 v[5:6], v[30:31], v[7:8]
	v_mul_f64 v[7:8], v[28:29], v[7:8]
	s_cbranch_execz .LBB233_74
	s_branch .LBB233_75
.LBB233_73:                             ;   in Loop: Header=BB233_61 Depth=1
                                        ; implicit-def: $vgpr7_vgpr8
.LBB233_74:                             ;   in Loop: Header=BB233_61 Depth=1
	v_div_scale_f64 v[5:6], null, v[17:18], v[17:18], v[19:20]
	v_div_scale_f64 v[30:31], vcc_lo, v[19:20], v[17:18], v[19:20]
	s_delay_alu instid0(VALU_DEP_2) | instskip(SKIP_2) | instid1(VALU_DEP_1)
	v_rcp_f64_e32 v[7:8], v[5:6]
	s_waitcnt_depctr 0xfff
	v_fma_f64 v[28:29], -v[5:6], v[7:8], 1.0
	v_fma_f64 v[7:8], v[7:8], v[28:29], v[7:8]
	s_delay_alu instid0(VALU_DEP_1) | instskip(NEXT) | instid1(VALU_DEP_1)
	v_fma_f64 v[28:29], -v[5:6], v[7:8], 1.0
	v_fma_f64 v[7:8], v[7:8], v[28:29], v[7:8]
	s_delay_alu instid0(VALU_DEP_1) | instskip(NEXT) | instid1(VALU_DEP_1)
	v_mul_f64 v[28:29], v[30:31], v[7:8]
	v_fma_f64 v[5:6], -v[5:6], v[28:29], v[30:31]
	s_delay_alu instid0(VALU_DEP_1) | instskip(NEXT) | instid1(VALU_DEP_1)
	v_div_fmas_f64 v[5:6], v[5:6], v[7:8], v[28:29]
	v_div_fixup_f64 v[5:6], v[5:6], v[17:18], v[19:20]
	s_delay_alu instid0(VALU_DEP_1) | instskip(NEXT) | instid1(VALU_DEP_1)
	v_fma_f64 v[7:8], v[19:20], v[5:6], v[17:18]
	v_div_scale_f64 v[17:18], null, v[7:8], v[7:8], 1.0
	v_div_scale_f64 v[30:31], vcc_lo, 1.0, v[7:8], 1.0
	s_delay_alu instid0(VALU_DEP_2) | instskip(SKIP_2) | instid1(VALU_DEP_1)
	v_rcp_f64_e32 v[19:20], v[17:18]
	s_waitcnt_depctr 0xfff
	v_fma_f64 v[28:29], -v[17:18], v[19:20], 1.0
	v_fma_f64 v[19:20], v[19:20], v[28:29], v[19:20]
	s_delay_alu instid0(VALU_DEP_1) | instskip(NEXT) | instid1(VALU_DEP_1)
	v_fma_f64 v[28:29], -v[17:18], v[19:20], 1.0
	v_fma_f64 v[19:20], v[19:20], v[28:29], v[19:20]
	s_delay_alu instid0(VALU_DEP_1) | instskip(NEXT) | instid1(VALU_DEP_1)
	v_mul_f64 v[28:29], v[30:31], v[19:20]
	v_fma_f64 v[17:18], -v[17:18], v[28:29], v[30:31]
	s_delay_alu instid0(VALU_DEP_1) | instskip(SKIP_1) | instid1(VALU_DEP_2)
	v_div_fmas_f64 v[17:18], v[17:18], v[19:20], v[28:29]
	v_fma_f64 v[19:20], v[5:6], v[23:24], v[21:22]
	v_div_fixup_f64 v[7:8], v[17:18], v[7:8], 1.0
	v_fma_f64 v[17:18], -v[5:6], v[21:22], v[23:24]
	s_delay_alu instid0(VALU_DEP_2) | instskip(NEXT) | instid1(VALU_DEP_2)
	v_mul_f64 v[5:6], v[19:20], v[7:8]
	v_mul_f64 v[7:8], v[17:18], v[7:8]
.LBB233_75:                             ;   in Loop: Header=BB233_61 Depth=1
	s_add_i32 s10, s5, -3
	ds_store_b128 v27, v[5:8]
	s_add_i32 s8, s8, s10
	s_add_i32 s7, s7, s10
	s_lshl_b32 s8, s8, 4
	s_lshl_b32 s7, s7, 4
	v_mov_b32_e32 v17, s8
	v_mov_b32_e32 v21, s7
	s_add_i32 s6, s6, s10
	s_delay_alu instid0(SALU_CYCLE_1)
	s_lshl_b32 s6, s6, 4
	ds_load_b128 v[17:20], v17
	ds_load_b128 v[21:24], v21
	s_waitcnt lgkmcnt(1)
	v_mul_f64 v[28:29], v[15:16], v[19:20]
	v_mul_f64 v[19:20], v[13:14], v[19:20]
	s_delay_alu instid0(VALU_DEP_2) | instskip(SKIP_1) | instid1(VALU_DEP_3)
	v_fma_f64 v[28:29], v[13:14], v[17:18], -v[28:29]
	v_mov_b32_e32 v13, s6
	v_fma_f64 v[32:33], v[15:16], v[17:18], v[19:20]
	s_add_i32 s6, s9, 0xfffffe30
	ds_load_b128 v[17:20], v13
	s_waitcnt lgkmcnt(1)
	v_mul_f64 v[30:31], v[11:12], v[23:24]
	v_mul_f64 v[23:24], v[9:10], v[23:24]
	v_mov_b32_e32 v13, s6
	ds_load_b128 v[13:16], v13
	s_waitcnt lgkmcnt(1)
	v_mul_f64 v[34:35], v[7:8], v[19:20]
	v_mul_f64 v[19:20], v[5:6], v[19:20]
	s_waitcnt lgkmcnt(0)
	v_cmp_gt_f64_e32 vcc_lo, 0, v[13:14]
	v_add_f64 v[1:2], v[1:2], -v[28:29]
	v_add_f64 v[3:4], v[3:4], -v[32:33]
	v_fma_f64 v[9:10], v[9:10], v[21:22], -v[30:31]
	v_fma_f64 v[11:12], v[11:12], v[21:22], v[23:24]
	v_fma_f64 v[21:22], v[5:6], v[17:18], -v[34:35]
	v_fma_f64 v[17:18], v[7:8], v[17:18], v[19:20]
	s_delay_alu instid0(VALU_DEP_4) | instskip(SKIP_4) | instid1(VALU_DEP_4)
	v_add_f64 v[1:2], v[1:2], -v[9:10]
	v_xor_b32_e32 v10, 0x80000000, v14
	v_add_f64 v[3:4], v[3:4], -v[11:12]
	v_xor_b32_e32 v12, 0x80000000, v16
	v_mov_b32_e32 v9, v13
	v_dual_mov_b32 v11, v15 :: v_dual_cndmask_b32 v10, v14, v10
	v_cmp_gt_f64_e32 vcc_lo, 0, v[15:16]
	s_delay_alu instid0(VALU_DEP_4) | instskip(NEXT) | instid1(VALU_DEP_1)
	v_cndmask_b32_e32 v12, v16, v12, vcc_lo
	v_cmp_ngt_f64_e32 vcc_lo, v[9:10], v[11:12]
	v_add_f64 v[9:10], v[1:2], -v[21:22]
	v_add_f64 v[11:12], v[3:4], -v[17:18]
	s_cbranch_vccz .LBB233_77
; %bb.76:                               ;   in Loop: Header=BB233_61 Depth=1
	v_div_scale_f64 v[1:2], null, v[15:16], v[15:16], v[13:14]
	v_div_scale_f64 v[7:8], vcc_lo, v[13:14], v[15:16], v[13:14]
	s_delay_alu instid0(VALU_DEP_2) | instskip(SKIP_2) | instid1(VALU_DEP_1)
	v_rcp_f64_e32 v[3:4], v[1:2]
	s_waitcnt_depctr 0xfff
	v_fma_f64 v[5:6], -v[1:2], v[3:4], 1.0
	v_fma_f64 v[3:4], v[3:4], v[5:6], v[3:4]
	s_delay_alu instid0(VALU_DEP_1) | instskip(NEXT) | instid1(VALU_DEP_1)
	v_fma_f64 v[5:6], -v[1:2], v[3:4], 1.0
	v_fma_f64 v[3:4], v[3:4], v[5:6], v[3:4]
	s_delay_alu instid0(VALU_DEP_1) | instskip(NEXT) | instid1(VALU_DEP_1)
	v_mul_f64 v[5:6], v[7:8], v[3:4]
	v_fma_f64 v[1:2], -v[1:2], v[5:6], v[7:8]
	s_delay_alu instid0(VALU_DEP_1) | instskip(NEXT) | instid1(VALU_DEP_1)
	v_div_fmas_f64 v[1:2], v[1:2], v[3:4], v[5:6]
	v_div_fixup_f64 v[1:2], v[1:2], v[15:16], v[13:14]
	s_delay_alu instid0(VALU_DEP_1) | instskip(NEXT) | instid1(VALU_DEP_1)
	v_fma_f64 v[3:4], v[13:14], v[1:2], v[15:16]
	v_div_scale_f64 v[5:6], null, v[3:4], v[3:4], 1.0
	v_div_scale_f64 v[19:20], vcc_lo, 1.0, v[3:4], 1.0
	s_delay_alu instid0(VALU_DEP_2) | instskip(SKIP_2) | instid1(VALU_DEP_1)
	v_rcp_f64_e32 v[7:8], v[5:6]
	s_waitcnt_depctr 0xfff
	v_fma_f64 v[17:18], -v[5:6], v[7:8], 1.0
	v_fma_f64 v[7:8], v[7:8], v[17:18], v[7:8]
	s_delay_alu instid0(VALU_DEP_1) | instskip(NEXT) | instid1(VALU_DEP_1)
	v_fma_f64 v[17:18], -v[5:6], v[7:8], 1.0
	v_fma_f64 v[7:8], v[7:8], v[17:18], v[7:8]
	s_delay_alu instid0(VALU_DEP_1) | instskip(NEXT) | instid1(VALU_DEP_1)
	v_mul_f64 v[17:18], v[19:20], v[7:8]
	v_fma_f64 v[5:6], -v[5:6], v[17:18], v[19:20]
	s_delay_alu instid0(VALU_DEP_1) | instskip(SKIP_1) | instid1(VALU_DEP_2)
	v_div_fmas_f64 v[5:6], v[5:6], v[7:8], v[17:18]
	v_fma_f64 v[7:8], v[1:2], v[9:10], v[11:12]
	v_div_fixup_f64 v[3:4], v[5:6], v[3:4], 1.0
	v_fma_f64 v[5:6], v[1:2], v[11:12], -v[9:10]
	s_delay_alu instid0(VALU_DEP_2) | instskip(NEXT) | instid1(VALU_DEP_2)
	v_mul_f64 v[1:2], v[7:8], v[3:4]
	v_mul_f64 v[3:4], v[5:6], v[3:4]
	s_cbranch_execz .LBB233_78
	s_branch .LBB233_79
.LBB233_77:                             ;   in Loop: Header=BB233_61 Depth=1
                                        ; implicit-def: $vgpr3_vgpr4
.LBB233_78:                             ;   in Loop: Header=BB233_61 Depth=1
	v_div_scale_f64 v[1:2], null, v[13:14], v[13:14], v[15:16]
	v_div_scale_f64 v[7:8], vcc_lo, v[15:16], v[13:14], v[15:16]
	s_delay_alu instid0(VALU_DEP_2) | instskip(SKIP_2) | instid1(VALU_DEP_1)
	v_rcp_f64_e32 v[3:4], v[1:2]
	s_waitcnt_depctr 0xfff
	v_fma_f64 v[5:6], -v[1:2], v[3:4], 1.0
	v_fma_f64 v[3:4], v[3:4], v[5:6], v[3:4]
	s_delay_alu instid0(VALU_DEP_1) | instskip(NEXT) | instid1(VALU_DEP_1)
	v_fma_f64 v[5:6], -v[1:2], v[3:4], 1.0
	v_fma_f64 v[3:4], v[3:4], v[5:6], v[3:4]
	s_delay_alu instid0(VALU_DEP_1) | instskip(NEXT) | instid1(VALU_DEP_1)
	v_mul_f64 v[5:6], v[7:8], v[3:4]
	v_fma_f64 v[1:2], -v[1:2], v[5:6], v[7:8]
	s_delay_alu instid0(VALU_DEP_1) | instskip(NEXT) | instid1(VALU_DEP_1)
	v_div_fmas_f64 v[1:2], v[1:2], v[3:4], v[5:6]
	v_div_fixup_f64 v[1:2], v[1:2], v[13:14], v[15:16]
	s_delay_alu instid0(VALU_DEP_1) | instskip(NEXT) | instid1(VALU_DEP_1)
	v_fma_f64 v[3:4], v[15:16], v[1:2], v[13:14]
	v_div_scale_f64 v[5:6], null, v[3:4], v[3:4], 1.0
	v_div_scale_f64 v[15:16], vcc_lo, 1.0, v[3:4], 1.0
	s_delay_alu instid0(VALU_DEP_2) | instskip(SKIP_2) | instid1(VALU_DEP_1)
	v_rcp_f64_e32 v[7:8], v[5:6]
	s_waitcnt_depctr 0xfff
	v_fma_f64 v[13:14], -v[5:6], v[7:8], 1.0
	v_fma_f64 v[7:8], v[7:8], v[13:14], v[7:8]
	s_delay_alu instid0(VALU_DEP_1) | instskip(NEXT) | instid1(VALU_DEP_1)
	v_fma_f64 v[13:14], -v[5:6], v[7:8], 1.0
	v_fma_f64 v[7:8], v[7:8], v[13:14], v[7:8]
	s_delay_alu instid0(VALU_DEP_1) | instskip(NEXT) | instid1(VALU_DEP_1)
	v_mul_f64 v[13:14], v[15:16], v[7:8]
	v_fma_f64 v[5:6], -v[5:6], v[13:14], v[15:16]
	s_delay_alu instid0(VALU_DEP_1) | instskip(SKIP_1) | instid1(VALU_DEP_2)
	v_div_fmas_f64 v[5:6], v[5:6], v[7:8], v[13:14]
	v_fma_f64 v[7:8], v[1:2], v[11:12], v[9:10]
	v_div_fixup_f64 v[3:4], v[5:6], v[3:4], 1.0
	v_fma_f64 v[5:6], -v[1:2], v[9:10], v[11:12]
	s_delay_alu instid0(VALU_DEP_2) | instskip(NEXT) | instid1(VALU_DEP_2)
	v_mul_f64 v[1:2], v[7:8], v[3:4]
	v_mul_f64 v[3:4], v[5:6], v[3:4]
.LBB233_79:                             ;   in Loop: Header=BB233_61 Depth=1
	s_add_i32 s6, s5, -4
	s_sub_i32 s4, s4, 64
	s_cmp_lt_i32 s5, 7
	ds_store_b128 v26, v[1:4]
	s_cbranch_scc1 .LBB233_81
; %bb.80:                               ;   in Loop: Header=BB233_61 Depth=1
	s_mov_b32 s5, s6
	s_branch .LBB233_61
.LBB233_81:
	s_cmp_lt_i32 s6, 0
	s_cbranch_scc1 .LBB233_90
; %bb.82:
	v_lshlrev_b32_e32 v1, 4, v0
	s_mul_i32 s4, s28, 0x1c0
	s_lshl_b32 s5, s6, 4
	s_delay_alu instid0(VALU_DEP_1) | instskip(SKIP_1) | instid1(SALU_CYCLE_1)
	v_add3_u32 v13, s4, v1, 0x2f40
	s_add_i32 s4, s4, s5
	s_addk_i32 s4, 0xfe40
	s_branch .LBB233_84
.LBB233_83:                             ;   in Loop: Header=BB233_84 Depth=1
	s_add_i32 s5, s6, -1
	s_add_i32 s4, s4, -16
	s_cmp_lt_i32 s6, 1
	s_mov_b32 s6, s5
	ds_store_b128 v14, v[9:12]
	s_cbranch_scc1 .LBB233_90
.LBB233_84:                             ; =>This Loop Header: Depth=1
                                        ;     Child Loop BB233_85 Depth 2
	s_mul_i32 s5, s6, 28
	v_mov_b32_e32 v6, v13
	v_add_lshl_u32 v5, s5, v0, 4
	s_cmp_le_i32 s29, s6
	s_mov_b32 s5, s4
	s_mov_b32 s7, s29
	ds_load_b128 v[1:4], v5 offset:12544
	s_cbranch_scc1 .LBB233_86
	.p2align	6
.LBB233_85:                             ;   Parent Loop BB233_84 Depth=1
                                        ; =>  This Inner Loop Header: Depth=2
	v_mov_b32_e32 v11, s5
	s_add_i32 s7, s7, -1
	s_addk_i32 s5, 0xfe40
	s_cmp_le_i32 s7, s6
	ds_load_b128 v[7:10], v6
	ds_load_b128 v[14:17], v11
	v_add_nc_u32_e32 v6, 0xfffffe40, v6
	s_waitcnt lgkmcnt(0)
	v_mul_f64 v[11:12], v[16:17], v[9:10]
	v_mul_f64 v[9:10], v[14:15], v[9:10]
	s_delay_alu instid0(VALU_DEP_2) | instskip(NEXT) | instid1(VALU_DEP_2)
	v_fma_f64 v[11:12], v[14:15], v[7:8], -v[11:12]
	v_fma_f64 v[7:8], v[16:17], v[7:8], v[9:10]
	s_delay_alu instid0(VALU_DEP_2) | instskip(NEXT) | instid1(VALU_DEP_2)
	v_add_f64 v[1:2], v[1:2], -v[11:12]
	v_add_f64 v[3:4], v[3:4], -v[7:8]
	s_cbranch_scc0 .LBB233_85
.LBB233_86:                             ;   in Loop: Header=BB233_84 Depth=1
	s_mul_i32 s5, s6, 0x1d0
	s_delay_alu instid0(SALU_CYCLE_1)
	v_dual_mov_b32 v5, s5 :: v_dual_add_nc_u32 v14, 0x3100, v5
	ds_load_b128 v[5:8], v5
	s_waitcnt lgkmcnt(0)
	v_cmp_gt_f64_e32 vcc_lo, 0, v[5:6]
	v_xor_b32_e32 v10, 0x80000000, v6
	v_mov_b32_e32 v9, v5
	v_xor_b32_e32 v11, 0x80000000, v8
	s_delay_alu instid0(VALU_DEP_3) | instskip(SKIP_1) | instid1(VALU_DEP_3)
	v_cndmask_b32_e32 v10, v6, v10, vcc_lo
	v_cmp_gt_f64_e32 vcc_lo, 0, v[7:8]
	v_dual_cndmask_b32 v12, v8, v11 :: v_dual_mov_b32 v11, v7
	s_delay_alu instid0(VALU_DEP_1)
	v_cmp_ngt_f64_e32 vcc_lo, v[9:10], v[11:12]
	s_cbranch_vccz .LBB233_88
; %bb.87:                               ;   in Loop: Header=BB233_84 Depth=1
	v_div_scale_f64 v[9:10], null, v[7:8], v[7:8], v[5:6]
	v_div_scale_f64 v[17:18], vcc_lo, v[5:6], v[7:8], v[5:6]
	s_delay_alu instid0(VALU_DEP_2) | instskip(SKIP_2) | instid1(VALU_DEP_1)
	v_rcp_f64_e32 v[11:12], v[9:10]
	s_waitcnt_depctr 0xfff
	v_fma_f64 v[15:16], -v[9:10], v[11:12], 1.0
	v_fma_f64 v[11:12], v[11:12], v[15:16], v[11:12]
	s_delay_alu instid0(VALU_DEP_1) | instskip(NEXT) | instid1(VALU_DEP_1)
	v_fma_f64 v[15:16], -v[9:10], v[11:12], 1.0
	v_fma_f64 v[11:12], v[11:12], v[15:16], v[11:12]
	s_delay_alu instid0(VALU_DEP_1) | instskip(NEXT) | instid1(VALU_DEP_1)
	v_mul_f64 v[15:16], v[17:18], v[11:12]
	v_fma_f64 v[9:10], -v[9:10], v[15:16], v[17:18]
	s_delay_alu instid0(VALU_DEP_1) | instskip(NEXT) | instid1(VALU_DEP_1)
	v_div_fmas_f64 v[9:10], v[9:10], v[11:12], v[15:16]
	v_div_fixup_f64 v[9:10], v[9:10], v[7:8], v[5:6]
	s_delay_alu instid0(VALU_DEP_1) | instskip(NEXT) | instid1(VALU_DEP_1)
	v_fma_f64 v[11:12], v[5:6], v[9:10], v[7:8]
	v_div_scale_f64 v[15:16], null, v[11:12], v[11:12], 1.0
	v_div_scale_f64 v[21:22], vcc_lo, 1.0, v[11:12], 1.0
	s_delay_alu instid0(VALU_DEP_2) | instskip(SKIP_2) | instid1(VALU_DEP_1)
	v_rcp_f64_e32 v[17:18], v[15:16]
	s_waitcnt_depctr 0xfff
	v_fma_f64 v[19:20], -v[15:16], v[17:18], 1.0
	v_fma_f64 v[17:18], v[17:18], v[19:20], v[17:18]
	s_delay_alu instid0(VALU_DEP_1) | instskip(NEXT) | instid1(VALU_DEP_1)
	v_fma_f64 v[19:20], -v[15:16], v[17:18], 1.0
	v_fma_f64 v[17:18], v[17:18], v[19:20], v[17:18]
	s_delay_alu instid0(VALU_DEP_1) | instskip(NEXT) | instid1(VALU_DEP_1)
	v_mul_f64 v[19:20], v[21:22], v[17:18]
	v_fma_f64 v[15:16], -v[15:16], v[19:20], v[21:22]
	s_delay_alu instid0(VALU_DEP_1) | instskip(SKIP_1) | instid1(VALU_DEP_2)
	v_div_fmas_f64 v[15:16], v[15:16], v[17:18], v[19:20]
	v_fma_f64 v[17:18], v[1:2], v[9:10], v[3:4]
	v_div_fixup_f64 v[11:12], v[15:16], v[11:12], 1.0
	v_fma_f64 v[15:16], v[3:4], v[9:10], -v[1:2]
	s_delay_alu instid0(VALU_DEP_2) | instskip(NEXT) | instid1(VALU_DEP_2)
	v_mul_f64 v[9:10], v[17:18], v[11:12]
	v_mul_f64 v[11:12], v[15:16], v[11:12]
	s_cbranch_execnz .LBB233_83
	s_branch .LBB233_89
.LBB233_88:                             ;   in Loop: Header=BB233_84 Depth=1
                                        ; implicit-def: $vgpr9_vgpr10
.LBB233_89:                             ;   in Loop: Header=BB233_84 Depth=1
	v_div_scale_f64 v[9:10], null, v[5:6], v[5:6], v[7:8]
	v_div_scale_f64 v[17:18], vcc_lo, v[7:8], v[5:6], v[7:8]
	s_delay_alu instid0(VALU_DEP_2) | instskip(SKIP_2) | instid1(VALU_DEP_1)
	v_rcp_f64_e32 v[11:12], v[9:10]
	s_waitcnt_depctr 0xfff
	v_fma_f64 v[15:16], -v[9:10], v[11:12], 1.0
	v_fma_f64 v[11:12], v[11:12], v[15:16], v[11:12]
	s_delay_alu instid0(VALU_DEP_1) | instskip(NEXT) | instid1(VALU_DEP_1)
	v_fma_f64 v[15:16], -v[9:10], v[11:12], 1.0
	v_fma_f64 v[11:12], v[11:12], v[15:16], v[11:12]
	s_delay_alu instid0(VALU_DEP_1) | instskip(NEXT) | instid1(VALU_DEP_1)
	v_mul_f64 v[15:16], v[17:18], v[11:12]
	v_fma_f64 v[9:10], -v[9:10], v[15:16], v[17:18]
	s_delay_alu instid0(VALU_DEP_1) | instskip(NEXT) | instid1(VALU_DEP_1)
	v_div_fmas_f64 v[9:10], v[9:10], v[11:12], v[15:16]
	v_div_fixup_f64 v[9:10], v[9:10], v[5:6], v[7:8]
	s_delay_alu instid0(VALU_DEP_1) | instskip(NEXT) | instid1(VALU_DEP_1)
	v_fma_f64 v[5:6], v[7:8], v[9:10], v[5:6]
	v_div_scale_f64 v[7:8], null, v[5:6], v[5:6], 1.0
	v_div_scale_f64 v[17:18], vcc_lo, 1.0, v[5:6], 1.0
	s_delay_alu instid0(VALU_DEP_2) | instskip(SKIP_2) | instid1(VALU_DEP_1)
	v_rcp_f64_e32 v[11:12], v[7:8]
	s_waitcnt_depctr 0xfff
	v_fma_f64 v[15:16], -v[7:8], v[11:12], 1.0
	v_fma_f64 v[11:12], v[11:12], v[15:16], v[11:12]
	s_delay_alu instid0(VALU_DEP_1) | instskip(NEXT) | instid1(VALU_DEP_1)
	v_fma_f64 v[15:16], -v[7:8], v[11:12], 1.0
	v_fma_f64 v[11:12], v[11:12], v[15:16], v[11:12]
	s_delay_alu instid0(VALU_DEP_1) | instskip(NEXT) | instid1(VALU_DEP_1)
	v_mul_f64 v[15:16], v[17:18], v[11:12]
	v_fma_f64 v[7:8], -v[7:8], v[15:16], v[17:18]
	s_delay_alu instid0(VALU_DEP_1) | instskip(SKIP_2) | instid1(VALU_DEP_3)
	v_div_fmas_f64 v[7:8], v[7:8], v[11:12], v[15:16]
	v_fma_f64 v[11:12], v[3:4], v[9:10], v[1:2]
	v_fma_f64 v[1:2], -v[1:2], v[9:10], v[3:4]
	v_div_fixup_f64 v[5:6], v[7:8], v[5:6], 1.0
	s_delay_alu instid0(VALU_DEP_1) | instskip(NEXT) | instid1(VALU_DEP_3)
	v_mul_f64 v[9:10], v[11:12], v[5:6]
	v_mul_f64 v[11:12], v[1:2], v[5:6]
	s_branch .LBB233_83
.LBB233_90:
	s_mov_b32 s5, 0
.LBB233_91:
	s_delay_alu instid0(SALU_CYCLE_1)
	s_and_not1_b32 vcc_lo, exec_lo, s5
	s_cbranch_vccnz .LBB233_123
; %bb.92:
	s_and_not1_b32 vcc_lo, exec_lo, s1
	s_mul_i32 s1, s28, 0x1c0
	s_mov_b32 s6, s29
	s_cbranch_vccnz .LBB233_114
; %bb.93:
	v_lshlrev_b32_e32 v1, 4, v0
	s_mul_i32 s4, s28, 0x1d0
	s_mov_b32 s5, s29
	s_addk_i32 s4, 0xf8e0
	s_delay_alu instid0(VALU_DEP_1)
	v_add3_u32 v25, s1, v1, 0x2d80
.LBB233_94:                             ; =>This Loop Header: Depth=1
                                        ;     Child Loop BB233_95 Depth 2
	s_mul_i32 s6, s5, 28
	s_delay_alu instid0(VALU_DEP_1)
	v_mov_b32_e32 v21, v25
	s_sub_i32 s8, s6, 28
	v_add_lshl_u32 v13, s6, v0, 4
	s_sub_i32 s7, s6, 56
	v_add_lshl_u32 v14, s8, v0, 4
	s_addk_i32 s6, 0xffac
	v_add_lshl_u32 v15, s7, v0, 4
	v_add_lshl_u32 v16, s6, v0, 4
	ds_load_b128 v[17:20], v13 offset:12544
	ds_load_b128 v[9:12], v14 offset:12544
	;; [unrolled: 1-line block ×4, first 2 shown]
	s_cmp_le_i32 s29, s5
	s_mov_b32 s9, s4
	s_mov_b32 s10, s29
	s_cbranch_scc1 .LBB233_96
.LBB233_95:                             ;   Parent Loop BB233_94 Depth=1
                                        ; =>  This Inner Loop Header: Depth=2
	v_mov_b32_e32 v22, s9
	s_add_i32 s10, s10, -2
	s_sub_i32 s9, s9, 32
	s_cmp_le_i32 s10, s5
	ds_load_b128 v[26:29], v21 offset:448
	ds_load_b128 v[30:33], v22 offset:1360
	ds_load_b128 v[34:37], v22 offset:912
	ds_load_b128 v[38:41], v22 offset:464
	ds_load_b128 v[42:45], v22 offset:16
	ds_load_b128 v[46:49], v22
	ds_load_b128 v[50:53], v21
	ds_load_b128 v[54:57], v22 offset:1344
	ds_load_b128 v[58:61], v22 offset:896
	;; [unrolled: 1-line block ×3, first 2 shown]
	v_add_nc_u32_e32 v21, 0xfffffc80, v21
	s_waitcnt lgkmcnt(8)
	v_mul_f64 v[22:23], v[28:29], v[32:33]
	v_mul_f64 v[32:33], v[26:27], v[32:33]
	s_waitcnt lgkmcnt(7)
	v_mul_f64 v[66:67], v[28:29], v[36:37]
	v_mul_f64 v[36:37], v[26:27], v[36:37]
	s_waitcnt lgkmcnt(6)
	v_mul_f64 v[68:69], v[28:29], v[40:41]
	v_mul_f64 v[40:41], v[26:27], v[40:41]
	s_waitcnt lgkmcnt(5)
	v_mul_f64 v[70:71], v[28:29], v[44:45]
	v_mul_f64 v[44:45], v[26:27], v[44:45]
	s_waitcnt lgkmcnt(2)
	v_mul_f64 v[72:73], v[52:53], v[56:57]
	v_mul_f64 v[56:57], v[50:51], v[56:57]
	s_waitcnt lgkmcnt(1)
	v_mul_f64 v[74:75], v[52:53], v[60:61]
	v_mul_f64 v[60:61], v[50:51], v[60:61]
	s_waitcnt lgkmcnt(0)
	v_mul_f64 v[76:77], v[52:53], v[64:65]
	v_mul_f64 v[64:65], v[50:51], v[64:65]
	v_mul_f64 v[78:79], v[52:53], v[48:49]
	v_mul_f64 v[48:49], v[50:51], v[48:49]
	v_fma_f64 v[22:23], v[26:27], v[30:31], -v[22:23]
	v_fma_f64 v[30:31], v[28:29], v[30:31], v[32:33]
	v_fma_f64 v[32:33], v[26:27], v[34:35], -v[66:67]
	v_fma_f64 v[34:35], v[28:29], v[34:35], v[36:37]
	;; [unrolled: 2-line block ×8, first 2 shown]
	v_add_f64 v[17:18], v[17:18], -v[22:23]
	v_add_f64 v[19:20], v[19:20], -v[30:31]
	v_add_f64 v[9:10], v[9:10], -v[32:33]
	v_add_f64 v[11:12], v[11:12], -v[34:35]
	v_add_f64 v[5:6], v[5:6], -v[36:37]
	v_add_f64 v[7:8], v[7:8], -v[38:39]
	v_add_f64 v[1:2], v[1:2], -v[26:27]
	v_add_f64 v[3:4], v[3:4], -v[28:29]
	v_add_f64 v[17:18], v[17:18], -v[40:41]
	v_add_f64 v[19:20], v[19:20], -v[42:43]
	v_add_f64 v[9:10], v[9:10], -v[44:45]
	v_add_f64 v[11:12], v[11:12], -v[54:55]
	v_add_f64 v[5:6], v[5:6], -v[56:57]
	v_add_f64 v[7:8], v[7:8], -v[58:59]
	v_add_f64 v[1:2], v[1:2], -v[50:51]
	v_add_f64 v[3:4], v[3:4], -v[46:47]
	s_cbranch_scc0 .LBB233_95
.LBB233_96:                             ;   in Loop: Header=BB233_94 Depth=1
	s_mul_i32 s9, s5, 0x1d0
	v_add_nc_u32_e32 v29, 0x3100, v13
	v_dual_mov_b32 v13, s9 :: v_dual_add_nc_u32 v28, 0x3100, v14
	v_add_nc_u32_e32 v27, 0x3100, v15
	ds_load_b128 v[21:24], v13
	s_waitcnt lgkmcnt(0)
	v_dual_mov_b32 v13, v21 :: v_dual_add_nc_u32 v26, 0x3100, v16
	v_cmp_gt_f64_e32 vcc_lo, 0, v[21:22]
	v_xor_b32_e32 v14, 0x80000000, v22
	v_xor_b32_e32 v15, 0x80000000, v24
	s_delay_alu instid0(VALU_DEP_2) | instskip(SKIP_1) | instid1(VALU_DEP_3)
	v_cndmask_b32_e32 v14, v22, v14, vcc_lo
	v_cmp_gt_f64_e32 vcc_lo, 0, v[23:24]
	v_dual_cndmask_b32 v16, v24, v15 :: v_dual_mov_b32 v15, v23
	s_delay_alu instid0(VALU_DEP_1)
	v_cmp_ngt_f64_e32 vcc_lo, v[13:14], v[15:16]
	s_cbranch_vccz .LBB233_98
; %bb.97:                               ;   in Loop: Header=BB233_94 Depth=1
	v_div_scale_f64 v[13:14], null, v[23:24], v[23:24], v[21:22]
	v_div_scale_f64 v[32:33], vcc_lo, v[21:22], v[23:24], v[21:22]
	s_delay_alu instid0(VALU_DEP_2) | instskip(SKIP_2) | instid1(VALU_DEP_1)
	v_rcp_f64_e32 v[15:16], v[13:14]
	s_waitcnt_depctr 0xfff
	v_fma_f64 v[30:31], -v[13:14], v[15:16], 1.0
	v_fma_f64 v[15:16], v[15:16], v[30:31], v[15:16]
	s_delay_alu instid0(VALU_DEP_1) | instskip(NEXT) | instid1(VALU_DEP_1)
	v_fma_f64 v[30:31], -v[13:14], v[15:16], 1.0
	v_fma_f64 v[15:16], v[15:16], v[30:31], v[15:16]
	s_delay_alu instid0(VALU_DEP_1) | instskip(NEXT) | instid1(VALU_DEP_1)
	v_mul_f64 v[30:31], v[32:33], v[15:16]
	v_fma_f64 v[13:14], -v[13:14], v[30:31], v[32:33]
	s_delay_alu instid0(VALU_DEP_1) | instskip(NEXT) | instid1(VALU_DEP_1)
	v_div_fmas_f64 v[13:14], v[13:14], v[15:16], v[30:31]
	v_div_fixup_f64 v[13:14], v[13:14], v[23:24], v[21:22]
	s_delay_alu instid0(VALU_DEP_1) | instskip(NEXT) | instid1(VALU_DEP_1)
	v_fma_f64 v[15:16], v[21:22], v[13:14], v[23:24]
	v_div_scale_f64 v[30:31], null, v[15:16], v[15:16], 1.0
	v_div_scale_f64 v[36:37], vcc_lo, 1.0, v[15:16], 1.0
	s_delay_alu instid0(VALU_DEP_2) | instskip(SKIP_2) | instid1(VALU_DEP_1)
	v_rcp_f64_e32 v[32:33], v[30:31]
	s_waitcnt_depctr 0xfff
	v_fma_f64 v[34:35], -v[30:31], v[32:33], 1.0
	v_fma_f64 v[32:33], v[32:33], v[34:35], v[32:33]
	s_delay_alu instid0(VALU_DEP_1) | instskip(NEXT) | instid1(VALU_DEP_1)
	v_fma_f64 v[34:35], -v[30:31], v[32:33], 1.0
	v_fma_f64 v[32:33], v[32:33], v[34:35], v[32:33]
	s_delay_alu instid0(VALU_DEP_1) | instskip(NEXT) | instid1(VALU_DEP_1)
	v_mul_f64 v[34:35], v[36:37], v[32:33]
	v_fma_f64 v[30:31], -v[30:31], v[34:35], v[36:37]
	s_delay_alu instid0(VALU_DEP_1) | instskip(SKIP_1) | instid1(VALU_DEP_2)
	v_div_fmas_f64 v[30:31], v[30:31], v[32:33], v[34:35]
	v_fma_f64 v[32:33], v[17:18], v[13:14], v[19:20]
	v_div_fixup_f64 v[15:16], v[30:31], v[15:16], 1.0
	v_fma_f64 v[30:31], v[19:20], v[13:14], -v[17:18]
	s_delay_alu instid0(VALU_DEP_2) | instskip(NEXT) | instid1(VALU_DEP_2)
	v_mul_f64 v[13:14], v[32:33], v[15:16]
	v_mul_f64 v[15:16], v[30:31], v[15:16]
	s_cbranch_execz .LBB233_99
	s_branch .LBB233_100
.LBB233_98:                             ;   in Loop: Header=BB233_94 Depth=1
                                        ; implicit-def: $vgpr15_vgpr16
.LBB233_99:                             ;   in Loop: Header=BB233_94 Depth=1
	v_div_scale_f64 v[13:14], null, v[21:22], v[21:22], v[23:24]
	v_div_scale_f64 v[32:33], vcc_lo, v[23:24], v[21:22], v[23:24]
	s_delay_alu instid0(VALU_DEP_2) | instskip(SKIP_2) | instid1(VALU_DEP_1)
	v_rcp_f64_e32 v[15:16], v[13:14]
	s_waitcnt_depctr 0xfff
	v_fma_f64 v[30:31], -v[13:14], v[15:16], 1.0
	v_fma_f64 v[15:16], v[15:16], v[30:31], v[15:16]
	s_delay_alu instid0(VALU_DEP_1) | instskip(NEXT) | instid1(VALU_DEP_1)
	v_fma_f64 v[30:31], -v[13:14], v[15:16], 1.0
	v_fma_f64 v[15:16], v[15:16], v[30:31], v[15:16]
	s_delay_alu instid0(VALU_DEP_1) | instskip(NEXT) | instid1(VALU_DEP_1)
	v_mul_f64 v[30:31], v[32:33], v[15:16]
	v_fma_f64 v[13:14], -v[13:14], v[30:31], v[32:33]
	s_delay_alu instid0(VALU_DEP_1) | instskip(NEXT) | instid1(VALU_DEP_1)
	v_div_fmas_f64 v[13:14], v[13:14], v[15:16], v[30:31]
	v_div_fixup_f64 v[13:14], v[13:14], v[21:22], v[23:24]
	s_delay_alu instid0(VALU_DEP_1) | instskip(NEXT) | instid1(VALU_DEP_1)
	v_fma_f64 v[15:16], v[23:24], v[13:14], v[21:22]
	v_div_scale_f64 v[21:22], null, v[15:16], v[15:16], 1.0
	v_div_scale_f64 v[32:33], vcc_lo, 1.0, v[15:16], 1.0
	s_delay_alu instid0(VALU_DEP_2) | instskip(SKIP_2) | instid1(VALU_DEP_1)
	v_rcp_f64_e32 v[23:24], v[21:22]
	s_waitcnt_depctr 0xfff
	v_fma_f64 v[30:31], -v[21:22], v[23:24], 1.0
	v_fma_f64 v[23:24], v[23:24], v[30:31], v[23:24]
	s_delay_alu instid0(VALU_DEP_1) | instskip(NEXT) | instid1(VALU_DEP_1)
	v_fma_f64 v[30:31], -v[21:22], v[23:24], 1.0
	v_fma_f64 v[23:24], v[23:24], v[30:31], v[23:24]
	s_delay_alu instid0(VALU_DEP_1) | instskip(NEXT) | instid1(VALU_DEP_1)
	v_mul_f64 v[30:31], v[32:33], v[23:24]
	v_fma_f64 v[21:22], -v[21:22], v[30:31], v[32:33]
	s_delay_alu instid0(VALU_DEP_1) | instskip(SKIP_2) | instid1(VALU_DEP_3)
	v_div_fmas_f64 v[21:22], v[21:22], v[23:24], v[30:31]
	v_fma_f64 v[23:24], v[19:20], v[13:14], v[17:18]
	v_fma_f64 v[17:18], -v[17:18], v[13:14], v[19:20]
	v_div_fixup_f64 v[15:16], v[21:22], v[15:16], 1.0
	s_delay_alu instid0(VALU_DEP_1) | instskip(NEXT) | instid1(VALU_DEP_3)
	v_mul_f64 v[13:14], v[23:24], v[15:16]
	v_mul_f64 v[15:16], v[17:18], v[15:16]
.LBB233_100:                            ;   in Loop: Header=BB233_94 Depth=1
	s_add_i32 s8, s8, s5
	s_addk_i32 s9, 0xfe30
	s_lshl_b32 s8, s8, 4
	ds_store_b128 v29, v[13:16]
	v_mov_b32_e32 v17, s8
	ds_load_b128 v[21:24], v17
	v_mov_b32_e32 v17, s9
	ds_load_b128 v[17:20], v17
	s_waitcnt lgkmcnt(1)
	v_mul_f64 v[30:31], v[15:16], v[23:24]
	v_mul_f64 v[23:24], v[13:14], v[23:24]
	s_waitcnt lgkmcnt(0)
	v_cmp_gt_f64_e32 vcc_lo, 0, v[17:18]
	v_xor_b32_e32 v33, 0x80000000, v20
	v_mov_b32_e32 v32, v19
	v_fma_f64 v[30:31], v[13:14], v[21:22], -v[30:31]
	v_fma_f64 v[23:24], v[15:16], v[21:22], v[23:24]
	v_xor_b32_e32 v22, 0x80000000, v18
	s_delay_alu instid0(VALU_DEP_1) | instskip(SKIP_1) | instid1(VALU_DEP_4)
	v_dual_mov_b32 v21, v17 :: v_dual_cndmask_b32 v22, v18, v22
	v_cmp_gt_f64_e32 vcc_lo, 0, v[19:20]
	v_add_f64 v[23:24], v[11:12], -v[23:24]
	v_cndmask_b32_e32 v33, v20, v33, vcc_lo
	s_delay_alu instid0(VALU_DEP_1)
	v_cmp_ngt_f64_e32 vcc_lo, v[21:22], v[32:33]
	v_add_f64 v[21:22], v[9:10], -v[30:31]
	s_cbranch_vccz .LBB233_102
; %bb.101:                              ;   in Loop: Header=BB233_94 Depth=1
	v_div_scale_f64 v[9:10], null, v[19:20], v[19:20], v[17:18]
	v_div_scale_f64 v[31:32], vcc_lo, v[17:18], v[19:20], v[17:18]
	s_delay_alu instid0(VALU_DEP_2) | instskip(SKIP_2) | instid1(VALU_DEP_1)
	v_rcp_f64_e32 v[11:12], v[9:10]
	s_waitcnt_depctr 0xfff
	v_fma_f64 v[29:30], -v[9:10], v[11:12], 1.0
	v_fma_f64 v[11:12], v[11:12], v[29:30], v[11:12]
	s_delay_alu instid0(VALU_DEP_1) | instskip(NEXT) | instid1(VALU_DEP_1)
	v_fma_f64 v[29:30], -v[9:10], v[11:12], 1.0
	v_fma_f64 v[11:12], v[11:12], v[29:30], v[11:12]
	s_delay_alu instid0(VALU_DEP_1) | instskip(NEXT) | instid1(VALU_DEP_1)
	v_mul_f64 v[29:30], v[31:32], v[11:12]
	v_fma_f64 v[9:10], -v[9:10], v[29:30], v[31:32]
	s_delay_alu instid0(VALU_DEP_1) | instskip(NEXT) | instid1(VALU_DEP_1)
	v_div_fmas_f64 v[9:10], v[9:10], v[11:12], v[29:30]
	v_div_fixup_f64 v[9:10], v[9:10], v[19:20], v[17:18]
	s_delay_alu instid0(VALU_DEP_1) | instskip(NEXT) | instid1(VALU_DEP_1)
	v_fma_f64 v[11:12], v[17:18], v[9:10], v[19:20]
	v_div_scale_f64 v[29:30], null, v[11:12], v[11:12], 1.0
	v_div_scale_f64 v[35:36], vcc_lo, 1.0, v[11:12], 1.0
	s_delay_alu instid0(VALU_DEP_2) | instskip(SKIP_2) | instid1(VALU_DEP_1)
	v_rcp_f64_e32 v[31:32], v[29:30]
	s_waitcnt_depctr 0xfff
	v_fma_f64 v[33:34], -v[29:30], v[31:32], 1.0
	v_fma_f64 v[31:32], v[31:32], v[33:34], v[31:32]
	s_delay_alu instid0(VALU_DEP_1) | instskip(NEXT) | instid1(VALU_DEP_1)
	v_fma_f64 v[33:34], -v[29:30], v[31:32], 1.0
	v_fma_f64 v[31:32], v[31:32], v[33:34], v[31:32]
	s_delay_alu instid0(VALU_DEP_1) | instskip(NEXT) | instid1(VALU_DEP_1)
	v_mul_f64 v[33:34], v[35:36], v[31:32]
	v_fma_f64 v[29:30], -v[29:30], v[33:34], v[35:36]
	s_delay_alu instid0(VALU_DEP_1) | instskip(SKIP_1) | instid1(VALU_DEP_2)
	v_div_fmas_f64 v[29:30], v[29:30], v[31:32], v[33:34]
	v_fma_f64 v[31:32], v[9:10], v[21:22], v[23:24]
	v_div_fixup_f64 v[11:12], v[29:30], v[11:12], 1.0
	v_fma_f64 v[29:30], v[9:10], v[23:24], -v[21:22]
	s_delay_alu instid0(VALU_DEP_2) | instskip(NEXT) | instid1(VALU_DEP_2)
	v_mul_f64 v[9:10], v[31:32], v[11:12]
	v_mul_f64 v[11:12], v[29:30], v[11:12]
	s_cbranch_execz .LBB233_103
	s_branch .LBB233_104
.LBB233_102:                            ;   in Loop: Header=BB233_94 Depth=1
                                        ; implicit-def: $vgpr11_vgpr12
.LBB233_103:                            ;   in Loop: Header=BB233_94 Depth=1
	v_div_scale_f64 v[9:10], null, v[17:18], v[17:18], v[19:20]
	v_div_scale_f64 v[31:32], vcc_lo, v[19:20], v[17:18], v[19:20]
	s_delay_alu instid0(VALU_DEP_2) | instskip(SKIP_2) | instid1(VALU_DEP_1)
	v_rcp_f64_e32 v[11:12], v[9:10]
	s_waitcnt_depctr 0xfff
	v_fma_f64 v[29:30], -v[9:10], v[11:12], 1.0
	v_fma_f64 v[11:12], v[11:12], v[29:30], v[11:12]
	s_delay_alu instid0(VALU_DEP_1) | instskip(NEXT) | instid1(VALU_DEP_1)
	v_fma_f64 v[29:30], -v[9:10], v[11:12], 1.0
	v_fma_f64 v[11:12], v[11:12], v[29:30], v[11:12]
	s_delay_alu instid0(VALU_DEP_1) | instskip(NEXT) | instid1(VALU_DEP_1)
	v_mul_f64 v[29:30], v[31:32], v[11:12]
	v_fma_f64 v[9:10], -v[9:10], v[29:30], v[31:32]
	s_delay_alu instid0(VALU_DEP_1) | instskip(NEXT) | instid1(VALU_DEP_1)
	v_div_fmas_f64 v[9:10], v[9:10], v[11:12], v[29:30]
	v_div_fixup_f64 v[9:10], v[9:10], v[17:18], v[19:20]
	s_delay_alu instid0(VALU_DEP_1) | instskip(NEXT) | instid1(VALU_DEP_1)
	v_fma_f64 v[11:12], v[19:20], v[9:10], v[17:18]
	v_div_scale_f64 v[17:18], null, v[11:12], v[11:12], 1.0
	v_div_scale_f64 v[31:32], vcc_lo, 1.0, v[11:12], 1.0
	s_delay_alu instid0(VALU_DEP_2) | instskip(SKIP_2) | instid1(VALU_DEP_1)
	v_rcp_f64_e32 v[19:20], v[17:18]
	s_waitcnt_depctr 0xfff
	v_fma_f64 v[29:30], -v[17:18], v[19:20], 1.0
	v_fma_f64 v[19:20], v[19:20], v[29:30], v[19:20]
	s_delay_alu instid0(VALU_DEP_1) | instskip(NEXT) | instid1(VALU_DEP_1)
	v_fma_f64 v[29:30], -v[17:18], v[19:20], 1.0
	v_fma_f64 v[19:20], v[19:20], v[29:30], v[19:20]
	s_delay_alu instid0(VALU_DEP_1) | instskip(NEXT) | instid1(VALU_DEP_1)
	v_mul_f64 v[29:30], v[31:32], v[19:20]
	v_fma_f64 v[17:18], -v[17:18], v[29:30], v[31:32]
	s_delay_alu instid0(VALU_DEP_1) | instskip(SKIP_1) | instid1(VALU_DEP_2)
	v_div_fmas_f64 v[17:18], v[17:18], v[19:20], v[29:30]
	v_fma_f64 v[19:20], v[9:10], v[23:24], v[21:22]
	v_div_fixup_f64 v[11:12], v[17:18], v[11:12], 1.0
	v_fma_f64 v[17:18], -v[9:10], v[21:22], v[23:24]
	s_delay_alu instid0(VALU_DEP_2) | instskip(NEXT) | instid1(VALU_DEP_2)
	v_mul_f64 v[9:10], v[19:20], v[11:12]
	v_mul_f64 v[11:12], v[17:18], v[11:12]
.LBB233_104:                            ;   in Loop: Header=BB233_94 Depth=1
	s_add_i32 s8, s7, s5
	ds_store_b128 v28, v[9:12]
	s_lshl_b32 s8, s8, 4
	s_delay_alu instid0(SALU_CYCLE_1) | instskip(SKIP_1) | instid1(SALU_CYCLE_1)
	v_mov_b32_e32 v17, s8
	s_add_i32 s8, s5, -1
	s_add_i32 s7, s7, s8
	s_delay_alu instid0(SALU_CYCLE_1)
	s_lshl_b32 s7, s7, 4
	ds_load_b128 v[17:20], v17
	v_mov_b32_e32 v21, s7
	s_add_i32 s7, s9, 0xfffffe30
	ds_load_b128 v[21:24], v21
	s_waitcnt lgkmcnt(1)
	v_mul_f64 v[29:30], v[15:16], v[19:20]
	v_mul_f64 v[19:20], v[13:14], v[19:20]
	s_waitcnt lgkmcnt(0)
	v_mul_f64 v[31:32], v[11:12], v[23:24]
	v_mul_f64 v[23:24], v[9:10], v[23:24]
	s_delay_alu instid0(VALU_DEP_4) | instskip(NEXT) | instid1(VALU_DEP_4)
	v_fma_f64 v[29:30], v[13:14], v[17:18], -v[29:30]
	v_fma_f64 v[17:18], v[15:16], v[17:18], v[19:20]
	v_mov_b32_e32 v19, s7
	v_fma_f64 v[31:32], v[9:10], v[21:22], -v[31:32]
	v_fma_f64 v[23:24], v[11:12], v[21:22], v[23:24]
	v_add_f64 v[5:6], v[5:6], -v[29:30]
	v_add_f64 v[7:8], v[7:8], -v[17:18]
	ds_load_b128 v[17:20], v19
	s_waitcnt lgkmcnt(0)
	v_cmp_gt_f64_e32 vcc_lo, 0, v[17:18]
	v_xor_b32_e32 v22, 0x80000000, v18
	v_xor_b32_e32 v30, 0x80000000, v20
	v_mov_b32_e32 v21, v17
	v_mov_b32_e32 v29, v19
	v_add_f64 v[23:24], v[7:8], -v[23:24]
	v_cndmask_b32_e32 v22, v18, v22, vcc_lo
	v_cmp_gt_f64_e32 vcc_lo, 0, v[19:20]
	v_cndmask_b32_e32 v30, v20, v30, vcc_lo
	s_delay_alu instid0(VALU_DEP_1)
	v_cmp_ngt_f64_e32 vcc_lo, v[21:22], v[29:30]
	v_add_f64 v[21:22], v[5:6], -v[31:32]
	s_cbranch_vccz .LBB233_106
; %bb.105:                              ;   in Loop: Header=BB233_94 Depth=1
	v_div_scale_f64 v[5:6], null, v[19:20], v[19:20], v[17:18]
	v_div_scale_f64 v[30:31], vcc_lo, v[17:18], v[19:20], v[17:18]
	s_delay_alu instid0(VALU_DEP_2) | instskip(SKIP_2) | instid1(VALU_DEP_1)
	v_rcp_f64_e32 v[7:8], v[5:6]
	s_waitcnt_depctr 0xfff
	v_fma_f64 v[28:29], -v[5:6], v[7:8], 1.0
	v_fma_f64 v[7:8], v[7:8], v[28:29], v[7:8]
	s_delay_alu instid0(VALU_DEP_1) | instskip(NEXT) | instid1(VALU_DEP_1)
	v_fma_f64 v[28:29], -v[5:6], v[7:8], 1.0
	v_fma_f64 v[7:8], v[7:8], v[28:29], v[7:8]
	s_delay_alu instid0(VALU_DEP_1) | instskip(NEXT) | instid1(VALU_DEP_1)
	v_mul_f64 v[28:29], v[30:31], v[7:8]
	v_fma_f64 v[5:6], -v[5:6], v[28:29], v[30:31]
	s_delay_alu instid0(VALU_DEP_1) | instskip(NEXT) | instid1(VALU_DEP_1)
	v_div_fmas_f64 v[5:6], v[5:6], v[7:8], v[28:29]
	v_div_fixup_f64 v[5:6], v[5:6], v[19:20], v[17:18]
	s_delay_alu instid0(VALU_DEP_1) | instskip(NEXT) | instid1(VALU_DEP_1)
	v_fma_f64 v[7:8], v[17:18], v[5:6], v[19:20]
	v_div_scale_f64 v[28:29], null, v[7:8], v[7:8], 1.0
	v_div_scale_f64 v[34:35], vcc_lo, 1.0, v[7:8], 1.0
	s_delay_alu instid0(VALU_DEP_2) | instskip(SKIP_2) | instid1(VALU_DEP_1)
	v_rcp_f64_e32 v[30:31], v[28:29]
	s_waitcnt_depctr 0xfff
	v_fma_f64 v[32:33], -v[28:29], v[30:31], 1.0
	v_fma_f64 v[30:31], v[30:31], v[32:33], v[30:31]
	s_delay_alu instid0(VALU_DEP_1) | instskip(NEXT) | instid1(VALU_DEP_1)
	v_fma_f64 v[32:33], -v[28:29], v[30:31], 1.0
	v_fma_f64 v[30:31], v[30:31], v[32:33], v[30:31]
	s_delay_alu instid0(VALU_DEP_1) | instskip(NEXT) | instid1(VALU_DEP_1)
	v_mul_f64 v[32:33], v[34:35], v[30:31]
	v_fma_f64 v[28:29], -v[28:29], v[32:33], v[34:35]
	s_delay_alu instid0(VALU_DEP_1) | instskip(SKIP_1) | instid1(VALU_DEP_2)
	v_div_fmas_f64 v[28:29], v[28:29], v[30:31], v[32:33]
	v_fma_f64 v[30:31], v[5:6], v[21:22], v[23:24]
	v_div_fixup_f64 v[7:8], v[28:29], v[7:8], 1.0
	v_fma_f64 v[28:29], v[5:6], v[23:24], -v[21:22]
	s_delay_alu instid0(VALU_DEP_2) | instskip(NEXT) | instid1(VALU_DEP_2)
	v_mul_f64 v[5:6], v[30:31], v[7:8]
	v_mul_f64 v[7:8], v[28:29], v[7:8]
	s_cbranch_execz .LBB233_107
	s_branch .LBB233_108
.LBB233_106:                            ;   in Loop: Header=BB233_94 Depth=1
                                        ; implicit-def: $vgpr7_vgpr8
.LBB233_107:                            ;   in Loop: Header=BB233_94 Depth=1
	v_div_scale_f64 v[5:6], null, v[17:18], v[17:18], v[19:20]
	v_div_scale_f64 v[30:31], vcc_lo, v[19:20], v[17:18], v[19:20]
	s_delay_alu instid0(VALU_DEP_2) | instskip(SKIP_2) | instid1(VALU_DEP_1)
	v_rcp_f64_e32 v[7:8], v[5:6]
	s_waitcnt_depctr 0xfff
	v_fma_f64 v[28:29], -v[5:6], v[7:8], 1.0
	v_fma_f64 v[7:8], v[7:8], v[28:29], v[7:8]
	s_delay_alu instid0(VALU_DEP_1) | instskip(NEXT) | instid1(VALU_DEP_1)
	v_fma_f64 v[28:29], -v[5:6], v[7:8], 1.0
	v_fma_f64 v[7:8], v[7:8], v[28:29], v[7:8]
	s_delay_alu instid0(VALU_DEP_1) | instskip(NEXT) | instid1(VALU_DEP_1)
	v_mul_f64 v[28:29], v[30:31], v[7:8]
	v_fma_f64 v[5:6], -v[5:6], v[28:29], v[30:31]
	s_delay_alu instid0(VALU_DEP_1) | instskip(NEXT) | instid1(VALU_DEP_1)
	v_div_fmas_f64 v[5:6], v[5:6], v[7:8], v[28:29]
	v_div_fixup_f64 v[5:6], v[5:6], v[17:18], v[19:20]
	s_delay_alu instid0(VALU_DEP_1) | instskip(NEXT) | instid1(VALU_DEP_1)
	v_fma_f64 v[7:8], v[19:20], v[5:6], v[17:18]
	v_div_scale_f64 v[17:18], null, v[7:8], v[7:8], 1.0
	v_div_scale_f64 v[30:31], vcc_lo, 1.0, v[7:8], 1.0
	s_delay_alu instid0(VALU_DEP_2) | instskip(SKIP_2) | instid1(VALU_DEP_1)
	v_rcp_f64_e32 v[19:20], v[17:18]
	s_waitcnt_depctr 0xfff
	v_fma_f64 v[28:29], -v[17:18], v[19:20], 1.0
	v_fma_f64 v[19:20], v[19:20], v[28:29], v[19:20]
	s_delay_alu instid0(VALU_DEP_1) | instskip(NEXT) | instid1(VALU_DEP_1)
	v_fma_f64 v[28:29], -v[17:18], v[19:20], 1.0
	v_fma_f64 v[19:20], v[19:20], v[28:29], v[19:20]
	s_delay_alu instid0(VALU_DEP_1) | instskip(NEXT) | instid1(VALU_DEP_1)
	v_mul_f64 v[28:29], v[30:31], v[19:20]
	v_fma_f64 v[17:18], -v[17:18], v[28:29], v[30:31]
	s_delay_alu instid0(VALU_DEP_1) | instskip(SKIP_1) | instid1(VALU_DEP_2)
	v_div_fmas_f64 v[17:18], v[17:18], v[19:20], v[28:29]
	v_fma_f64 v[19:20], v[5:6], v[23:24], v[21:22]
	v_div_fixup_f64 v[7:8], v[17:18], v[7:8], 1.0
	v_fma_f64 v[17:18], -v[5:6], v[21:22], v[23:24]
	s_delay_alu instid0(VALU_DEP_2) | instskip(NEXT) | instid1(VALU_DEP_2)
	v_mul_f64 v[5:6], v[19:20], v[7:8]
	v_mul_f64 v[7:8], v[17:18], v[7:8]
.LBB233_108:                            ;   in Loop: Header=BB233_94 Depth=1
	s_add_i32 s9, s6, s5
	s_add_i32 s6, s6, s8
	s_lshl_b32 s9, s9, 4
	s_lshl_b32 s6, s6, 4
	v_mov_b32_e32 v17, s9
	v_mov_b32_e32 v21, s6
	s_sub_i32 s6, s9, 32
	ds_store_b128 v27, v[5:8]
	ds_load_b128 v[17:20], v17
	ds_load_b128 v[21:24], v21
	s_waitcnt lgkmcnt(1)
	v_mul_f64 v[28:29], v[15:16], v[19:20]
	v_mul_f64 v[19:20], v[13:14], v[19:20]
	s_delay_alu instid0(VALU_DEP_2) | instskip(SKIP_1) | instid1(VALU_DEP_3)
	v_fma_f64 v[28:29], v[13:14], v[17:18], -v[28:29]
	v_mov_b32_e32 v13, s6
	v_fma_f64 v[32:33], v[15:16], v[17:18], v[19:20]
	s_add_i32 s6, s7, 0xfffffe30
	ds_load_b128 v[17:20], v13
	s_waitcnt lgkmcnt(1)
	v_mul_f64 v[30:31], v[11:12], v[23:24]
	v_mul_f64 v[23:24], v[9:10], v[23:24]
	v_mov_b32_e32 v13, s6
	ds_load_b128 v[13:16], v13
	s_waitcnt lgkmcnt(1)
	v_mul_f64 v[34:35], v[7:8], v[19:20]
	v_mul_f64 v[19:20], v[5:6], v[19:20]
	s_waitcnt lgkmcnt(0)
	v_cmp_gt_f64_e32 vcc_lo, 0, v[13:14]
	v_add_f64 v[1:2], v[1:2], -v[28:29]
	v_add_f64 v[3:4], v[3:4], -v[32:33]
	v_fma_f64 v[9:10], v[9:10], v[21:22], -v[30:31]
	v_fma_f64 v[11:12], v[11:12], v[21:22], v[23:24]
	v_fma_f64 v[21:22], v[5:6], v[17:18], -v[34:35]
	v_fma_f64 v[17:18], v[7:8], v[17:18], v[19:20]
	s_delay_alu instid0(VALU_DEP_4) | instskip(SKIP_4) | instid1(VALU_DEP_4)
	v_add_f64 v[1:2], v[1:2], -v[9:10]
	v_xor_b32_e32 v10, 0x80000000, v14
	v_add_f64 v[3:4], v[3:4], -v[11:12]
	v_xor_b32_e32 v12, 0x80000000, v16
	v_mov_b32_e32 v9, v13
	v_dual_mov_b32 v11, v15 :: v_dual_cndmask_b32 v10, v14, v10
	v_cmp_gt_f64_e32 vcc_lo, 0, v[15:16]
	s_delay_alu instid0(VALU_DEP_4) | instskip(NEXT) | instid1(VALU_DEP_1)
	v_cndmask_b32_e32 v12, v16, v12, vcc_lo
	v_cmp_ngt_f64_e32 vcc_lo, v[9:10], v[11:12]
	v_add_f64 v[9:10], v[1:2], -v[21:22]
	v_add_f64 v[11:12], v[3:4], -v[17:18]
	s_cbranch_vccz .LBB233_110
; %bb.109:                              ;   in Loop: Header=BB233_94 Depth=1
	v_div_scale_f64 v[1:2], null, v[15:16], v[15:16], v[13:14]
	v_div_scale_f64 v[7:8], vcc_lo, v[13:14], v[15:16], v[13:14]
	s_delay_alu instid0(VALU_DEP_2) | instskip(SKIP_2) | instid1(VALU_DEP_1)
	v_rcp_f64_e32 v[3:4], v[1:2]
	s_waitcnt_depctr 0xfff
	v_fma_f64 v[5:6], -v[1:2], v[3:4], 1.0
	v_fma_f64 v[3:4], v[3:4], v[5:6], v[3:4]
	s_delay_alu instid0(VALU_DEP_1) | instskip(NEXT) | instid1(VALU_DEP_1)
	v_fma_f64 v[5:6], -v[1:2], v[3:4], 1.0
	v_fma_f64 v[3:4], v[3:4], v[5:6], v[3:4]
	s_delay_alu instid0(VALU_DEP_1) | instskip(NEXT) | instid1(VALU_DEP_1)
	v_mul_f64 v[5:6], v[7:8], v[3:4]
	v_fma_f64 v[1:2], -v[1:2], v[5:6], v[7:8]
	s_delay_alu instid0(VALU_DEP_1) | instskip(NEXT) | instid1(VALU_DEP_1)
	v_div_fmas_f64 v[1:2], v[1:2], v[3:4], v[5:6]
	v_div_fixup_f64 v[1:2], v[1:2], v[15:16], v[13:14]
	s_delay_alu instid0(VALU_DEP_1) | instskip(NEXT) | instid1(VALU_DEP_1)
	v_fma_f64 v[3:4], v[13:14], v[1:2], v[15:16]
	v_div_scale_f64 v[5:6], null, v[3:4], v[3:4], 1.0
	v_div_scale_f64 v[19:20], vcc_lo, 1.0, v[3:4], 1.0
	s_delay_alu instid0(VALU_DEP_2) | instskip(SKIP_2) | instid1(VALU_DEP_1)
	v_rcp_f64_e32 v[7:8], v[5:6]
	s_waitcnt_depctr 0xfff
	v_fma_f64 v[17:18], -v[5:6], v[7:8], 1.0
	v_fma_f64 v[7:8], v[7:8], v[17:18], v[7:8]
	s_delay_alu instid0(VALU_DEP_1) | instskip(NEXT) | instid1(VALU_DEP_1)
	v_fma_f64 v[17:18], -v[5:6], v[7:8], 1.0
	v_fma_f64 v[7:8], v[7:8], v[17:18], v[7:8]
	s_delay_alu instid0(VALU_DEP_1) | instskip(NEXT) | instid1(VALU_DEP_1)
	v_mul_f64 v[17:18], v[19:20], v[7:8]
	v_fma_f64 v[5:6], -v[5:6], v[17:18], v[19:20]
	s_delay_alu instid0(VALU_DEP_1) | instskip(SKIP_1) | instid1(VALU_DEP_2)
	v_div_fmas_f64 v[5:6], v[5:6], v[7:8], v[17:18]
	v_fma_f64 v[7:8], v[1:2], v[9:10], v[11:12]
	v_div_fixup_f64 v[3:4], v[5:6], v[3:4], 1.0
	v_fma_f64 v[5:6], v[1:2], v[11:12], -v[9:10]
	s_delay_alu instid0(VALU_DEP_2) | instskip(NEXT) | instid1(VALU_DEP_2)
	v_mul_f64 v[1:2], v[7:8], v[3:4]
	v_mul_f64 v[3:4], v[5:6], v[3:4]
	s_cbranch_execz .LBB233_111
	s_branch .LBB233_112
.LBB233_110:                            ;   in Loop: Header=BB233_94 Depth=1
                                        ; implicit-def: $vgpr3_vgpr4
.LBB233_111:                            ;   in Loop: Header=BB233_94 Depth=1
	v_div_scale_f64 v[1:2], null, v[13:14], v[13:14], v[15:16]
	v_div_scale_f64 v[7:8], vcc_lo, v[15:16], v[13:14], v[15:16]
	s_delay_alu instid0(VALU_DEP_2) | instskip(SKIP_2) | instid1(VALU_DEP_1)
	v_rcp_f64_e32 v[3:4], v[1:2]
	s_waitcnt_depctr 0xfff
	v_fma_f64 v[5:6], -v[1:2], v[3:4], 1.0
	v_fma_f64 v[3:4], v[3:4], v[5:6], v[3:4]
	s_delay_alu instid0(VALU_DEP_1) | instskip(NEXT) | instid1(VALU_DEP_1)
	v_fma_f64 v[5:6], -v[1:2], v[3:4], 1.0
	v_fma_f64 v[3:4], v[3:4], v[5:6], v[3:4]
	s_delay_alu instid0(VALU_DEP_1) | instskip(NEXT) | instid1(VALU_DEP_1)
	v_mul_f64 v[5:6], v[7:8], v[3:4]
	v_fma_f64 v[1:2], -v[1:2], v[5:6], v[7:8]
	s_delay_alu instid0(VALU_DEP_1) | instskip(NEXT) | instid1(VALU_DEP_1)
	v_div_fmas_f64 v[1:2], v[1:2], v[3:4], v[5:6]
	v_div_fixup_f64 v[1:2], v[1:2], v[13:14], v[15:16]
	s_delay_alu instid0(VALU_DEP_1) | instskip(NEXT) | instid1(VALU_DEP_1)
	v_fma_f64 v[3:4], v[15:16], v[1:2], v[13:14]
	v_div_scale_f64 v[5:6], null, v[3:4], v[3:4], 1.0
	v_div_scale_f64 v[15:16], vcc_lo, 1.0, v[3:4], 1.0
	s_delay_alu instid0(VALU_DEP_2) | instskip(SKIP_2) | instid1(VALU_DEP_1)
	v_rcp_f64_e32 v[7:8], v[5:6]
	s_waitcnt_depctr 0xfff
	v_fma_f64 v[13:14], -v[5:6], v[7:8], 1.0
	v_fma_f64 v[7:8], v[7:8], v[13:14], v[7:8]
	s_delay_alu instid0(VALU_DEP_1) | instskip(NEXT) | instid1(VALU_DEP_1)
	v_fma_f64 v[13:14], -v[5:6], v[7:8], 1.0
	v_fma_f64 v[7:8], v[7:8], v[13:14], v[7:8]
	s_delay_alu instid0(VALU_DEP_1) | instskip(NEXT) | instid1(VALU_DEP_1)
	v_mul_f64 v[13:14], v[15:16], v[7:8]
	v_fma_f64 v[5:6], -v[5:6], v[13:14], v[15:16]
	s_delay_alu instid0(VALU_DEP_1) | instskip(SKIP_1) | instid1(VALU_DEP_2)
	v_div_fmas_f64 v[5:6], v[5:6], v[7:8], v[13:14]
	v_fma_f64 v[7:8], v[1:2], v[11:12], v[9:10]
	v_div_fixup_f64 v[3:4], v[5:6], v[3:4], 1.0
	v_fma_f64 v[5:6], -v[1:2], v[9:10], v[11:12]
	s_delay_alu instid0(VALU_DEP_2) | instskip(NEXT) | instid1(VALU_DEP_2)
	v_mul_f64 v[1:2], v[7:8], v[3:4]
	v_mul_f64 v[3:4], v[5:6], v[3:4]
.LBB233_112:                            ;   in Loop: Header=BB233_94 Depth=1
	s_add_i32 s6, s5, -4
	s_addk_i32 s4, 0xf900
	s_cmp_lt_i32 s5, 7
	ds_store_b128 v26, v[1:4]
	s_cbranch_scc1 .LBB233_114
; %bb.113:                              ;   in Loop: Header=BB233_94 Depth=1
	s_mov_b32 s5, s6
	s_branch .LBB233_94
.LBB233_114:
	s_cmp_lt_i32 s6, 0
	s_cbranch_scc1 .LBB233_123
; %bb.115:
	v_lshlrev_b32_e32 v1, 4, v0
	s_mul_i32 s4, s6, 0x1c0
	s_lshl_b32 s5, s28, 4
	s_delay_alu instid0(VALU_DEP_1) | instskip(SKIP_1) | instid1(SALU_CYCLE_1)
	v_add3_u32 v13, s1, v1, 0x2f40
	s_add_i32 s1, s4, s5
	s_add_i32 s1, s1, -16
	s_branch .LBB233_117
.LBB233_116:                            ;   in Loop: Header=BB233_117 Depth=1
	s_add_i32 s4, s6, -1
	s_addk_i32 s1, 0xfe40
	s_cmp_lt_i32 s6, 1
	s_mov_b32 s6, s4
	ds_store_b128 v14, v[9:12]
	s_cbranch_scc1 .LBB233_123
.LBB233_117:                            ; =>This Loop Header: Depth=1
                                        ;     Child Loop BB233_118 Depth 2
	s_mul_i32 s4, s6, 28
	v_mov_b32_e32 v6, v13
	v_add_lshl_u32 v5, s4, v0, 4
	s_cmp_le_i32 s29, s6
	s_mov_b32 s4, s1
	s_mov_b32 s5, s29
	ds_load_b128 v[1:4], v5 offset:12544
	s_cbranch_scc1 .LBB233_119
	.p2align	6
.LBB233_118:                            ;   Parent Loop BB233_117 Depth=1
                                        ; =>  This Inner Loop Header: Depth=2
	v_mov_b32_e32 v11, s4
	s_add_i32 s5, s5, -1
	s_add_i32 s4, s4, -16
	s_cmp_le_i32 s5, s6
	ds_load_b128 v[7:10], v6
	ds_load_b128 v[14:17], v11
	v_add_nc_u32_e32 v6, 0xfffffe40, v6
	s_waitcnt lgkmcnt(0)
	v_mul_f64 v[11:12], v[16:17], v[9:10]
	v_mul_f64 v[9:10], v[14:15], v[9:10]
	s_delay_alu instid0(VALU_DEP_2) | instskip(NEXT) | instid1(VALU_DEP_2)
	v_fma_f64 v[11:12], v[14:15], v[7:8], -v[11:12]
	v_fma_f64 v[7:8], v[16:17], v[7:8], v[9:10]
	s_delay_alu instid0(VALU_DEP_2) | instskip(NEXT) | instid1(VALU_DEP_2)
	v_add_f64 v[1:2], v[1:2], -v[11:12]
	v_add_f64 v[3:4], v[3:4], -v[7:8]
	s_cbranch_scc0 .LBB233_118
.LBB233_119:                            ;   in Loop: Header=BB233_117 Depth=1
	s_mul_i32 s4, s6, 0x1d0
	s_delay_alu instid0(SALU_CYCLE_1)
	v_dual_mov_b32 v5, s4 :: v_dual_add_nc_u32 v14, 0x3100, v5
	ds_load_b128 v[5:8], v5
	s_waitcnt lgkmcnt(0)
	v_cmp_gt_f64_e32 vcc_lo, 0, v[5:6]
	v_xor_b32_e32 v10, 0x80000000, v6
	v_mov_b32_e32 v9, v5
	v_xor_b32_e32 v11, 0x80000000, v8
	s_delay_alu instid0(VALU_DEP_3) | instskip(SKIP_1) | instid1(VALU_DEP_3)
	v_cndmask_b32_e32 v10, v6, v10, vcc_lo
	v_cmp_gt_f64_e32 vcc_lo, 0, v[7:8]
	v_dual_cndmask_b32 v12, v8, v11 :: v_dual_mov_b32 v11, v7
	s_delay_alu instid0(VALU_DEP_1)
	v_cmp_ngt_f64_e32 vcc_lo, v[9:10], v[11:12]
	s_cbranch_vccz .LBB233_121
; %bb.120:                              ;   in Loop: Header=BB233_117 Depth=1
	v_div_scale_f64 v[9:10], null, v[7:8], v[7:8], v[5:6]
	v_div_scale_f64 v[17:18], vcc_lo, v[5:6], v[7:8], v[5:6]
	s_delay_alu instid0(VALU_DEP_2) | instskip(SKIP_2) | instid1(VALU_DEP_1)
	v_rcp_f64_e32 v[11:12], v[9:10]
	s_waitcnt_depctr 0xfff
	v_fma_f64 v[15:16], -v[9:10], v[11:12], 1.0
	v_fma_f64 v[11:12], v[11:12], v[15:16], v[11:12]
	s_delay_alu instid0(VALU_DEP_1) | instskip(NEXT) | instid1(VALU_DEP_1)
	v_fma_f64 v[15:16], -v[9:10], v[11:12], 1.0
	v_fma_f64 v[11:12], v[11:12], v[15:16], v[11:12]
	s_delay_alu instid0(VALU_DEP_1) | instskip(NEXT) | instid1(VALU_DEP_1)
	v_mul_f64 v[15:16], v[17:18], v[11:12]
	v_fma_f64 v[9:10], -v[9:10], v[15:16], v[17:18]
	s_delay_alu instid0(VALU_DEP_1) | instskip(NEXT) | instid1(VALU_DEP_1)
	v_div_fmas_f64 v[9:10], v[9:10], v[11:12], v[15:16]
	v_div_fixup_f64 v[9:10], v[9:10], v[7:8], v[5:6]
	s_delay_alu instid0(VALU_DEP_1) | instskip(NEXT) | instid1(VALU_DEP_1)
	v_fma_f64 v[11:12], v[5:6], v[9:10], v[7:8]
	v_div_scale_f64 v[15:16], null, v[11:12], v[11:12], 1.0
	v_div_scale_f64 v[21:22], vcc_lo, 1.0, v[11:12], 1.0
	s_delay_alu instid0(VALU_DEP_2) | instskip(SKIP_2) | instid1(VALU_DEP_1)
	v_rcp_f64_e32 v[17:18], v[15:16]
	s_waitcnt_depctr 0xfff
	v_fma_f64 v[19:20], -v[15:16], v[17:18], 1.0
	v_fma_f64 v[17:18], v[17:18], v[19:20], v[17:18]
	s_delay_alu instid0(VALU_DEP_1) | instskip(NEXT) | instid1(VALU_DEP_1)
	v_fma_f64 v[19:20], -v[15:16], v[17:18], 1.0
	v_fma_f64 v[17:18], v[17:18], v[19:20], v[17:18]
	s_delay_alu instid0(VALU_DEP_1) | instskip(NEXT) | instid1(VALU_DEP_1)
	v_mul_f64 v[19:20], v[21:22], v[17:18]
	v_fma_f64 v[15:16], -v[15:16], v[19:20], v[21:22]
	s_delay_alu instid0(VALU_DEP_1) | instskip(SKIP_1) | instid1(VALU_DEP_2)
	v_div_fmas_f64 v[15:16], v[15:16], v[17:18], v[19:20]
	v_fma_f64 v[17:18], v[1:2], v[9:10], v[3:4]
	v_div_fixup_f64 v[11:12], v[15:16], v[11:12], 1.0
	v_fma_f64 v[15:16], v[3:4], v[9:10], -v[1:2]
	s_delay_alu instid0(VALU_DEP_2) | instskip(NEXT) | instid1(VALU_DEP_2)
	v_mul_f64 v[9:10], v[17:18], v[11:12]
	v_mul_f64 v[11:12], v[15:16], v[11:12]
	s_cbranch_execnz .LBB233_116
	s_branch .LBB233_122
.LBB233_121:                            ;   in Loop: Header=BB233_117 Depth=1
                                        ; implicit-def: $vgpr9_vgpr10
.LBB233_122:                            ;   in Loop: Header=BB233_117 Depth=1
	v_div_scale_f64 v[9:10], null, v[5:6], v[5:6], v[7:8]
	v_div_scale_f64 v[17:18], vcc_lo, v[7:8], v[5:6], v[7:8]
	s_delay_alu instid0(VALU_DEP_2) | instskip(SKIP_2) | instid1(VALU_DEP_1)
	v_rcp_f64_e32 v[11:12], v[9:10]
	s_waitcnt_depctr 0xfff
	v_fma_f64 v[15:16], -v[9:10], v[11:12], 1.0
	v_fma_f64 v[11:12], v[11:12], v[15:16], v[11:12]
	s_delay_alu instid0(VALU_DEP_1) | instskip(NEXT) | instid1(VALU_DEP_1)
	v_fma_f64 v[15:16], -v[9:10], v[11:12], 1.0
	v_fma_f64 v[11:12], v[11:12], v[15:16], v[11:12]
	s_delay_alu instid0(VALU_DEP_1) | instskip(NEXT) | instid1(VALU_DEP_1)
	v_mul_f64 v[15:16], v[17:18], v[11:12]
	v_fma_f64 v[9:10], -v[9:10], v[15:16], v[17:18]
	s_delay_alu instid0(VALU_DEP_1) | instskip(NEXT) | instid1(VALU_DEP_1)
	v_div_fmas_f64 v[9:10], v[9:10], v[11:12], v[15:16]
	v_div_fixup_f64 v[9:10], v[9:10], v[5:6], v[7:8]
	s_delay_alu instid0(VALU_DEP_1) | instskip(NEXT) | instid1(VALU_DEP_1)
	v_fma_f64 v[5:6], v[7:8], v[9:10], v[5:6]
	v_div_scale_f64 v[7:8], null, v[5:6], v[5:6], 1.0
	v_div_scale_f64 v[17:18], vcc_lo, 1.0, v[5:6], 1.0
	s_delay_alu instid0(VALU_DEP_2) | instskip(SKIP_2) | instid1(VALU_DEP_1)
	v_rcp_f64_e32 v[11:12], v[7:8]
	s_waitcnt_depctr 0xfff
	v_fma_f64 v[15:16], -v[7:8], v[11:12], 1.0
	v_fma_f64 v[11:12], v[11:12], v[15:16], v[11:12]
	s_delay_alu instid0(VALU_DEP_1) | instskip(NEXT) | instid1(VALU_DEP_1)
	v_fma_f64 v[15:16], -v[7:8], v[11:12], 1.0
	v_fma_f64 v[11:12], v[11:12], v[15:16], v[11:12]
	s_delay_alu instid0(VALU_DEP_1) | instskip(NEXT) | instid1(VALU_DEP_1)
	v_mul_f64 v[15:16], v[17:18], v[11:12]
	v_fma_f64 v[7:8], -v[7:8], v[15:16], v[17:18]
	s_delay_alu instid0(VALU_DEP_1) | instskip(SKIP_2) | instid1(VALU_DEP_3)
	v_div_fmas_f64 v[7:8], v[7:8], v[11:12], v[15:16]
	v_fma_f64 v[11:12], v[3:4], v[9:10], v[1:2]
	v_fma_f64 v[1:2], -v[1:2], v[9:10], v[3:4]
	v_div_fixup_f64 v[5:6], v[7:8], v[5:6], 1.0
	s_delay_alu instid0(VALU_DEP_1) | instskip(NEXT) | instid1(VALU_DEP_3)
	v_mul_f64 v[9:10], v[11:12], v[5:6]
	v_mul_f64 v[11:12], v[1:2], v[5:6]
	s_branch .LBB233_116
.LBB233_123:
	s_mov_b32 s5, 0
.LBB233_124:
	s_delay_alu instid0(SALU_CYCLE_1)
	s_and_not1_b32 vcc_lo, exec_lo, s5
	s_cbranch_vccnz .LBB233_163
; %bb.125:
	s_cmp_lt_i32 s15, 4
	s_mov_b32 s5, 0
	s_cbranch_scc1 .LBB233_148
; %bb.126:
	v_lshl_add_u32 v25, v0, 4, 0x3100
	s_mov_b32 s1, 0
	s_mov_b32 s4, 0
.LBB233_127:                            ; =>This Loop Header: Depth=1
                                        ;     Child Loop BB233_129 Depth 2
	s_delay_alu instid0(SALU_CYCLE_1) | instskip(NEXT) | instid1(SALU_CYCLE_1)
	s_mul_i32 s5, s4, 28
	s_add_i32 s8, s5, 28
	v_add_lshl_u32 v13, s5, v0, 4
	s_add_i32 s6, s5, 56
	v_add_lshl_u32 v14, s8, v0, 4
	s_addk_i32 s5, 0x54
	v_add_lshl_u32 v15, s6, v0, 4
	v_add_lshl_u32 v16, s5, v0, 4
	ds_load_b128 v[17:20], v13 offset:12544
	ds_load_b128 v[9:12], v14 offset:12544
	;; [unrolled: 1-line block ×4, first 2 shown]
	s_cmp_eq_u32 s4, 0
	s_cbranch_scc1 .LBB233_130
; %bb.128:                              ;   in Loop: Header=BB233_127 Depth=1
	v_mov_b32_e32 v21, v25
	s_mov_b32 s7, 0
	s_mov_b32 s9, s1
.LBB233_129:                            ;   Parent Loop BB233_127 Depth=1
                                        ; =>  This Inner Loop Header: Depth=2
	s_delay_alu instid0(SALU_CYCLE_1)
	v_mov_b32_e32 v22, s9
	s_add_i32 s7, s7, 2
	s_add_i32 s9, s9, 32
	s_cmp_ge_u32 s7, s4
	ds_load_b128 v[26:29], v21
	ds_load_b128 v[30:33], v22
	ds_load_b128 v[34:37], v22 offset:448
	ds_load_b128 v[38:41], v22 offset:896
	;; [unrolled: 1-line block ×8, first 2 shown]
	v_add_nc_u32_e32 v21, 0x380, v21
	s_waitcnt lgkmcnt(8)
	v_mul_f64 v[22:23], v[28:29], v[32:33]
	v_mul_f64 v[32:33], v[26:27], v[32:33]
	s_waitcnt lgkmcnt(7)
	v_mul_f64 v[66:67], v[28:29], v[36:37]
	v_mul_f64 v[36:37], v[26:27], v[36:37]
	;; [unrolled: 3-line block ×8, first 2 shown]
	v_fma_f64 v[22:23], v[26:27], v[30:31], -v[22:23]
	v_fma_f64 v[30:31], v[28:29], v[30:31], v[32:33]
	v_fma_f64 v[32:33], v[26:27], v[34:35], -v[66:67]
	v_fma_f64 v[34:35], v[28:29], v[34:35], v[36:37]
	v_fma_f64 v[36:37], v[26:27], v[38:39], -v[68:69]
	v_fma_f64 v[38:39], v[28:29], v[38:39], v[40:41]
	v_fma_f64 v[26:27], v[26:27], v[42:43], -v[70:71]
	v_fma_f64 v[28:29], v[28:29], v[42:43], v[44:45]
	v_fma_f64 v[40:41], v[46:47], v[50:51], -v[72:73]
	v_fma_f64 v[42:43], v[48:49], v[50:51], v[52:53]
	v_fma_f64 v[44:45], v[46:47], v[54:55], -v[74:75]
	v_fma_f64 v[50:51], v[48:49], v[54:55], v[56:57]
	v_fma_f64 v[52:53], v[46:47], v[58:59], -v[76:77]
	v_fma_f64 v[54:55], v[48:49], v[58:59], v[60:61]
	v_fma_f64 v[46:47], v[46:47], v[62:63], -v[78:79]
	v_fma_f64 v[48:49], v[48:49], v[62:63], v[64:65]
	v_add_f64 v[17:18], v[17:18], -v[22:23]
	v_add_f64 v[19:20], v[19:20], -v[30:31]
	;; [unrolled: 1-line block ×16, first 2 shown]
	s_cbranch_scc0 .LBB233_129
.LBB233_130:                            ;   in Loop: Header=BB233_127 Depth=1
	s_mul_i32 s7, s4, 0x1d0
	v_add_nc_u32_e32 v29, 0x3100, v13
	v_dual_mov_b32 v13, s7 :: v_dual_add_nc_u32 v28, 0x3100, v14
	v_add_nc_u32_e32 v27, 0x3100, v15
	ds_load_b128 v[21:24], v13
	s_waitcnt lgkmcnt(0)
	v_dual_mov_b32 v13, v21 :: v_dual_add_nc_u32 v26, 0x3100, v16
	v_cmp_gt_f64_e32 vcc_lo, 0, v[21:22]
	v_xor_b32_e32 v14, 0x80000000, v22
	v_xor_b32_e32 v15, 0x80000000, v24
	s_delay_alu instid0(VALU_DEP_2) | instskip(SKIP_1) | instid1(VALU_DEP_3)
	v_cndmask_b32_e32 v14, v22, v14, vcc_lo
	v_cmp_gt_f64_e32 vcc_lo, 0, v[23:24]
	v_dual_cndmask_b32 v16, v24, v15 :: v_dual_mov_b32 v15, v23
	s_delay_alu instid0(VALU_DEP_1)
	v_cmp_ngt_f64_e32 vcc_lo, v[13:14], v[15:16]
	s_cbranch_vccz .LBB233_132
; %bb.131:                              ;   in Loop: Header=BB233_127 Depth=1
	v_div_scale_f64 v[13:14], null, v[23:24], v[23:24], v[21:22]
	v_div_scale_f64 v[32:33], vcc_lo, v[21:22], v[23:24], v[21:22]
	s_delay_alu instid0(VALU_DEP_2) | instskip(SKIP_2) | instid1(VALU_DEP_1)
	v_rcp_f64_e32 v[15:16], v[13:14]
	s_waitcnt_depctr 0xfff
	v_fma_f64 v[30:31], -v[13:14], v[15:16], 1.0
	v_fma_f64 v[15:16], v[15:16], v[30:31], v[15:16]
	s_delay_alu instid0(VALU_DEP_1) | instskip(NEXT) | instid1(VALU_DEP_1)
	v_fma_f64 v[30:31], -v[13:14], v[15:16], 1.0
	v_fma_f64 v[15:16], v[15:16], v[30:31], v[15:16]
	s_delay_alu instid0(VALU_DEP_1) | instskip(NEXT) | instid1(VALU_DEP_1)
	v_mul_f64 v[30:31], v[32:33], v[15:16]
	v_fma_f64 v[13:14], -v[13:14], v[30:31], v[32:33]
	s_delay_alu instid0(VALU_DEP_1) | instskip(NEXT) | instid1(VALU_DEP_1)
	v_div_fmas_f64 v[13:14], v[13:14], v[15:16], v[30:31]
	v_div_fixup_f64 v[13:14], v[13:14], v[23:24], v[21:22]
	s_delay_alu instid0(VALU_DEP_1) | instskip(NEXT) | instid1(VALU_DEP_1)
	v_fma_f64 v[15:16], v[21:22], v[13:14], v[23:24]
	v_div_scale_f64 v[30:31], null, v[15:16], v[15:16], 1.0
	v_div_scale_f64 v[36:37], vcc_lo, 1.0, v[15:16], 1.0
	s_delay_alu instid0(VALU_DEP_2) | instskip(SKIP_2) | instid1(VALU_DEP_1)
	v_rcp_f64_e32 v[32:33], v[30:31]
	s_waitcnt_depctr 0xfff
	v_fma_f64 v[34:35], -v[30:31], v[32:33], 1.0
	v_fma_f64 v[32:33], v[32:33], v[34:35], v[32:33]
	s_delay_alu instid0(VALU_DEP_1) | instskip(NEXT) | instid1(VALU_DEP_1)
	v_fma_f64 v[34:35], -v[30:31], v[32:33], 1.0
	v_fma_f64 v[32:33], v[32:33], v[34:35], v[32:33]
	s_delay_alu instid0(VALU_DEP_1) | instskip(NEXT) | instid1(VALU_DEP_1)
	v_mul_f64 v[34:35], v[36:37], v[32:33]
	v_fma_f64 v[30:31], -v[30:31], v[34:35], v[36:37]
	s_delay_alu instid0(VALU_DEP_1) | instskip(SKIP_1) | instid1(VALU_DEP_2)
	v_div_fmas_f64 v[30:31], v[30:31], v[32:33], v[34:35]
	v_fma_f64 v[32:33], v[17:18], v[13:14], v[19:20]
	v_div_fixup_f64 v[15:16], v[30:31], v[15:16], 1.0
	v_fma_f64 v[30:31], v[19:20], v[13:14], -v[17:18]
	s_delay_alu instid0(VALU_DEP_2) | instskip(NEXT) | instid1(VALU_DEP_2)
	v_mul_f64 v[13:14], v[32:33], v[15:16]
	v_mul_f64 v[15:16], v[30:31], v[15:16]
	s_cbranch_execz .LBB233_133
	s_branch .LBB233_134
.LBB233_132:                            ;   in Loop: Header=BB233_127 Depth=1
                                        ; implicit-def: $vgpr15_vgpr16
.LBB233_133:                            ;   in Loop: Header=BB233_127 Depth=1
	v_div_scale_f64 v[13:14], null, v[21:22], v[21:22], v[23:24]
	v_div_scale_f64 v[32:33], vcc_lo, v[23:24], v[21:22], v[23:24]
	s_delay_alu instid0(VALU_DEP_2) | instskip(SKIP_2) | instid1(VALU_DEP_1)
	v_rcp_f64_e32 v[15:16], v[13:14]
	s_waitcnt_depctr 0xfff
	v_fma_f64 v[30:31], -v[13:14], v[15:16], 1.0
	v_fma_f64 v[15:16], v[15:16], v[30:31], v[15:16]
	s_delay_alu instid0(VALU_DEP_1) | instskip(NEXT) | instid1(VALU_DEP_1)
	v_fma_f64 v[30:31], -v[13:14], v[15:16], 1.0
	v_fma_f64 v[15:16], v[15:16], v[30:31], v[15:16]
	s_delay_alu instid0(VALU_DEP_1) | instskip(NEXT) | instid1(VALU_DEP_1)
	v_mul_f64 v[30:31], v[32:33], v[15:16]
	v_fma_f64 v[13:14], -v[13:14], v[30:31], v[32:33]
	s_delay_alu instid0(VALU_DEP_1) | instskip(NEXT) | instid1(VALU_DEP_1)
	v_div_fmas_f64 v[13:14], v[13:14], v[15:16], v[30:31]
	v_div_fixup_f64 v[13:14], v[13:14], v[21:22], v[23:24]
	s_delay_alu instid0(VALU_DEP_1) | instskip(NEXT) | instid1(VALU_DEP_1)
	v_fma_f64 v[15:16], v[23:24], v[13:14], v[21:22]
	v_div_scale_f64 v[21:22], null, v[15:16], v[15:16], 1.0
	v_div_scale_f64 v[32:33], vcc_lo, 1.0, v[15:16], 1.0
	s_delay_alu instid0(VALU_DEP_2) | instskip(SKIP_2) | instid1(VALU_DEP_1)
	v_rcp_f64_e32 v[23:24], v[21:22]
	s_waitcnt_depctr 0xfff
	v_fma_f64 v[30:31], -v[21:22], v[23:24], 1.0
	v_fma_f64 v[23:24], v[23:24], v[30:31], v[23:24]
	s_delay_alu instid0(VALU_DEP_1) | instskip(NEXT) | instid1(VALU_DEP_1)
	v_fma_f64 v[30:31], -v[21:22], v[23:24], 1.0
	v_fma_f64 v[23:24], v[23:24], v[30:31], v[23:24]
	s_delay_alu instid0(VALU_DEP_1) | instskip(NEXT) | instid1(VALU_DEP_1)
	v_mul_f64 v[30:31], v[32:33], v[23:24]
	v_fma_f64 v[21:22], -v[21:22], v[30:31], v[32:33]
	s_delay_alu instid0(VALU_DEP_1) | instskip(SKIP_2) | instid1(VALU_DEP_3)
	v_div_fmas_f64 v[21:22], v[21:22], v[23:24], v[30:31]
	v_fma_f64 v[23:24], v[19:20], v[13:14], v[17:18]
	v_fma_f64 v[17:18], -v[17:18], v[13:14], v[19:20]
	v_div_fixup_f64 v[15:16], v[21:22], v[15:16], 1.0
	s_delay_alu instid0(VALU_DEP_1) | instskip(NEXT) | instid1(VALU_DEP_3)
	v_mul_f64 v[13:14], v[23:24], v[15:16]
	v_mul_f64 v[15:16], v[17:18], v[15:16]
.LBB233_134:                            ;   in Loop: Header=BB233_127 Depth=1
	s_add_i32 s8, s8, s4
	ds_store_b128 v29, v[13:16]
	s_lshl_b32 s8, s8, 4
	s_delay_alu instid0(SALU_CYCLE_1)
	v_mov_b32_e32 v17, s8
	ds_load_b128 v[21:24], v17
	v_mov_b32_e32 v17, s7
	ds_load_b128 v[17:20], v17 offset:464
	s_waitcnt lgkmcnt(1)
	v_mul_f64 v[30:31], v[15:16], v[23:24]
	v_mul_f64 v[23:24], v[13:14], v[23:24]
	s_waitcnt lgkmcnt(0)
	v_cmp_gt_f64_e32 vcc_lo, 0, v[17:18]
	v_xor_b32_e32 v33, 0x80000000, v20
	v_mov_b32_e32 v32, v19
	v_fma_f64 v[30:31], v[13:14], v[21:22], -v[30:31]
	v_fma_f64 v[23:24], v[15:16], v[21:22], v[23:24]
	v_xor_b32_e32 v22, 0x80000000, v18
	s_delay_alu instid0(VALU_DEP_1) | instskip(SKIP_1) | instid1(VALU_DEP_4)
	v_dual_mov_b32 v21, v17 :: v_dual_cndmask_b32 v22, v18, v22
	v_cmp_gt_f64_e32 vcc_lo, 0, v[19:20]
	v_add_f64 v[23:24], v[11:12], -v[23:24]
	v_cndmask_b32_e32 v33, v20, v33, vcc_lo
	s_delay_alu instid0(VALU_DEP_1)
	v_cmp_ngt_f64_e32 vcc_lo, v[21:22], v[32:33]
	v_add_f64 v[21:22], v[9:10], -v[30:31]
	s_cbranch_vccz .LBB233_136
; %bb.135:                              ;   in Loop: Header=BB233_127 Depth=1
	v_div_scale_f64 v[9:10], null, v[19:20], v[19:20], v[17:18]
	v_div_scale_f64 v[31:32], vcc_lo, v[17:18], v[19:20], v[17:18]
	s_delay_alu instid0(VALU_DEP_2) | instskip(SKIP_2) | instid1(VALU_DEP_1)
	v_rcp_f64_e32 v[11:12], v[9:10]
	s_waitcnt_depctr 0xfff
	v_fma_f64 v[29:30], -v[9:10], v[11:12], 1.0
	v_fma_f64 v[11:12], v[11:12], v[29:30], v[11:12]
	s_delay_alu instid0(VALU_DEP_1) | instskip(NEXT) | instid1(VALU_DEP_1)
	v_fma_f64 v[29:30], -v[9:10], v[11:12], 1.0
	v_fma_f64 v[11:12], v[11:12], v[29:30], v[11:12]
	s_delay_alu instid0(VALU_DEP_1) | instskip(NEXT) | instid1(VALU_DEP_1)
	v_mul_f64 v[29:30], v[31:32], v[11:12]
	v_fma_f64 v[9:10], -v[9:10], v[29:30], v[31:32]
	s_delay_alu instid0(VALU_DEP_1) | instskip(NEXT) | instid1(VALU_DEP_1)
	v_div_fmas_f64 v[9:10], v[9:10], v[11:12], v[29:30]
	v_div_fixup_f64 v[9:10], v[9:10], v[19:20], v[17:18]
	s_delay_alu instid0(VALU_DEP_1) | instskip(NEXT) | instid1(VALU_DEP_1)
	v_fma_f64 v[11:12], v[17:18], v[9:10], v[19:20]
	v_div_scale_f64 v[29:30], null, v[11:12], v[11:12], 1.0
	v_div_scale_f64 v[35:36], vcc_lo, 1.0, v[11:12], 1.0
	s_delay_alu instid0(VALU_DEP_2) | instskip(SKIP_2) | instid1(VALU_DEP_1)
	v_rcp_f64_e32 v[31:32], v[29:30]
	s_waitcnt_depctr 0xfff
	v_fma_f64 v[33:34], -v[29:30], v[31:32], 1.0
	v_fma_f64 v[31:32], v[31:32], v[33:34], v[31:32]
	s_delay_alu instid0(VALU_DEP_1) | instskip(NEXT) | instid1(VALU_DEP_1)
	v_fma_f64 v[33:34], -v[29:30], v[31:32], 1.0
	v_fma_f64 v[31:32], v[31:32], v[33:34], v[31:32]
	s_delay_alu instid0(VALU_DEP_1) | instskip(NEXT) | instid1(VALU_DEP_1)
	v_mul_f64 v[33:34], v[35:36], v[31:32]
	v_fma_f64 v[29:30], -v[29:30], v[33:34], v[35:36]
	s_delay_alu instid0(VALU_DEP_1) | instskip(SKIP_1) | instid1(VALU_DEP_2)
	v_div_fmas_f64 v[29:30], v[29:30], v[31:32], v[33:34]
	v_fma_f64 v[31:32], v[9:10], v[21:22], v[23:24]
	v_div_fixup_f64 v[11:12], v[29:30], v[11:12], 1.0
	v_fma_f64 v[29:30], v[9:10], v[23:24], -v[21:22]
	s_delay_alu instid0(VALU_DEP_2) | instskip(NEXT) | instid1(VALU_DEP_2)
	v_mul_f64 v[9:10], v[31:32], v[11:12]
	v_mul_f64 v[11:12], v[29:30], v[11:12]
	s_cbranch_execz .LBB233_137
	s_branch .LBB233_138
.LBB233_136:                            ;   in Loop: Header=BB233_127 Depth=1
                                        ; implicit-def: $vgpr11_vgpr12
.LBB233_137:                            ;   in Loop: Header=BB233_127 Depth=1
	v_div_scale_f64 v[9:10], null, v[17:18], v[17:18], v[19:20]
	v_div_scale_f64 v[31:32], vcc_lo, v[19:20], v[17:18], v[19:20]
	s_delay_alu instid0(VALU_DEP_2) | instskip(SKIP_2) | instid1(VALU_DEP_1)
	v_rcp_f64_e32 v[11:12], v[9:10]
	s_waitcnt_depctr 0xfff
	v_fma_f64 v[29:30], -v[9:10], v[11:12], 1.0
	v_fma_f64 v[11:12], v[11:12], v[29:30], v[11:12]
	s_delay_alu instid0(VALU_DEP_1) | instskip(NEXT) | instid1(VALU_DEP_1)
	v_fma_f64 v[29:30], -v[9:10], v[11:12], 1.0
	v_fma_f64 v[11:12], v[11:12], v[29:30], v[11:12]
	s_delay_alu instid0(VALU_DEP_1) | instskip(NEXT) | instid1(VALU_DEP_1)
	v_mul_f64 v[29:30], v[31:32], v[11:12]
	v_fma_f64 v[9:10], -v[9:10], v[29:30], v[31:32]
	s_delay_alu instid0(VALU_DEP_1) | instskip(NEXT) | instid1(VALU_DEP_1)
	v_div_fmas_f64 v[9:10], v[9:10], v[11:12], v[29:30]
	v_div_fixup_f64 v[9:10], v[9:10], v[17:18], v[19:20]
	s_delay_alu instid0(VALU_DEP_1) | instskip(NEXT) | instid1(VALU_DEP_1)
	v_fma_f64 v[11:12], v[19:20], v[9:10], v[17:18]
	v_div_scale_f64 v[17:18], null, v[11:12], v[11:12], 1.0
	v_div_scale_f64 v[31:32], vcc_lo, 1.0, v[11:12], 1.0
	s_delay_alu instid0(VALU_DEP_2) | instskip(SKIP_2) | instid1(VALU_DEP_1)
	v_rcp_f64_e32 v[19:20], v[17:18]
	s_waitcnt_depctr 0xfff
	v_fma_f64 v[29:30], -v[17:18], v[19:20], 1.0
	v_fma_f64 v[19:20], v[19:20], v[29:30], v[19:20]
	s_delay_alu instid0(VALU_DEP_1) | instskip(NEXT) | instid1(VALU_DEP_1)
	v_fma_f64 v[29:30], -v[17:18], v[19:20], 1.0
	v_fma_f64 v[19:20], v[19:20], v[29:30], v[19:20]
	s_delay_alu instid0(VALU_DEP_1) | instskip(NEXT) | instid1(VALU_DEP_1)
	v_mul_f64 v[29:30], v[31:32], v[19:20]
	v_fma_f64 v[17:18], -v[17:18], v[29:30], v[31:32]
	s_delay_alu instid0(VALU_DEP_1) | instskip(SKIP_1) | instid1(VALU_DEP_2)
	v_div_fmas_f64 v[17:18], v[17:18], v[19:20], v[29:30]
	v_fma_f64 v[19:20], v[9:10], v[23:24], v[21:22]
	v_div_fixup_f64 v[11:12], v[17:18], v[11:12], 1.0
	v_fma_f64 v[17:18], -v[9:10], v[21:22], v[23:24]
	s_delay_alu instid0(VALU_DEP_2) | instskip(NEXT) | instid1(VALU_DEP_2)
	v_mul_f64 v[9:10], v[19:20], v[11:12]
	v_mul_f64 v[11:12], v[17:18], v[11:12]
.LBB233_138:                            ;   in Loop: Header=BB233_127 Depth=1
	s_add_i32 s6, s6, s4
	s_delay_alu instid0(SALU_CYCLE_1) | instskip(NEXT) | instid1(SALU_CYCLE_1)
	s_lshl_b32 s6, s6, 4
	v_mov_b32_e32 v21, s6
	ds_load_b128 v[17:20], v21
	ds_load_b128 v[21:24], v21 offset:16
	ds_store_b128 v28, v[9:12]
	s_waitcnt lgkmcnt(2)
	v_mul_f64 v[29:30], v[15:16], v[19:20]
	v_mul_f64 v[19:20], v[13:14], v[19:20]
	s_waitcnt lgkmcnt(1)
	v_mul_f64 v[31:32], v[11:12], v[23:24]
	v_mul_f64 v[23:24], v[9:10], v[23:24]
	s_delay_alu instid0(VALU_DEP_4) | instskip(NEXT) | instid1(VALU_DEP_4)
	v_fma_f64 v[29:30], v[13:14], v[17:18], -v[29:30]
	v_fma_f64 v[17:18], v[15:16], v[17:18], v[19:20]
	v_mov_b32_e32 v19, s7
	v_fma_f64 v[31:32], v[9:10], v[21:22], -v[31:32]
	v_fma_f64 v[23:24], v[11:12], v[21:22], v[23:24]
	v_add_f64 v[5:6], v[5:6], -v[29:30]
	v_add_f64 v[7:8], v[7:8], -v[17:18]
	ds_load_b128 v[17:20], v19 offset:928
	s_waitcnt lgkmcnt(0)
	v_cmp_gt_f64_e32 vcc_lo, 0, v[17:18]
	v_xor_b32_e32 v22, 0x80000000, v18
	v_xor_b32_e32 v30, 0x80000000, v20
	v_mov_b32_e32 v21, v17
	v_mov_b32_e32 v29, v19
	v_add_f64 v[23:24], v[7:8], -v[23:24]
	v_cndmask_b32_e32 v22, v18, v22, vcc_lo
	v_cmp_gt_f64_e32 vcc_lo, 0, v[19:20]
	v_cndmask_b32_e32 v30, v20, v30, vcc_lo
	s_delay_alu instid0(VALU_DEP_1)
	v_cmp_ngt_f64_e32 vcc_lo, v[21:22], v[29:30]
	v_add_f64 v[21:22], v[5:6], -v[31:32]
	s_cbranch_vccz .LBB233_140
; %bb.139:                              ;   in Loop: Header=BB233_127 Depth=1
	v_div_scale_f64 v[5:6], null, v[19:20], v[19:20], v[17:18]
	v_div_scale_f64 v[30:31], vcc_lo, v[17:18], v[19:20], v[17:18]
	s_delay_alu instid0(VALU_DEP_2) | instskip(SKIP_2) | instid1(VALU_DEP_1)
	v_rcp_f64_e32 v[7:8], v[5:6]
	s_waitcnt_depctr 0xfff
	v_fma_f64 v[28:29], -v[5:6], v[7:8], 1.0
	v_fma_f64 v[7:8], v[7:8], v[28:29], v[7:8]
	s_delay_alu instid0(VALU_DEP_1) | instskip(NEXT) | instid1(VALU_DEP_1)
	v_fma_f64 v[28:29], -v[5:6], v[7:8], 1.0
	v_fma_f64 v[7:8], v[7:8], v[28:29], v[7:8]
	s_delay_alu instid0(VALU_DEP_1) | instskip(NEXT) | instid1(VALU_DEP_1)
	v_mul_f64 v[28:29], v[30:31], v[7:8]
	v_fma_f64 v[5:6], -v[5:6], v[28:29], v[30:31]
	s_delay_alu instid0(VALU_DEP_1) | instskip(NEXT) | instid1(VALU_DEP_1)
	v_div_fmas_f64 v[5:6], v[5:6], v[7:8], v[28:29]
	v_div_fixup_f64 v[5:6], v[5:6], v[19:20], v[17:18]
	s_delay_alu instid0(VALU_DEP_1) | instskip(NEXT) | instid1(VALU_DEP_1)
	v_fma_f64 v[7:8], v[17:18], v[5:6], v[19:20]
	v_div_scale_f64 v[28:29], null, v[7:8], v[7:8], 1.0
	v_div_scale_f64 v[34:35], vcc_lo, 1.0, v[7:8], 1.0
	s_delay_alu instid0(VALU_DEP_2) | instskip(SKIP_2) | instid1(VALU_DEP_1)
	v_rcp_f64_e32 v[30:31], v[28:29]
	s_waitcnt_depctr 0xfff
	v_fma_f64 v[32:33], -v[28:29], v[30:31], 1.0
	v_fma_f64 v[30:31], v[30:31], v[32:33], v[30:31]
	s_delay_alu instid0(VALU_DEP_1) | instskip(NEXT) | instid1(VALU_DEP_1)
	v_fma_f64 v[32:33], -v[28:29], v[30:31], 1.0
	v_fma_f64 v[30:31], v[30:31], v[32:33], v[30:31]
	s_delay_alu instid0(VALU_DEP_1) | instskip(NEXT) | instid1(VALU_DEP_1)
	v_mul_f64 v[32:33], v[34:35], v[30:31]
	v_fma_f64 v[28:29], -v[28:29], v[32:33], v[34:35]
	s_delay_alu instid0(VALU_DEP_1) | instskip(SKIP_1) | instid1(VALU_DEP_2)
	v_div_fmas_f64 v[28:29], v[28:29], v[30:31], v[32:33]
	v_fma_f64 v[30:31], v[5:6], v[21:22], v[23:24]
	v_div_fixup_f64 v[7:8], v[28:29], v[7:8], 1.0
	v_fma_f64 v[28:29], v[5:6], v[23:24], -v[21:22]
	s_delay_alu instid0(VALU_DEP_2) | instskip(NEXT) | instid1(VALU_DEP_2)
	v_mul_f64 v[5:6], v[30:31], v[7:8]
	v_mul_f64 v[7:8], v[28:29], v[7:8]
	s_cbranch_execz .LBB233_141
	s_branch .LBB233_142
.LBB233_140:                            ;   in Loop: Header=BB233_127 Depth=1
                                        ; implicit-def: $vgpr7_vgpr8
.LBB233_141:                            ;   in Loop: Header=BB233_127 Depth=1
	v_div_scale_f64 v[5:6], null, v[17:18], v[17:18], v[19:20]
	v_div_scale_f64 v[30:31], vcc_lo, v[19:20], v[17:18], v[19:20]
	s_delay_alu instid0(VALU_DEP_2) | instskip(SKIP_2) | instid1(VALU_DEP_1)
	v_rcp_f64_e32 v[7:8], v[5:6]
	s_waitcnt_depctr 0xfff
	v_fma_f64 v[28:29], -v[5:6], v[7:8], 1.0
	v_fma_f64 v[7:8], v[7:8], v[28:29], v[7:8]
	s_delay_alu instid0(VALU_DEP_1) | instskip(NEXT) | instid1(VALU_DEP_1)
	v_fma_f64 v[28:29], -v[5:6], v[7:8], 1.0
	v_fma_f64 v[7:8], v[7:8], v[28:29], v[7:8]
	s_delay_alu instid0(VALU_DEP_1) | instskip(NEXT) | instid1(VALU_DEP_1)
	v_mul_f64 v[28:29], v[30:31], v[7:8]
	v_fma_f64 v[5:6], -v[5:6], v[28:29], v[30:31]
	s_delay_alu instid0(VALU_DEP_1) | instskip(NEXT) | instid1(VALU_DEP_1)
	v_div_fmas_f64 v[5:6], v[5:6], v[7:8], v[28:29]
	v_div_fixup_f64 v[5:6], v[5:6], v[17:18], v[19:20]
	s_delay_alu instid0(VALU_DEP_1) | instskip(NEXT) | instid1(VALU_DEP_1)
	v_fma_f64 v[7:8], v[19:20], v[5:6], v[17:18]
	v_div_scale_f64 v[17:18], null, v[7:8], v[7:8], 1.0
	v_div_scale_f64 v[30:31], vcc_lo, 1.0, v[7:8], 1.0
	s_delay_alu instid0(VALU_DEP_2) | instskip(SKIP_2) | instid1(VALU_DEP_1)
	v_rcp_f64_e32 v[19:20], v[17:18]
	s_waitcnt_depctr 0xfff
	v_fma_f64 v[28:29], -v[17:18], v[19:20], 1.0
	v_fma_f64 v[19:20], v[19:20], v[28:29], v[19:20]
	s_delay_alu instid0(VALU_DEP_1) | instskip(NEXT) | instid1(VALU_DEP_1)
	v_fma_f64 v[28:29], -v[17:18], v[19:20], 1.0
	v_fma_f64 v[19:20], v[19:20], v[28:29], v[19:20]
	s_delay_alu instid0(VALU_DEP_1) | instskip(NEXT) | instid1(VALU_DEP_1)
	v_mul_f64 v[28:29], v[30:31], v[19:20]
	v_fma_f64 v[17:18], -v[17:18], v[28:29], v[30:31]
	s_delay_alu instid0(VALU_DEP_1) | instskip(SKIP_1) | instid1(VALU_DEP_2)
	v_div_fmas_f64 v[17:18], v[17:18], v[19:20], v[28:29]
	v_fma_f64 v[19:20], v[5:6], v[23:24], v[21:22]
	v_div_fixup_f64 v[7:8], v[17:18], v[7:8], 1.0
	v_fma_f64 v[17:18], -v[5:6], v[21:22], v[23:24]
	s_delay_alu instid0(VALU_DEP_2) | instskip(NEXT) | instid1(VALU_DEP_2)
	v_mul_f64 v[5:6], v[19:20], v[7:8]
	v_mul_f64 v[7:8], v[17:18], v[7:8]
.LBB233_142:                            ;   in Loop: Header=BB233_127 Depth=1
	s_add_i32 s5, s5, s4
	s_delay_alu instid0(SALU_CYCLE_1) | instskip(NEXT) | instid1(SALU_CYCLE_1)
	s_lshl_b32 s5, s5, 4
	v_mov_b32_e32 v34, s5
	ds_load_b128 v[17:20], v34
	ds_load_b128 v[21:24], v34 offset:16
	ds_store_b128 v27, v[5:8]
	s_waitcnt lgkmcnt(2)
	v_mul_f64 v[28:29], v[15:16], v[19:20]
	v_mul_f64 v[19:20], v[13:14], v[19:20]
	s_waitcnt lgkmcnt(1)
	v_mul_f64 v[30:31], v[11:12], v[23:24]
	v_mul_f64 v[23:24], v[9:10], v[23:24]
	s_delay_alu instid0(VALU_DEP_4)
	v_fma_f64 v[28:29], v[13:14], v[17:18], -v[28:29]
	v_mov_b32_e32 v13, s7
	v_fma_f64 v[32:33], v[15:16], v[17:18], v[19:20]
	ds_load_b128 v[17:20], v34 offset:32
	v_fma_f64 v[9:10], v[9:10], v[21:22], -v[30:31]
	v_fma_f64 v[11:12], v[11:12], v[21:22], v[23:24]
	ds_load_b128 v[13:16], v13 offset:1392
	s_waitcnt lgkmcnt(1)
	v_mul_f64 v[34:35], v[7:8], v[19:20]
	v_mul_f64 v[19:20], v[5:6], v[19:20]
	s_waitcnt lgkmcnt(0)
	v_cmp_gt_f64_e32 vcc_lo, 0, v[13:14]
	v_add_f64 v[1:2], v[1:2], -v[28:29]
	v_add_f64 v[3:4], v[3:4], -v[32:33]
	v_fma_f64 v[21:22], v[5:6], v[17:18], -v[34:35]
	v_fma_f64 v[17:18], v[7:8], v[17:18], v[19:20]
	s_delay_alu instid0(VALU_DEP_4) | instskip(SKIP_4) | instid1(VALU_DEP_4)
	v_add_f64 v[1:2], v[1:2], -v[9:10]
	v_xor_b32_e32 v10, 0x80000000, v14
	v_mov_b32_e32 v9, v13
	v_add_f64 v[3:4], v[3:4], -v[11:12]
	v_xor_b32_e32 v12, 0x80000000, v16
	v_cndmask_b32_e32 v10, v14, v10, vcc_lo
	v_cmp_gt_f64_e32 vcc_lo, 0, v[15:16]
	s_delay_alu instid0(VALU_DEP_3) | instskip(NEXT) | instid1(VALU_DEP_1)
	v_dual_mov_b32 v11, v15 :: v_dual_cndmask_b32 v12, v16, v12
	v_cmp_ngt_f64_e32 vcc_lo, v[9:10], v[11:12]
	v_add_f64 v[9:10], v[1:2], -v[21:22]
	v_add_f64 v[11:12], v[3:4], -v[17:18]
	s_cbranch_vccz .LBB233_144
; %bb.143:                              ;   in Loop: Header=BB233_127 Depth=1
	v_div_scale_f64 v[1:2], null, v[15:16], v[15:16], v[13:14]
	v_div_scale_f64 v[7:8], vcc_lo, v[13:14], v[15:16], v[13:14]
	s_delay_alu instid0(VALU_DEP_2) | instskip(SKIP_2) | instid1(VALU_DEP_1)
	v_rcp_f64_e32 v[3:4], v[1:2]
	s_waitcnt_depctr 0xfff
	v_fma_f64 v[5:6], -v[1:2], v[3:4], 1.0
	v_fma_f64 v[3:4], v[3:4], v[5:6], v[3:4]
	s_delay_alu instid0(VALU_DEP_1) | instskip(NEXT) | instid1(VALU_DEP_1)
	v_fma_f64 v[5:6], -v[1:2], v[3:4], 1.0
	v_fma_f64 v[3:4], v[3:4], v[5:6], v[3:4]
	s_delay_alu instid0(VALU_DEP_1) | instskip(NEXT) | instid1(VALU_DEP_1)
	v_mul_f64 v[5:6], v[7:8], v[3:4]
	v_fma_f64 v[1:2], -v[1:2], v[5:6], v[7:8]
	s_delay_alu instid0(VALU_DEP_1) | instskip(NEXT) | instid1(VALU_DEP_1)
	v_div_fmas_f64 v[1:2], v[1:2], v[3:4], v[5:6]
	v_div_fixup_f64 v[1:2], v[1:2], v[15:16], v[13:14]
	s_delay_alu instid0(VALU_DEP_1) | instskip(NEXT) | instid1(VALU_DEP_1)
	v_fma_f64 v[3:4], v[13:14], v[1:2], v[15:16]
	v_div_scale_f64 v[5:6], null, v[3:4], v[3:4], 1.0
	v_div_scale_f64 v[19:20], vcc_lo, 1.0, v[3:4], 1.0
	s_delay_alu instid0(VALU_DEP_2) | instskip(SKIP_2) | instid1(VALU_DEP_1)
	v_rcp_f64_e32 v[7:8], v[5:6]
	s_waitcnt_depctr 0xfff
	v_fma_f64 v[17:18], -v[5:6], v[7:8], 1.0
	v_fma_f64 v[7:8], v[7:8], v[17:18], v[7:8]
	s_delay_alu instid0(VALU_DEP_1) | instskip(NEXT) | instid1(VALU_DEP_1)
	v_fma_f64 v[17:18], -v[5:6], v[7:8], 1.0
	v_fma_f64 v[7:8], v[7:8], v[17:18], v[7:8]
	s_delay_alu instid0(VALU_DEP_1) | instskip(NEXT) | instid1(VALU_DEP_1)
	v_mul_f64 v[17:18], v[19:20], v[7:8]
	v_fma_f64 v[5:6], -v[5:6], v[17:18], v[19:20]
	s_delay_alu instid0(VALU_DEP_1) | instskip(SKIP_1) | instid1(VALU_DEP_2)
	v_div_fmas_f64 v[5:6], v[5:6], v[7:8], v[17:18]
	v_fma_f64 v[7:8], v[1:2], v[9:10], v[11:12]
	v_div_fixup_f64 v[3:4], v[5:6], v[3:4], 1.0
	v_fma_f64 v[5:6], v[1:2], v[11:12], -v[9:10]
	s_delay_alu instid0(VALU_DEP_2) | instskip(NEXT) | instid1(VALU_DEP_2)
	v_mul_f64 v[1:2], v[7:8], v[3:4]
	v_mul_f64 v[3:4], v[5:6], v[3:4]
	s_cbranch_execz .LBB233_145
	s_branch .LBB233_146
.LBB233_144:                            ;   in Loop: Header=BB233_127 Depth=1
                                        ; implicit-def: $vgpr3_vgpr4
.LBB233_145:                            ;   in Loop: Header=BB233_127 Depth=1
	v_div_scale_f64 v[1:2], null, v[13:14], v[13:14], v[15:16]
	v_div_scale_f64 v[7:8], vcc_lo, v[15:16], v[13:14], v[15:16]
	s_delay_alu instid0(VALU_DEP_2) | instskip(SKIP_2) | instid1(VALU_DEP_1)
	v_rcp_f64_e32 v[3:4], v[1:2]
	s_waitcnt_depctr 0xfff
	v_fma_f64 v[5:6], -v[1:2], v[3:4], 1.0
	v_fma_f64 v[3:4], v[3:4], v[5:6], v[3:4]
	s_delay_alu instid0(VALU_DEP_1) | instskip(NEXT) | instid1(VALU_DEP_1)
	v_fma_f64 v[5:6], -v[1:2], v[3:4], 1.0
	v_fma_f64 v[3:4], v[3:4], v[5:6], v[3:4]
	s_delay_alu instid0(VALU_DEP_1) | instskip(NEXT) | instid1(VALU_DEP_1)
	v_mul_f64 v[5:6], v[7:8], v[3:4]
	v_fma_f64 v[1:2], -v[1:2], v[5:6], v[7:8]
	s_delay_alu instid0(VALU_DEP_1) | instskip(NEXT) | instid1(VALU_DEP_1)
	v_div_fmas_f64 v[1:2], v[1:2], v[3:4], v[5:6]
	v_div_fixup_f64 v[1:2], v[1:2], v[13:14], v[15:16]
	s_delay_alu instid0(VALU_DEP_1) | instskip(NEXT) | instid1(VALU_DEP_1)
	v_fma_f64 v[3:4], v[15:16], v[1:2], v[13:14]
	v_div_scale_f64 v[5:6], null, v[3:4], v[3:4], 1.0
	v_div_scale_f64 v[15:16], vcc_lo, 1.0, v[3:4], 1.0
	s_delay_alu instid0(VALU_DEP_2) | instskip(SKIP_2) | instid1(VALU_DEP_1)
	v_rcp_f64_e32 v[7:8], v[5:6]
	s_waitcnt_depctr 0xfff
	v_fma_f64 v[13:14], -v[5:6], v[7:8], 1.0
	v_fma_f64 v[7:8], v[7:8], v[13:14], v[7:8]
	s_delay_alu instid0(VALU_DEP_1) | instskip(NEXT) | instid1(VALU_DEP_1)
	v_fma_f64 v[13:14], -v[5:6], v[7:8], 1.0
	v_fma_f64 v[7:8], v[7:8], v[13:14], v[7:8]
	s_delay_alu instid0(VALU_DEP_1) | instskip(NEXT) | instid1(VALU_DEP_1)
	v_mul_f64 v[13:14], v[15:16], v[7:8]
	v_fma_f64 v[5:6], -v[5:6], v[13:14], v[15:16]
	s_delay_alu instid0(VALU_DEP_1) | instskip(SKIP_1) | instid1(VALU_DEP_2)
	v_div_fmas_f64 v[5:6], v[5:6], v[7:8], v[13:14]
	v_fma_f64 v[7:8], v[1:2], v[11:12], v[9:10]
	v_div_fixup_f64 v[3:4], v[5:6], v[3:4], 1.0
	v_fma_f64 v[5:6], -v[1:2], v[9:10], v[11:12]
	s_delay_alu instid0(VALU_DEP_2) | instskip(NEXT) | instid1(VALU_DEP_2)
	v_mul_f64 v[1:2], v[7:8], v[3:4]
	v_mul_f64 v[3:4], v[5:6], v[3:4]
.LBB233_146:                            ;   in Loop: Header=BB233_127 Depth=1
	s_add_i32 s5, s4, 4
	s_add_i32 s4, s4, 7
	s_addk_i32 s1, 0x700
	s_cmp_ge_i32 s4, s28
	ds_store_b128 v26, v[1:4]
	s_cbranch_scc1 .LBB233_148
; %bb.147:                              ;   in Loop: Header=BB233_127 Depth=1
	s_mov_b32 s4, s5
	s_branch .LBB233_127
.LBB233_148:
	s_cmp_ge_i32 s5, s28
	s_cbranch_scc1 .LBB233_163
; %bb.149:
	v_lshl_add_u32 v13, v0, 4, 0x3100
	s_add_i32 s1, s5, -1
	s_mul_i32 s4, s5, 0x1c0
	s_mov_b32 s6, 0
	s_mov_b32 s7, s5
	s_branch .LBB233_151
.LBB233_150:                            ;   in Loop: Header=BB233_151 Depth=1
	v_add_nc_u16 v1, s7, 1
	s_add_i32 s5, s5, 1
	s_add_i32 s6, s6, 1
	s_addk_i32 s4, 0x1c0
	s_cmp_ge_i32 s5, s28
	v_readfirstlane_b32 s7, v1
	ds_store_b128 v14, v[9:12]
	s_cbranch_scc1 .LBB233_163
.LBB233_151:                            ; =>This Loop Header: Depth=1
                                        ;     Child Loop BB233_154 Depth 2
                                        ;     Child Loop BB233_158 Depth 2
	s_mul_i32 s8, s5, 28
	s_cmp_eq_u32 s5, 0
	v_add_lshl_u32 v7, s8, v0, 4
	ds_load_b128 v[1:4], v7 offset:12544
	s_cbranch_scc1 .LBB233_159
; %bb.152:                              ;   in Loop: Header=BB233_151 Depth=1
	s_add_i32 s8, s1, s6
	s_delay_alu instid0(SALU_CYCLE_1)
	s_cmp_lt_u32 s8, 3
	s_cbranch_scc1 .LBB233_156
; %bb.153:                              ;   in Loop: Header=BB233_151 Depth=1
	v_mov_b32_e32 v5, v13
	s_and_b32 s8, s5, -4
	s_mov_b32 s9, 0
	s_mov_b32 s10, s4
.LBB233_154:                            ;   Parent Loop BB233_151 Depth=1
                                        ; =>  This Inner Loop Header: Depth=2
	s_delay_alu instid0(SALU_CYCLE_1)
	v_mov_b32_e32 v6, s10
	s_add_i32 s9, s9, 4
	s_add_i32 s10, s10, 64
	s_cmp_eq_u32 s8, s9
	ds_load_b128 v[8:11], v5
	ds_load_b128 v[14:17], v6
	ds_load_b128 v[18:21], v5 offset:448
	ds_load_b128 v[22:25], v6 offset:16
	s_waitcnt lgkmcnt(2)
	v_mul_f64 v[26:27], v[16:17], v[10:11]
	v_mul_f64 v[10:11], v[14:15], v[10:11]
	s_waitcnt lgkmcnt(0)
	v_mul_f64 v[34:35], v[24:25], v[20:21]
	v_mul_f64 v[20:21], v[22:23], v[20:21]
	s_delay_alu instid0(VALU_DEP_4) | instskip(NEXT) | instid1(VALU_DEP_4)
	v_fma_f64 v[36:37], v[14:15], v[8:9], -v[26:27]
	v_fma_f64 v[38:39], v[16:17], v[8:9], v[10:11]
	ds_load_b128 v[8:11], v5 offset:896
	ds_load_b128 v[14:17], v6 offset:32
	ds_load_b128 v[26:29], v5 offset:1344
	ds_load_b128 v[30:33], v6 offset:48
	v_add_nc_u32_e32 v5, 0x700, v5
	v_fma_f64 v[22:23], v[22:23], v[18:19], -v[34:35]
	v_fma_f64 v[18:19], v[24:25], v[18:19], v[20:21]
	s_waitcnt lgkmcnt(2)
	v_mul_f64 v[40:41], v[16:17], v[10:11]
	v_mul_f64 v[10:11], v[14:15], v[10:11]
	s_waitcnt lgkmcnt(0)
	v_mul_f64 v[20:21], v[32:33], v[28:29]
	v_mul_f64 v[24:25], v[30:31], v[28:29]
	v_add_f64 v[1:2], v[1:2], -v[36:37]
	v_add_f64 v[3:4], v[3:4], -v[38:39]
	v_fma_f64 v[14:15], v[14:15], v[8:9], -v[40:41]
	v_fma_f64 v[8:9], v[16:17], v[8:9], v[10:11]
	v_fma_f64 v[10:11], v[30:31], v[26:27], -v[20:21]
	v_fma_f64 v[16:17], v[32:33], v[26:27], v[24:25]
	v_add_f64 v[1:2], v[1:2], -v[22:23]
	v_add_f64 v[3:4], v[3:4], -v[18:19]
	s_delay_alu instid0(VALU_DEP_2) | instskip(NEXT) | instid1(VALU_DEP_2)
	v_add_f64 v[1:2], v[1:2], -v[14:15]
	v_add_f64 v[3:4], v[3:4], -v[8:9]
	s_delay_alu instid0(VALU_DEP_2) | instskip(NEXT) | instid1(VALU_DEP_2)
	v_add_f64 v[1:2], v[1:2], -v[10:11]
	v_add_f64 v[3:4], v[3:4], -v[16:17]
	s_cbranch_scc0 .LBB233_154
; %bb.155:                              ;   in Loop: Header=BB233_151 Depth=1
	s_and_b32 s9, s5, 3
	s_delay_alu instid0(SALU_CYCLE_1)
	s_cmp_eq_u32 s9, 0
	s_cbranch_scc0 .LBB233_157
	s_branch .LBB233_159
.LBB233_156:                            ;   in Loop: Header=BB233_151 Depth=1
	s_mov_b32 s8, 0
	s_and_b32 s9, s5, 3
	s_delay_alu instid0(SALU_CYCLE_1)
	s_cmp_eq_u32 s9, 0
	s_cbranch_scc1 .LBB233_159
.LBB233_157:                            ;   in Loop: Header=BB233_151 Depth=1
	v_mad_u64_u32 v[5:6], null, 0x1c0, s8, v[13:14]
	s_and_b32 s9, s7, 3
	s_lshl_b32 s8, s8, 4
	.p2align	6
.LBB233_158:                            ;   Parent Loop BB233_151 Depth=1
                                        ; =>  This Inner Loop Header: Depth=2
	s_delay_alu instid0(SALU_CYCLE_1)
	s_add_i32 s10, s4, s8
	s_add_i32 s9, s9, -1
	v_mov_b32_e32 v6, s10
	s_add_i32 s8, s8, 16
	s_cmp_lg_u32 s9, 0
	ds_load_b128 v[8:11], v5
	ds_load_b128 v[14:17], v6
	v_add_nc_u32_e32 v5, 0x1c0, v5
	s_waitcnt lgkmcnt(0)
	v_mul_f64 v[18:19], v[16:17], v[10:11]
	v_mul_f64 v[10:11], v[14:15], v[10:11]
	s_delay_alu instid0(VALU_DEP_2) | instskip(NEXT) | instid1(VALU_DEP_2)
	v_fma_f64 v[14:15], v[14:15], v[8:9], -v[18:19]
	v_fma_f64 v[8:9], v[16:17], v[8:9], v[10:11]
	s_delay_alu instid0(VALU_DEP_2) | instskip(NEXT) | instid1(VALU_DEP_2)
	v_add_f64 v[1:2], v[1:2], -v[14:15]
	v_add_f64 v[3:4], v[3:4], -v[8:9]
	s_cbranch_scc1 .LBB233_158
.LBB233_159:                            ;   in Loop: Header=BB233_151 Depth=1
	s_mul_i32 s8, s5, 0x1d0
	s_delay_alu instid0(SALU_CYCLE_1)
	v_dual_mov_b32 v5, s8 :: v_dual_add_nc_u32 v14, 0x3100, v7
	ds_load_b128 v[5:8], v5
	s_waitcnt lgkmcnt(0)
	v_cmp_gt_f64_e32 vcc_lo, 0, v[5:6]
	v_xor_b32_e32 v10, 0x80000000, v6
	v_mov_b32_e32 v9, v5
	v_xor_b32_e32 v11, 0x80000000, v8
	s_delay_alu instid0(VALU_DEP_3) | instskip(SKIP_1) | instid1(VALU_DEP_3)
	v_cndmask_b32_e32 v10, v6, v10, vcc_lo
	v_cmp_gt_f64_e32 vcc_lo, 0, v[7:8]
	v_dual_cndmask_b32 v12, v8, v11 :: v_dual_mov_b32 v11, v7
	s_delay_alu instid0(VALU_DEP_1)
	v_cmp_ngt_f64_e32 vcc_lo, v[9:10], v[11:12]
	s_cbranch_vccz .LBB233_161
; %bb.160:                              ;   in Loop: Header=BB233_151 Depth=1
	v_div_scale_f64 v[9:10], null, v[7:8], v[7:8], v[5:6]
	v_div_scale_f64 v[17:18], vcc_lo, v[5:6], v[7:8], v[5:6]
	s_delay_alu instid0(VALU_DEP_2) | instskip(SKIP_2) | instid1(VALU_DEP_1)
	v_rcp_f64_e32 v[11:12], v[9:10]
	s_waitcnt_depctr 0xfff
	v_fma_f64 v[15:16], -v[9:10], v[11:12], 1.0
	v_fma_f64 v[11:12], v[11:12], v[15:16], v[11:12]
	s_delay_alu instid0(VALU_DEP_1) | instskip(NEXT) | instid1(VALU_DEP_1)
	v_fma_f64 v[15:16], -v[9:10], v[11:12], 1.0
	v_fma_f64 v[11:12], v[11:12], v[15:16], v[11:12]
	s_delay_alu instid0(VALU_DEP_1) | instskip(NEXT) | instid1(VALU_DEP_1)
	v_mul_f64 v[15:16], v[17:18], v[11:12]
	v_fma_f64 v[9:10], -v[9:10], v[15:16], v[17:18]
	s_delay_alu instid0(VALU_DEP_1) | instskip(NEXT) | instid1(VALU_DEP_1)
	v_div_fmas_f64 v[9:10], v[9:10], v[11:12], v[15:16]
	v_div_fixup_f64 v[9:10], v[9:10], v[7:8], v[5:6]
	s_delay_alu instid0(VALU_DEP_1) | instskip(NEXT) | instid1(VALU_DEP_1)
	v_fma_f64 v[11:12], v[5:6], v[9:10], v[7:8]
	v_div_scale_f64 v[15:16], null, v[11:12], v[11:12], 1.0
	v_div_scale_f64 v[21:22], vcc_lo, 1.0, v[11:12], 1.0
	s_delay_alu instid0(VALU_DEP_2) | instskip(SKIP_2) | instid1(VALU_DEP_1)
	v_rcp_f64_e32 v[17:18], v[15:16]
	s_waitcnt_depctr 0xfff
	v_fma_f64 v[19:20], -v[15:16], v[17:18], 1.0
	v_fma_f64 v[17:18], v[17:18], v[19:20], v[17:18]
	s_delay_alu instid0(VALU_DEP_1) | instskip(NEXT) | instid1(VALU_DEP_1)
	v_fma_f64 v[19:20], -v[15:16], v[17:18], 1.0
	v_fma_f64 v[17:18], v[17:18], v[19:20], v[17:18]
	s_delay_alu instid0(VALU_DEP_1) | instskip(NEXT) | instid1(VALU_DEP_1)
	v_mul_f64 v[19:20], v[21:22], v[17:18]
	v_fma_f64 v[15:16], -v[15:16], v[19:20], v[21:22]
	s_delay_alu instid0(VALU_DEP_1) | instskip(SKIP_1) | instid1(VALU_DEP_2)
	v_div_fmas_f64 v[15:16], v[15:16], v[17:18], v[19:20]
	v_fma_f64 v[17:18], v[1:2], v[9:10], v[3:4]
	v_div_fixup_f64 v[11:12], v[15:16], v[11:12], 1.0
	v_fma_f64 v[15:16], v[3:4], v[9:10], -v[1:2]
	s_delay_alu instid0(VALU_DEP_2) | instskip(NEXT) | instid1(VALU_DEP_2)
	v_mul_f64 v[9:10], v[17:18], v[11:12]
	v_mul_f64 v[11:12], v[15:16], v[11:12]
	s_cbranch_execnz .LBB233_150
	s_branch .LBB233_162
.LBB233_161:                            ;   in Loop: Header=BB233_151 Depth=1
                                        ; implicit-def: $vgpr9_vgpr10
.LBB233_162:                            ;   in Loop: Header=BB233_151 Depth=1
	v_div_scale_f64 v[9:10], null, v[5:6], v[5:6], v[7:8]
	v_div_scale_f64 v[17:18], vcc_lo, v[7:8], v[5:6], v[7:8]
	s_delay_alu instid0(VALU_DEP_2) | instskip(SKIP_2) | instid1(VALU_DEP_1)
	v_rcp_f64_e32 v[11:12], v[9:10]
	s_waitcnt_depctr 0xfff
	v_fma_f64 v[15:16], -v[9:10], v[11:12], 1.0
	v_fma_f64 v[11:12], v[11:12], v[15:16], v[11:12]
	s_delay_alu instid0(VALU_DEP_1) | instskip(NEXT) | instid1(VALU_DEP_1)
	v_fma_f64 v[15:16], -v[9:10], v[11:12], 1.0
	v_fma_f64 v[11:12], v[11:12], v[15:16], v[11:12]
	s_delay_alu instid0(VALU_DEP_1) | instskip(NEXT) | instid1(VALU_DEP_1)
	v_mul_f64 v[15:16], v[17:18], v[11:12]
	v_fma_f64 v[9:10], -v[9:10], v[15:16], v[17:18]
	s_delay_alu instid0(VALU_DEP_1) | instskip(NEXT) | instid1(VALU_DEP_1)
	v_div_fmas_f64 v[9:10], v[9:10], v[11:12], v[15:16]
	v_div_fixup_f64 v[9:10], v[9:10], v[5:6], v[7:8]
	s_delay_alu instid0(VALU_DEP_1) | instskip(NEXT) | instid1(VALU_DEP_1)
	v_fma_f64 v[5:6], v[7:8], v[9:10], v[5:6]
	v_div_scale_f64 v[7:8], null, v[5:6], v[5:6], 1.0
	v_div_scale_f64 v[17:18], vcc_lo, 1.0, v[5:6], 1.0
	s_delay_alu instid0(VALU_DEP_2) | instskip(SKIP_2) | instid1(VALU_DEP_1)
	v_rcp_f64_e32 v[11:12], v[7:8]
	s_waitcnt_depctr 0xfff
	v_fma_f64 v[15:16], -v[7:8], v[11:12], 1.0
	v_fma_f64 v[11:12], v[11:12], v[15:16], v[11:12]
	s_delay_alu instid0(VALU_DEP_1) | instskip(NEXT) | instid1(VALU_DEP_1)
	v_fma_f64 v[15:16], -v[7:8], v[11:12], 1.0
	v_fma_f64 v[11:12], v[11:12], v[15:16], v[11:12]
	s_delay_alu instid0(VALU_DEP_1) | instskip(NEXT) | instid1(VALU_DEP_1)
	v_mul_f64 v[15:16], v[17:18], v[11:12]
	v_fma_f64 v[7:8], -v[7:8], v[15:16], v[17:18]
	s_delay_alu instid0(VALU_DEP_1) | instskip(SKIP_2) | instid1(VALU_DEP_3)
	v_div_fmas_f64 v[7:8], v[7:8], v[11:12], v[15:16]
	v_fma_f64 v[11:12], v[3:4], v[9:10], v[1:2]
	v_fma_f64 v[1:2], -v[1:2], v[9:10], v[3:4]
	v_div_fixup_f64 v[5:6], v[7:8], v[5:6], 1.0
	s_delay_alu instid0(VALU_DEP_1) | instskip(NEXT) | instid1(VALU_DEP_3)
	v_mul_f64 v[9:10], v[11:12], v[5:6]
	v_mul_f64 v[11:12], v[1:2], v[5:6]
	s_branch .LBB233_150
.LBB233_163:
	s_and_saveexec_b32 s1, s21
	s_cbranch_execz .LBB233_170
; %bb.164:
	v_lshlrev_b32_e32 v3, 4, v0
	s_ashr_i32 s1, s0, 31
	s_cmp_lt_u32 s15, 4
	s_mov_b32 s10, 0
	s_cbranch_scc1 .LBB233_167
; %bb.165:
	v_add_co_u32 v1, s4, s19, v3
	s_delay_alu instid0(VALU_DEP_1)
	v_add_co_ci_u32_e64 v2, null, s20, 0, s4
	v_lshl_add_u32 v0, v0, 4, 0x3100
	s_and_b32 s10, s15, 0x7ffffffc
	s_mul_hi_i32 s11, s0, 48
	s_mul_i32 s16, s0, 48
	s_lshl_b64 s[4:5], s[0:1], 6
	s_lshl_b64 s[6:7], s[0:1], 5
	;; [unrolled: 1-line block ×3, first 2 shown]
	s_mov_b32 s17, 0
	s_set_inst_prefetch_distance 0x1
	.p2align	6
.LBB233_166:                            ; =>This Inner Loop Header: Depth=1
	ds_load_2addr_b64 v[4:7], v0 offset1:1
	ds_load_2addr_b64 v[8:11], v0 offset0:56 offset1:57
	ds_load_2addr_b64 v[12:15], v0 offset0:112 offset1:113
	;; [unrolled: 1-line block ×3, first 2 shown]
	v_add_co_u32 v20, vcc_lo, v1, s8
	v_add_co_ci_u32_e32 v21, vcc_lo, s9, v2, vcc_lo
	v_add_co_u32 v22, vcc_lo, v1, s6
	v_add_co_ci_u32_e32 v23, vcc_lo, s7, v2, vcc_lo
	;; [unrolled: 2-line block ×3, first 2 shown]
	v_add_nc_u32_e32 v0, 0x700, v0
	s_add_i32 s17, s17, 4
	s_delay_alu instid0(SALU_CYCLE_1)
	s_cmp_lg_u32 s10, s17
	s_waitcnt lgkmcnt(3)
	global_store_b128 v[1:2], v[4:7], off
	v_add_co_u32 v1, vcc_lo, v1, s4
	v_add_co_ci_u32_e32 v2, vcc_lo, s5, v2, vcc_lo
	s_waitcnt lgkmcnt(2)
	global_store_b128 v[20:21], v[8:11], off
	s_waitcnt lgkmcnt(1)
	global_store_b128 v[22:23], v[12:15], off
	;; [unrolled: 2-line block ×3, first 2 shown]
	s_cbranch_scc1 .LBB233_166
.LBB233_167:
	s_set_inst_prefetch_distance 0x2
	s_and_b32 s4, s15, 3
	s_delay_alu instid0(SALU_CYCLE_1)
	s_cmp_eq_u32 s4, 0
	s_cbranch_scc1 .LBB233_170
; %bb.168:
	s_mul_hi_i32 s7, s0, s10
	s_mul_i32 s6, s0, s10
	s_mul_i32 s5, s10, 0x1c0
	s_lshl_b64 s[6:7], s[6:7], 4
	v_add3_u32 v2, s5, v3, 0x3100
	s_add_u32 s6, s6, s18
	s_addc_u32 s7, s7, s14
	s_add_u32 s2, s6, s2
	s_addc_u32 s3, s7, s3
	;; [unrolled: 2-line block ×3, first 2 shown]
	v_add_co_u32 v0, s2, s2, v3
	s_delay_alu instid0(VALU_DEP_1)
	v_add_co_ci_u32_e64 v1, null, s3, 0, s2
	s_lshl_b64 s[0:1], s[0:1], 4
.LBB233_169:                            ; =>This Inner Loop Header: Depth=1
	ds_load_2addr_b64 v[3:6], v2 offset1:1
	v_add_nc_u32_e32 v2, 0x1c0, v2
	s_add_i32 s4, s4, -1
	s_delay_alu instid0(SALU_CYCLE_1)
	s_cmp_lg_u32 s4, 0
	s_waitcnt lgkmcnt(0)
	global_store_b128 v[0:1], v[3:6], off
	v_add_co_u32 v0, vcc_lo, v0, s0
	v_add_co_ci_u32_e32 v1, vcc_lo, s1, v1, vcc_lo
	s_cbranch_scc1 .LBB233_169
.LBB233_170:
	s_nop 0
	s_sendmsg sendmsg(MSG_DEALLOC_VGPRS)
	s_endpgm
	.section	.rodata,"a",@progbits
	.p2align	6, 0x0
	.amdhsa_kernel _ZL31rocblas_trsm_small_right_deviceI19rocblas_complex_numIdES1_PKPKS1_PKPS1_Li28EEv13rocblas_fill_18rocblas_operation_17rocblas_diagonal_iiT0_T1_lilT2_lili
		.amdhsa_group_segment_fixed_size 25088
		.amdhsa_private_segment_fixed_size 0
		.amdhsa_kernarg_size 368
		.amdhsa_user_sgpr_count 14
		.amdhsa_user_sgpr_dispatch_ptr 0
		.amdhsa_user_sgpr_queue_ptr 0
		.amdhsa_user_sgpr_kernarg_segment_ptr 1
		.amdhsa_user_sgpr_dispatch_id 0
		.amdhsa_user_sgpr_private_segment_size 0
		.amdhsa_wavefront_size32 1
		.amdhsa_uses_dynamic_stack 0
		.amdhsa_enable_private_segment 0
		.amdhsa_system_sgpr_workgroup_id_x 1
		.amdhsa_system_sgpr_workgroup_id_y 0
		.amdhsa_system_sgpr_workgroup_id_z 1
		.amdhsa_system_sgpr_workgroup_info 0
		.amdhsa_system_vgpr_workitem_id 0
		.amdhsa_next_free_vgpr 80
		.amdhsa_next_free_sgpr 32
		.amdhsa_reserve_vcc 1
		.amdhsa_float_round_mode_32 0
		.amdhsa_float_round_mode_16_64 0
		.amdhsa_float_denorm_mode_32 3
		.amdhsa_float_denorm_mode_16_64 3
		.amdhsa_dx10_clamp 1
		.amdhsa_ieee_mode 1
		.amdhsa_fp16_overflow 0
		.amdhsa_workgroup_processor_mode 1
		.amdhsa_memory_ordered 1
		.amdhsa_forward_progress 0
		.amdhsa_shared_vgpr_count 0
		.amdhsa_exception_fp_ieee_invalid_op 0
		.amdhsa_exception_fp_denorm_src 0
		.amdhsa_exception_fp_ieee_div_zero 0
		.amdhsa_exception_fp_ieee_overflow 0
		.amdhsa_exception_fp_ieee_underflow 0
		.amdhsa_exception_fp_ieee_inexact 0
		.amdhsa_exception_int_div_zero 0
	.end_amdhsa_kernel
	.section	.text._ZL31rocblas_trsm_small_right_deviceI19rocblas_complex_numIdES1_PKPKS1_PKPS1_Li28EEv13rocblas_fill_18rocblas_operation_17rocblas_diagonal_iiT0_T1_lilT2_lili,"axG",@progbits,_ZL31rocblas_trsm_small_right_deviceI19rocblas_complex_numIdES1_PKPKS1_PKPS1_Li28EEv13rocblas_fill_18rocblas_operation_17rocblas_diagonal_iiT0_T1_lilT2_lili,comdat
.Lfunc_end233:
	.size	_ZL31rocblas_trsm_small_right_deviceI19rocblas_complex_numIdES1_PKPKS1_PKPS1_Li28EEv13rocblas_fill_18rocblas_operation_17rocblas_diagonal_iiT0_T1_lilT2_lili, .Lfunc_end233-_ZL31rocblas_trsm_small_right_deviceI19rocblas_complex_numIdES1_PKPKS1_PKPS1_Li28EEv13rocblas_fill_18rocblas_operation_17rocblas_diagonal_iiT0_T1_lilT2_lili
                                        ; -- End function
	.section	.AMDGPU.csdata,"",@progbits
; Kernel info:
; codeLenInByte = 20380
; NumSgprs: 34
; NumVgprs: 80
; ScratchSize: 0
; MemoryBound: 0
; FloatMode: 240
; IeeeMode: 1
; LDSByteSize: 25088 bytes/workgroup (compile time only)
; SGPRBlocks: 4
; VGPRBlocks: 9
; NumSGPRsForWavesPerEU: 34
; NumVGPRsForWavesPerEU: 80
; Occupancy: 2
; WaveLimiterHint : 0
; COMPUTE_PGM_RSRC2:SCRATCH_EN: 0
; COMPUTE_PGM_RSRC2:USER_SGPR: 14
; COMPUTE_PGM_RSRC2:TRAP_HANDLER: 0
; COMPUTE_PGM_RSRC2:TGID_X_EN: 1
; COMPUTE_PGM_RSRC2:TGID_Y_EN: 0
; COMPUTE_PGM_RSRC2:TGID_Z_EN: 1
; COMPUTE_PGM_RSRC2:TIDIG_COMP_CNT: 0
	.section	.text._ZL38rocblas_trsm_small_left_device_sharedBILi32ELi32ELb0E19rocblas_complex_numIdES1_PKPKS1_PKPS1_Ev13rocblas_fill_18rocblas_operation_17rocblas_diagonal_iiT3_T4_lilT5_lili,"axG",@progbits,_ZL38rocblas_trsm_small_left_device_sharedBILi32ELi32ELb0E19rocblas_complex_numIdES1_PKPKS1_PKPS1_Ev13rocblas_fill_18rocblas_operation_17rocblas_diagonal_iiT3_T4_lilT5_lili,comdat
	.globl	_ZL38rocblas_trsm_small_left_device_sharedBILi32ELi32ELb0E19rocblas_complex_numIdES1_PKPKS1_PKPS1_Ev13rocblas_fill_18rocblas_operation_17rocblas_diagonal_iiT3_T4_lilT5_lili ; -- Begin function _ZL38rocblas_trsm_small_left_device_sharedBILi32ELi32ELb0E19rocblas_complex_numIdES1_PKPKS1_PKPS1_Ev13rocblas_fill_18rocblas_operation_17rocblas_diagonal_iiT3_T4_lilT5_lili
	.p2align	8
	.type	_ZL38rocblas_trsm_small_left_device_sharedBILi32ELi32ELb0E19rocblas_complex_numIdES1_PKPKS1_PKPS1_Ev13rocblas_fill_18rocblas_operation_17rocblas_diagonal_iiT3_T4_lilT5_lili,@function
_ZL38rocblas_trsm_small_left_device_sharedBILi32ELi32ELb0E19rocblas_complex_numIdES1_PKPKS1_PKPS1_Ev13rocblas_fill_18rocblas_operation_17rocblas_diagonal_iiT3_T4_lilT5_lili: ; @_ZL38rocblas_trsm_small_left_device_sharedBILi32ELi32ELb0E19rocblas_complex_numIdES1_PKPKS1_PKPS1_Ev13rocblas_fill_18rocblas_operation_17rocblas_diagonal_iiT3_T4_lilT5_lili
; %bb.0:
	s_clause 0x1
	s_load_b128 s[20:23], s[0:1], 0x48
	s_load_b128 s[16:19], s[0:1], 0x4
	s_mov_b32 s2, s15
	s_mov_b32 s3, 0
	s_load_b32 s29, s[0:1], 0x70
	s_lshl_b64 s[24:25], s[2:3], 3
	s_mov_b32 s30, exec_lo
	s_waitcnt lgkmcnt(0)
	s_add_u32 s12, s20, s24
	s_addc_u32 s13, s21, s25
	s_load_b256 s[4:11], s[0:1], 0x18
	s_load_b64 s[12:13], s[12:13], 0x0
	s_min_i32 s15, s18, 32
	s_delay_alu instid0(SALU_CYCLE_1)
	s_add_i32 s28, s15, -1
	v_cmpx_gt_i32_e64 s15, v0
	s_cbranch_execz .LBB234_15
; %bb.1:
	s_load_b32 s20, s[0:1], 0x38
	s_waitcnt lgkmcnt(0)
	s_ashr_i32 s21, s20, 31
	s_cmpk_eq_i32 s16, 0x71
	s_cselect_b32 vcc_lo, -1, 0
	s_add_u32 s8, s8, s24
	s_addc_u32 s9, s9, s25
	s_cmp_lt_u32 s28, 3
	s_load_b64 s[8:9], s[8:9], 0x0
	s_cbranch_scc1 .LBB234_4
; %bb.2:
	v_lshlrev_b32_e32 v1, 4, v0
	s_lshl_b64 s[24:25], s[10:11], 4
	s_and_b32 s3, s15, -4
	s_waitcnt lgkmcnt(0)
	s_add_u32 s2, s8, s24
	s_addc_u32 s24, s9, s25
	v_add_co_u32 v1, s2, s2, v1
	s_delay_alu instid0(VALU_DEP_1) | instskip(SKIP_1) | instid1(VALU_DEP_3)
	v_add_co_ci_u32_e64 v2, null, s24, 0, s2
	v_lshlrev_b32_e32 v3, 4, v0
	v_add_co_u32 v1, s2, v1, 8
	s_delay_alu instid0(VALU_DEP_1)
	v_add_co_ci_u32_e64 v2, s2, 0, v2, s2
	s_lshl_b64 s[24:25], s[20:21], 6
	s_lshl_b64 s[26:27], s[20:21], 4
	s_mov_b32 s31, 0
.LBB234_3:                              ; =>This Inner Loop Header: Depth=1
	v_add_co_u32 v8, s2, v1, s26
	s_delay_alu instid0(VALU_DEP_1) | instskip(SKIP_1) | instid1(VALU_DEP_2)
	v_add_co_ci_u32_e64 v9, s2, s27, v2, s2
	s_add_i32 s31, s31, 4
	v_add_co_u32 v12, s2, v8, s26
	s_delay_alu instid0(VALU_DEP_1) | instskip(SKIP_1) | instid1(VALU_DEP_2)
	v_add_co_ci_u32_e64 v13, s2, s27, v9, s2
	s_cmp_eq_u32 s3, s31
	v_add_co_u32 v16, s2, v12, s26
	s_delay_alu instid0(VALU_DEP_1)
	v_add_co_ci_u32_e64 v17, s2, s27, v13, s2
	s_clause 0x3
	global_load_b128 v[4:7], v[1:2], off offset:-8
	global_load_b128 v[8:11], v[8:9], off offset:-8
	;; [unrolled: 1-line block ×4, first 2 shown]
	v_add_co_u32 v1, s2, v1, s24
	s_delay_alu instid0(VALU_DEP_1)
	v_add_co_ci_u32_e64 v2, s2, s25, v2, s2
	s_waitcnt vmcnt(3)
	v_xor_b32_e32 v20, 0x80000000, v7
	s_waitcnt vmcnt(2)
	v_xor_b32_e32 v21, 0x80000000, v11
	;; [unrolled: 2-line block ×4, first 2 shown]
	v_cndmask_b32_e32 v7, v7, v20, vcc_lo
	v_cndmask_b32_e32 v11, v11, v21, vcc_lo
	;; [unrolled: 1-line block ×3, first 2 shown]
	s_delay_alu instid0(VALU_DEP_4)
	v_cndmask_b32_e32 v19, v19, v23, vcc_lo
	ds_store_b128 v3, v[4:7]
	ds_store_b128 v3, v[8:11] offset:512
	ds_store_b128 v3, v[12:15] offset:1024
	ds_store_b128 v3, v[16:19] offset:1536
	v_add_nc_u32_e32 v3, 0x800, v3
	s_cbranch_scc0 .LBB234_3
.LBB234_4:
	s_and_b32 s24, s15, 3
	s_delay_alu instid0(SALU_CYCLE_1)
	s_cmp_eq_u32 s24, 0
	s_cbranch_scc1 .LBB234_7
; %bb.5:
	s_mul_i32 s2, s21, s3
	s_mul_hi_u32 s25, s20, s3
	s_mul_i32 s26, s20, s3
	s_add_i32 s27, s25, s2
	s_lshl_b64 s[10:11], s[10:11], 4
	s_lshl_b64 s[26:27], s[26:27], 4
	v_lshlrev_b32_e32 v1, 4, v0
	s_add_u32 s2, s26, s10
	s_addc_u32 s10, s27, s11
	s_waitcnt lgkmcnt(0)
	s_add_u32 s2, s8, s2
	s_addc_u32 s8, s9, s10
	v_add_co_u32 v2, s2, s2, v1
	s_delay_alu instid0(VALU_DEP_1) | instskip(SKIP_1) | instid1(VALU_DEP_3)
	v_add_co_ci_u32_e64 v4, null, s8, 0, s2
	v_lshl_or_b32 v3, s3, 9, v1
	v_add_co_u32 v1, s2, v2, 8
	s_delay_alu instid0(VALU_DEP_1)
	v_add_co_ci_u32_e64 v2, s2, 0, v4, s2
	s_lshl_b64 s[8:9], s[20:21], 4
.LBB234_6:                              ; =>This Inner Loop Header: Depth=1
	global_load_b128 v[4:7], v[1:2], off offset:-8
	v_add_co_u32 v1, s2, v1, s8
	s_delay_alu instid0(VALU_DEP_1) | instskip(SKIP_1) | instid1(SALU_CYCLE_1)
	v_add_co_ci_u32_e64 v2, s2, s9, v2, s2
	s_add_i32 s24, s24, -1
	s_cmp_lg_u32 s24, 0
	s_waitcnt vmcnt(0)
	v_xor_b32_e32 v8, 0x80000000, v7
	s_delay_alu instid0(VALU_DEP_1)
	v_cndmask_b32_e32 v7, v7, v8, vcc_lo
	ds_store_b128 v3, v[4:7]
	v_add_nc_u32_e32 v3, 0x200, v3
	s_cbranch_scc1 .LBB234_6
.LBB234_7:
	v_mul_u32_u24_e32 v1, 33, v0
	s_cmpk_lg_i32 s17, 0x84
	s_delay_alu instid0(VALU_DEP_1)
	v_lshlrev_b32_e32 v9, 4, v1
	s_cbranch_scc0 .LBB234_13
; %bb.8:
	ds_load_b128 v[1:4], v9
	s_waitcnt lgkmcnt(0)
	v_cmp_gt_f64_e32 vcc_lo, 0, v[1:2]
	v_xor_b32_e32 v6, 0x80000000, v2
	v_mov_b32_e32 v5, v1
	v_xor_b32_e32 v7, 0x80000000, v4
	s_delay_alu instid0(VALU_DEP_3) | instskip(SKIP_1) | instid1(VALU_DEP_3)
	v_cndmask_b32_e32 v6, v2, v6, vcc_lo
	v_cmp_gt_f64_e32 vcc_lo, 0, v[3:4]
	v_dual_cndmask_b32 v8, v4, v7 :: v_dual_mov_b32 v7, v3
	s_delay_alu instid0(VALU_DEP_1) | instskip(SKIP_1) | instid1(SALU_CYCLE_1)
	v_cmp_ngt_f64_e32 vcc_lo, v[5:6], v[7:8]
                                        ; implicit-def: $vgpr7_vgpr8
	s_and_saveexec_b32 s2, vcc_lo
	s_xor_b32 s2, exec_lo, s2
	s_cbranch_execz .LBB234_10
; %bb.9:
	v_div_scale_f64 v[5:6], null, v[3:4], v[3:4], v[1:2]
	v_div_scale_f64 v[12:13], vcc_lo, v[1:2], v[3:4], v[1:2]
	s_delay_alu instid0(VALU_DEP_2) | instskip(SKIP_2) | instid1(VALU_DEP_1)
	v_rcp_f64_e32 v[7:8], v[5:6]
	s_waitcnt_depctr 0xfff
	v_fma_f64 v[10:11], -v[5:6], v[7:8], 1.0
	v_fma_f64 v[7:8], v[7:8], v[10:11], v[7:8]
	s_delay_alu instid0(VALU_DEP_1) | instskip(NEXT) | instid1(VALU_DEP_1)
	v_fma_f64 v[10:11], -v[5:6], v[7:8], 1.0
	v_fma_f64 v[7:8], v[7:8], v[10:11], v[7:8]
	s_delay_alu instid0(VALU_DEP_1) | instskip(NEXT) | instid1(VALU_DEP_1)
	v_mul_f64 v[10:11], v[12:13], v[7:8]
	v_fma_f64 v[5:6], -v[5:6], v[10:11], v[12:13]
	s_delay_alu instid0(VALU_DEP_1) | instskip(NEXT) | instid1(VALU_DEP_1)
	v_div_fmas_f64 v[5:6], v[5:6], v[7:8], v[10:11]
	v_div_fixup_f64 v[5:6], v[5:6], v[3:4], v[1:2]
	s_delay_alu instid0(VALU_DEP_1) | instskip(NEXT) | instid1(VALU_DEP_1)
	v_fma_f64 v[1:2], v[1:2], v[5:6], v[3:4]
	v_div_scale_f64 v[3:4], null, v[1:2], v[1:2], 1.0
	v_div_scale_f64 v[12:13], vcc_lo, 1.0, v[1:2], 1.0
	s_delay_alu instid0(VALU_DEP_2) | instskip(SKIP_2) | instid1(VALU_DEP_1)
	v_rcp_f64_e32 v[7:8], v[3:4]
	s_waitcnt_depctr 0xfff
	v_fma_f64 v[10:11], -v[3:4], v[7:8], 1.0
	v_fma_f64 v[7:8], v[7:8], v[10:11], v[7:8]
	s_delay_alu instid0(VALU_DEP_1) | instskip(NEXT) | instid1(VALU_DEP_1)
	v_fma_f64 v[10:11], -v[3:4], v[7:8], 1.0
	v_fma_f64 v[7:8], v[7:8], v[10:11], v[7:8]
	s_delay_alu instid0(VALU_DEP_1) | instskip(NEXT) | instid1(VALU_DEP_1)
	v_mul_f64 v[10:11], v[12:13], v[7:8]
	v_fma_f64 v[3:4], -v[3:4], v[10:11], v[12:13]
	s_delay_alu instid0(VALU_DEP_1) | instskip(SKIP_1) | instid1(VALU_DEP_2)
	v_div_fmas_f64 v[3:4], v[3:4], v[7:8], v[10:11]
	v_add_f64 v[7:8], v[5:6], 0
	v_div_fixup_f64 v[1:2], v[3:4], v[1:2], 1.0
	v_fma_f64 v[3:4], v[5:6], 0, -1.0
	s_delay_alu instid0(VALU_DEP_2) | instskip(NEXT) | instid1(VALU_DEP_2)
	v_mul_f64 v[5:6], v[7:8], v[1:2]
	v_mul_f64 v[7:8], v[3:4], v[1:2]
                                        ; implicit-def: $vgpr1_vgpr2
.LBB234_10:
	s_and_not1_saveexec_b32 s2, s2
	s_cbranch_execz .LBB234_12
; %bb.11:
	v_div_scale_f64 v[5:6], null, v[1:2], v[1:2], v[3:4]
	v_div_scale_f64 v[12:13], vcc_lo, v[3:4], v[1:2], v[3:4]
	s_delay_alu instid0(VALU_DEP_2) | instskip(SKIP_2) | instid1(VALU_DEP_1)
	v_rcp_f64_e32 v[7:8], v[5:6]
	s_waitcnt_depctr 0xfff
	v_fma_f64 v[10:11], -v[5:6], v[7:8], 1.0
	v_fma_f64 v[7:8], v[7:8], v[10:11], v[7:8]
	s_delay_alu instid0(VALU_DEP_1) | instskip(NEXT) | instid1(VALU_DEP_1)
	v_fma_f64 v[10:11], -v[5:6], v[7:8], 1.0
	v_fma_f64 v[7:8], v[7:8], v[10:11], v[7:8]
	s_delay_alu instid0(VALU_DEP_1) | instskip(NEXT) | instid1(VALU_DEP_1)
	v_mul_f64 v[10:11], v[12:13], v[7:8]
	v_fma_f64 v[5:6], -v[5:6], v[10:11], v[12:13]
	s_delay_alu instid0(VALU_DEP_1) | instskip(NEXT) | instid1(VALU_DEP_1)
	v_div_fmas_f64 v[5:6], v[5:6], v[7:8], v[10:11]
	v_div_fixup_f64 v[5:6], v[5:6], v[1:2], v[3:4]
	s_delay_alu instid0(VALU_DEP_1) | instskip(NEXT) | instid1(VALU_DEP_1)
	v_fma_f64 v[1:2], v[3:4], v[5:6], v[1:2]
	v_div_scale_f64 v[3:4], null, v[1:2], v[1:2], 1.0
	v_div_scale_f64 v[12:13], vcc_lo, 1.0, v[1:2], 1.0
	s_delay_alu instid0(VALU_DEP_2) | instskip(SKIP_2) | instid1(VALU_DEP_1)
	v_rcp_f64_e32 v[7:8], v[3:4]
	s_waitcnt_depctr 0xfff
	v_fma_f64 v[10:11], -v[3:4], v[7:8], 1.0
	v_fma_f64 v[7:8], v[7:8], v[10:11], v[7:8]
	s_delay_alu instid0(VALU_DEP_1) | instskip(NEXT) | instid1(VALU_DEP_1)
	v_fma_f64 v[10:11], -v[3:4], v[7:8], 1.0
	v_fma_f64 v[7:8], v[7:8], v[10:11], v[7:8]
	s_delay_alu instid0(VALU_DEP_1) | instskip(NEXT) | instid1(VALU_DEP_1)
	v_mul_f64 v[10:11], v[12:13], v[7:8]
	v_fma_f64 v[3:4], -v[3:4], v[10:11], v[12:13]
	s_delay_alu instid0(VALU_DEP_1) | instskip(SKIP_1) | instid1(VALU_DEP_2)
	v_div_fmas_f64 v[3:4], v[3:4], v[7:8], v[10:11]
	v_fma_f64 v[7:8], v[5:6], 0, 1.0
	v_div_fixup_f64 v[1:2], v[3:4], v[1:2], 1.0
	v_add_f64 v[3:4], -v[5:6], 0
	s_delay_alu instid0(VALU_DEP_2) | instskip(NEXT) | instid1(VALU_DEP_2)
	v_mul_f64 v[5:6], v[7:8], v[1:2]
	v_mul_f64 v[7:8], v[3:4], v[1:2]
.LBB234_12:
	s_or_b32 exec_lo, exec_lo, s2
	s_branch .LBB234_14
.LBB234_13:
	v_mov_b32_e32 v5, 0
	v_dual_mov_b32 v6, 0x3ff00000 :: v_dual_mov_b32 v7, 0
	v_mov_b32_e32 v8, 0
.LBB234_14:
	ds_store_b128 v9, v[5:8]
.LBB234_15:
	s_or_b32 exec_lo, exec_lo, s30
	s_load_b32 s17, s[0:1], 0x58
	s_lshl_b64 s[0:1], s[22:23], 4
	s_waitcnt lgkmcnt(0)
	s_ashr_i32 s20, s17, 31
	s_add_u32 s10, s12, s0
	s_addc_u32 s11, s13, s1
	s_lshl_b32 s2, s14, 5
	s_add_i32 s29, s29, -1
	s_sub_i32 s3, s19, s2
	s_mul_hi_i32 s9, s17, s2
	s_cmp_ge_u32 s14, s29
	s_mul_i32 s8, s17, s2
	s_cselect_b32 s21, s3, 32
	s_lshl_b64 s[8:9], s[8:9], 4
	s_ashr_i32 s3, s2, 31
	s_add_u32 s14, s10, s8
	s_addc_u32 s19, s11, s9
	v_cmp_gt_i32_e32 vcc_lo, s21, v0
	s_cmp_gt_i32 s18, 0
	s_mov_b32 s8, 0
	s_cselect_b32 s9, -1, 0
	s_delay_alu instid0(SALU_CYCLE_1) | instskip(NEXT) | instid1(SALU_CYCLE_1)
	s_and_b32 s21, vcc_lo, s9
	s_and_saveexec_b32 s22, s21
	s_cbranch_execz .LBB234_22
; %bb.16:
	s_cmp_lt_i32 s18, 8
	s_cbranch_scc1 .LBB234_19
; %bb.17:
	v_mad_i64_i32 v[1:2], null, s17, v0, 0
	v_lshl_or_b32 v3, v0, 4, 0x4000
	s_lshl_b32 s8, s15, 4
	s_mov_b64 s[10:11], 0
	s_and_b32 s9, s8, 0x380
	s_mov_b32 s8, 0
	s_delay_alu instid0(VALU_DEP_2) | instskip(NEXT) | instid1(VALU_DEP_1)
	v_lshlrev_b64 v[1:2], 4, v[1:2]
	v_add_co_u32 v1, vcc_lo, s14, v1
	s_delay_alu instid0(VALU_DEP_2)
	v_add_co_ci_u32_e32 v2, vcc_lo, s19, v2, vcc_lo
.LBB234_18:                             ; =>This Inner Loop Header: Depth=1
	s_delay_alu instid0(VALU_DEP_2) | instskip(NEXT) | instid1(VALU_DEP_2)
	v_add_co_u32 v32, vcc_lo, v1, s10
	v_add_co_ci_u32_e32 v33, vcc_lo, s11, v2, vcc_lo
	s_add_i32 s8, s8, 8
	s_add_u32 s10, s10, 0x80
	s_addc_u32 s11, s11, 0
	s_clause 0x7
	global_load_b128 v[4:7], v[32:33], off
	global_load_b128 v[8:11], v[32:33], off offset:16
	global_load_b128 v[12:15], v[32:33], off offset:32
	;; [unrolled: 1-line block ×7, first 2 shown]
	s_cmp_lg_u32 s9, s10
	s_waitcnt vmcnt(7)
	v_mul_f64 v[36:37], s[6:7], v[6:7]
	v_mul_f64 v[6:7], s[4:5], v[6:7]
	s_waitcnt vmcnt(6)
	v_mul_f64 v[38:39], s[6:7], v[10:11]
	v_mul_f64 v[10:11], s[4:5], v[10:11]
	;; [unrolled: 3-line block ×8, first 2 shown]
	v_fma_f64 v[34:35], s[4:5], v[4:5], -v[36:37]
	v_fma_f64 v[36:37], s[6:7], v[4:5], v[6:7]
	v_fma_f64 v[4:5], s[4:5], v[8:9], -v[38:39]
	v_fma_f64 v[6:7], s[6:7], v[8:9], v[10:11]
	;; [unrolled: 2-line block ×8, first 2 shown]
	ds_store_b128 v3, v[34:37]
	ds_store_b128 v3, v[4:7] offset:512
	ds_store_b128 v3, v[8:11] offset:1024
	;; [unrolled: 1-line block ×7, first 2 shown]
	v_add_nc_u32_e32 v3, 0x1000, v3
	s_cbranch_scc1 .LBB234_18
.LBB234_19:
	s_and_b32 s10, s15, 7
	s_mov_b32 s9, 0
	s_cmp_eq_u32 s10, 0
	s_cbranch_scc1 .LBB234_22
; %bb.20:
	v_lshlrev_b32_e32 v3, 4, v0
	s_lshl_b64 s[24:25], s[2:3], 4
	s_lshl_b64 s[26:27], s[8:9], 4
	s_delay_alu instid0(VALU_DEP_1) | instskip(NEXT) | instid1(VALU_DEP_1)
	v_add_co_u32 v4, s9, s24, v3
	v_add_co_ci_u32_e64 v5, null, s25, 0, s9
	s_add_u32 s9, s12, s26
	s_addc_u32 s11, s13, s27
	s_add_u32 s24, s9, s0
	s_addc_u32 s25, s11, s1
	v_mul_lo_u32 v5, v5, s17
	v_mad_u64_u32 v[1:2], null, v4, s17, s[24:25]
	v_mul_lo_u32 v4, v4, s20
	v_lshl_or_b32 v3, s8, 9, v3
	s_delay_alu instid0(VALU_DEP_1) | instskip(NEXT) | instid1(VALU_DEP_4)
	v_add_nc_u32_e32 v3, 0x4000, v3
	v_add_co_u32 v1, vcc_lo, v1, 8
	s_delay_alu instid0(VALU_DEP_4) | instskip(NEXT) | instid1(VALU_DEP_1)
	v_add3_u32 v2, v5, v2, v4
	v_add_co_ci_u32_e32 v2, vcc_lo, 0, v2, vcc_lo
	.p2align	6
.LBB234_21:                             ; =>This Inner Loop Header: Depth=1
	global_load_b128 v[4:7], v[1:2], off offset:-8
	v_add_co_u32 v1, vcc_lo, v1, 16
	v_add_co_ci_u32_e32 v2, vcc_lo, 0, v2, vcc_lo
	s_add_i32 s10, s10, -1
	s_delay_alu instid0(SALU_CYCLE_1) | instskip(SKIP_3) | instid1(VALU_DEP_2)
	s_cmp_lg_u32 s10, 0
	s_waitcnt vmcnt(0)
	v_mul_f64 v[8:9], s[6:7], v[6:7]
	v_mul_f64 v[10:11], s[4:5], v[6:7]
	v_fma_f64 v[6:7], s[4:5], v[4:5], -v[8:9]
	s_delay_alu instid0(VALU_DEP_2)
	v_fma_f64 v[8:9], s[6:7], v[4:5], v[10:11]
	ds_store_b128 v3, v[6:9]
	v_add_nc_u32_e32 v3, 0x200, v3
	s_cbranch_scc1 .LBB234_21
.LBB234_22:
	s_or_b32 exec_lo, exec_lo, s22
	s_or_b32 s6, 0, 8
	s_cmpk_eq_i32 s16, 0x6f
	s_mov_b32 s4, -1
	s_waitcnt vmcnt(0) lgkmcnt(0)
	s_waitcnt_vscnt null, 0x0
	; wave barrier
	s_waitcnt lgkmcnt(0)
	buffer_gl0_inv
	s_cbranch_scc1 .LBB234_44
; %bb.23:
	v_lshl_or_b32 v5, v0, 4, 0x4000
	v_lshlrev_b32_e32 v6, 4, v0
	s_mov_b32 s5, 0
	s_delay_alu instid0(SALU_CYCLE_1)
	s_mov_b32 s4, s5
	s_mov_b32 s7, s5
	s_branch .LBB234_25
.LBB234_24:                             ;   in Loop: Header=BB234_25 Depth=1
	s_cmp_ge_i32 s7, s15
	s_cselect_b32 s8, -1, 0
	s_add_i32 s4, s4, 1
	s_delay_alu instid0(SALU_CYCLE_1) | instskip(SKIP_1) | instid1(SALU_CYCLE_1)
	s_cmp_eq_u32 s4, 3
	s_cselect_b32 s9, -1, 0
	s_or_b32 s8, s8, s9
	s_delay_alu instid0(SALU_CYCLE_1)
	s_and_not1_b32 vcc_lo, exec_lo, s8
	s_cbranch_vccz .LBB234_43
.LBB234_25:                             ; =>This Loop Header: Depth=1
                                        ;     Child Loop BB234_28 Depth 2
                                        ;       Child Loop BB234_29 Depth 3
                                        ;       Child Loop BB234_32 Depth 3
                                        ;         Child Loop BB234_33 Depth 4
                                        ;       Child Loop BB234_37 Depth 3
                                        ;         Child Loop BB234_39 Depth 4
	s_getpc_b64 s[8:9]
	s_add_u32 s8, s8, __const._ZL38rocblas_trsm_small_left_device_sharedBILi32ELi32ELb0E19rocblas_complex_numIdES1_PKPKS1_PKPS1_Ev13rocblas_fill_18rocblas_operation_17rocblas_diagonal_iiT3_T4_lilT5_lili.step_sizes@rel32@lo+4
	s_addc_u32 s9, s9, __const._ZL38rocblas_trsm_small_left_device_sharedBILi32ELi32ELb0E19rocblas_complex_numIdES1_PKPKS1_PKPS1_Ev13rocblas_fill_18rocblas_operation_17rocblas_diagonal_iiT3_T4_lilT5_lili.step_sizes@rel32@hi+12
	s_lshl_b64 s[10:11], s[4:5], 2
	s_delay_alu instid0(SALU_CYCLE_1) | instskip(SKIP_4) | instid1(SALU_CYCLE_1)
	s_add_u32 s8, s10, s8
	s_addc_u32 s9, s11, s9
	s_load_b32 s8, s[8:9], 0x0
	s_waitcnt lgkmcnt(0)
	s_add_i32 s9, s8, -1
	s_add_i32 s10, s9, s7
	s_delay_alu instid0(SALU_CYCLE_1)
	s_cmp_ge_i32 s10, s15
	s_cbranch_scc1 .LBB234_24
; %bb.26:                               ;   in Loop: Header=BB234_25 Depth=1
	s_lshl_b32 s10, s7, 9
	s_max_i32 s11, s8, 1
	v_add_nc_u32_e32 v7, s10, v5
	s_lshl_b32 s16, s8, 9
	s_mul_i32 s22, s7, 0x210
	s_mul_i32 s23, s8, 0x210
	s_branch .LBB234_28
.LBB234_27:                             ;   in Loop: Header=BB234_28 Depth=2
	s_add_i32 s7, s7, s8
	v_add_nc_u32_e32 v7, s16, v7
	s_add_i32 s24, s9, s7
	s_add_i32 s10, s10, s16
	;; [unrolled: 1-line block ×3, first 2 shown]
	s_cmp_ge_i32 s24, s15
	s_cbranch_scc1 .LBB234_24
.LBB234_28:                             ;   Parent Loop BB234_25 Depth=1
                                        ; =>  This Loop Header: Depth=2
                                        ;       Child Loop BB234_29 Depth 3
                                        ;       Child Loop BB234_32 Depth 3
                                        ;         Child Loop BB234_33 Depth 4
                                        ;       Child Loop BB234_37 Depth 3
                                        ;         Child Loop BB234_39 Depth 4
	v_dual_mov_b32 v1, 0 :: v_dual_mov_b32 v2, v7
	s_mov_b32 s24, s11
.LBB234_29:                             ;   Parent Loop BB234_25 Depth=1
                                        ;     Parent Loop BB234_28 Depth=2
                                        ; =>    This Inner Loop Header: Depth=3
	ds_load_b128 v[8:11], v2
	v_add_nc_u32_e32 v2, 0x200, v2
	s_add_i32 s24, s24, -1
	s_delay_alu instid0(SALU_CYCLE_1)
	s_cmp_eq_u32 s24, 0
	s_waitcnt lgkmcnt(0)
	scratch_store_b128 v1, v[8:11], off
	v_add_nc_u32_e32 v1, 16, v1
	s_cbranch_scc0 .LBB234_29
; %bb.30:                               ;   in Loop: Header=BB234_28 Depth=2
	s_cmp_lt_i32 s7, 1
	s_cbranch_scc1 .LBB234_35
; %bb.31:                               ;   in Loop: Header=BB234_28 Depth=2
	s_mov_b32 s24, 0
	s_mov_b32 s25, s10
	s_set_inst_prefetch_distance 0x1
	.p2align	6
.LBB234_32:                             ;   Parent Loop BB234_25 Depth=1
                                        ;     Parent Loop BB234_28 Depth=2
                                        ; =>    This Loop Header: Depth=3
                                        ;         Child Loop BB234_33 Depth 4
	v_lshl_or_b32 v1, s24, 9, v6
	s_mov_b32 s26, s6
	s_mov_b32 s27, s25
	s_mov_b32 s29, s11
	ds_load_b128 v[1:4], v1 offset:16384
	.p2align	6
.LBB234_33:                             ;   Parent Loop BB234_25 Depth=1
                                        ;     Parent Loop BB234_28 Depth=2
                                        ;       Parent Loop BB234_32 Depth=3
                                        ; =>      This Inner Loop Header: Depth=4
	scratch_load_b128 v[8:11], off, s26 offset:-8
	v_mov_b32_e32 v12, s27
	s_add_i32 s29, s29, -1
	s_addk_i32 s27, 0x200
	ds_load_b128 v[12:15], v12
	s_waitcnt lgkmcnt(0)
	v_mul_f64 v[16:17], v[3:4], v[14:15]
	v_mul_f64 v[14:15], v[1:2], v[14:15]
	s_delay_alu instid0(VALU_DEP_2) | instskip(NEXT) | instid1(VALU_DEP_2)
	v_fma_f64 v[16:17], v[1:2], v[12:13], -v[16:17]
	v_fma_f64 v[12:13], v[3:4], v[12:13], v[14:15]
	s_waitcnt vmcnt(0)
	s_delay_alu instid0(VALU_DEP_2) | instskip(NEXT) | instid1(VALU_DEP_2)
	v_add_f64 v[8:9], v[8:9], -v[16:17]
	v_add_f64 v[10:11], v[10:11], -v[12:13]
	scratch_store_b128 off, v[8:11], s26 offset:-8
	s_add_i32 s26, s26, 16
	s_cmp_eq_u32 s29, 0
	s_cbranch_scc0 .LBB234_33
; %bb.34:                               ;   in Loop: Header=BB234_32 Depth=3
	s_add_i32 s24, s24, 1
	s_add_i32 s25, s25, 16
	s_cmp_ge_i32 s24, s7
	s_cbranch_scc0 .LBB234_32
.LBB234_35:                             ;   in Loop: Header=BB234_28 Depth=2
	s_set_inst_prefetch_distance 0x2
	s_lshl_b32 s24, s7, 5
	s_mov_b32 s25, 0
	s_mov_b32 s26, s22
	s_branch .LBB234_37
.LBB234_36:                             ;   in Loop: Header=BB234_37 Depth=3
	s_mulk_i32 s29, 0x210
	s_addk_i32 s26, 0x200
	v_mov_b32_e32 v8, s29
	s_lshl_b32 s29, s25, 4
	s_add_i32 s25, s25, 1
	ds_load_b128 v[8:11], v8
	s_waitcnt vmcnt(0) lgkmcnt(0)
	v_mul_f64 v[12:13], v[10:11], v[3:4]
	v_mul_f64 v[3:4], v[8:9], v[3:4]
	s_delay_alu instid0(VALU_DEP_2) | instskip(NEXT) | instid1(VALU_DEP_2)
	v_fma_f64 v[8:9], v[8:9], v[1:2], -v[12:13]
	v_fma_f64 v[10:11], v[10:11], v[1:2], v[3:4]
	v_add_lshl_u32 v1, s27, v0, 4
	s_add_i32 s27, s29, 0
	s_cmp_eq_u32 s25, s11
	scratch_store_b128 off, v[8:11], s27
	ds_store_b128 v1, v[8:11] offset:16384
	s_cbranch_scc1 .LBB234_27
.LBB234_37:                             ;   Parent Loop BB234_25 Depth=1
                                        ;     Parent Loop BB234_28 Depth=2
                                        ; =>    This Loop Header: Depth=3
                                        ;         Child Loop BB234_39 Depth 4
	s_cmp_lg_u32 s25, 0
	s_cbranch_scc0 .LBB234_41
; %bb.38:                               ;   in Loop: Header=BB234_37 Depth=3
	s_lshl_b32 s30, s25, 4
	s_add_i32 s29, s25, s7
	s_add_i32 s27, s30, 0
	v_add_nc_u32_e64 v8, s30, 0
	scratch_load_b128 v[1:4], off, s27
	s_lshl_b32 s27, s29, 5
	s_mov_b32 s30, 0
	s_mov_b32 s31, s26
	;; [unrolled: 1-line block ×3, first 2 shown]
	.p2align	6
.LBB234_39:                             ;   Parent Loop BB234_25 Depth=1
                                        ;     Parent Loop BB234_28 Depth=2
                                        ;       Parent Loop BB234_37 Depth=3
                                        ; =>      This Inner Loop Header: Depth=4
	scratch_load_b128 v[9:12], off, s33 offset:-8
	v_mov_b32_e32 v13, s31
	s_add_i32 s30, s30, 1
	s_add_i32 s33, s33, 16
	;; [unrolled: 1-line block ×3, first 2 shown]
	s_cmp_ge_u32 s30, s25
	ds_load_b128 v[13:16], v13
	s_waitcnt vmcnt(0) lgkmcnt(0)
	v_mul_f64 v[17:18], v[15:16], v[11:12]
	v_mul_f64 v[11:12], v[13:14], v[11:12]
	s_delay_alu instid0(VALU_DEP_2) | instskip(NEXT) | instid1(VALU_DEP_2)
	v_fma_f64 v[13:14], v[13:14], v[9:10], -v[17:18]
	v_fma_f64 v[9:10], v[15:16], v[9:10], v[11:12]
	s_delay_alu instid0(VALU_DEP_2) | instskip(NEXT) | instid1(VALU_DEP_2)
	v_add_f64 v[1:2], v[1:2], -v[13:14]
	v_add_f64 v[3:4], v[3:4], -v[9:10]
	scratch_store_b128 v8, v[1:4], off
	s_cbranch_scc0 .LBB234_39
; %bb.40:                               ;   in Loop: Header=BB234_37 Depth=3
	s_branch .LBB234_36
.LBB234_41:                             ;   in Loop: Header=BB234_37 Depth=3
                                        ; implicit-def: $vgpr1_vgpr2
                                        ; implicit-def: $sgpr29
                                        ; implicit-def: $sgpr27
	s_cbranch_execz .LBB234_36
; %bb.42:                               ;   in Loop: Header=BB234_37 Depth=3
	scratch_load_b128 v[1:4], off, off
	s_mov_b32 s27, s24
	s_mov_b32 s29, s7
	s_branch .LBB234_36
.LBB234_43:
	s_mov_b32 s4, 0
.LBB234_44:
	s_delay_alu instid0(SALU_CYCLE_1)
	s_and_b32 vcc_lo, exec_lo, s4
	s_cbranch_vccz .LBB234_64
; %bb.45:
	v_lshl_or_b32 v5, v0, 4, 0x4000
	v_lshlrev_b32_e32 v6, 4, v0
	s_lshl_b32 s7, s15, 9
	s_mov_b32 s5, 0
	s_addk_i32 s7, 0xfe00
	s_mov_b32 s4, s5
	s_mov_b32 s8, s28
	s_branch .LBB234_47
.LBB234_46:                             ;   in Loop: Header=BB234_47 Depth=1
	s_cmp_lt_i32 s8, 0
	s_cselect_b32 s9, -1, 0
	s_add_i32 s4, s4, 1
	s_delay_alu instid0(SALU_CYCLE_1) | instskip(SKIP_1) | instid1(SALU_CYCLE_1)
	s_cmp_eq_u32 s4, 3
	s_cselect_b32 s10, -1, 0
	s_or_b32 s9, s9, s10
	s_delay_alu instid0(SALU_CYCLE_1)
	s_and_b32 vcc_lo, exec_lo, s9
	s_cbranch_vccnz .LBB234_64
.LBB234_47:                             ; =>This Loop Header: Depth=1
                                        ;     Child Loop BB234_50 Depth 2
                                        ;       Child Loop BB234_51 Depth 3
                                        ;       Child Loop BB234_53 Depth 3
                                        ;         Child Loop BB234_54 Depth 4
                                        ;       Child Loop BB234_58 Depth 3
                                        ;         Child Loop BB234_60 Depth 4
	s_getpc_b64 s[10:11]
	s_add_u32 s10, s10, __const._ZL38rocblas_trsm_small_left_device_sharedBILi32ELi32ELb0E19rocblas_complex_numIdES1_PKPKS1_PKPS1_Ev13rocblas_fill_18rocblas_operation_17rocblas_diagonal_iiT3_T4_lilT5_lili.step_sizes@rel32@lo+4
	s_addc_u32 s11, s11, __const._ZL38rocblas_trsm_small_left_device_sharedBILi32ELi32ELb0E19rocblas_complex_numIdES1_PKPKS1_PKPS1_Ev13rocblas_fill_18rocblas_operation_17rocblas_diagonal_iiT3_T4_lilT5_lili.step_sizes@rel32@hi+12
	s_lshl_b64 s[22:23], s[4:5], 2
	s_delay_alu instid0(SALU_CYCLE_1) | instskip(SKIP_4) | instid1(SALU_CYCLE_1)
	s_add_u32 s10, s22, s10
	s_addc_u32 s11, s23, s11
	s_load_b32 s9, s[10:11], 0x0
	s_waitcnt lgkmcnt(0)
	s_add_i32 s10, s9, -1
	s_cmp_lt_i32 s8, s10
	s_cbranch_scc1 .LBB234_46
; %bb.48:                               ;   in Loop: Header=BB234_47 Depth=1
	v_lshl_add_u32 v7, s8, 9, v5
	s_lshl_b32 s16, s9, 9
	s_lshl_b32 s22, s8, 4
	;; [unrolled: 1-line block ×3, first 2 shown]
	s_max_i32 s11, s9, 1
	s_sub_i32 s16, 0, s16
	s_add_i32 s22, s7, s22
	s_sub_i32 s23, 0, s23
	s_mul_i32 s24, s8, 0x210
	s_mul_i32 s25, s9, 0xfffffdf0
	s_branch .LBB234_50
.LBB234_49:                             ;   in Loop: Header=BB234_50 Depth=2
	v_add_nc_u32_e32 v7, s16, v7
	s_sub_i32 s8, s8, s9
	s_add_i32 s22, s22, s23
	s_add_i32 s24, s24, s25
	s_cmp_lt_i32 s8, s10
	s_cbranch_scc1 .LBB234_46
.LBB234_50:                             ;   Parent Loop BB234_47 Depth=1
                                        ; =>  This Loop Header: Depth=2
                                        ;       Child Loop BB234_51 Depth 3
                                        ;       Child Loop BB234_53 Depth 3
                                        ;         Child Loop BB234_54 Depth 4
                                        ;       Child Loop BB234_58 Depth 3
                                        ;         Child Loop BB234_60 Depth 4
	v_dual_mov_b32 v1, 0 :: v_dual_mov_b32 v2, v7
	s_mov_b32 s26, s11
.LBB234_51:                             ;   Parent Loop BB234_47 Depth=1
                                        ;     Parent Loop BB234_50 Depth=2
                                        ; =>    This Inner Loop Header: Depth=3
	ds_load_b128 v[8:11], v2
	v_add_nc_u32_e32 v2, 0xfffffe00, v2
	s_add_i32 s26, s26, -1
	s_delay_alu instid0(SALU_CYCLE_1)
	s_cmp_eq_u32 s26, 0
	s_waitcnt lgkmcnt(0)
	scratch_store_b128 v1, v[8:11], off
	v_add_nc_u32_e32 v1, 16, v1
	s_cbranch_scc0 .LBB234_51
; %bb.52:                               ;   in Loop: Header=BB234_50 Depth=2
	s_cmp_le_i32 s28, s8
	s_mov_b32 s26, s22
	s_mov_b32 s27, s28
	s_cbranch_scc1 .LBB234_56
	.p2align	6
.LBB234_53:                             ;   Parent Loop BB234_47 Depth=1
                                        ;     Parent Loop BB234_50 Depth=2
                                        ; =>    This Loop Header: Depth=3
                                        ;         Child Loop BB234_54 Depth 4
	v_lshl_or_b32 v1, s27, 9, v6
	s_mov_b32 s29, s6
	s_mov_b32 s30, s11
	;; [unrolled: 1-line block ×3, first 2 shown]
	ds_load_b128 v[1:4], v1 offset:16384
	.p2align	6
.LBB234_54:                             ;   Parent Loop BB234_47 Depth=1
                                        ;     Parent Loop BB234_50 Depth=2
                                        ;       Parent Loop BB234_53 Depth=3
                                        ; =>      This Inner Loop Header: Depth=4
	scratch_load_b128 v[8:11], off, s29 offset:-8
	v_mov_b32_e32 v12, s31
	s_add_i32 s30, s30, -1
	s_add_i32 s31, s31, -16
	ds_load_b128 v[12:15], v12
	s_waitcnt lgkmcnt(0)
	v_mul_f64 v[16:17], v[3:4], v[14:15]
	v_mul_f64 v[14:15], v[1:2], v[14:15]
	s_delay_alu instid0(VALU_DEP_2) | instskip(NEXT) | instid1(VALU_DEP_2)
	v_fma_f64 v[16:17], v[1:2], v[12:13], -v[16:17]
	v_fma_f64 v[12:13], v[3:4], v[12:13], v[14:15]
	s_waitcnt vmcnt(0)
	s_delay_alu instid0(VALU_DEP_2) | instskip(NEXT) | instid1(VALU_DEP_2)
	v_add_f64 v[8:9], v[8:9], -v[16:17]
	v_add_f64 v[10:11], v[10:11], -v[12:13]
	scratch_store_b128 off, v[8:11], s29 offset:-8
	s_add_i32 s29, s29, 16
	s_cmp_eq_u32 s30, 0
	s_cbranch_scc0 .LBB234_54
; %bb.55:                               ;   in Loop: Header=BB234_53 Depth=3
	s_add_i32 s27, s27, -1
	s_addk_i32 s26, 0xfe00
	s_cmp_le_i32 s27, s8
	s_cbranch_scc0 .LBB234_53
.LBB234_56:                             ;   in Loop: Header=BB234_50 Depth=2
	s_mov_b32 s26, 0
	s_mov_b32 s27, s24
	s_branch .LBB234_58
.LBB234_57:                             ;   in Loop: Header=BB234_58 Depth=3
	s_mul_i32 s30, s29, 0x210
	s_add_i32 s27, s27, -16
	v_mov_b32_e32 v8, s30
	s_lshl_b32 s30, s26, 4
	s_add_i32 s26, s26, 1
	ds_load_b128 v[8:11], v8
	s_waitcnt vmcnt(0) lgkmcnt(0)
	v_mul_f64 v[12:13], v[10:11], v[3:4]
	v_mul_f64 v[3:4], v[8:9], v[3:4]
	s_delay_alu instid0(VALU_DEP_2) | instskip(NEXT) | instid1(VALU_DEP_2)
	v_fma_f64 v[8:9], v[8:9], v[1:2], -v[12:13]
	v_fma_f64 v[10:11], v[10:11], v[1:2], v[3:4]
	v_lshl_or_b32 v1, s29, 9, v6
	s_add_i32 s29, s30, 0
	s_cmp_eq_u32 s26, s11
	scratch_store_b128 off, v[8:11], s29
	ds_store_b128 v1, v[8:11] offset:16384
	s_cbranch_scc1 .LBB234_49
.LBB234_58:                             ;   Parent Loop BB234_47 Depth=1
                                        ;     Parent Loop BB234_50 Depth=2
                                        ; =>    This Loop Header: Depth=3
                                        ;         Child Loop BB234_60 Depth 4
	s_cmp_lg_u32 s26, 0
	s_cbranch_scc0 .LBB234_62
; %bb.59:                               ;   in Loop: Header=BB234_58 Depth=3
	s_lshl_b32 s30, s26, 4
	s_mov_b32 s31, s6
	s_add_i32 s29, s30, 0
	v_add_nc_u32_e64 v8, s30, 0
	scratch_load_b128 v[1:4], off, s29
	s_sub_i32 s29, s8, s26
	s_mov_b32 s30, 0
	s_mov_b32 s33, s27
	.p2align	6
.LBB234_60:                             ;   Parent Loop BB234_47 Depth=1
                                        ;     Parent Loop BB234_50 Depth=2
                                        ;       Parent Loop BB234_58 Depth=3
                                        ; =>      This Inner Loop Header: Depth=4
	scratch_load_b128 v[9:12], off, s31 offset:-8
	v_mov_b32_e32 v13, s33
	s_add_i32 s30, s30, 1
	s_addk_i32 s33, 0xfe00
	s_add_i32 s31, s31, 16
	s_cmp_ge_u32 s30, s26
	ds_load_b128 v[13:16], v13
	s_waitcnt vmcnt(0) lgkmcnt(0)
	v_mul_f64 v[17:18], v[15:16], v[11:12]
	v_mul_f64 v[11:12], v[13:14], v[11:12]
	s_delay_alu instid0(VALU_DEP_2) | instskip(NEXT) | instid1(VALU_DEP_2)
	v_fma_f64 v[13:14], v[13:14], v[9:10], -v[17:18]
	v_fma_f64 v[9:10], v[15:16], v[9:10], v[11:12]
	s_delay_alu instid0(VALU_DEP_2) | instskip(NEXT) | instid1(VALU_DEP_2)
	v_add_f64 v[1:2], v[1:2], -v[13:14]
	v_add_f64 v[3:4], v[3:4], -v[9:10]
	scratch_store_b128 v8, v[1:4], off
	s_cbranch_scc0 .LBB234_60
; %bb.61:                               ;   in Loop: Header=BB234_58 Depth=3
	s_branch .LBB234_57
.LBB234_62:                             ;   in Loop: Header=BB234_58 Depth=3
                                        ; implicit-def: $vgpr1_vgpr2
                                        ; implicit-def: $sgpr29
	s_cbranch_execz .LBB234_57
; %bb.63:                               ;   in Loop: Header=BB234_58 Depth=3
	scratch_load_b128 v[1:4], off, off
	s_mov_b32 s29, s8
	s_branch .LBB234_57
.LBB234_64:
	s_waitcnt vmcnt(0) lgkmcnt(0)
	s_waitcnt_vscnt null, 0x0
	; wave barrier
	s_waitcnt lgkmcnt(0)
	s_waitcnt_vscnt null, 0x0
	buffer_gl0_inv
	s_and_saveexec_b32 s4, s21
	s_cbranch_execz .LBB234_71
; %bb.65:
	s_cmp_lt_i32 s18, 8
	s_mov_b32 s4, 0
	s_cbranch_scc1 .LBB234_68
; %bb.66:
	v_mad_i64_i32 v[1:2], null, s17, v0, 0
	v_lshl_or_b32 v3, v0, 4, 0x4000
	s_lshl_b32 s4, s15, 4
	s_mov_b64 s[6:7], 0
	s_and_b32 s5, s4, 0x380
	s_mov_b32 s4, 0
	s_delay_alu instid0(VALU_DEP_2) | instskip(NEXT) | instid1(VALU_DEP_1)
	v_lshlrev_b64 v[1:2], 4, v[1:2]
	v_add_co_u32 v1, vcc_lo, s14, v1
	s_delay_alu instid0(VALU_DEP_2)
	v_add_co_ci_u32_e32 v2, vcc_lo, s19, v2, vcc_lo
.LBB234_67:                             ; =>This Inner Loop Header: Depth=1
	v_add_nc_u32_e32 v20, 0x800, v3
	v_add_nc_u32_e32 v24, 0xa00, v3
	;; [unrolled: 1-line block ×4, first 2 shown]
	ds_load_2addr_b64 v[4:7], v3 offset1:1
	ds_load_2addr_b64 v[8:11], v3 offset0:64 offset1:65
	ds_load_2addr_b64 v[12:15], v3 offset0:128 offset1:129
	;; [unrolled: 1-line block ×3, first 2 shown]
	ds_load_2addr_b64 v[20:23], v20 offset1:1
	ds_load_2addr_b64 v[24:27], v24 offset1:1
	;; [unrolled: 1-line block ×4, first 2 shown]
	v_add_co_u32 v36, vcc_lo, v1, s6
	v_add_co_ci_u32_e32 v37, vcc_lo, s7, v2, vcc_lo
	s_add_i32 s4, s4, 8
	v_add_nc_u32_e32 v3, 0x1000, v3
	s_add_u32 s6, s6, 0x80
	s_addc_u32 s7, s7, 0
	s_cmp_lg_u32 s5, s6
	s_waitcnt lgkmcnt(7)
	global_store_b128 v[36:37], v[4:7], off
	s_waitcnt lgkmcnt(6)
	global_store_b128 v[36:37], v[8:11], off offset:16
	s_waitcnt lgkmcnt(5)
	global_store_b128 v[36:37], v[12:15], off offset:32
	;; [unrolled: 2-line block ×7, first 2 shown]
	s_cbranch_scc1 .LBB234_67
.LBB234_68:
	s_and_b32 s6, s15, 7
	s_mov_b32 s5, 0
	s_cmp_eq_u32 s6, 0
	s_cbranch_scc1 .LBB234_71
; %bb.69:
	v_lshlrev_b32_e32 v2, 4, v0
	s_lshl_b64 s[2:3], s[2:3], 4
	s_lshl_b64 s[8:9], s[4:5], 4
	s_delay_alu instid0(VALU_DEP_1) | instskip(NEXT) | instid1(VALU_DEP_1)
	v_add_co_u32 v3, s2, s2, v2
	v_add_co_ci_u32_e64 v4, null, s3, 0, s2
	s_add_u32 s2, s12, s8
	s_addc_u32 s3, s13, s9
	s_add_u32 s0, s2, s0
	s_addc_u32 s1, s3, s1
	v_mul_lo_u32 v4, v4, s17
	v_mad_u64_u32 v[0:1], null, v3, s17, s[0:1]
	v_mul_lo_u32 v3, v3, s20
	v_lshl_or_b32 v2, s4, 9, v2
	s_delay_alu instid0(VALU_DEP_1) | instskip(NEXT) | instid1(VALU_DEP_3)
	v_add_nc_u32_e32 v2, 0x4000, v2
	v_add3_u32 v1, v4, v1, v3
.LBB234_70:                             ; =>This Inner Loop Header: Depth=1
	ds_load_2addr_b64 v[3:6], v2 offset1:1
	v_add_nc_u32_e32 v2, 0x200, v2
	s_add_i32 s6, s6, -1
	s_delay_alu instid0(SALU_CYCLE_1)
	s_cmp_lg_u32 s6, 0
	s_waitcnt lgkmcnt(0)
	global_store_b128 v[0:1], v[3:6], off
	v_add_co_u32 v0, vcc_lo, v0, 16
	v_add_co_ci_u32_e32 v1, vcc_lo, 0, v1, vcc_lo
	s_cbranch_scc1 .LBB234_70
.LBB234_71:
	s_nop 0
	s_sendmsg sendmsg(MSG_DEALLOC_VGPRS)
	s_endpgm
	.section	.rodata,"a",@progbits
	.p2align	6, 0x0
	.amdhsa_kernel _ZL38rocblas_trsm_small_left_device_sharedBILi32ELi32ELb0E19rocblas_complex_numIdES1_PKPKS1_PKPS1_Ev13rocblas_fill_18rocblas_operation_17rocblas_diagonal_iiT3_T4_lilT5_lili
		.amdhsa_group_segment_fixed_size 32768
		.amdhsa_private_segment_fixed_size 528
		.amdhsa_kernarg_size 368
		.amdhsa_user_sgpr_count 14
		.amdhsa_user_sgpr_dispatch_ptr 0
		.amdhsa_user_sgpr_queue_ptr 0
		.amdhsa_user_sgpr_kernarg_segment_ptr 1
		.amdhsa_user_sgpr_dispatch_id 0
		.amdhsa_user_sgpr_private_segment_size 0
		.amdhsa_wavefront_size32 1
		.amdhsa_uses_dynamic_stack 0
		.amdhsa_enable_private_segment 1
		.amdhsa_system_sgpr_workgroup_id_x 1
		.amdhsa_system_sgpr_workgroup_id_y 0
		.amdhsa_system_sgpr_workgroup_id_z 1
		.amdhsa_system_sgpr_workgroup_info 0
		.amdhsa_system_vgpr_workitem_id 0
		.amdhsa_next_free_vgpr 54
		.amdhsa_next_free_sgpr 34
		.amdhsa_reserve_vcc 1
		.amdhsa_float_round_mode_32 0
		.amdhsa_float_round_mode_16_64 0
		.amdhsa_float_denorm_mode_32 3
		.amdhsa_float_denorm_mode_16_64 3
		.amdhsa_dx10_clamp 1
		.amdhsa_ieee_mode 1
		.amdhsa_fp16_overflow 0
		.amdhsa_workgroup_processor_mode 1
		.amdhsa_memory_ordered 1
		.amdhsa_forward_progress 0
		.amdhsa_shared_vgpr_count 0
		.amdhsa_exception_fp_ieee_invalid_op 0
		.amdhsa_exception_fp_denorm_src 0
		.amdhsa_exception_fp_ieee_div_zero 0
		.amdhsa_exception_fp_ieee_overflow 0
		.amdhsa_exception_fp_ieee_underflow 0
		.amdhsa_exception_fp_ieee_inexact 0
		.amdhsa_exception_int_div_zero 0
	.end_amdhsa_kernel
	.section	.text._ZL38rocblas_trsm_small_left_device_sharedBILi32ELi32ELb0E19rocblas_complex_numIdES1_PKPKS1_PKPS1_Ev13rocblas_fill_18rocblas_operation_17rocblas_diagonal_iiT3_T4_lilT5_lili,"axG",@progbits,_ZL38rocblas_trsm_small_left_device_sharedBILi32ELi32ELb0E19rocblas_complex_numIdES1_PKPKS1_PKPS1_Ev13rocblas_fill_18rocblas_operation_17rocblas_diagonal_iiT3_T4_lilT5_lili,comdat
.Lfunc_end234:
	.size	_ZL38rocblas_trsm_small_left_device_sharedBILi32ELi32ELb0E19rocblas_complex_numIdES1_PKPKS1_PKPS1_Ev13rocblas_fill_18rocblas_operation_17rocblas_diagonal_iiT3_T4_lilT5_lili, .Lfunc_end234-_ZL38rocblas_trsm_small_left_device_sharedBILi32ELi32ELb0E19rocblas_complex_numIdES1_PKPKS1_PKPS1_Ev13rocblas_fill_18rocblas_operation_17rocblas_diagonal_iiT3_T4_lilT5_lili
                                        ; -- End function
	.section	.AMDGPU.csdata,"",@progbits
; Kernel info:
; codeLenInByte = 4276
; NumSgprs: 36
; NumVgprs: 54
; ScratchSize: 528
; MemoryBound: 0
; FloatMode: 240
; IeeeMode: 1
; LDSByteSize: 32768 bytes/workgroup (compile time only)
; SGPRBlocks: 4
; VGPRBlocks: 6
; NumSGPRsForWavesPerEU: 36
; NumVGPRsForWavesPerEU: 54
; Occupancy: 1
; WaveLimiterHint : 1
; COMPUTE_PGM_RSRC2:SCRATCH_EN: 1
; COMPUTE_PGM_RSRC2:USER_SGPR: 14
; COMPUTE_PGM_RSRC2:TRAP_HANDLER: 0
; COMPUTE_PGM_RSRC2:TGID_X_EN: 1
; COMPUTE_PGM_RSRC2:TGID_Y_EN: 0
; COMPUTE_PGM_RSRC2:TGID_Z_EN: 1
; COMPUTE_PGM_RSRC2:TIDIG_COMP_CNT: 0
	.section	.text._ZL30rocblas_trsm_small_left_deviceILi32ELi32ELb0E19rocblas_complex_numIdES1_PKPKS1_PKPS1_Ev13rocblas_fill_18rocblas_operation_17rocblas_diagonal_iiT3_T4_lilT5_lili,"axG",@progbits,_ZL30rocblas_trsm_small_left_deviceILi32ELi32ELb0E19rocblas_complex_numIdES1_PKPKS1_PKPS1_Ev13rocblas_fill_18rocblas_operation_17rocblas_diagonal_iiT3_T4_lilT5_lili,comdat
	.globl	_ZL30rocblas_trsm_small_left_deviceILi32ELi32ELb0E19rocblas_complex_numIdES1_PKPKS1_PKPS1_Ev13rocblas_fill_18rocblas_operation_17rocblas_diagonal_iiT3_T4_lilT5_lili ; -- Begin function _ZL30rocblas_trsm_small_left_deviceILi32ELi32ELb0E19rocblas_complex_numIdES1_PKPKS1_PKPS1_Ev13rocblas_fill_18rocblas_operation_17rocblas_diagonal_iiT3_T4_lilT5_lili
	.p2align	8
	.type	_ZL30rocblas_trsm_small_left_deviceILi32ELi32ELb0E19rocblas_complex_numIdES1_PKPKS1_PKPS1_Ev13rocblas_fill_18rocblas_operation_17rocblas_diagonal_iiT3_T4_lilT5_lili,@function
_ZL30rocblas_trsm_small_left_deviceILi32ELi32ELb0E19rocblas_complex_numIdES1_PKPKS1_PKPS1_Ev13rocblas_fill_18rocblas_operation_17rocblas_diagonal_iiT3_T4_lilT5_lili: ; @_ZL30rocblas_trsm_small_left_deviceILi32ELi32ELb0E19rocblas_complex_numIdES1_PKPKS1_PKPS1_Ev13rocblas_fill_18rocblas_operation_17rocblas_diagonal_iiT3_T4_lilT5_lili
; %bb.0:
	s_clause 0x1
	s_load_b128 s[20:23], s[0:1], 0x48
	s_load_b128 s[16:19], s[0:1], 0x4
	s_mov_b32 s2, s15
	s_mov_b32 s3, 0
	s_load_b32 s15, s[0:1], 0x70
	s_lshl_b64 s[24:25], s[2:3], 3
	s_waitcnt lgkmcnt(0)
	s_add_u32 s12, s20, s24
	s_addc_u32 s13, s21, s25
	s_load_b256 s[4:11], s[0:1], 0x18
	s_load_b64 s[12:13], s[12:13], 0x0
	s_min_i32 s29, s18, 32
	s_mov_b32 s18, exec_lo
	s_add_i32 s28, s29, -1
	v_cmpx_gt_i32_e64 s29, v0
	s_cbranch_execz .LBB235_15
; %bb.1:
	s_load_b32 s20, s[0:1], 0x38
	v_lshlrev_b32_e32 v3, 4, v0
	s_waitcnt lgkmcnt(0)
	s_ashr_i32 s21, s20, 31
	s_cmpk_eq_i32 s16, 0x71
	s_cselect_b32 vcc_lo, -1, 0
	s_add_u32 s8, s8, s24
	s_addc_u32 s9, s9, s25
	s_cmp_lt_u32 s28, 3
	s_load_b64 s[8:9], s[8:9], 0x0
	s_cbranch_scc1 .LBB235_4
; %bb.2:
	v_dual_mov_b32 v4, v3 :: v_dual_lshlrev_b32 v1, 4, v0
	s_lshl_b64 s[24:25], s[10:11], 4
	s_and_b32 s3, s29, -4
	s_waitcnt lgkmcnt(0)
	s_add_u32 s2, s8, s24
	s_addc_u32 s24, s9, s25
	v_add_co_u32 v1, s2, s2, v1
	s_delay_alu instid0(VALU_DEP_1) | instskip(SKIP_1) | instid1(VALU_DEP_2)
	v_add_co_ci_u32_e64 v2, null, s24, 0, s2
	s_lshl_b64 s[24:25], s[20:21], 6
	v_add_co_u32 v1, s2, v1, 8
	s_delay_alu instid0(VALU_DEP_1)
	v_add_co_ci_u32_e64 v2, s2, 0, v2, s2
	s_lshl_b64 s[26:27], s[20:21], 4
	s_mov_b32 s30, 0
.LBB235_3:                              ; =>This Inner Loop Header: Depth=1
	s_delay_alu instid0(VALU_DEP_2) | instskip(NEXT) | instid1(VALU_DEP_1)
	v_add_co_u32 v9, s2, v1, s26
	v_add_co_ci_u32_e64 v10, s2, s27, v2, s2
	s_add_i32 s30, s30, 4
	s_delay_alu instid0(VALU_DEP_2) | instskip(NEXT) | instid1(VALU_DEP_1)
	v_add_co_u32 v13, s2, v9, s26
	v_add_co_ci_u32_e64 v14, s2, s27, v10, s2
	s_cmp_eq_u32 s3, s30
	s_delay_alu instid0(VALU_DEP_2) | instskip(NEXT) | instid1(VALU_DEP_1)
	v_add_co_u32 v17, s2, v13, s26
	v_add_co_ci_u32_e64 v18, s2, s27, v14, s2
	s_clause 0x3
	global_load_b128 v[5:8], v[1:2], off offset:-8
	global_load_b128 v[9:12], v[9:10], off offset:-8
	;; [unrolled: 1-line block ×4, first 2 shown]
	v_add_co_u32 v1, s2, v1, s24
	s_delay_alu instid0(VALU_DEP_1)
	v_add_co_ci_u32_e64 v2, s2, s25, v2, s2
	s_waitcnt vmcnt(3)
	v_xor_b32_e32 v21, 0x80000000, v8
	s_waitcnt vmcnt(2)
	v_xor_b32_e32 v22, 0x80000000, v12
	;; [unrolled: 2-line block ×4, first 2 shown]
	v_cndmask_b32_e32 v8, v8, v21, vcc_lo
	v_cndmask_b32_e32 v12, v12, v22, vcc_lo
	v_cndmask_b32_e32 v16, v16, v23, vcc_lo
	s_delay_alu instid0(VALU_DEP_4)
	v_cndmask_b32_e32 v20, v20, v24, vcc_lo
	ds_store_b128 v4, v[5:8]
	ds_store_b128 v4, v[9:12] offset:512
	ds_store_b128 v4, v[13:16] offset:1024
	;; [unrolled: 1-line block ×3, first 2 shown]
	v_add_nc_u32_e32 v4, 0x800, v4
	s_cbranch_scc0 .LBB235_3
.LBB235_4:
	s_and_b32 s24, s29, 3
	s_delay_alu instid0(SALU_CYCLE_1)
	s_cmp_eq_u32 s24, 0
	s_cbranch_scc1 .LBB235_7
; %bb.5:
	s_mul_i32 s2, s21, s3
	s_mul_hi_u32 s25, s20, s3
	s_mul_i32 s26, s20, s3
	s_add_i32 s27, s25, s2
	s_lshl_b64 s[10:11], s[10:11], 4
	s_lshl_b64 s[26:27], s[26:27], 4
	s_delay_alu instid0(SALU_CYCLE_1)
	s_add_u32 s2, s26, s10
	s_addc_u32 s10, s27, s11
	s_waitcnt lgkmcnt(0)
	s_add_u32 s2, s8, s2
	s_addc_u32 s8, s9, s10
	v_add_co_u32 v1, s2, s2, v3
	s_delay_alu instid0(VALU_DEP_1) | instskip(SKIP_1) | instid1(VALU_DEP_3)
	v_add_co_ci_u32_e64 v2, null, s8, 0, s2
	v_lshl_or_b32 v3, s3, 9, v3
	v_add_co_u32 v1, s2, v1, 8
	s_delay_alu instid0(VALU_DEP_1)
	v_add_co_ci_u32_e64 v2, s2, 0, v2, s2
	s_lshl_b64 s[8:9], s[20:21], 4
.LBB235_6:                              ; =>This Inner Loop Header: Depth=1
	global_load_b128 v[4:7], v[1:2], off offset:-8
	v_add_co_u32 v1, s2, v1, s8
	s_delay_alu instid0(VALU_DEP_1) | instskip(SKIP_1) | instid1(SALU_CYCLE_1)
	v_add_co_ci_u32_e64 v2, s2, s9, v2, s2
	s_add_i32 s24, s24, -1
	s_cmp_lg_u32 s24, 0
	s_waitcnt vmcnt(0)
	v_xor_b32_e32 v8, 0x80000000, v7
	s_delay_alu instid0(VALU_DEP_1)
	v_cndmask_b32_e32 v7, v7, v8, vcc_lo
	ds_store_b128 v3, v[4:7]
	v_add_nc_u32_e32 v3, 0x200, v3
	s_cbranch_scc1 .LBB235_6
.LBB235_7:
	v_mul_u32_u24_e32 v1, 33, v0
	s_cmpk_lg_i32 s17, 0x84
	s_delay_alu instid0(VALU_DEP_1)
	v_lshlrev_b32_e32 v9, 4, v1
	s_cbranch_scc0 .LBB235_13
; %bb.8:
	ds_load_b128 v[1:4], v9
	s_waitcnt lgkmcnt(0)
	v_cmp_gt_f64_e32 vcc_lo, 0, v[1:2]
	v_xor_b32_e32 v6, 0x80000000, v2
	v_mov_b32_e32 v5, v1
	v_xor_b32_e32 v7, 0x80000000, v4
	s_delay_alu instid0(VALU_DEP_3) | instskip(SKIP_1) | instid1(VALU_DEP_3)
	v_cndmask_b32_e32 v6, v2, v6, vcc_lo
	v_cmp_gt_f64_e32 vcc_lo, 0, v[3:4]
	v_dual_cndmask_b32 v8, v4, v7 :: v_dual_mov_b32 v7, v3
	s_delay_alu instid0(VALU_DEP_1) | instskip(SKIP_1) | instid1(SALU_CYCLE_1)
	v_cmp_ngt_f64_e32 vcc_lo, v[5:6], v[7:8]
                                        ; implicit-def: $vgpr7_vgpr8
	s_and_saveexec_b32 s2, vcc_lo
	s_xor_b32 s2, exec_lo, s2
	s_cbranch_execz .LBB235_10
; %bb.9:
	v_div_scale_f64 v[5:6], null, v[3:4], v[3:4], v[1:2]
	v_div_scale_f64 v[12:13], vcc_lo, v[1:2], v[3:4], v[1:2]
	s_delay_alu instid0(VALU_DEP_2) | instskip(SKIP_2) | instid1(VALU_DEP_1)
	v_rcp_f64_e32 v[7:8], v[5:6]
	s_waitcnt_depctr 0xfff
	v_fma_f64 v[10:11], -v[5:6], v[7:8], 1.0
	v_fma_f64 v[7:8], v[7:8], v[10:11], v[7:8]
	s_delay_alu instid0(VALU_DEP_1) | instskip(NEXT) | instid1(VALU_DEP_1)
	v_fma_f64 v[10:11], -v[5:6], v[7:8], 1.0
	v_fma_f64 v[7:8], v[7:8], v[10:11], v[7:8]
	s_delay_alu instid0(VALU_DEP_1) | instskip(NEXT) | instid1(VALU_DEP_1)
	v_mul_f64 v[10:11], v[12:13], v[7:8]
	v_fma_f64 v[5:6], -v[5:6], v[10:11], v[12:13]
	s_delay_alu instid0(VALU_DEP_1) | instskip(NEXT) | instid1(VALU_DEP_1)
	v_div_fmas_f64 v[5:6], v[5:6], v[7:8], v[10:11]
	v_div_fixup_f64 v[5:6], v[5:6], v[3:4], v[1:2]
	s_delay_alu instid0(VALU_DEP_1) | instskip(NEXT) | instid1(VALU_DEP_1)
	v_fma_f64 v[1:2], v[1:2], v[5:6], v[3:4]
	v_div_scale_f64 v[3:4], null, v[1:2], v[1:2], 1.0
	v_div_scale_f64 v[12:13], vcc_lo, 1.0, v[1:2], 1.0
	s_delay_alu instid0(VALU_DEP_2) | instskip(SKIP_2) | instid1(VALU_DEP_1)
	v_rcp_f64_e32 v[7:8], v[3:4]
	s_waitcnt_depctr 0xfff
	v_fma_f64 v[10:11], -v[3:4], v[7:8], 1.0
	v_fma_f64 v[7:8], v[7:8], v[10:11], v[7:8]
	s_delay_alu instid0(VALU_DEP_1) | instskip(NEXT) | instid1(VALU_DEP_1)
	v_fma_f64 v[10:11], -v[3:4], v[7:8], 1.0
	v_fma_f64 v[7:8], v[7:8], v[10:11], v[7:8]
	s_delay_alu instid0(VALU_DEP_1) | instskip(NEXT) | instid1(VALU_DEP_1)
	v_mul_f64 v[10:11], v[12:13], v[7:8]
	v_fma_f64 v[3:4], -v[3:4], v[10:11], v[12:13]
	s_delay_alu instid0(VALU_DEP_1) | instskip(SKIP_1) | instid1(VALU_DEP_2)
	v_div_fmas_f64 v[3:4], v[3:4], v[7:8], v[10:11]
	v_add_f64 v[7:8], v[5:6], 0
	v_div_fixup_f64 v[1:2], v[3:4], v[1:2], 1.0
	v_fma_f64 v[3:4], v[5:6], 0, -1.0
	s_delay_alu instid0(VALU_DEP_2) | instskip(NEXT) | instid1(VALU_DEP_2)
	v_mul_f64 v[5:6], v[7:8], v[1:2]
	v_mul_f64 v[7:8], v[3:4], v[1:2]
                                        ; implicit-def: $vgpr1_vgpr2
.LBB235_10:
	s_and_not1_saveexec_b32 s2, s2
	s_cbranch_execz .LBB235_12
; %bb.11:
	v_div_scale_f64 v[5:6], null, v[1:2], v[1:2], v[3:4]
	v_div_scale_f64 v[12:13], vcc_lo, v[3:4], v[1:2], v[3:4]
	s_delay_alu instid0(VALU_DEP_2) | instskip(SKIP_2) | instid1(VALU_DEP_1)
	v_rcp_f64_e32 v[7:8], v[5:6]
	s_waitcnt_depctr 0xfff
	v_fma_f64 v[10:11], -v[5:6], v[7:8], 1.0
	v_fma_f64 v[7:8], v[7:8], v[10:11], v[7:8]
	s_delay_alu instid0(VALU_DEP_1) | instskip(NEXT) | instid1(VALU_DEP_1)
	v_fma_f64 v[10:11], -v[5:6], v[7:8], 1.0
	v_fma_f64 v[7:8], v[7:8], v[10:11], v[7:8]
	s_delay_alu instid0(VALU_DEP_1) | instskip(NEXT) | instid1(VALU_DEP_1)
	v_mul_f64 v[10:11], v[12:13], v[7:8]
	v_fma_f64 v[5:6], -v[5:6], v[10:11], v[12:13]
	s_delay_alu instid0(VALU_DEP_1) | instskip(NEXT) | instid1(VALU_DEP_1)
	v_div_fmas_f64 v[5:6], v[5:6], v[7:8], v[10:11]
	v_div_fixup_f64 v[5:6], v[5:6], v[1:2], v[3:4]
	s_delay_alu instid0(VALU_DEP_1) | instskip(NEXT) | instid1(VALU_DEP_1)
	v_fma_f64 v[1:2], v[3:4], v[5:6], v[1:2]
	v_div_scale_f64 v[3:4], null, v[1:2], v[1:2], 1.0
	v_div_scale_f64 v[12:13], vcc_lo, 1.0, v[1:2], 1.0
	s_delay_alu instid0(VALU_DEP_2) | instskip(SKIP_2) | instid1(VALU_DEP_1)
	v_rcp_f64_e32 v[7:8], v[3:4]
	s_waitcnt_depctr 0xfff
	v_fma_f64 v[10:11], -v[3:4], v[7:8], 1.0
	v_fma_f64 v[7:8], v[7:8], v[10:11], v[7:8]
	s_delay_alu instid0(VALU_DEP_1) | instskip(NEXT) | instid1(VALU_DEP_1)
	v_fma_f64 v[10:11], -v[3:4], v[7:8], 1.0
	v_fma_f64 v[7:8], v[7:8], v[10:11], v[7:8]
	s_delay_alu instid0(VALU_DEP_1) | instskip(NEXT) | instid1(VALU_DEP_1)
	v_mul_f64 v[10:11], v[12:13], v[7:8]
	v_fma_f64 v[3:4], -v[3:4], v[10:11], v[12:13]
	s_delay_alu instid0(VALU_DEP_1) | instskip(SKIP_1) | instid1(VALU_DEP_2)
	v_div_fmas_f64 v[3:4], v[3:4], v[7:8], v[10:11]
	v_fma_f64 v[7:8], v[5:6], 0, 1.0
	v_div_fixup_f64 v[1:2], v[3:4], v[1:2], 1.0
	v_add_f64 v[3:4], -v[5:6], 0
	s_delay_alu instid0(VALU_DEP_2) | instskip(NEXT) | instid1(VALU_DEP_2)
	v_mul_f64 v[5:6], v[7:8], v[1:2]
	v_mul_f64 v[7:8], v[3:4], v[1:2]
.LBB235_12:
	s_or_b32 exec_lo, exec_lo, s2
	s_branch .LBB235_14
.LBB235_13:
	v_mov_b32_e32 v5, 0
	v_dual_mov_b32 v6, 0x3ff00000 :: v_dual_mov_b32 v7, 0
	v_mov_b32_e32 v8, 0
.LBB235_14:
	ds_store_b128 v9, v[5:8]
.LBB235_15:
	s_or_b32 exec_lo, exec_lo, s18
	s_lshl_b32 s3, s14, 5
	s_add_i32 s15, s15, -1
	s_sub_i32 s2, s19, s3
	s_cmp_ge_u32 s14, s15
	s_waitcnt lgkmcnt(0)
	s_cselect_b32 s2, s2, 32
	; wave barrier
	buffer_gl0_inv
	v_cmp_gt_i32_e32 vcc_lo, s2, v0
	s_mov_b32 s2, -1
	s_and_saveexec_b32 s8, vcc_lo
	s_cbranch_execz .LBB235_58
; %bb.16:
	s_load_b32 s0, s[0:1], 0x58
	v_add_nc_u32_e32 v2, s3, v0
	s_waitcnt lgkmcnt(0)
	s_delay_alu instid0(VALU_DEP_1) | instskip(SKIP_1) | instid1(SALU_CYCLE_1)
	v_mad_i64_i32 v[0:1], null, s0, v2, 0
	s_lshl_b64 s[0:1], s[22:23], 4
	s_add_u32 s3, s12, s0
	s_addc_u32 s8, s13, s1
	s_or_b32 s20, 0, 8
	s_cmpk_eq_i32 s16, 0x6f
	s_delay_alu instid0(VALU_DEP_1) | instskip(NEXT) | instid1(VALU_DEP_1)
	v_lshlrev_b64 v[4:5], 4, v[0:1]
	v_add_co_u32 v8, vcc_lo, s3, v4
	s_delay_alu instid0(VALU_DEP_2)
	v_add_co_ci_u32_e32 v9, vcc_lo, s8, v5, vcc_lo
	s_cbranch_scc1 .LBB235_38
; %bb.17:
	s_add_u32 s2, s12, s0
	s_addc_u32 s3, s13, s1
	v_add_co_u32 v0, vcc_lo, s2, v4
	v_add_co_ci_u32_e32 v1, vcc_lo, s3, v5, vcc_lo
	s_mov_b32 s3, 0
	s_delay_alu instid0(VALU_DEP_2) | instskip(NEXT) | instid1(VALU_DEP_2)
	v_add_co_u32 v10, vcc_lo, v0, 8
	v_add_co_ci_u32_e32 v11, vcc_lo, 0, v1, vcc_lo
	s_mov_b32 s8, s3
	s_mov_b32 s10, s3
	s_branch .LBB235_19
.LBB235_18:                             ;   in Loop: Header=BB235_19 Depth=1
	s_cmp_ge_i32 s10, s29
	s_cselect_b32 s2, -1, 0
	s_add_i32 s8, s8, 1
	s_delay_alu instid0(SALU_CYCLE_1) | instskip(SKIP_1) | instid1(SALU_CYCLE_1)
	s_cmp_eq_u32 s8, 3
	s_cselect_b32 s9, -1, 0
	s_or_b32 s2, s2, s9
	s_delay_alu instid0(SALU_CYCLE_1)
	s_and_not1_b32 vcc_lo, exec_lo, s2
	s_cbranch_vccz .LBB235_37
.LBB235_19:                             ; =>This Loop Header: Depth=1
                                        ;     Child Loop BB235_22 Depth 2
                                        ;       Child Loop BB235_23 Depth 3
                                        ;       Child Loop BB235_26 Depth 3
                                        ;         Child Loop BB235_27 Depth 4
                                        ;       Child Loop BB235_31 Depth 3
                                        ;         Child Loop BB235_33 Depth 4
	s_mov_b32 s9, s3
	s_getpc_b64 s[14:15]
	s_add_u32 s14, s14, __const._ZL30rocblas_trsm_small_left_deviceILi32ELi32ELb0E19rocblas_complex_numIdES1_PKPKS1_PKPS1_Ev13rocblas_fill_18rocblas_operation_17rocblas_diagonal_iiT3_T4_lilT5_lili.step_sizes@rel32@lo+4
	s_addc_u32 s15, s15, __const._ZL30rocblas_trsm_small_left_deviceILi32ELi32ELb0E19rocblas_complex_numIdES1_PKPKS1_PKPS1_Ev13rocblas_fill_18rocblas_operation_17rocblas_diagonal_iiT3_T4_lilT5_lili.step_sizes@rel32@hi+12
	s_lshl_b64 s[16:17], s[8:9], 2
	s_delay_alu instid0(SALU_CYCLE_1) | instskip(SKIP_4) | instid1(SALU_CYCLE_1)
	s_add_u32 s14, s16, s14
	s_addc_u32 s15, s17, s15
	s_load_b32 s14, s[14:15], 0x0
	s_waitcnt lgkmcnt(0)
	s_add_i32 s9, s14, -1
	s_add_i32 s2, s9, s10
	s_delay_alu instid0(SALU_CYCLE_1)
	s_cmp_ge_i32 s2, s29
	s_cbranch_scc1 .LBB235_18
; %bb.20:                               ;   in Loop: Header=BB235_19 Depth=1
	s_ashr_i32 s11, s10, 31
	s_ashr_i32 s15, s14, 31
	s_lshl_b64 s[16:17], s[10:11], 4
	s_max_i32 s21, s14, 1
	v_add_co_u32 v6, vcc_lo, v10, s16
	v_add_co_ci_u32_e32 v7, vcc_lo, s17, v11, vcc_lo
	s_lshl_b64 s[16:17], s[14:15], 4
	s_lshl_b32 s11, s10, 9
	s_lshl_b32 s15, s14, 9
	s_mul_i32 s22, s10, 0x210
	s_mul_i32 s23, s14, 0x210
	s_branch .LBB235_22
.LBB235_21:                             ;   in Loop: Header=BB235_22 Depth=2
	v_add_co_u32 v6, vcc_lo, v6, s16
	s_add_i32 s10, s10, s14
	v_add_co_ci_u32_e32 v7, vcc_lo, s17, v7, vcc_lo
	s_add_i32 s2, s9, s10
	s_add_i32 s11, s11, s15
	;; [unrolled: 1-line block ×3, first 2 shown]
	s_cmp_ge_i32 s2, s29
	s_cbranch_scc1 .LBB235_18
.LBB235_22:                             ;   Parent Loop BB235_19 Depth=1
                                        ; =>  This Loop Header: Depth=2
                                        ;       Child Loop BB235_23 Depth 3
                                        ;       Child Loop BB235_26 Depth 3
                                        ;         Child Loop BB235_27 Depth 4
                                        ;       Child Loop BB235_31 Depth 3
                                        ;         Child Loop BB235_33 Depth 4
	v_dual_mov_b32 v0, v6 :: v_dual_mov_b32 v1, v7
	s_mov_b32 s2, 8
	s_mov_b32 s18, s21
	.p2align	6
.LBB235_23:                             ;   Parent Loop BB235_19 Depth=1
                                        ;     Parent Loop BB235_22 Depth=2
                                        ; =>    This Inner Loop Header: Depth=3
	global_load_b128 v[12:15], v[0:1], off offset:-8
	v_add_co_u32 v0, vcc_lo, v0, 16
	v_add_co_ci_u32_e32 v1, vcc_lo, 0, v1, vcc_lo
	s_add_i32 s18, s18, -1
	s_add_i32 s19, s2, 0
	s_add_i32 s2, s2, 16
	s_cmp_eq_u32 s18, 0
	s_waitcnt vmcnt(0)
	v_mul_f64 v[2:3], s[6:7], v[14:15]
	v_mul_f64 v[16:17], s[4:5], v[14:15]
	s_delay_alu instid0(VALU_DEP_2) | instskip(NEXT) | instid1(VALU_DEP_2)
	v_fma_f64 v[14:15], s[4:5], v[12:13], -v[2:3]
	v_fma_f64 v[16:17], s[6:7], v[12:13], v[16:17]
	scratch_store_b128 off, v[14:17], s19 offset:-8
	s_cbranch_scc0 .LBB235_23
; %bb.24:                               ;   in Loop: Header=BB235_22 Depth=2
	s_cmp_lt_i32 s10, 1
	s_cbranch_scc1 .LBB235_29
; %bb.25:                               ;   in Loop: Header=BB235_22 Depth=2
	s_mov_b32 s2, 0
	s_mov_b32 s18, s11
	s_set_inst_prefetch_distance 0x1
	.p2align	6
.LBB235_26:                             ;   Parent Loop BB235_19 Depth=1
                                        ;     Parent Loop BB235_22 Depth=2
                                        ; =>    This Loop Header: Depth=3
                                        ;         Child Loop BB235_27 Depth 4
	s_lshl_b64 s[24:25], s[2:3], 4
	s_mov_b32 s19, s20
	v_add_co_u32 v0, vcc_lo, v8, s24
	v_add_co_ci_u32_e32 v1, vcc_lo, s25, v9, vcc_lo
	s_mov_b32 s24, s18
	s_mov_b32 s25, s21
	global_load_b128 v[0:3], v[0:1], off
	.p2align	6
.LBB235_27:                             ;   Parent Loop BB235_19 Depth=1
                                        ;     Parent Loop BB235_22 Depth=2
                                        ;       Parent Loop BB235_26 Depth=3
                                        ; =>      This Inner Loop Header: Depth=4
	scratch_load_b128 v[12:15], off, s19 offset:-8
	v_mov_b32_e32 v16, s24
	s_add_i32 s25, s25, -1
	s_addk_i32 s24, 0x200
	ds_load_b128 v[16:19], v16
	s_waitcnt vmcnt(1) lgkmcnt(0)
	v_mul_f64 v[20:21], v[2:3], v[18:19]
	v_mul_f64 v[18:19], v[0:1], v[18:19]
	s_delay_alu instid0(VALU_DEP_2) | instskip(NEXT) | instid1(VALU_DEP_2)
	v_fma_f64 v[20:21], v[0:1], v[16:17], -v[20:21]
	v_fma_f64 v[16:17], v[2:3], v[16:17], v[18:19]
	s_waitcnt vmcnt(0)
	s_delay_alu instid0(VALU_DEP_2) | instskip(NEXT) | instid1(VALU_DEP_2)
	v_add_f64 v[12:13], v[12:13], -v[20:21]
	v_add_f64 v[14:15], v[14:15], -v[16:17]
	scratch_store_b128 off, v[12:15], s19 offset:-8
	s_add_i32 s19, s19, 16
	s_cmp_eq_u32 s25, 0
	s_cbranch_scc0 .LBB235_27
; %bb.28:                               ;   in Loop: Header=BB235_26 Depth=3
	s_add_i32 s2, s2, 1
	s_add_i32 s18, s18, 16
	s_cmp_ge_i32 s2, s10
	s_cbranch_scc0 .LBB235_26
.LBB235_29:                             ;   in Loop: Header=BB235_22 Depth=2
	s_set_inst_prefetch_distance 0x2
	s_mov_b32 s2, 0
	s_mov_b32 s24, s22
	s_branch .LBB235_31
.LBB235_30:                             ;   in Loop: Header=BB235_31 Depth=3
	s_mul_i32 s19, s18, 0x210
	s_lshl_b32 s25, s2, 4
	v_mov_b32_e32 v12, s19
	s_ashr_i32 s19, s18, 31
	s_add_i32 s2, s2, 1
	s_lshl_b64 s[18:19], s[18:19], 4
	s_addk_i32 s24, 0x200
	ds_load_b128 v[12:15], v12
	s_waitcnt vmcnt(0) lgkmcnt(0)
	v_mul_f64 v[16:17], v[14:15], v[2:3]
	v_mul_f64 v[2:3], v[12:13], v[2:3]
	s_delay_alu instid0(VALU_DEP_2) | instskip(NEXT) | instid1(VALU_DEP_2)
	v_fma_f64 v[12:13], v[12:13], v[0:1], -v[16:17]
	v_fma_f64 v[14:15], v[14:15], v[0:1], v[2:3]
	v_add_co_u32 v0, vcc_lo, v8, s18
	v_add_co_ci_u32_e32 v1, vcc_lo, s19, v9, vcc_lo
	s_add_i32 s18, s25, 0
	s_cmp_eq_u32 s2, s21
	scratch_store_b128 off, v[12:15], s18
	global_store_b128 v[0:1], v[12:15], off
	s_cbranch_scc1 .LBB235_21
.LBB235_31:                             ;   Parent Loop BB235_19 Depth=1
                                        ;     Parent Loop BB235_22 Depth=2
                                        ; =>    This Loop Header: Depth=3
                                        ;         Child Loop BB235_33 Depth 4
	s_cmp_lg_u32 s2, 0
	s_cbranch_scc0 .LBB235_35
; %bb.32:                               ;   in Loop: Header=BB235_31 Depth=3
	s_lshl_b32 s19, s2, 4
	s_mov_b32 s25, s24
	s_add_i32 s18, s19, 0
	v_add_nc_u32_e64 v12, s19, 0
	scratch_load_b128 v[0:3], off, s18
	s_add_i32 s18, s2, s10
	s_mov_b32 s19, 0
	s_mov_b32 s26, s20
	.p2align	6
.LBB235_33:                             ;   Parent Loop BB235_19 Depth=1
                                        ;     Parent Loop BB235_22 Depth=2
                                        ;       Parent Loop BB235_31 Depth=3
                                        ; =>      This Inner Loop Header: Depth=4
	scratch_load_b128 v[13:16], off, s26 offset:-8
	v_mov_b32_e32 v17, s25
	s_add_i32 s19, s19, 1
	s_add_i32 s26, s26, 16
	;; [unrolled: 1-line block ×3, first 2 shown]
	s_cmp_ge_u32 s19, s2
	ds_load_b128 v[17:20], v17
	s_waitcnt vmcnt(0) lgkmcnt(0)
	v_mul_f64 v[21:22], v[19:20], v[15:16]
	v_mul_f64 v[15:16], v[17:18], v[15:16]
	s_delay_alu instid0(VALU_DEP_2) | instskip(NEXT) | instid1(VALU_DEP_2)
	v_fma_f64 v[17:18], v[17:18], v[13:14], -v[21:22]
	v_fma_f64 v[13:14], v[19:20], v[13:14], v[15:16]
	s_delay_alu instid0(VALU_DEP_2) | instskip(NEXT) | instid1(VALU_DEP_2)
	v_add_f64 v[0:1], v[0:1], -v[17:18]
	v_add_f64 v[2:3], v[2:3], -v[13:14]
	scratch_store_b128 v12, v[0:3], off
	s_cbranch_scc0 .LBB235_33
; %bb.34:                               ;   in Loop: Header=BB235_31 Depth=3
	s_branch .LBB235_30
.LBB235_35:                             ;   in Loop: Header=BB235_31 Depth=3
                                        ; implicit-def: $vgpr0_vgpr1
                                        ; implicit-def: $sgpr18
	s_cbranch_execz .LBB235_30
; %bb.36:                               ;   in Loop: Header=BB235_31 Depth=3
	scratch_load_b128 v[0:3], off, off
	s_mov_b32 s18, s10
	s_branch .LBB235_30
.LBB235_37:
	s_mov_b32 s2, 0
.LBB235_38:
	s_delay_alu instid0(SALU_CYCLE_1)
	s_and_b32 vcc_lo, exec_lo, s2
	s_cbranch_vccz .LBB235_58
; %bb.39:
	s_add_u32 s0, s12, s0
	s_addc_u32 s1, s13, s1
	v_add_co_u32 v0, vcc_lo, s0, v4
	v_add_co_ci_u32_e32 v1, vcc_lo, s1, v5, vcc_lo
	s_lshl_b32 s12, s29, 9
	s_delay_alu instid0(VALU_DEP_2) | instskip(NEXT) | instid1(VALU_DEP_2)
	v_add_co_u32 v4, vcc_lo, v0, 8
	v_add_co_ci_u32_e32 v5, vcc_lo, 0, v1, vcc_lo
	s_mov_b32 s1, 0
	s_addk_i32 s12, 0xfe00
	s_mov_b32 s2, s28
	s_mov_b32 s0, s1
	s_branch .LBB235_41
.LBB235_40:                             ;   in Loop: Header=BB235_41 Depth=1
	s_cmp_lt_i32 s2, 0
	s_cselect_b32 s3, -1, 0
	s_add_i32 s0, s0, 1
	s_delay_alu instid0(SALU_CYCLE_1) | instskip(SKIP_1) | instid1(SALU_CYCLE_1)
	s_cmp_eq_u32 s0, 3
	s_cselect_b32 s8, -1, 0
	s_or_b32 s3, s3, s8
	s_delay_alu instid0(SALU_CYCLE_1)
	s_and_b32 vcc_lo, exec_lo, s3
	s_cbranch_vccnz .LBB235_58
.LBB235_41:                             ; =>This Loop Header: Depth=1
                                        ;     Child Loop BB235_44 Depth 2
                                        ;       Child Loop BB235_45 Depth 3
                                        ;       Child Loop BB235_47 Depth 3
                                        ;         Child Loop BB235_48 Depth 4
                                        ;       Child Loop BB235_52 Depth 3
                                        ;         Child Loop BB235_54 Depth 4
	s_getpc_b64 s[8:9]
	s_add_u32 s8, s8, __const._ZL30rocblas_trsm_small_left_deviceILi32ELi32ELb0E19rocblas_complex_numIdES1_PKPKS1_PKPS1_Ev13rocblas_fill_18rocblas_operation_17rocblas_diagonal_iiT3_T4_lilT5_lili.step_sizes@rel32@lo+4
	s_addc_u32 s9, s9, __const._ZL30rocblas_trsm_small_left_deviceILi32ELi32ELb0E19rocblas_complex_numIdES1_PKPKS1_PKPS1_Ev13rocblas_fill_18rocblas_operation_17rocblas_diagonal_iiT3_T4_lilT5_lili.step_sizes@rel32@hi+12
	s_lshl_b64 s[10:11], s[0:1], 2
	s_delay_alu instid0(SALU_CYCLE_1) | instskip(SKIP_4) | instid1(SALU_CYCLE_1)
	s_add_u32 s8, s10, s8
	s_addc_u32 s9, s11, s9
	s_load_b32 s13, s[8:9], 0x0
	s_waitcnt lgkmcnt(0)
	s_add_i32 s14, s13, -1
	s_cmp_lt_i32 s2, s14
	s_cbranch_scc1 .LBB235_40
; %bb.42:                               ;   in Loop: Header=BB235_41 Depth=1
	s_lshl_b32 s3, s2, 4
	s_lshl_b32 s8, s13, 4
	s_max_i32 s15, s13, 1
	s_add_i32 s16, s12, s3
	s_sub_i32 s17, 0, s8
	s_mul_i32 s18, s2, 0x210
	s_mul_i32 s19, s13, 0xfffffdf0
	s_branch .LBB235_44
.LBB235_43:                             ;   in Loop: Header=BB235_44 Depth=2
	s_sub_i32 s2, s2, s13
	s_add_i32 s16, s16, s17
	s_add_i32 s18, s18, s19
	s_cmp_lt_i32 s2, s14
	s_cbranch_scc1 .LBB235_40
.LBB235_44:                             ;   Parent Loop BB235_41 Depth=1
                                        ; =>  This Loop Header: Depth=2
                                        ;       Child Loop BB235_45 Depth 3
                                        ;       Child Loop BB235_47 Depth 3
                                        ;         Child Loop BB235_48 Depth 4
                                        ;       Child Loop BB235_52 Depth 3
                                        ;         Child Loop BB235_54 Depth 4
	s_ashr_i32 s3, s2, 31
	s_delay_alu instid0(SALU_CYCLE_1) | instskip(NEXT) | instid1(SALU_CYCLE_1)
	s_lshl_b64 s[8:9], s[2:3], 4
	v_add_co_u32 v0, vcc_lo, v4, s8
	v_add_co_ci_u32_e32 v1, vcc_lo, s9, v5, vcc_lo
	s_mov_b32 s8, 8
	s_mov_b32 s9, s15
	.p2align	6
.LBB235_45:                             ;   Parent Loop BB235_41 Depth=1
                                        ;     Parent Loop BB235_44 Depth=2
                                        ; =>    This Inner Loop Header: Depth=3
	global_load_b128 v[10:13], v[0:1], off offset:-8
	v_add_co_u32 v0, vcc_lo, v0, -16
	v_add_co_ci_u32_e32 v1, vcc_lo, -1, v1, vcc_lo
	s_add_i32 s9, s9, -1
	s_add_i32 s10, s8, 0
	s_add_i32 s8, s8, 16
	s_cmp_eq_u32 s9, 0
	s_waitcnt vmcnt(0)
	v_mul_f64 v[2:3], s[6:7], v[12:13]
	v_mul_f64 v[6:7], s[4:5], v[12:13]
	s_delay_alu instid0(VALU_DEP_2) | instskip(NEXT) | instid1(VALU_DEP_2)
	v_fma_f64 v[12:13], s[4:5], v[10:11], -v[2:3]
	v_fma_f64 v[14:15], s[6:7], v[10:11], v[6:7]
	scratch_store_b128 off, v[12:15], s10 offset:-8
	s_cbranch_scc0 .LBB235_45
; %bb.46:                               ;   in Loop: Header=BB235_44 Depth=2
	s_cmp_le_i32 s28, s2
	s_mov_b32 s10, s16
	s_mov_b32 s8, s28
	s_cbranch_scc1 .LBB235_50
	.p2align	6
.LBB235_47:                             ;   Parent Loop BB235_41 Depth=1
                                        ;     Parent Loop BB235_44 Depth=2
                                        ; =>    This Loop Header: Depth=3
                                        ;         Child Loop BB235_48 Depth 4
	s_ashr_i32 s9, s8, 31
	s_mov_b32 s11, s15
	s_lshl_b64 s[22:23], s[8:9], 4
	s_mov_b32 s9, s20
	v_add_co_u32 v0, vcc_lo, v8, s22
	v_add_co_ci_u32_e32 v1, vcc_lo, s23, v9, vcc_lo
	s_mov_b32 s21, s10
	global_load_b128 v[0:3], v[0:1], off
	.p2align	6
.LBB235_48:                             ;   Parent Loop BB235_41 Depth=1
                                        ;     Parent Loop BB235_44 Depth=2
                                        ;       Parent Loop BB235_47 Depth=3
                                        ; =>      This Inner Loop Header: Depth=4
	scratch_load_b128 v[10:13], off, s9 offset:-8
	v_mov_b32_e32 v6, s21
	s_add_i32 s11, s11, -1
	s_add_i32 s21, s21, -16
	ds_load_b128 v[14:17], v6
	s_waitcnt vmcnt(1) lgkmcnt(0)
	v_mul_f64 v[6:7], v[2:3], v[16:17]
	v_mul_f64 v[16:17], v[0:1], v[16:17]
	s_delay_alu instid0(VALU_DEP_2) | instskip(NEXT) | instid1(VALU_DEP_2)
	v_fma_f64 v[6:7], v[0:1], v[14:15], -v[6:7]
	v_fma_f64 v[14:15], v[2:3], v[14:15], v[16:17]
	s_waitcnt vmcnt(0)
	s_delay_alu instid0(VALU_DEP_2) | instskip(NEXT) | instid1(VALU_DEP_2)
	v_add_f64 v[10:11], v[10:11], -v[6:7]
	v_add_f64 v[12:13], v[12:13], -v[14:15]
	scratch_store_b128 off, v[10:13], s9 offset:-8
	s_add_i32 s9, s9, 16
	s_cmp_eq_u32 s11, 0
	s_cbranch_scc0 .LBB235_48
; %bb.49:                               ;   in Loop: Header=BB235_47 Depth=3
	s_add_i32 s8, s8, -1
	s_addk_i32 s10, 0xfe00
	s_cmp_le_i32 s8, s2
	s_cbranch_scc0 .LBB235_47
.LBB235_50:                             ;   in Loop: Header=BB235_44 Depth=2
	s_mov_b32 s21, 0
	s_mov_b32 s22, s18
	s_branch .LBB235_52
.LBB235_51:                             ;   in Loop: Header=BB235_52 Depth=3
	s_mulk_i32 s10, 0x210
	s_lshl_b64 s[8:9], s[8:9], 4
	v_mov_b32_e32 v6, s10
	s_lshl_b32 s10, s21, 4
	s_add_i32 s21, s21, 1
	s_add_i32 s22, s22, -16
	ds_load_b128 v[10:13], v6
	s_waitcnt vmcnt(0) lgkmcnt(0)
	v_mul_f64 v[6:7], v[12:13], v[2:3]
	v_mul_f64 v[2:3], v[10:11], v[2:3]
	s_delay_alu instid0(VALU_DEP_2) | instskip(NEXT) | instid1(VALU_DEP_2)
	v_fma_f64 v[10:11], v[10:11], v[0:1], -v[6:7]
	v_fma_f64 v[12:13], v[12:13], v[0:1], v[2:3]
	v_add_co_u32 v0, vcc_lo, v8, s8
	v_add_co_ci_u32_e32 v1, vcc_lo, s9, v9, vcc_lo
	s_add_i32 s8, s10, 0
	s_cmp_eq_u32 s21, s15
	scratch_store_b128 off, v[10:13], s8
	global_store_b128 v[0:1], v[10:13], off
	s_cbranch_scc1 .LBB235_43
.LBB235_52:                             ;   Parent Loop BB235_41 Depth=1
                                        ;     Parent Loop BB235_44 Depth=2
                                        ; =>    This Loop Header: Depth=3
                                        ;         Child Loop BB235_54 Depth 4
	s_cmp_lg_u32 s21, 0
	s_cbranch_scc0 .LBB235_56
; %bb.53:                               ;   in Loop: Header=BB235_52 Depth=3
	s_lshl_b32 s8, s21, 4
	s_mov_b32 s10, s22
	s_add_i32 s9, s8, 0
	v_add_nc_u32_e64 v6, s8, 0
	scratch_load_b128 v[0:3], off, s9
	s_mov_b32 s8, 0
	s_mov_b32 s9, s20
	.p2align	6
.LBB235_54:                             ;   Parent Loop BB235_41 Depth=1
                                        ;     Parent Loop BB235_44 Depth=2
                                        ;       Parent Loop BB235_52 Depth=3
                                        ; =>      This Inner Loop Header: Depth=4
	scratch_load_b128 v[10:13], off, s9 offset:-8
	v_mov_b32_e32 v7, s10
	s_add_i32 s8, s8, 1
	s_addk_i32 s10, 0xfe00
	s_add_i32 s9, s9, 16
	s_cmp_ge_u32 s8, s21
	ds_load_b128 v[14:17], v7
	s_waitcnt vmcnt(0) lgkmcnt(0)
	v_mul_f64 v[18:19], v[16:17], v[12:13]
	v_mul_f64 v[12:13], v[14:15], v[12:13]
	s_delay_alu instid0(VALU_DEP_2) | instskip(NEXT) | instid1(VALU_DEP_2)
	v_fma_f64 v[14:15], v[14:15], v[10:11], -v[18:19]
	v_fma_f64 v[10:11], v[16:17], v[10:11], v[12:13]
	s_delay_alu instid0(VALU_DEP_2) | instskip(NEXT) | instid1(VALU_DEP_2)
	v_add_f64 v[0:1], v[0:1], -v[14:15]
	v_add_f64 v[2:3], v[2:3], -v[10:11]
	scratch_store_b128 v6, v[0:3], off
	s_cbranch_scc0 .LBB235_54
; %bb.55:                               ;   in Loop: Header=BB235_52 Depth=3
	s_sub_i32 s10, s2, s21
	s_delay_alu instid0(SALU_CYCLE_1) | instskip(NEXT) | instid1(SALU_CYCLE_1)
	s_ashr_i32 s11, s10, 31
	s_mov_b64 s[8:9], s[10:11]
	s_branch .LBB235_51
.LBB235_56:                             ;   in Loop: Header=BB235_52 Depth=3
                                        ; implicit-def: $vgpr0_vgpr1
                                        ; implicit-def: $sgpr10
                                        ; implicit-def: $sgpr8_sgpr9
	s_cbranch_execz .LBB235_51
; %bb.57:                               ;   in Loop: Header=BB235_52 Depth=3
	scratch_load_b128 v[0:3], off, off
	s_mov_b64 s[8:9], s[2:3]
	s_mov_b32 s10, s2
	s_branch .LBB235_51
.LBB235_58:
	s_endpgm
	.section	.rodata,"a",@progbits
	.p2align	6, 0x0
	.amdhsa_kernel _ZL30rocblas_trsm_small_left_deviceILi32ELi32ELb0E19rocblas_complex_numIdES1_PKPKS1_PKPS1_Ev13rocblas_fill_18rocblas_operation_17rocblas_diagonal_iiT3_T4_lilT5_lili
		.amdhsa_group_segment_fixed_size 16384
		.amdhsa_private_segment_fixed_size 528
		.amdhsa_kernarg_size 368
		.amdhsa_user_sgpr_count 14
		.amdhsa_user_sgpr_dispatch_ptr 0
		.amdhsa_user_sgpr_queue_ptr 0
		.amdhsa_user_sgpr_kernarg_segment_ptr 1
		.amdhsa_user_sgpr_dispatch_id 0
		.amdhsa_user_sgpr_private_segment_size 0
		.amdhsa_wavefront_size32 1
		.amdhsa_uses_dynamic_stack 0
		.amdhsa_enable_private_segment 1
		.amdhsa_system_sgpr_workgroup_id_x 1
		.amdhsa_system_sgpr_workgroup_id_y 0
		.amdhsa_system_sgpr_workgroup_id_z 1
		.amdhsa_system_sgpr_workgroup_info 0
		.amdhsa_system_vgpr_workitem_id 0
		.amdhsa_next_free_vgpr 25
		.amdhsa_next_free_sgpr 31
		.amdhsa_reserve_vcc 1
		.amdhsa_float_round_mode_32 0
		.amdhsa_float_round_mode_16_64 0
		.amdhsa_float_denorm_mode_32 3
		.amdhsa_float_denorm_mode_16_64 3
		.amdhsa_dx10_clamp 1
		.amdhsa_ieee_mode 1
		.amdhsa_fp16_overflow 0
		.amdhsa_workgroup_processor_mode 1
		.amdhsa_memory_ordered 1
		.amdhsa_forward_progress 0
		.amdhsa_shared_vgpr_count 0
		.amdhsa_exception_fp_ieee_invalid_op 0
		.amdhsa_exception_fp_denorm_src 0
		.amdhsa_exception_fp_ieee_div_zero 0
		.amdhsa_exception_fp_ieee_overflow 0
		.amdhsa_exception_fp_ieee_underflow 0
		.amdhsa_exception_fp_ieee_inexact 0
		.amdhsa_exception_int_div_zero 0
	.end_amdhsa_kernel
	.section	.text._ZL30rocblas_trsm_small_left_deviceILi32ELi32ELb0E19rocblas_complex_numIdES1_PKPKS1_PKPS1_Ev13rocblas_fill_18rocblas_operation_17rocblas_diagonal_iiT3_T4_lilT5_lili,"axG",@progbits,_ZL30rocblas_trsm_small_left_deviceILi32ELi32ELb0E19rocblas_complex_numIdES1_PKPKS1_PKPS1_Ev13rocblas_fill_18rocblas_operation_17rocblas_diagonal_iiT3_T4_lilT5_lili,comdat
.Lfunc_end235:
	.size	_ZL30rocblas_trsm_small_left_deviceILi32ELi32ELb0E19rocblas_complex_numIdES1_PKPKS1_PKPS1_Ev13rocblas_fill_18rocblas_operation_17rocblas_diagonal_iiT3_T4_lilT5_lili, .Lfunc_end235-_ZL30rocblas_trsm_small_left_deviceILi32ELi32ELb0E19rocblas_complex_numIdES1_PKPKS1_PKPS1_Ev13rocblas_fill_18rocblas_operation_17rocblas_diagonal_iiT3_T4_lilT5_lili
                                        ; -- End function
	.section	.AMDGPU.csdata,"",@progbits
; Kernel info:
; codeLenInByte = 3164
; NumSgprs: 33
; NumVgprs: 25
; ScratchSize: 528
; MemoryBound: 0
; FloatMode: 240
; IeeeMode: 1
; LDSByteSize: 16384 bytes/workgroup (compile time only)
; SGPRBlocks: 4
; VGPRBlocks: 3
; NumSGPRsForWavesPerEU: 33
; NumVGPRsForWavesPerEU: 25
; Occupancy: 2
; WaveLimiterHint : 1
; COMPUTE_PGM_RSRC2:SCRATCH_EN: 1
; COMPUTE_PGM_RSRC2:USER_SGPR: 14
; COMPUTE_PGM_RSRC2:TRAP_HANDLER: 0
; COMPUTE_PGM_RSRC2:TGID_X_EN: 1
; COMPUTE_PGM_RSRC2:TGID_Y_EN: 0
; COMPUTE_PGM_RSRC2:TGID_Z_EN: 1
; COMPUTE_PGM_RSRC2:TIDIG_COMP_CNT: 0
	.section	.text._ZL38rocblas_trsm_small_left_device_sharedBILi32ELi32ELb1E19rocblas_complex_numIdES1_PKPKS1_PKPS1_Ev13rocblas_fill_18rocblas_operation_17rocblas_diagonal_iiT3_T4_lilT5_lili,"axG",@progbits,_ZL38rocblas_trsm_small_left_device_sharedBILi32ELi32ELb1E19rocblas_complex_numIdES1_PKPKS1_PKPS1_Ev13rocblas_fill_18rocblas_operation_17rocblas_diagonal_iiT3_T4_lilT5_lili,comdat
	.globl	_ZL38rocblas_trsm_small_left_device_sharedBILi32ELi32ELb1E19rocblas_complex_numIdES1_PKPKS1_PKPS1_Ev13rocblas_fill_18rocblas_operation_17rocblas_diagonal_iiT3_T4_lilT5_lili ; -- Begin function _ZL38rocblas_trsm_small_left_device_sharedBILi32ELi32ELb1E19rocblas_complex_numIdES1_PKPKS1_PKPS1_Ev13rocblas_fill_18rocblas_operation_17rocblas_diagonal_iiT3_T4_lilT5_lili
	.p2align	8
	.type	_ZL38rocblas_trsm_small_left_device_sharedBILi32ELi32ELb1E19rocblas_complex_numIdES1_PKPKS1_PKPS1_Ev13rocblas_fill_18rocblas_operation_17rocblas_diagonal_iiT3_T4_lilT5_lili,@function
_ZL38rocblas_trsm_small_left_device_sharedBILi32ELi32ELb1E19rocblas_complex_numIdES1_PKPKS1_PKPS1_Ev13rocblas_fill_18rocblas_operation_17rocblas_diagonal_iiT3_T4_lilT5_lili: ; @_ZL38rocblas_trsm_small_left_device_sharedBILi32ELi32ELb1E19rocblas_complex_numIdES1_PKPKS1_PKPS1_Ev13rocblas_fill_18rocblas_operation_17rocblas_diagonal_iiT3_T4_lilT5_lili
; %bb.0:
	s_clause 0x1
	s_load_b128 s[20:23], s[0:1], 0x48
	s_load_b128 s[16:19], s[0:1], 0x4
	s_mov_b32 s2, s15
	s_mov_b32 s3, 0
	s_load_b32 s29, s[0:1], 0x70
	s_lshl_b64 s[24:25], s[2:3], 3
	s_mov_b32 s30, exec_lo
	s_waitcnt lgkmcnt(0)
	s_add_u32 s12, s20, s24
	s_addc_u32 s13, s21, s25
	s_load_b256 s[4:11], s[0:1], 0x18
	s_load_b64 s[12:13], s[12:13], 0x0
	s_min_i32 s15, s18, 32
	s_delay_alu instid0(SALU_CYCLE_1)
	s_add_i32 s28, s15, -1
	v_cmpx_gt_i32_e64 s15, v0
	s_cbranch_execz .LBB236_15
; %bb.1:
	s_load_b32 s20, s[0:1], 0x38
	s_waitcnt lgkmcnt(0)
	s_ashr_i32 s21, s20, 31
	s_cmpk_eq_i32 s16, 0x71
	s_cselect_b32 vcc_lo, -1, 0
	s_add_u32 s8, s8, s24
	s_addc_u32 s9, s9, s25
	s_cmp_lt_u32 s28, 3
	s_load_b64 s[8:9], s[8:9], 0x0
	s_cbranch_scc1 .LBB236_4
; %bb.2:
	v_lshlrev_b32_e32 v1, 4, v0
	s_lshl_b64 s[24:25], s[10:11], 4
	s_and_b32 s3, s15, -4
	s_waitcnt lgkmcnt(0)
	s_add_u32 s2, s8, s24
	s_addc_u32 s24, s9, s25
	v_add_co_u32 v1, s2, s2, v1
	s_delay_alu instid0(VALU_DEP_1) | instskip(SKIP_1) | instid1(VALU_DEP_3)
	v_add_co_ci_u32_e64 v2, null, s24, 0, s2
	v_lshlrev_b32_e32 v3, 4, v0
	v_add_co_u32 v1, s2, v1, 8
	s_delay_alu instid0(VALU_DEP_1)
	v_add_co_ci_u32_e64 v2, s2, 0, v2, s2
	s_lshl_b64 s[24:25], s[20:21], 6
	s_lshl_b64 s[26:27], s[20:21], 4
	s_mov_b32 s31, 0
.LBB236_3:                              ; =>This Inner Loop Header: Depth=1
	v_add_co_u32 v8, s2, v1, s26
	s_delay_alu instid0(VALU_DEP_1) | instskip(SKIP_1) | instid1(VALU_DEP_2)
	v_add_co_ci_u32_e64 v9, s2, s27, v2, s2
	s_add_i32 s31, s31, 4
	v_add_co_u32 v12, s2, v8, s26
	s_delay_alu instid0(VALU_DEP_1) | instskip(SKIP_1) | instid1(VALU_DEP_2)
	v_add_co_ci_u32_e64 v13, s2, s27, v9, s2
	s_cmp_eq_u32 s3, s31
	v_add_co_u32 v16, s2, v12, s26
	s_delay_alu instid0(VALU_DEP_1)
	v_add_co_ci_u32_e64 v17, s2, s27, v13, s2
	s_clause 0x3
	global_load_b128 v[4:7], v[1:2], off offset:-8
	global_load_b128 v[8:11], v[8:9], off offset:-8
	;; [unrolled: 1-line block ×4, first 2 shown]
	v_add_co_u32 v1, s2, v1, s24
	s_delay_alu instid0(VALU_DEP_1)
	v_add_co_ci_u32_e64 v2, s2, s25, v2, s2
	s_waitcnt vmcnt(3)
	v_xor_b32_e32 v20, 0x80000000, v7
	s_waitcnt vmcnt(2)
	v_xor_b32_e32 v21, 0x80000000, v11
	;; [unrolled: 2-line block ×4, first 2 shown]
	v_cndmask_b32_e32 v7, v7, v20, vcc_lo
	v_cndmask_b32_e32 v11, v11, v21, vcc_lo
	;; [unrolled: 1-line block ×3, first 2 shown]
	s_delay_alu instid0(VALU_DEP_4)
	v_cndmask_b32_e32 v19, v19, v23, vcc_lo
	ds_store_b128 v3, v[4:7]
	ds_store_b128 v3, v[8:11] offset:512
	ds_store_b128 v3, v[12:15] offset:1024
	;; [unrolled: 1-line block ×3, first 2 shown]
	v_add_nc_u32_e32 v3, 0x800, v3
	s_cbranch_scc0 .LBB236_3
.LBB236_4:
	s_and_b32 s24, s15, 3
	s_delay_alu instid0(SALU_CYCLE_1)
	s_cmp_eq_u32 s24, 0
	s_cbranch_scc1 .LBB236_7
; %bb.5:
	s_mul_i32 s2, s21, s3
	s_mul_hi_u32 s25, s20, s3
	s_mul_i32 s26, s20, s3
	s_add_i32 s27, s25, s2
	s_lshl_b64 s[10:11], s[10:11], 4
	s_lshl_b64 s[26:27], s[26:27], 4
	v_lshlrev_b32_e32 v1, 4, v0
	s_add_u32 s2, s26, s10
	s_addc_u32 s10, s27, s11
	s_waitcnt lgkmcnt(0)
	s_add_u32 s2, s8, s2
	s_addc_u32 s8, s9, s10
	v_add_co_u32 v2, s2, s2, v1
	s_delay_alu instid0(VALU_DEP_1) | instskip(SKIP_1) | instid1(VALU_DEP_3)
	v_add_co_ci_u32_e64 v4, null, s8, 0, s2
	v_lshl_or_b32 v3, s3, 9, v1
	v_add_co_u32 v1, s2, v2, 8
	s_delay_alu instid0(VALU_DEP_1)
	v_add_co_ci_u32_e64 v2, s2, 0, v4, s2
	s_lshl_b64 s[8:9], s[20:21], 4
.LBB236_6:                              ; =>This Inner Loop Header: Depth=1
	global_load_b128 v[4:7], v[1:2], off offset:-8
	v_add_co_u32 v1, s2, v1, s8
	s_delay_alu instid0(VALU_DEP_1) | instskip(SKIP_1) | instid1(SALU_CYCLE_1)
	v_add_co_ci_u32_e64 v2, s2, s9, v2, s2
	s_add_i32 s24, s24, -1
	s_cmp_lg_u32 s24, 0
	s_waitcnt vmcnt(0)
	v_xor_b32_e32 v8, 0x80000000, v7
	s_delay_alu instid0(VALU_DEP_1)
	v_cndmask_b32_e32 v7, v7, v8, vcc_lo
	ds_store_b128 v3, v[4:7]
	v_add_nc_u32_e32 v3, 0x200, v3
	s_cbranch_scc1 .LBB236_6
.LBB236_7:
	v_mul_u32_u24_e32 v1, 33, v0
	s_cmpk_lg_i32 s17, 0x84
	s_delay_alu instid0(VALU_DEP_1)
	v_lshlrev_b32_e32 v9, 4, v1
	s_cbranch_scc0 .LBB236_13
; %bb.8:
	ds_load_b128 v[1:4], v9
	s_waitcnt lgkmcnt(0)
	v_cmp_gt_f64_e32 vcc_lo, 0, v[1:2]
	v_xor_b32_e32 v6, 0x80000000, v2
	v_mov_b32_e32 v5, v1
	v_xor_b32_e32 v7, 0x80000000, v4
	s_delay_alu instid0(VALU_DEP_3) | instskip(SKIP_1) | instid1(VALU_DEP_3)
	v_cndmask_b32_e32 v6, v2, v6, vcc_lo
	v_cmp_gt_f64_e32 vcc_lo, 0, v[3:4]
	v_dual_cndmask_b32 v8, v4, v7 :: v_dual_mov_b32 v7, v3
	s_delay_alu instid0(VALU_DEP_1) | instskip(SKIP_1) | instid1(SALU_CYCLE_1)
	v_cmp_ngt_f64_e32 vcc_lo, v[5:6], v[7:8]
                                        ; implicit-def: $vgpr7_vgpr8
	s_and_saveexec_b32 s2, vcc_lo
	s_xor_b32 s2, exec_lo, s2
	s_cbranch_execz .LBB236_10
; %bb.9:
	v_div_scale_f64 v[5:6], null, v[3:4], v[3:4], v[1:2]
	v_div_scale_f64 v[12:13], vcc_lo, v[1:2], v[3:4], v[1:2]
	s_delay_alu instid0(VALU_DEP_2) | instskip(SKIP_2) | instid1(VALU_DEP_1)
	v_rcp_f64_e32 v[7:8], v[5:6]
	s_waitcnt_depctr 0xfff
	v_fma_f64 v[10:11], -v[5:6], v[7:8], 1.0
	v_fma_f64 v[7:8], v[7:8], v[10:11], v[7:8]
	s_delay_alu instid0(VALU_DEP_1) | instskip(NEXT) | instid1(VALU_DEP_1)
	v_fma_f64 v[10:11], -v[5:6], v[7:8], 1.0
	v_fma_f64 v[7:8], v[7:8], v[10:11], v[7:8]
	s_delay_alu instid0(VALU_DEP_1) | instskip(NEXT) | instid1(VALU_DEP_1)
	v_mul_f64 v[10:11], v[12:13], v[7:8]
	v_fma_f64 v[5:6], -v[5:6], v[10:11], v[12:13]
	s_delay_alu instid0(VALU_DEP_1) | instskip(NEXT) | instid1(VALU_DEP_1)
	v_div_fmas_f64 v[5:6], v[5:6], v[7:8], v[10:11]
	v_div_fixup_f64 v[5:6], v[5:6], v[3:4], v[1:2]
	s_delay_alu instid0(VALU_DEP_1) | instskip(NEXT) | instid1(VALU_DEP_1)
	v_fma_f64 v[1:2], v[1:2], v[5:6], v[3:4]
	v_div_scale_f64 v[3:4], null, v[1:2], v[1:2], 1.0
	v_div_scale_f64 v[12:13], vcc_lo, 1.0, v[1:2], 1.0
	s_delay_alu instid0(VALU_DEP_2) | instskip(SKIP_2) | instid1(VALU_DEP_1)
	v_rcp_f64_e32 v[7:8], v[3:4]
	s_waitcnt_depctr 0xfff
	v_fma_f64 v[10:11], -v[3:4], v[7:8], 1.0
	v_fma_f64 v[7:8], v[7:8], v[10:11], v[7:8]
	s_delay_alu instid0(VALU_DEP_1) | instskip(NEXT) | instid1(VALU_DEP_1)
	v_fma_f64 v[10:11], -v[3:4], v[7:8], 1.0
	v_fma_f64 v[7:8], v[7:8], v[10:11], v[7:8]
	s_delay_alu instid0(VALU_DEP_1) | instskip(NEXT) | instid1(VALU_DEP_1)
	v_mul_f64 v[10:11], v[12:13], v[7:8]
	v_fma_f64 v[3:4], -v[3:4], v[10:11], v[12:13]
	s_delay_alu instid0(VALU_DEP_1) | instskip(SKIP_1) | instid1(VALU_DEP_2)
	v_div_fmas_f64 v[3:4], v[3:4], v[7:8], v[10:11]
	v_add_f64 v[7:8], v[5:6], 0
	v_div_fixup_f64 v[1:2], v[3:4], v[1:2], 1.0
	v_fma_f64 v[3:4], v[5:6], 0, -1.0
	s_delay_alu instid0(VALU_DEP_2) | instskip(NEXT) | instid1(VALU_DEP_2)
	v_mul_f64 v[5:6], v[7:8], v[1:2]
	v_mul_f64 v[7:8], v[3:4], v[1:2]
                                        ; implicit-def: $vgpr1_vgpr2
.LBB236_10:
	s_and_not1_saveexec_b32 s2, s2
	s_cbranch_execz .LBB236_12
; %bb.11:
	v_div_scale_f64 v[5:6], null, v[1:2], v[1:2], v[3:4]
	v_div_scale_f64 v[12:13], vcc_lo, v[3:4], v[1:2], v[3:4]
	s_delay_alu instid0(VALU_DEP_2) | instskip(SKIP_2) | instid1(VALU_DEP_1)
	v_rcp_f64_e32 v[7:8], v[5:6]
	s_waitcnt_depctr 0xfff
	v_fma_f64 v[10:11], -v[5:6], v[7:8], 1.0
	v_fma_f64 v[7:8], v[7:8], v[10:11], v[7:8]
	s_delay_alu instid0(VALU_DEP_1) | instskip(NEXT) | instid1(VALU_DEP_1)
	v_fma_f64 v[10:11], -v[5:6], v[7:8], 1.0
	v_fma_f64 v[7:8], v[7:8], v[10:11], v[7:8]
	s_delay_alu instid0(VALU_DEP_1) | instskip(NEXT) | instid1(VALU_DEP_1)
	v_mul_f64 v[10:11], v[12:13], v[7:8]
	v_fma_f64 v[5:6], -v[5:6], v[10:11], v[12:13]
	s_delay_alu instid0(VALU_DEP_1) | instskip(NEXT) | instid1(VALU_DEP_1)
	v_div_fmas_f64 v[5:6], v[5:6], v[7:8], v[10:11]
	v_div_fixup_f64 v[5:6], v[5:6], v[1:2], v[3:4]
	s_delay_alu instid0(VALU_DEP_1) | instskip(NEXT) | instid1(VALU_DEP_1)
	v_fma_f64 v[1:2], v[3:4], v[5:6], v[1:2]
	v_div_scale_f64 v[3:4], null, v[1:2], v[1:2], 1.0
	v_div_scale_f64 v[12:13], vcc_lo, 1.0, v[1:2], 1.0
	s_delay_alu instid0(VALU_DEP_2) | instskip(SKIP_2) | instid1(VALU_DEP_1)
	v_rcp_f64_e32 v[7:8], v[3:4]
	s_waitcnt_depctr 0xfff
	v_fma_f64 v[10:11], -v[3:4], v[7:8], 1.0
	v_fma_f64 v[7:8], v[7:8], v[10:11], v[7:8]
	s_delay_alu instid0(VALU_DEP_1) | instskip(NEXT) | instid1(VALU_DEP_1)
	v_fma_f64 v[10:11], -v[3:4], v[7:8], 1.0
	v_fma_f64 v[7:8], v[7:8], v[10:11], v[7:8]
	s_delay_alu instid0(VALU_DEP_1) | instskip(NEXT) | instid1(VALU_DEP_1)
	v_mul_f64 v[10:11], v[12:13], v[7:8]
	v_fma_f64 v[3:4], -v[3:4], v[10:11], v[12:13]
	s_delay_alu instid0(VALU_DEP_1) | instskip(SKIP_1) | instid1(VALU_DEP_2)
	v_div_fmas_f64 v[3:4], v[3:4], v[7:8], v[10:11]
	v_fma_f64 v[7:8], v[5:6], 0, 1.0
	v_div_fixup_f64 v[1:2], v[3:4], v[1:2], 1.0
	v_add_f64 v[3:4], -v[5:6], 0
	s_delay_alu instid0(VALU_DEP_2) | instskip(NEXT) | instid1(VALU_DEP_2)
	v_mul_f64 v[5:6], v[7:8], v[1:2]
	v_mul_f64 v[7:8], v[3:4], v[1:2]
.LBB236_12:
	s_or_b32 exec_lo, exec_lo, s2
	s_branch .LBB236_14
.LBB236_13:
	v_mov_b32_e32 v5, 0
	v_dual_mov_b32 v6, 0x3ff00000 :: v_dual_mov_b32 v7, 0
	v_mov_b32_e32 v8, 0
.LBB236_14:
	ds_store_b128 v9, v[5:8]
.LBB236_15:
	s_or_b32 exec_lo, exec_lo, s30
	s_load_b32 s17, s[0:1], 0x58
	s_lshl_b64 s[0:1], s[22:23], 4
	s_waitcnt lgkmcnt(0)
	s_ashr_i32 s20, s17, 31
	s_add_u32 s10, s12, s0
	s_addc_u32 s11, s13, s1
	s_lshl_b32 s2, s14, 5
	s_add_i32 s29, s29, -1
	s_sub_i32 s3, s19, s2
	s_mul_hi_i32 s9, s17, s2
	s_cmp_ge_u32 s14, s29
	s_mul_i32 s8, s17, s2
	s_cselect_b32 s21, s3, 32
	s_lshl_b64 s[8:9], s[8:9], 4
	s_ashr_i32 s3, s2, 31
	s_add_u32 s14, s10, s8
	s_addc_u32 s19, s11, s9
	v_cmp_gt_i32_e32 vcc_lo, s21, v0
	s_cmp_gt_i32 s18, 0
	s_mov_b32 s8, 0
	s_cselect_b32 s9, -1, 0
	s_delay_alu instid0(SALU_CYCLE_1) | instskip(NEXT) | instid1(SALU_CYCLE_1)
	s_and_b32 s21, vcc_lo, s9
	s_and_saveexec_b32 s22, s21
	s_cbranch_execz .LBB236_22
; %bb.16:
	s_cmp_lt_i32 s18, 8
	s_cbranch_scc1 .LBB236_19
; %bb.17:
	v_mad_i64_i32 v[1:2], null, s17, v0, 0
	v_lshl_or_b32 v3, v0, 4, 0x4000
	s_lshl_b32 s8, s15, 4
	s_mov_b64 s[10:11], 0
	s_and_b32 s9, s8, 0x380
	s_mov_b32 s8, 0
	s_delay_alu instid0(VALU_DEP_2) | instskip(NEXT) | instid1(VALU_DEP_1)
	v_lshlrev_b64 v[1:2], 4, v[1:2]
	v_add_co_u32 v1, vcc_lo, s14, v1
	s_delay_alu instid0(VALU_DEP_2)
	v_add_co_ci_u32_e32 v2, vcc_lo, s19, v2, vcc_lo
.LBB236_18:                             ; =>This Inner Loop Header: Depth=1
	s_delay_alu instid0(VALU_DEP_2) | instskip(NEXT) | instid1(VALU_DEP_2)
	v_add_co_u32 v32, vcc_lo, v1, s10
	v_add_co_ci_u32_e32 v33, vcc_lo, s11, v2, vcc_lo
	s_add_i32 s8, s8, 8
	s_add_u32 s10, s10, 0x80
	s_addc_u32 s11, s11, 0
	s_clause 0x7
	global_load_b128 v[4:7], v[32:33], off
	global_load_b128 v[8:11], v[32:33], off offset:16
	global_load_b128 v[12:15], v[32:33], off offset:32
	;; [unrolled: 1-line block ×7, first 2 shown]
	s_cmp_lg_u32 s9, s10
	s_waitcnt vmcnt(7)
	v_mul_f64 v[36:37], s[6:7], v[6:7]
	v_mul_f64 v[6:7], s[4:5], v[6:7]
	s_waitcnt vmcnt(6)
	v_mul_f64 v[38:39], s[6:7], v[10:11]
	v_mul_f64 v[10:11], s[4:5], v[10:11]
	;; [unrolled: 3-line block ×8, first 2 shown]
	v_fma_f64 v[34:35], s[4:5], v[4:5], -v[36:37]
	v_fma_f64 v[36:37], s[6:7], v[4:5], v[6:7]
	v_fma_f64 v[4:5], s[4:5], v[8:9], -v[38:39]
	v_fma_f64 v[6:7], s[6:7], v[8:9], v[10:11]
	v_fma_f64 v[8:9], s[4:5], v[12:13], -v[40:41]
	v_fma_f64 v[10:11], s[6:7], v[12:13], v[14:15]
	v_fma_f64 v[12:13], s[4:5], v[16:17], -v[42:43]
	v_fma_f64 v[14:15], s[6:7], v[16:17], v[18:19]
	v_fma_f64 v[16:17], s[4:5], v[20:21], -v[44:45]
	v_fma_f64 v[18:19], s[6:7], v[20:21], v[22:23]
	v_fma_f64 v[20:21], s[4:5], v[24:25], -v[46:47]
	v_fma_f64 v[22:23], s[6:7], v[24:25], v[26:27]
	v_fma_f64 v[24:25], s[4:5], v[28:29], -v[48:49]
	v_fma_f64 v[26:27], s[6:7], v[28:29], v[30:31]
	v_fma_f64 v[28:29], s[4:5], v[32:33], -v[50:51]
	v_fma_f64 v[30:31], s[6:7], v[32:33], v[52:53]
	ds_store_b128 v3, v[34:37]
	ds_store_b128 v3, v[4:7] offset:512
	ds_store_b128 v3, v[8:11] offset:1024
	;; [unrolled: 1-line block ×7, first 2 shown]
	v_add_nc_u32_e32 v3, 0x1000, v3
	s_cbranch_scc1 .LBB236_18
.LBB236_19:
	s_and_b32 s10, s15, 7
	s_mov_b32 s9, 0
	s_cmp_eq_u32 s10, 0
	s_cbranch_scc1 .LBB236_22
; %bb.20:
	v_lshlrev_b32_e32 v3, 4, v0
	s_lshl_b64 s[24:25], s[2:3], 4
	s_lshl_b64 s[26:27], s[8:9], 4
	s_delay_alu instid0(VALU_DEP_1) | instskip(NEXT) | instid1(VALU_DEP_1)
	v_add_co_u32 v4, s9, s24, v3
	v_add_co_ci_u32_e64 v5, null, s25, 0, s9
	s_add_u32 s9, s12, s26
	s_addc_u32 s11, s13, s27
	s_add_u32 s24, s9, s0
	s_addc_u32 s25, s11, s1
	v_mul_lo_u32 v5, v5, s17
	v_mad_u64_u32 v[1:2], null, v4, s17, s[24:25]
	v_mul_lo_u32 v4, v4, s20
	v_lshl_or_b32 v3, s8, 9, v3
	s_delay_alu instid0(VALU_DEP_1) | instskip(NEXT) | instid1(VALU_DEP_4)
	v_add_nc_u32_e32 v3, 0x4000, v3
	v_add_co_u32 v1, vcc_lo, v1, 8
	s_delay_alu instid0(VALU_DEP_4) | instskip(NEXT) | instid1(VALU_DEP_1)
	v_add3_u32 v2, v5, v2, v4
	v_add_co_ci_u32_e32 v2, vcc_lo, 0, v2, vcc_lo
	.p2align	6
.LBB236_21:                             ; =>This Inner Loop Header: Depth=1
	global_load_b128 v[4:7], v[1:2], off offset:-8
	v_add_co_u32 v1, vcc_lo, v1, 16
	v_add_co_ci_u32_e32 v2, vcc_lo, 0, v2, vcc_lo
	s_add_i32 s10, s10, -1
	s_delay_alu instid0(SALU_CYCLE_1) | instskip(SKIP_3) | instid1(VALU_DEP_2)
	s_cmp_lg_u32 s10, 0
	s_waitcnt vmcnt(0)
	v_mul_f64 v[8:9], s[6:7], v[6:7]
	v_mul_f64 v[10:11], s[4:5], v[6:7]
	v_fma_f64 v[6:7], s[4:5], v[4:5], -v[8:9]
	s_delay_alu instid0(VALU_DEP_2)
	v_fma_f64 v[8:9], s[6:7], v[4:5], v[10:11]
	ds_store_b128 v3, v[6:9]
	v_add_nc_u32_e32 v3, 0x200, v3
	s_cbranch_scc1 .LBB236_21
.LBB236_22:
	s_or_b32 exec_lo, exec_lo, s22
	s_or_b32 s6, 0, 8
	s_cmpk_eq_i32 s16, 0x6f
	s_mov_b32 s4, -1
	s_waitcnt vmcnt(0) lgkmcnt(0)
	s_waitcnt_vscnt null, 0x0
	; wave barrier
	s_waitcnt lgkmcnt(0)
	buffer_gl0_inv
	s_cbranch_scc1 .LBB236_43
; %bb.23:
	v_lshl_or_b32 v5, v0, 4, 0x4000
	v_lshlrev_b32_e32 v6, 4, v0
	s_lshl_b32 s7, s15, 4
	s_mov_b32 s5, 0
	s_add_i32 s7, s7, -16
	s_mov_b32 s4, s5
	s_mov_b32 s8, s28
	s_branch .LBB236_25
.LBB236_24:                             ;   in Loop: Header=BB236_25 Depth=1
	s_cmp_lt_i32 s8, 0
	s_cselect_b32 s9, -1, 0
	s_add_i32 s4, s4, 1
	s_delay_alu instid0(SALU_CYCLE_1) | instskip(SKIP_1) | instid1(SALU_CYCLE_1)
	s_cmp_eq_u32 s4, 3
	s_cselect_b32 s10, -1, 0
	s_or_b32 s9, s9, s10
	s_delay_alu instid0(SALU_CYCLE_1)
	s_and_not1_b32 vcc_lo, exec_lo, s9
	s_cbranch_vccz .LBB236_42
.LBB236_25:                             ; =>This Loop Header: Depth=1
                                        ;     Child Loop BB236_28 Depth 2
                                        ;       Child Loop BB236_29 Depth 3
                                        ;       Child Loop BB236_31 Depth 3
                                        ;         Child Loop BB236_32 Depth 4
                                        ;       Child Loop BB236_36 Depth 3
                                        ;         Child Loop BB236_38 Depth 4
	s_getpc_b64 s[10:11]
	s_add_u32 s10, s10, __const._ZL38rocblas_trsm_small_left_device_sharedBILi32ELi32ELb1E19rocblas_complex_numIdES1_PKPKS1_PKPS1_Ev13rocblas_fill_18rocblas_operation_17rocblas_diagonal_iiT3_T4_lilT5_lili.step_sizes@rel32@lo+4
	s_addc_u32 s11, s11, __const._ZL38rocblas_trsm_small_left_device_sharedBILi32ELi32ELb1E19rocblas_complex_numIdES1_PKPKS1_PKPS1_Ev13rocblas_fill_18rocblas_operation_17rocblas_diagonal_iiT3_T4_lilT5_lili.step_sizes@rel32@hi+12
	s_lshl_b64 s[22:23], s[4:5], 2
	s_delay_alu instid0(SALU_CYCLE_1) | instskip(SKIP_4) | instid1(SALU_CYCLE_1)
	s_add_u32 s10, s22, s10
	s_addc_u32 s11, s23, s11
	s_load_b32 s9, s[10:11], 0x0
	s_waitcnt lgkmcnt(0)
	s_add_i32 s10, s9, -1
	s_cmp_lt_i32 s8, s10
	s_cbranch_scc1 .LBB236_24
; %bb.26:                               ;   in Loop: Header=BB236_25 Depth=1
	s_lshl_b32 s22, s8, 9
	s_lshl_b32 s16, s9, 9
	v_add_nc_u32_e32 v7, s22, v5
	s_max_i32 s11, s9, 1
	s_sub_i32 s16, 0, s16
	s_add_i32 s22, s7, s22
	s_mul_i32 s23, s8, 0x210
	s_mul_i32 s24, s9, 0xfffffdf0
	s_branch .LBB236_28
.LBB236_27:                             ;   in Loop: Header=BB236_28 Depth=2
	v_add_nc_u32_e32 v7, s16, v7
	s_sub_i32 s8, s8, s9
	s_add_i32 s22, s22, s16
	s_add_i32 s23, s23, s24
	s_cmp_lt_i32 s8, s10
	s_cbranch_scc1 .LBB236_24
.LBB236_28:                             ;   Parent Loop BB236_25 Depth=1
                                        ; =>  This Loop Header: Depth=2
                                        ;       Child Loop BB236_29 Depth 3
                                        ;       Child Loop BB236_31 Depth 3
                                        ;         Child Loop BB236_32 Depth 4
                                        ;       Child Loop BB236_36 Depth 3
                                        ;         Child Loop BB236_38 Depth 4
	v_dual_mov_b32 v1, 0 :: v_dual_mov_b32 v2, v7
	s_mov_b32 s25, s11
.LBB236_29:                             ;   Parent Loop BB236_25 Depth=1
                                        ;     Parent Loop BB236_28 Depth=2
                                        ; =>    This Inner Loop Header: Depth=3
	ds_load_b128 v[8:11], v2
	v_add_nc_u32_e32 v2, 0xfffffe00, v2
	s_add_i32 s25, s25, -1
	s_delay_alu instid0(SALU_CYCLE_1)
	s_cmp_eq_u32 s25, 0
	s_waitcnt lgkmcnt(0)
	scratch_store_b128 v1, v[8:11], off
	v_add_nc_u32_e32 v1, 16, v1
	s_cbranch_scc0 .LBB236_29
; %bb.30:                               ;   in Loop: Header=BB236_28 Depth=2
	s_cmp_le_i32 s28, s8
	s_mov_b32 s25, s22
	s_mov_b32 s26, s28
	s_cbranch_scc1 .LBB236_34
	.p2align	6
.LBB236_31:                             ;   Parent Loop BB236_25 Depth=1
                                        ;     Parent Loop BB236_28 Depth=2
                                        ; =>    This Loop Header: Depth=3
                                        ;         Child Loop BB236_32 Depth 4
	v_lshl_or_b32 v1, s26, 9, v6
	s_mov_b32 s27, s6
	s_mov_b32 s29, s25
	;; [unrolled: 1-line block ×3, first 2 shown]
	ds_load_b128 v[1:4], v1 offset:16384
	.p2align	6
.LBB236_32:                             ;   Parent Loop BB236_25 Depth=1
                                        ;     Parent Loop BB236_28 Depth=2
                                        ;       Parent Loop BB236_31 Depth=3
                                        ; =>      This Inner Loop Header: Depth=4
	scratch_load_b128 v[8:11], off, s27 offset:-8
	v_mov_b32_e32 v12, s29
	s_add_i32 s30, s30, -1
	s_addk_i32 s29, 0xfe00
	ds_load_b128 v[12:15], v12
	s_waitcnt lgkmcnt(0)
	v_mul_f64 v[16:17], v[3:4], v[14:15]
	v_mul_f64 v[14:15], v[1:2], v[14:15]
	s_delay_alu instid0(VALU_DEP_2) | instskip(NEXT) | instid1(VALU_DEP_2)
	v_fma_f64 v[16:17], v[1:2], v[12:13], -v[16:17]
	v_fma_f64 v[12:13], v[3:4], v[12:13], v[14:15]
	s_waitcnt vmcnt(0)
	s_delay_alu instid0(VALU_DEP_2) | instskip(NEXT) | instid1(VALU_DEP_2)
	v_add_f64 v[8:9], v[8:9], -v[16:17]
	v_add_f64 v[10:11], v[10:11], -v[12:13]
	scratch_store_b128 off, v[8:11], s27 offset:-8
	s_add_i32 s27, s27, 16
	s_cmp_eq_u32 s30, 0
	s_cbranch_scc0 .LBB236_32
; %bb.33:                               ;   in Loop: Header=BB236_31 Depth=3
	s_add_i32 s26, s26, -1
	s_add_i32 s25, s25, -16
	s_cmp_le_i32 s26, s8
	s_cbranch_scc0 .LBB236_31
.LBB236_34:                             ;   in Loop: Header=BB236_28 Depth=2
	s_lshl_b32 s25, s8, 5
	s_mov_b32 s26, 0
	s_mov_b32 s27, s23
	s_branch .LBB236_36
.LBB236_35:                             ;   in Loop: Header=BB236_36 Depth=3
	s_mulk_i32 s30, 0x210
	s_addk_i32 s27, 0xfe00
	v_mov_b32_e32 v8, s30
	s_lshl_b32 s30, s26, 4
	s_add_i32 s26, s26, 1
	ds_load_b128 v[8:11], v8
	s_waitcnt vmcnt(0) lgkmcnt(0)
	v_mul_f64 v[12:13], v[10:11], v[3:4]
	v_mul_f64 v[3:4], v[8:9], v[3:4]
	s_delay_alu instid0(VALU_DEP_2) | instskip(NEXT) | instid1(VALU_DEP_2)
	v_fma_f64 v[8:9], v[8:9], v[1:2], -v[12:13]
	v_fma_f64 v[10:11], v[10:11], v[1:2], v[3:4]
	v_add_lshl_u32 v1, s29, v0, 4
	s_add_i32 s29, s30, 0
	s_cmp_eq_u32 s26, s11
	scratch_store_b128 off, v[8:11], s29
	ds_store_b128 v1, v[8:11] offset:16384
	s_cbranch_scc1 .LBB236_27
.LBB236_36:                             ;   Parent Loop BB236_25 Depth=1
                                        ;     Parent Loop BB236_28 Depth=2
                                        ; =>    This Loop Header: Depth=3
                                        ;         Child Loop BB236_38 Depth 4
	s_cmp_lg_u32 s26, 0
	s_cbranch_scc0 .LBB236_40
; %bb.37:                               ;   in Loop: Header=BB236_36 Depth=3
	s_lshl_b32 s31, s26, 4
	s_sub_i32 s30, s8, s26
	s_add_i32 s29, s31, 0
	v_add_nc_u32_e64 v8, s31, 0
	scratch_load_b128 v[1:4], off, s29
	s_lshl_b32 s29, s30, 5
	s_mov_b32 s31, 0
	s_mov_b32 s33, s6
	;; [unrolled: 1-line block ×3, first 2 shown]
	.p2align	6
.LBB236_38:                             ;   Parent Loop BB236_25 Depth=1
                                        ;     Parent Loop BB236_28 Depth=2
                                        ;       Parent Loop BB236_36 Depth=3
                                        ; =>      This Inner Loop Header: Depth=4
	scratch_load_b128 v[9:12], off, s33 offset:-8
	v_mov_b32_e32 v13, s34
	s_add_i32 s31, s31, 1
	s_add_i32 s34, s34, -16
	s_add_i32 s33, s33, 16
	s_cmp_ge_u32 s31, s26
	ds_load_b128 v[13:16], v13
	s_waitcnt vmcnt(0) lgkmcnt(0)
	v_mul_f64 v[17:18], v[15:16], v[11:12]
	v_mul_f64 v[11:12], v[13:14], v[11:12]
	s_delay_alu instid0(VALU_DEP_2) | instskip(NEXT) | instid1(VALU_DEP_2)
	v_fma_f64 v[13:14], v[13:14], v[9:10], -v[17:18]
	v_fma_f64 v[9:10], v[15:16], v[9:10], v[11:12]
	s_delay_alu instid0(VALU_DEP_2) | instskip(NEXT) | instid1(VALU_DEP_2)
	v_add_f64 v[1:2], v[1:2], -v[13:14]
	v_add_f64 v[3:4], v[3:4], -v[9:10]
	scratch_store_b128 v8, v[1:4], off
	s_cbranch_scc0 .LBB236_38
; %bb.39:                               ;   in Loop: Header=BB236_36 Depth=3
	s_branch .LBB236_35
.LBB236_40:                             ;   in Loop: Header=BB236_36 Depth=3
                                        ; implicit-def: $vgpr1_vgpr2
                                        ; implicit-def: $sgpr30
                                        ; implicit-def: $sgpr29
	s_cbranch_execz .LBB236_35
; %bb.41:                               ;   in Loop: Header=BB236_36 Depth=3
	scratch_load_b128 v[1:4], off, off
	s_mov_b32 s29, s25
	s_mov_b32 s30, s8
	s_branch .LBB236_35
.LBB236_42:
	s_mov_b32 s4, 0
.LBB236_43:
	s_delay_alu instid0(SALU_CYCLE_1)
	s_and_b32 vcc_lo, exec_lo, s4
	s_cbranch_vccz .LBB236_64
; %bb.44:
	v_lshl_or_b32 v5, v0, 4, 0x4000
	v_lshlrev_b32_e32 v6, 4, v0
	s_mov_b32 s5, 0
	s_delay_alu instid0(SALU_CYCLE_1)
	s_mov_b32 s4, s5
	s_mov_b32 s7, s5
	s_branch .LBB236_46
.LBB236_45:                             ;   in Loop: Header=BB236_46 Depth=1
	s_cmp_ge_i32 s7, s15
	s_cselect_b32 s8, -1, 0
	s_add_i32 s4, s4, 1
	s_delay_alu instid0(SALU_CYCLE_1) | instskip(SKIP_1) | instid1(SALU_CYCLE_1)
	s_cmp_eq_u32 s4, 3
	s_cselect_b32 s9, -1, 0
	s_or_b32 s8, s8, s9
	s_delay_alu instid0(SALU_CYCLE_1)
	s_and_b32 vcc_lo, exec_lo, s8
	s_cbranch_vccnz .LBB236_64
.LBB236_46:                             ; =>This Loop Header: Depth=1
                                        ;     Child Loop BB236_49 Depth 2
                                        ;       Child Loop BB236_50 Depth 3
                                        ;       Child Loop BB236_53 Depth 3
                                        ;         Child Loop BB236_54 Depth 4
                                        ;       Child Loop BB236_58 Depth 3
                                        ;         Child Loop BB236_60 Depth 4
	s_getpc_b64 s[8:9]
	s_add_u32 s8, s8, __const._ZL38rocblas_trsm_small_left_device_sharedBILi32ELi32ELb1E19rocblas_complex_numIdES1_PKPKS1_PKPS1_Ev13rocblas_fill_18rocblas_operation_17rocblas_diagonal_iiT3_T4_lilT5_lili.step_sizes@rel32@lo+4
	s_addc_u32 s9, s9, __const._ZL38rocblas_trsm_small_left_device_sharedBILi32ELi32ELb1E19rocblas_complex_numIdES1_PKPKS1_PKPS1_Ev13rocblas_fill_18rocblas_operation_17rocblas_diagonal_iiT3_T4_lilT5_lili.step_sizes@rel32@hi+12
	s_lshl_b64 s[10:11], s[4:5], 2
	s_delay_alu instid0(SALU_CYCLE_1) | instskip(SKIP_4) | instid1(SALU_CYCLE_1)
	s_add_u32 s8, s10, s8
	s_addc_u32 s9, s11, s9
	s_load_b32 s8, s[8:9], 0x0
	s_waitcnt lgkmcnt(0)
	s_add_i32 s9, s8, -1
	s_add_i32 s10, s9, s7
	s_delay_alu instid0(SALU_CYCLE_1)
	s_cmp_ge_i32 s10, s15
	s_cbranch_scc1 .LBB236_45
; %bb.47:                               ;   in Loop: Header=BB236_46 Depth=1
	v_lshl_add_u32 v7, s7, 9, v5
	s_max_i32 s10, s8, 1
	s_lshl_b32 s11, s8, 9
	s_lshl_b32 s16, s7, 4
	;; [unrolled: 1-line block ×3, first 2 shown]
	s_mul_i32 s23, s7, 0x210
	s_mul_i32 s24, s8, 0x210
	s_branch .LBB236_49
.LBB236_48:                             ;   in Loop: Header=BB236_49 Depth=2
	s_add_i32 s7, s7, s8
	v_add_nc_u32_e32 v7, s11, v7
	s_add_i32 s25, s9, s7
	s_add_i32 s16, s16, s22
	;; [unrolled: 1-line block ×3, first 2 shown]
	s_cmp_ge_i32 s25, s15
	s_cbranch_scc1 .LBB236_45
.LBB236_49:                             ;   Parent Loop BB236_46 Depth=1
                                        ; =>  This Loop Header: Depth=2
                                        ;       Child Loop BB236_50 Depth 3
                                        ;       Child Loop BB236_53 Depth 3
                                        ;         Child Loop BB236_54 Depth 4
                                        ;       Child Loop BB236_58 Depth 3
                                        ;         Child Loop BB236_60 Depth 4
	v_dual_mov_b32 v1, 0 :: v_dual_mov_b32 v2, v7
	s_mov_b32 s25, s10
.LBB236_50:                             ;   Parent Loop BB236_46 Depth=1
                                        ;     Parent Loop BB236_49 Depth=2
                                        ; =>    This Inner Loop Header: Depth=3
	ds_load_b128 v[8:11], v2
	v_add_nc_u32_e32 v2, 0x200, v2
	s_add_i32 s25, s25, -1
	s_delay_alu instid0(SALU_CYCLE_1)
	s_cmp_eq_u32 s25, 0
	s_waitcnt lgkmcnt(0)
	scratch_store_b128 v1, v[8:11], off
	v_add_nc_u32_e32 v1, 16, v1
	s_cbranch_scc0 .LBB236_50
; %bb.51:                               ;   in Loop: Header=BB236_49 Depth=2
	s_cmp_lt_i32 s7, 1
	s_cbranch_scc1 .LBB236_56
; %bb.52:                               ;   in Loop: Header=BB236_49 Depth=2
	s_mov_b32 s25, 0
	s_mov_b32 s26, s16
	s_set_inst_prefetch_distance 0x1
	.p2align	6
.LBB236_53:                             ;   Parent Loop BB236_46 Depth=1
                                        ;     Parent Loop BB236_49 Depth=2
                                        ; =>    This Loop Header: Depth=3
                                        ;         Child Loop BB236_54 Depth 4
	v_lshl_or_b32 v1, s25, 9, v6
	s_mov_b32 s27, s6
	s_mov_b32 s28, s26
	;; [unrolled: 1-line block ×3, first 2 shown]
	ds_load_b128 v[1:4], v1 offset:16384
	.p2align	6
.LBB236_54:                             ;   Parent Loop BB236_46 Depth=1
                                        ;     Parent Loop BB236_49 Depth=2
                                        ;       Parent Loop BB236_53 Depth=3
                                        ; =>      This Inner Loop Header: Depth=4
	scratch_load_b128 v[8:11], off, s27 offset:-8
	v_mov_b32_e32 v12, s28
	s_add_i32 s29, s29, -1
	s_add_i32 s28, s28, 16
	ds_load_b128 v[12:15], v12
	s_waitcnt lgkmcnt(0)
	v_mul_f64 v[16:17], v[3:4], v[14:15]
	v_mul_f64 v[14:15], v[1:2], v[14:15]
	s_delay_alu instid0(VALU_DEP_2) | instskip(NEXT) | instid1(VALU_DEP_2)
	v_fma_f64 v[16:17], v[1:2], v[12:13], -v[16:17]
	v_fma_f64 v[12:13], v[3:4], v[12:13], v[14:15]
	s_waitcnt vmcnt(0)
	s_delay_alu instid0(VALU_DEP_2) | instskip(NEXT) | instid1(VALU_DEP_2)
	v_add_f64 v[8:9], v[8:9], -v[16:17]
	v_add_f64 v[10:11], v[10:11], -v[12:13]
	scratch_store_b128 off, v[8:11], s27 offset:-8
	s_add_i32 s27, s27, 16
	s_cmp_eq_u32 s29, 0
	s_cbranch_scc0 .LBB236_54
; %bb.55:                               ;   in Loop: Header=BB236_53 Depth=3
	s_add_i32 s25, s25, 1
	s_addk_i32 s26, 0x200
	s_cmp_ge_i32 s25, s7
	s_cbranch_scc0 .LBB236_53
.LBB236_56:                             ;   in Loop: Header=BB236_49 Depth=2
	s_set_inst_prefetch_distance 0x2
	s_mov_b32 s25, 0
	s_mov_b32 s26, s23
	s_branch .LBB236_58
.LBB236_57:                             ;   in Loop: Header=BB236_58 Depth=3
	s_mul_i32 s28, s27, 0x210
	s_add_i32 s26, s26, 16
	v_mov_b32_e32 v8, s28
	s_lshl_b32 s28, s25, 4
	s_add_i32 s25, s25, 1
	ds_load_b128 v[8:11], v8
	s_waitcnt vmcnt(0) lgkmcnt(0)
	v_mul_f64 v[12:13], v[10:11], v[3:4]
	v_mul_f64 v[3:4], v[8:9], v[3:4]
	s_delay_alu instid0(VALU_DEP_2) | instskip(NEXT) | instid1(VALU_DEP_2)
	v_fma_f64 v[8:9], v[8:9], v[1:2], -v[12:13]
	v_fma_f64 v[10:11], v[10:11], v[1:2], v[3:4]
	v_lshl_or_b32 v1, s27, 9, v6
	s_add_i32 s27, s28, 0
	s_cmp_eq_u32 s25, s10
	scratch_store_b128 off, v[8:11], s27
	ds_store_b128 v1, v[8:11] offset:16384
	s_cbranch_scc1 .LBB236_48
.LBB236_58:                             ;   Parent Loop BB236_46 Depth=1
                                        ;     Parent Loop BB236_49 Depth=2
                                        ; =>    This Loop Header: Depth=3
                                        ;         Child Loop BB236_60 Depth 4
	s_cmp_lg_u32 s25, 0
	s_cbranch_scc0 .LBB236_62
; %bb.59:                               ;   in Loop: Header=BB236_58 Depth=3
	s_lshl_b32 s28, s25, 4
	s_mov_b32 s29, s6
	s_add_i32 s27, s28, 0
	v_add_nc_u32_e64 v8, s28, 0
	scratch_load_b128 v[1:4], off, s27
	s_add_i32 s27, s25, s7
	s_mov_b32 s28, 0
	s_mov_b32 s30, s26
	.p2align	6
.LBB236_60:                             ;   Parent Loop BB236_46 Depth=1
                                        ;     Parent Loop BB236_49 Depth=2
                                        ;       Parent Loop BB236_58 Depth=3
                                        ; =>      This Inner Loop Header: Depth=4
	scratch_load_b128 v[9:12], off, s29 offset:-8
	v_mov_b32_e32 v13, s30
	s_add_i32 s28, s28, 1
	s_addk_i32 s30, 0x200
	s_add_i32 s29, s29, 16
	s_cmp_ge_u32 s28, s25
	ds_load_b128 v[13:16], v13
	s_waitcnt vmcnt(0) lgkmcnt(0)
	v_mul_f64 v[17:18], v[15:16], v[11:12]
	v_mul_f64 v[11:12], v[13:14], v[11:12]
	s_delay_alu instid0(VALU_DEP_2) | instskip(NEXT) | instid1(VALU_DEP_2)
	v_fma_f64 v[13:14], v[13:14], v[9:10], -v[17:18]
	v_fma_f64 v[9:10], v[15:16], v[9:10], v[11:12]
	s_delay_alu instid0(VALU_DEP_2) | instskip(NEXT) | instid1(VALU_DEP_2)
	v_add_f64 v[1:2], v[1:2], -v[13:14]
	v_add_f64 v[3:4], v[3:4], -v[9:10]
	scratch_store_b128 v8, v[1:4], off
	s_cbranch_scc0 .LBB236_60
; %bb.61:                               ;   in Loop: Header=BB236_58 Depth=3
	s_branch .LBB236_57
.LBB236_62:                             ;   in Loop: Header=BB236_58 Depth=3
                                        ; implicit-def: $vgpr1_vgpr2
                                        ; implicit-def: $sgpr27
	s_cbranch_execz .LBB236_57
; %bb.63:                               ;   in Loop: Header=BB236_58 Depth=3
	scratch_load_b128 v[1:4], off, off
	s_mov_b32 s27, s7
	s_branch .LBB236_57
.LBB236_64:
	s_waitcnt vmcnt(0) lgkmcnt(0)
	s_waitcnt_vscnt null, 0x0
	; wave barrier
	s_waitcnt lgkmcnt(0)
	s_waitcnt_vscnt null, 0x0
	buffer_gl0_inv
	s_and_saveexec_b32 s4, s21
	s_cbranch_execz .LBB236_71
; %bb.65:
	s_cmp_lt_i32 s18, 8
	s_mov_b32 s4, 0
	s_cbranch_scc1 .LBB236_68
; %bb.66:
	v_mad_i64_i32 v[1:2], null, s17, v0, 0
	v_lshl_or_b32 v3, v0, 4, 0x4000
	s_lshl_b32 s4, s15, 4
	s_mov_b64 s[6:7], 0
	s_and_b32 s5, s4, 0x380
	s_mov_b32 s4, 0
	s_delay_alu instid0(VALU_DEP_2) | instskip(NEXT) | instid1(VALU_DEP_1)
	v_lshlrev_b64 v[1:2], 4, v[1:2]
	v_add_co_u32 v1, vcc_lo, s14, v1
	s_delay_alu instid0(VALU_DEP_2)
	v_add_co_ci_u32_e32 v2, vcc_lo, s19, v2, vcc_lo
.LBB236_67:                             ; =>This Inner Loop Header: Depth=1
	v_add_nc_u32_e32 v20, 0x800, v3
	v_add_nc_u32_e32 v24, 0xa00, v3
	;; [unrolled: 1-line block ×4, first 2 shown]
	ds_load_2addr_b64 v[4:7], v3 offset1:1
	ds_load_2addr_b64 v[8:11], v3 offset0:64 offset1:65
	ds_load_2addr_b64 v[12:15], v3 offset0:128 offset1:129
	;; [unrolled: 1-line block ×3, first 2 shown]
	ds_load_2addr_b64 v[20:23], v20 offset1:1
	ds_load_2addr_b64 v[24:27], v24 offset1:1
	;; [unrolled: 1-line block ×4, first 2 shown]
	v_add_co_u32 v36, vcc_lo, v1, s6
	v_add_co_ci_u32_e32 v37, vcc_lo, s7, v2, vcc_lo
	s_add_i32 s4, s4, 8
	v_add_nc_u32_e32 v3, 0x1000, v3
	s_add_u32 s6, s6, 0x80
	s_addc_u32 s7, s7, 0
	s_cmp_lg_u32 s5, s6
	s_waitcnt lgkmcnt(7)
	global_store_b128 v[36:37], v[4:7], off
	s_waitcnt lgkmcnt(6)
	global_store_b128 v[36:37], v[8:11], off offset:16
	s_waitcnt lgkmcnt(5)
	global_store_b128 v[36:37], v[12:15], off offset:32
	;; [unrolled: 2-line block ×7, first 2 shown]
	s_cbranch_scc1 .LBB236_67
.LBB236_68:
	s_and_b32 s6, s15, 7
	s_mov_b32 s5, 0
	s_cmp_eq_u32 s6, 0
	s_cbranch_scc1 .LBB236_71
; %bb.69:
	v_lshlrev_b32_e32 v2, 4, v0
	s_lshl_b64 s[2:3], s[2:3], 4
	s_lshl_b64 s[8:9], s[4:5], 4
	s_delay_alu instid0(VALU_DEP_1) | instskip(NEXT) | instid1(VALU_DEP_1)
	v_add_co_u32 v3, s2, s2, v2
	v_add_co_ci_u32_e64 v4, null, s3, 0, s2
	s_add_u32 s2, s12, s8
	s_addc_u32 s3, s13, s9
	s_add_u32 s0, s2, s0
	s_addc_u32 s1, s3, s1
	v_mul_lo_u32 v4, v4, s17
	v_mad_u64_u32 v[0:1], null, v3, s17, s[0:1]
	v_mul_lo_u32 v3, v3, s20
	v_lshl_or_b32 v2, s4, 9, v2
	s_delay_alu instid0(VALU_DEP_1) | instskip(NEXT) | instid1(VALU_DEP_3)
	v_add_nc_u32_e32 v2, 0x4000, v2
	v_add3_u32 v1, v4, v1, v3
.LBB236_70:                             ; =>This Inner Loop Header: Depth=1
	ds_load_2addr_b64 v[3:6], v2 offset1:1
	v_add_nc_u32_e32 v2, 0x200, v2
	s_add_i32 s6, s6, -1
	s_delay_alu instid0(SALU_CYCLE_1)
	s_cmp_lg_u32 s6, 0
	s_waitcnt lgkmcnt(0)
	global_store_b128 v[0:1], v[3:6], off
	v_add_co_u32 v0, vcc_lo, v0, 16
	v_add_co_ci_u32_e32 v1, vcc_lo, 0, v1, vcc_lo
	s_cbranch_scc1 .LBB236_70
.LBB236_71:
	s_nop 0
	s_sendmsg sendmsg(MSG_DEALLOC_VGPRS)
	s_endpgm
	.section	.rodata,"a",@progbits
	.p2align	6, 0x0
	.amdhsa_kernel _ZL38rocblas_trsm_small_left_device_sharedBILi32ELi32ELb1E19rocblas_complex_numIdES1_PKPKS1_PKPS1_Ev13rocblas_fill_18rocblas_operation_17rocblas_diagonal_iiT3_T4_lilT5_lili
		.amdhsa_group_segment_fixed_size 32768
		.amdhsa_private_segment_fixed_size 528
		.amdhsa_kernarg_size 368
		.amdhsa_user_sgpr_count 14
		.amdhsa_user_sgpr_dispatch_ptr 0
		.amdhsa_user_sgpr_queue_ptr 0
		.amdhsa_user_sgpr_kernarg_segment_ptr 1
		.amdhsa_user_sgpr_dispatch_id 0
		.amdhsa_user_sgpr_private_segment_size 0
		.amdhsa_wavefront_size32 1
		.amdhsa_uses_dynamic_stack 0
		.amdhsa_enable_private_segment 1
		.amdhsa_system_sgpr_workgroup_id_x 1
		.amdhsa_system_sgpr_workgroup_id_y 0
		.amdhsa_system_sgpr_workgroup_id_z 1
		.amdhsa_system_sgpr_workgroup_info 0
		.amdhsa_system_vgpr_workitem_id 0
		.amdhsa_next_free_vgpr 54
		.amdhsa_next_free_sgpr 35
		.amdhsa_reserve_vcc 1
		.amdhsa_float_round_mode_32 0
		.amdhsa_float_round_mode_16_64 0
		.amdhsa_float_denorm_mode_32 3
		.amdhsa_float_denorm_mode_16_64 3
		.amdhsa_dx10_clamp 1
		.amdhsa_ieee_mode 1
		.amdhsa_fp16_overflow 0
		.amdhsa_workgroup_processor_mode 1
		.amdhsa_memory_ordered 1
		.amdhsa_forward_progress 0
		.amdhsa_shared_vgpr_count 0
		.amdhsa_exception_fp_ieee_invalid_op 0
		.amdhsa_exception_fp_denorm_src 0
		.amdhsa_exception_fp_ieee_div_zero 0
		.amdhsa_exception_fp_ieee_overflow 0
		.amdhsa_exception_fp_ieee_underflow 0
		.amdhsa_exception_fp_ieee_inexact 0
		.amdhsa_exception_int_div_zero 0
	.end_amdhsa_kernel
	.section	.text._ZL38rocblas_trsm_small_left_device_sharedBILi32ELi32ELb1E19rocblas_complex_numIdES1_PKPKS1_PKPS1_Ev13rocblas_fill_18rocblas_operation_17rocblas_diagonal_iiT3_T4_lilT5_lili,"axG",@progbits,_ZL38rocblas_trsm_small_left_device_sharedBILi32ELi32ELb1E19rocblas_complex_numIdES1_PKPKS1_PKPS1_Ev13rocblas_fill_18rocblas_operation_17rocblas_diagonal_iiT3_T4_lilT5_lili,comdat
.Lfunc_end236:
	.size	_ZL38rocblas_trsm_small_left_device_sharedBILi32ELi32ELb1E19rocblas_complex_numIdES1_PKPKS1_PKPS1_Ev13rocblas_fill_18rocblas_operation_17rocblas_diagonal_iiT3_T4_lilT5_lili, .Lfunc_end236-_ZL38rocblas_trsm_small_left_device_sharedBILi32ELi32ELb1E19rocblas_complex_numIdES1_PKPKS1_PKPS1_Ev13rocblas_fill_18rocblas_operation_17rocblas_diagonal_iiT3_T4_lilT5_lili
                                        ; -- End function
	.section	.AMDGPU.csdata,"",@progbits
; Kernel info:
; codeLenInByte = 4272
; NumSgprs: 37
; NumVgprs: 54
; ScratchSize: 528
; MemoryBound: 0
; FloatMode: 240
; IeeeMode: 1
; LDSByteSize: 32768 bytes/workgroup (compile time only)
; SGPRBlocks: 4
; VGPRBlocks: 6
; NumSGPRsForWavesPerEU: 37
; NumVGPRsForWavesPerEU: 54
; Occupancy: 1
; WaveLimiterHint : 1
; COMPUTE_PGM_RSRC2:SCRATCH_EN: 1
; COMPUTE_PGM_RSRC2:USER_SGPR: 14
; COMPUTE_PGM_RSRC2:TRAP_HANDLER: 0
; COMPUTE_PGM_RSRC2:TGID_X_EN: 1
; COMPUTE_PGM_RSRC2:TGID_Y_EN: 0
; COMPUTE_PGM_RSRC2:TGID_Z_EN: 1
; COMPUTE_PGM_RSRC2:TIDIG_COMP_CNT: 0
	.section	.text._ZL30rocblas_trsm_small_left_deviceILi32ELi32ELb1E19rocblas_complex_numIdES1_PKPKS1_PKPS1_Ev13rocblas_fill_18rocblas_operation_17rocblas_diagonal_iiT3_T4_lilT5_lili,"axG",@progbits,_ZL30rocblas_trsm_small_left_deviceILi32ELi32ELb1E19rocblas_complex_numIdES1_PKPKS1_PKPS1_Ev13rocblas_fill_18rocblas_operation_17rocblas_diagonal_iiT3_T4_lilT5_lili,comdat
	.globl	_ZL30rocblas_trsm_small_left_deviceILi32ELi32ELb1E19rocblas_complex_numIdES1_PKPKS1_PKPS1_Ev13rocblas_fill_18rocblas_operation_17rocblas_diagonal_iiT3_T4_lilT5_lili ; -- Begin function _ZL30rocblas_trsm_small_left_deviceILi32ELi32ELb1E19rocblas_complex_numIdES1_PKPKS1_PKPS1_Ev13rocblas_fill_18rocblas_operation_17rocblas_diagonal_iiT3_T4_lilT5_lili
	.p2align	8
	.type	_ZL30rocblas_trsm_small_left_deviceILi32ELi32ELb1E19rocblas_complex_numIdES1_PKPKS1_PKPS1_Ev13rocblas_fill_18rocblas_operation_17rocblas_diagonal_iiT3_T4_lilT5_lili,@function
_ZL30rocblas_trsm_small_left_deviceILi32ELi32ELb1E19rocblas_complex_numIdES1_PKPKS1_PKPS1_Ev13rocblas_fill_18rocblas_operation_17rocblas_diagonal_iiT3_T4_lilT5_lili: ; @_ZL30rocblas_trsm_small_left_deviceILi32ELi32ELb1E19rocblas_complex_numIdES1_PKPKS1_PKPS1_Ev13rocblas_fill_18rocblas_operation_17rocblas_diagonal_iiT3_T4_lilT5_lili
; %bb.0:
	s_clause 0x1
	s_load_b128 s[20:23], s[0:1], 0x48
	s_load_b128 s[16:19], s[0:1], 0x4
	s_mov_b32 s2, s15
	s_mov_b32 s3, 0
	s_load_b32 s15, s[0:1], 0x70
	s_lshl_b64 s[24:25], s[2:3], 3
	s_mov_b32 s29, exec_lo
	s_waitcnt lgkmcnt(0)
	s_add_u32 s12, s20, s24
	s_addc_u32 s13, s21, s25
	s_load_b256 s[4:11], s[0:1], 0x18
	s_load_b64 s[12:13], s[12:13], 0x0
	s_min_i32 s18, s18, 32
	s_delay_alu instid0(SALU_CYCLE_1)
	s_add_i32 s28, s18, -1
	v_cmpx_gt_i32_e64 s18, v0
	s_cbranch_execz .LBB237_15
; %bb.1:
	s_load_b32 s20, s[0:1], 0x38
	v_lshlrev_b32_e32 v3, 4, v0
	s_waitcnt lgkmcnt(0)
	s_ashr_i32 s21, s20, 31
	s_cmpk_eq_i32 s16, 0x71
	s_cselect_b32 vcc_lo, -1, 0
	s_add_u32 s8, s8, s24
	s_addc_u32 s9, s9, s25
	s_cmp_lt_u32 s28, 3
	s_load_b64 s[8:9], s[8:9], 0x0
	s_cbranch_scc1 .LBB237_4
; %bb.2:
	v_dual_mov_b32 v4, v3 :: v_dual_lshlrev_b32 v1, 4, v0
	s_lshl_b64 s[24:25], s[10:11], 4
	s_and_b32 s3, s18, -4
	s_waitcnt lgkmcnt(0)
	s_add_u32 s2, s8, s24
	s_addc_u32 s24, s9, s25
	v_add_co_u32 v1, s2, s2, v1
	s_delay_alu instid0(VALU_DEP_1) | instskip(SKIP_1) | instid1(VALU_DEP_2)
	v_add_co_ci_u32_e64 v2, null, s24, 0, s2
	s_lshl_b64 s[24:25], s[20:21], 6
	v_add_co_u32 v1, s2, v1, 8
	s_delay_alu instid0(VALU_DEP_1)
	v_add_co_ci_u32_e64 v2, s2, 0, v2, s2
	s_lshl_b64 s[26:27], s[20:21], 4
	s_mov_b32 s30, 0
.LBB237_3:                              ; =>This Inner Loop Header: Depth=1
	s_delay_alu instid0(VALU_DEP_2) | instskip(NEXT) | instid1(VALU_DEP_1)
	v_add_co_u32 v9, s2, v1, s26
	v_add_co_ci_u32_e64 v10, s2, s27, v2, s2
	s_add_i32 s30, s30, 4
	s_delay_alu instid0(VALU_DEP_2) | instskip(NEXT) | instid1(VALU_DEP_1)
	v_add_co_u32 v13, s2, v9, s26
	v_add_co_ci_u32_e64 v14, s2, s27, v10, s2
	s_cmp_eq_u32 s3, s30
	s_delay_alu instid0(VALU_DEP_2) | instskip(NEXT) | instid1(VALU_DEP_1)
	v_add_co_u32 v17, s2, v13, s26
	v_add_co_ci_u32_e64 v18, s2, s27, v14, s2
	s_clause 0x3
	global_load_b128 v[5:8], v[1:2], off offset:-8
	global_load_b128 v[9:12], v[9:10], off offset:-8
	;; [unrolled: 1-line block ×4, first 2 shown]
	v_add_co_u32 v1, s2, v1, s24
	s_delay_alu instid0(VALU_DEP_1)
	v_add_co_ci_u32_e64 v2, s2, s25, v2, s2
	s_waitcnt vmcnt(3)
	v_xor_b32_e32 v21, 0x80000000, v8
	s_waitcnt vmcnt(2)
	v_xor_b32_e32 v22, 0x80000000, v12
	s_waitcnt vmcnt(1)
	v_xor_b32_e32 v23, 0x80000000, v16
	s_waitcnt vmcnt(0)
	v_xor_b32_e32 v24, 0x80000000, v20
	v_cndmask_b32_e32 v8, v8, v21, vcc_lo
	v_cndmask_b32_e32 v12, v12, v22, vcc_lo
	;; [unrolled: 1-line block ×3, first 2 shown]
	s_delay_alu instid0(VALU_DEP_4)
	v_cndmask_b32_e32 v20, v20, v24, vcc_lo
	ds_store_b128 v4, v[5:8]
	ds_store_b128 v4, v[9:12] offset:512
	ds_store_b128 v4, v[13:16] offset:1024
	ds_store_b128 v4, v[17:20] offset:1536
	v_add_nc_u32_e32 v4, 0x800, v4
	s_cbranch_scc0 .LBB237_3
.LBB237_4:
	s_and_b32 s24, s18, 3
	s_delay_alu instid0(SALU_CYCLE_1)
	s_cmp_eq_u32 s24, 0
	s_cbranch_scc1 .LBB237_7
; %bb.5:
	s_mul_i32 s2, s21, s3
	s_mul_hi_u32 s25, s20, s3
	s_mul_i32 s26, s20, s3
	s_add_i32 s27, s25, s2
	s_lshl_b64 s[10:11], s[10:11], 4
	s_lshl_b64 s[26:27], s[26:27], 4
	s_delay_alu instid0(SALU_CYCLE_1)
	s_add_u32 s2, s26, s10
	s_addc_u32 s10, s27, s11
	s_waitcnt lgkmcnt(0)
	s_add_u32 s2, s8, s2
	s_addc_u32 s8, s9, s10
	v_add_co_u32 v1, s2, s2, v3
	s_delay_alu instid0(VALU_DEP_1) | instskip(SKIP_1) | instid1(VALU_DEP_3)
	v_add_co_ci_u32_e64 v2, null, s8, 0, s2
	v_lshl_or_b32 v3, s3, 9, v3
	v_add_co_u32 v1, s2, v1, 8
	s_delay_alu instid0(VALU_DEP_1)
	v_add_co_ci_u32_e64 v2, s2, 0, v2, s2
	s_lshl_b64 s[8:9], s[20:21], 4
.LBB237_6:                              ; =>This Inner Loop Header: Depth=1
	global_load_b128 v[4:7], v[1:2], off offset:-8
	v_add_co_u32 v1, s2, v1, s8
	s_delay_alu instid0(VALU_DEP_1) | instskip(SKIP_1) | instid1(SALU_CYCLE_1)
	v_add_co_ci_u32_e64 v2, s2, s9, v2, s2
	s_add_i32 s24, s24, -1
	s_cmp_lg_u32 s24, 0
	s_waitcnt vmcnt(0)
	v_xor_b32_e32 v8, 0x80000000, v7
	s_delay_alu instid0(VALU_DEP_1)
	v_cndmask_b32_e32 v7, v7, v8, vcc_lo
	ds_store_b128 v3, v[4:7]
	v_add_nc_u32_e32 v3, 0x200, v3
	s_cbranch_scc1 .LBB237_6
.LBB237_7:
	v_mul_u32_u24_e32 v1, 33, v0
	s_cmpk_lg_i32 s17, 0x84
	s_delay_alu instid0(VALU_DEP_1)
	v_lshlrev_b32_e32 v9, 4, v1
	s_cbranch_scc0 .LBB237_13
; %bb.8:
	ds_load_b128 v[1:4], v9
	s_waitcnt lgkmcnt(0)
	v_cmp_gt_f64_e32 vcc_lo, 0, v[1:2]
	v_xor_b32_e32 v6, 0x80000000, v2
	v_mov_b32_e32 v5, v1
	v_xor_b32_e32 v7, 0x80000000, v4
	s_delay_alu instid0(VALU_DEP_3) | instskip(SKIP_1) | instid1(VALU_DEP_3)
	v_cndmask_b32_e32 v6, v2, v6, vcc_lo
	v_cmp_gt_f64_e32 vcc_lo, 0, v[3:4]
	v_dual_cndmask_b32 v8, v4, v7 :: v_dual_mov_b32 v7, v3
	s_delay_alu instid0(VALU_DEP_1) | instskip(SKIP_1) | instid1(SALU_CYCLE_1)
	v_cmp_ngt_f64_e32 vcc_lo, v[5:6], v[7:8]
                                        ; implicit-def: $vgpr7_vgpr8
	s_and_saveexec_b32 s2, vcc_lo
	s_xor_b32 s2, exec_lo, s2
	s_cbranch_execz .LBB237_10
; %bb.9:
	v_div_scale_f64 v[5:6], null, v[3:4], v[3:4], v[1:2]
	v_div_scale_f64 v[12:13], vcc_lo, v[1:2], v[3:4], v[1:2]
	s_delay_alu instid0(VALU_DEP_2) | instskip(SKIP_2) | instid1(VALU_DEP_1)
	v_rcp_f64_e32 v[7:8], v[5:6]
	s_waitcnt_depctr 0xfff
	v_fma_f64 v[10:11], -v[5:6], v[7:8], 1.0
	v_fma_f64 v[7:8], v[7:8], v[10:11], v[7:8]
	s_delay_alu instid0(VALU_DEP_1) | instskip(NEXT) | instid1(VALU_DEP_1)
	v_fma_f64 v[10:11], -v[5:6], v[7:8], 1.0
	v_fma_f64 v[7:8], v[7:8], v[10:11], v[7:8]
	s_delay_alu instid0(VALU_DEP_1) | instskip(NEXT) | instid1(VALU_DEP_1)
	v_mul_f64 v[10:11], v[12:13], v[7:8]
	v_fma_f64 v[5:6], -v[5:6], v[10:11], v[12:13]
	s_delay_alu instid0(VALU_DEP_1) | instskip(NEXT) | instid1(VALU_DEP_1)
	v_div_fmas_f64 v[5:6], v[5:6], v[7:8], v[10:11]
	v_div_fixup_f64 v[5:6], v[5:6], v[3:4], v[1:2]
	s_delay_alu instid0(VALU_DEP_1) | instskip(NEXT) | instid1(VALU_DEP_1)
	v_fma_f64 v[1:2], v[1:2], v[5:6], v[3:4]
	v_div_scale_f64 v[3:4], null, v[1:2], v[1:2], 1.0
	v_div_scale_f64 v[12:13], vcc_lo, 1.0, v[1:2], 1.0
	s_delay_alu instid0(VALU_DEP_2) | instskip(SKIP_2) | instid1(VALU_DEP_1)
	v_rcp_f64_e32 v[7:8], v[3:4]
	s_waitcnt_depctr 0xfff
	v_fma_f64 v[10:11], -v[3:4], v[7:8], 1.0
	v_fma_f64 v[7:8], v[7:8], v[10:11], v[7:8]
	s_delay_alu instid0(VALU_DEP_1) | instskip(NEXT) | instid1(VALU_DEP_1)
	v_fma_f64 v[10:11], -v[3:4], v[7:8], 1.0
	v_fma_f64 v[7:8], v[7:8], v[10:11], v[7:8]
	s_delay_alu instid0(VALU_DEP_1) | instskip(NEXT) | instid1(VALU_DEP_1)
	v_mul_f64 v[10:11], v[12:13], v[7:8]
	v_fma_f64 v[3:4], -v[3:4], v[10:11], v[12:13]
	s_delay_alu instid0(VALU_DEP_1) | instskip(SKIP_1) | instid1(VALU_DEP_2)
	v_div_fmas_f64 v[3:4], v[3:4], v[7:8], v[10:11]
	v_add_f64 v[7:8], v[5:6], 0
	v_div_fixup_f64 v[1:2], v[3:4], v[1:2], 1.0
	v_fma_f64 v[3:4], v[5:6], 0, -1.0
	s_delay_alu instid0(VALU_DEP_2) | instskip(NEXT) | instid1(VALU_DEP_2)
	v_mul_f64 v[5:6], v[7:8], v[1:2]
	v_mul_f64 v[7:8], v[3:4], v[1:2]
                                        ; implicit-def: $vgpr1_vgpr2
.LBB237_10:
	s_and_not1_saveexec_b32 s2, s2
	s_cbranch_execz .LBB237_12
; %bb.11:
	v_div_scale_f64 v[5:6], null, v[1:2], v[1:2], v[3:4]
	v_div_scale_f64 v[12:13], vcc_lo, v[3:4], v[1:2], v[3:4]
	s_delay_alu instid0(VALU_DEP_2) | instskip(SKIP_2) | instid1(VALU_DEP_1)
	v_rcp_f64_e32 v[7:8], v[5:6]
	s_waitcnt_depctr 0xfff
	v_fma_f64 v[10:11], -v[5:6], v[7:8], 1.0
	v_fma_f64 v[7:8], v[7:8], v[10:11], v[7:8]
	s_delay_alu instid0(VALU_DEP_1) | instskip(NEXT) | instid1(VALU_DEP_1)
	v_fma_f64 v[10:11], -v[5:6], v[7:8], 1.0
	v_fma_f64 v[7:8], v[7:8], v[10:11], v[7:8]
	s_delay_alu instid0(VALU_DEP_1) | instskip(NEXT) | instid1(VALU_DEP_1)
	v_mul_f64 v[10:11], v[12:13], v[7:8]
	v_fma_f64 v[5:6], -v[5:6], v[10:11], v[12:13]
	s_delay_alu instid0(VALU_DEP_1) | instskip(NEXT) | instid1(VALU_DEP_1)
	v_div_fmas_f64 v[5:6], v[5:6], v[7:8], v[10:11]
	v_div_fixup_f64 v[5:6], v[5:6], v[1:2], v[3:4]
	s_delay_alu instid0(VALU_DEP_1) | instskip(NEXT) | instid1(VALU_DEP_1)
	v_fma_f64 v[1:2], v[3:4], v[5:6], v[1:2]
	v_div_scale_f64 v[3:4], null, v[1:2], v[1:2], 1.0
	v_div_scale_f64 v[12:13], vcc_lo, 1.0, v[1:2], 1.0
	s_delay_alu instid0(VALU_DEP_2) | instskip(SKIP_2) | instid1(VALU_DEP_1)
	v_rcp_f64_e32 v[7:8], v[3:4]
	s_waitcnt_depctr 0xfff
	v_fma_f64 v[10:11], -v[3:4], v[7:8], 1.0
	v_fma_f64 v[7:8], v[7:8], v[10:11], v[7:8]
	s_delay_alu instid0(VALU_DEP_1) | instskip(NEXT) | instid1(VALU_DEP_1)
	v_fma_f64 v[10:11], -v[3:4], v[7:8], 1.0
	v_fma_f64 v[7:8], v[7:8], v[10:11], v[7:8]
	s_delay_alu instid0(VALU_DEP_1) | instskip(NEXT) | instid1(VALU_DEP_1)
	v_mul_f64 v[10:11], v[12:13], v[7:8]
	v_fma_f64 v[3:4], -v[3:4], v[10:11], v[12:13]
	s_delay_alu instid0(VALU_DEP_1) | instskip(SKIP_1) | instid1(VALU_DEP_2)
	v_div_fmas_f64 v[3:4], v[3:4], v[7:8], v[10:11]
	v_fma_f64 v[7:8], v[5:6], 0, 1.0
	v_div_fixup_f64 v[1:2], v[3:4], v[1:2], 1.0
	v_add_f64 v[3:4], -v[5:6], 0
	s_delay_alu instid0(VALU_DEP_2) | instskip(NEXT) | instid1(VALU_DEP_2)
	v_mul_f64 v[5:6], v[7:8], v[1:2]
	v_mul_f64 v[7:8], v[3:4], v[1:2]
.LBB237_12:
	s_or_b32 exec_lo, exec_lo, s2
	s_branch .LBB237_14
.LBB237_13:
	v_mov_b32_e32 v5, 0
	v_dual_mov_b32 v6, 0x3ff00000 :: v_dual_mov_b32 v7, 0
	v_mov_b32_e32 v8, 0
.LBB237_14:
	ds_store_b128 v9, v[5:8]
.LBB237_15:
	s_or_b32 exec_lo, exec_lo, s29
	s_lshl_b32 s3, s14, 5
	s_add_i32 s15, s15, -1
	s_sub_i32 s2, s19, s3
	s_cmp_ge_u32 s14, s15
	s_waitcnt lgkmcnt(0)
	s_cselect_b32 s2, s2, 32
	; wave barrier
	buffer_gl0_inv
	v_cmp_gt_i32_e32 vcc_lo, s2, v0
	s_mov_b32 s2, -1
	s_and_saveexec_b32 s8, vcc_lo
	s_cbranch_execz .LBB237_58
; %bb.16:
	s_load_b32 s0, s[0:1], 0x58
	v_add_nc_u32_e32 v2, s3, v0
	s_waitcnt lgkmcnt(0)
	s_delay_alu instid0(VALU_DEP_1) | instskip(SKIP_1) | instid1(SALU_CYCLE_1)
	v_mad_i64_i32 v[0:1], null, s0, v2, 0
	s_lshl_b64 s[0:1], s[22:23], 4
	s_add_u32 s3, s12, s0
	s_addc_u32 s8, s13, s1
	s_or_b32 s17, 0, 8
	s_cmpk_eq_i32 s16, 0x6f
	s_delay_alu instid0(VALU_DEP_1) | instskip(NEXT) | instid1(VALU_DEP_1)
	v_lshlrev_b64 v[4:5], 4, v[0:1]
	v_add_co_u32 v6, vcc_lo, s3, v4
	s_delay_alu instid0(VALU_DEP_2)
	v_add_co_ci_u32_e32 v7, vcc_lo, s8, v5, vcc_lo
	s_cbranch_scc1 .LBB237_37
; %bb.17:
	s_add_u32 s2, s12, s0
	s_addc_u32 s3, s13, s1
	v_add_co_u32 v0, vcc_lo, s2, v4
	v_add_co_ci_u32_e32 v1, vcc_lo, s3, v5, vcc_lo
	s_lshl_b32 s16, s18, 4
	s_delay_alu instid0(VALU_DEP_2) | instskip(NEXT) | instid1(VALU_DEP_2)
	v_add_co_u32 v8, vcc_lo, v0, 8
	v_add_co_ci_u32_e32 v9, vcc_lo, 0, v1, vcc_lo
	s_mov_b32 s3, 0
	s_add_i32 s16, s16, -16
	s_mov_b32 s2, s3
	s_mov_b32 s8, s28
	s_branch .LBB237_19
.LBB237_18:                             ;   in Loop: Header=BB237_19 Depth=1
	s_cmp_lt_i32 s8, 0
	s_cselect_b32 s9, -1, 0
	s_add_i32 s2, s2, 1
	s_delay_alu instid0(SALU_CYCLE_1) | instskip(SKIP_1) | instid1(SALU_CYCLE_1)
	s_cmp_eq_u32 s2, 3
	s_cselect_b32 s10, -1, 0
	s_or_b32 s9, s9, s10
	s_delay_alu instid0(SALU_CYCLE_1)
	s_and_not1_b32 vcc_lo, exec_lo, s9
	s_cbranch_vccz .LBB237_36
.LBB237_19:                             ; =>This Loop Header: Depth=1
                                        ;     Child Loop BB237_22 Depth 2
                                        ;       Child Loop BB237_23 Depth 3
                                        ;       Child Loop BB237_25 Depth 3
                                        ;         Child Loop BB237_26 Depth 4
                                        ;       Child Loop BB237_30 Depth 3
                                        ;         Child Loop BB237_32 Depth 4
	s_getpc_b64 s[10:11]
	s_add_u32 s10, s10, __const._ZL30rocblas_trsm_small_left_deviceILi32ELi32ELb1E19rocblas_complex_numIdES1_PKPKS1_PKPS1_Ev13rocblas_fill_18rocblas_operation_17rocblas_diagonal_iiT3_T4_lilT5_lili.step_sizes@rel32@lo+4
	s_addc_u32 s11, s11, __const._ZL30rocblas_trsm_small_left_deviceILi32ELi32ELb1E19rocblas_complex_numIdES1_PKPKS1_PKPS1_Ev13rocblas_fill_18rocblas_operation_17rocblas_diagonal_iiT3_T4_lilT5_lili.step_sizes@rel32@hi+12
	s_lshl_b64 s[14:15], s[2:3], 2
	s_delay_alu instid0(SALU_CYCLE_1) | instskip(SKIP_4) | instid1(SALU_CYCLE_1)
	s_add_u32 s10, s14, s10
	s_addc_u32 s11, s15, s11
	s_load_b32 s19, s[10:11], 0x0
	s_waitcnt lgkmcnt(0)
	s_add_i32 s20, s19, -1
	s_cmp_lt_i32 s8, s20
	s_cbranch_scc1 .LBB237_18
; %bb.20:                               ;   in Loop: Header=BB237_19 Depth=1
	s_lshl_b32 s9, s8, 9
	s_lshl_b32 s10, s19, 9
	s_max_i32 s21, s19, 1
	s_add_i32 s22, s16, s9
	s_sub_i32 s23, 0, s10
	s_mul_i32 s24, s8, 0x210
	s_mul_i32 s25, s19, 0xfffffdf0
	s_branch .LBB237_22
.LBB237_21:                             ;   in Loop: Header=BB237_22 Depth=2
	s_sub_i32 s8, s8, s19
	s_add_i32 s22, s22, s23
	s_add_i32 s24, s24, s25
	s_cmp_lt_i32 s8, s20
	s_cbranch_scc1 .LBB237_18
.LBB237_22:                             ;   Parent Loop BB237_19 Depth=1
                                        ; =>  This Loop Header: Depth=2
                                        ;       Child Loop BB237_23 Depth 3
                                        ;       Child Loop BB237_25 Depth 3
                                        ;         Child Loop BB237_26 Depth 4
                                        ;       Child Loop BB237_30 Depth 3
                                        ;         Child Loop BB237_32 Depth 4
	s_ashr_i32 s9, s8, 31
	s_delay_alu instid0(SALU_CYCLE_1) | instskip(NEXT) | instid1(SALU_CYCLE_1)
	s_lshl_b64 s[10:11], s[8:9], 4
	v_add_co_u32 v0, vcc_lo, v8, s10
	v_add_co_ci_u32_e32 v1, vcc_lo, s11, v9, vcc_lo
	s_mov_b32 s10, 8
	s_mov_b32 s11, s21
	.p2align	6
.LBB237_23:                             ;   Parent Loop BB237_19 Depth=1
                                        ;     Parent Loop BB237_22 Depth=2
                                        ; =>    This Inner Loop Header: Depth=3
	global_load_b128 v[10:13], v[0:1], off offset:-8
	v_add_co_u32 v0, vcc_lo, v0, -16
	v_add_co_ci_u32_e32 v1, vcc_lo, -1, v1, vcc_lo
	s_add_i32 s11, s11, -1
	s_add_i32 s14, s10, 0
	s_add_i32 s10, s10, 16
	s_cmp_eq_u32 s11, 0
	s_waitcnt vmcnt(0)
	v_mul_f64 v[2:3], s[6:7], v[12:13]
	v_mul_f64 v[14:15], s[4:5], v[12:13]
	s_delay_alu instid0(VALU_DEP_2) | instskip(NEXT) | instid1(VALU_DEP_2)
	v_fma_f64 v[12:13], s[4:5], v[10:11], -v[2:3]
	v_fma_f64 v[14:15], s[6:7], v[10:11], v[14:15]
	scratch_store_b128 off, v[12:15], s14 offset:-8
	s_cbranch_scc0 .LBB237_23
; %bb.24:                               ;   in Loop: Header=BB237_22 Depth=2
	s_cmp_le_i32 s28, s8
	s_mov_b32 s14, s22
	s_mov_b32 s10, s28
	s_cbranch_scc1 .LBB237_28
	.p2align	6
.LBB237_25:                             ;   Parent Loop BB237_19 Depth=1
                                        ;     Parent Loop BB237_22 Depth=2
                                        ; =>    This Loop Header: Depth=3
                                        ;         Child Loop BB237_26 Depth 4
	s_ashr_i32 s11, s10, 31
	s_mov_b32 s15, s14
	s_lshl_b64 s[26:27], s[10:11], 4
	s_mov_b32 s11, s17
	v_add_co_u32 v0, vcc_lo, v6, s26
	v_add_co_ci_u32_e32 v1, vcc_lo, s27, v7, vcc_lo
	s_mov_b32 s26, s21
	global_load_b128 v[0:3], v[0:1], off
	.p2align	6
.LBB237_26:                             ;   Parent Loop BB237_19 Depth=1
                                        ;     Parent Loop BB237_22 Depth=2
                                        ;       Parent Loop BB237_25 Depth=3
                                        ; =>      This Inner Loop Header: Depth=4
	scratch_load_b128 v[10:13], off, s11 offset:-8
	v_mov_b32_e32 v14, s15
	s_add_i32 s26, s26, -1
	s_addk_i32 s15, 0xfe00
	ds_load_b128 v[14:17], v14
	s_waitcnt vmcnt(1) lgkmcnt(0)
	v_mul_f64 v[18:19], v[2:3], v[16:17]
	v_mul_f64 v[16:17], v[0:1], v[16:17]
	s_delay_alu instid0(VALU_DEP_2) | instskip(NEXT) | instid1(VALU_DEP_2)
	v_fma_f64 v[18:19], v[0:1], v[14:15], -v[18:19]
	v_fma_f64 v[14:15], v[2:3], v[14:15], v[16:17]
	s_waitcnt vmcnt(0)
	s_delay_alu instid0(VALU_DEP_2) | instskip(NEXT) | instid1(VALU_DEP_2)
	v_add_f64 v[10:11], v[10:11], -v[18:19]
	v_add_f64 v[12:13], v[12:13], -v[14:15]
	scratch_store_b128 off, v[10:13], s11 offset:-8
	s_add_i32 s11, s11, 16
	s_cmp_eq_u32 s26, 0
	s_cbranch_scc0 .LBB237_26
; %bb.27:                               ;   in Loop: Header=BB237_25 Depth=3
	s_add_i32 s10, s10, -1
	s_add_i32 s14, s14, -16
	s_cmp_le_i32 s10, s8
	s_cbranch_scc0 .LBB237_25
.LBB237_28:                             ;   in Loop: Header=BB237_22 Depth=2
	s_mov_b32 s26, 0
	s_mov_b32 s27, s24
	s_branch .LBB237_30
.LBB237_29:                             ;   in Loop: Header=BB237_30 Depth=3
	s_mulk_i32 s14, 0x210
	s_lshl_b64 s[10:11], s[10:11], 4
	v_mov_b32_e32 v10, s14
	s_lshl_b32 s14, s26, 4
	s_add_i32 s26, s26, 1
	s_addk_i32 s27, 0xfe00
	ds_load_b128 v[10:13], v10
	s_waitcnt vmcnt(0) lgkmcnt(0)
	v_mul_f64 v[14:15], v[12:13], v[2:3]
	v_mul_f64 v[2:3], v[10:11], v[2:3]
	s_delay_alu instid0(VALU_DEP_2) | instskip(NEXT) | instid1(VALU_DEP_2)
	v_fma_f64 v[10:11], v[10:11], v[0:1], -v[14:15]
	v_fma_f64 v[12:13], v[12:13], v[0:1], v[2:3]
	v_add_co_u32 v0, vcc_lo, v6, s10
	v_add_co_ci_u32_e32 v1, vcc_lo, s11, v7, vcc_lo
	s_add_i32 s10, s14, 0
	s_cmp_eq_u32 s26, s21
	scratch_store_b128 off, v[10:13], s10
	global_store_b128 v[0:1], v[10:13], off
	s_cbranch_scc1 .LBB237_21
.LBB237_30:                             ;   Parent Loop BB237_19 Depth=1
                                        ;     Parent Loop BB237_22 Depth=2
                                        ; =>    This Loop Header: Depth=3
                                        ;         Child Loop BB237_32 Depth 4
	s_cmp_lg_u32 s26, 0
	s_cbranch_scc0 .LBB237_34
; %bb.31:                               ;   in Loop: Header=BB237_30 Depth=3
	s_lshl_b32 s10, s26, 4
	s_mov_b32 s14, s27
	s_add_i32 s11, s10, 0
	v_add_nc_u32_e64 v10, s10, 0
	scratch_load_b128 v[0:3], off, s11
	s_mov_b32 s10, 0
	s_mov_b32 s11, s17
	.p2align	6
.LBB237_32:                             ;   Parent Loop BB237_19 Depth=1
                                        ;     Parent Loop BB237_22 Depth=2
                                        ;       Parent Loop BB237_30 Depth=3
                                        ; =>      This Inner Loop Header: Depth=4
	scratch_load_b128 v[11:14], off, s11 offset:-8
	v_mov_b32_e32 v15, s14
	s_add_i32 s10, s10, 1
	s_add_i32 s14, s14, -16
	s_add_i32 s11, s11, 16
	s_cmp_ge_u32 s10, s26
	ds_load_b128 v[15:18], v15
	s_waitcnt vmcnt(0) lgkmcnt(0)
	v_mul_f64 v[19:20], v[17:18], v[13:14]
	v_mul_f64 v[13:14], v[15:16], v[13:14]
	s_delay_alu instid0(VALU_DEP_2) | instskip(NEXT) | instid1(VALU_DEP_2)
	v_fma_f64 v[15:16], v[15:16], v[11:12], -v[19:20]
	v_fma_f64 v[11:12], v[17:18], v[11:12], v[13:14]
	s_delay_alu instid0(VALU_DEP_2) | instskip(NEXT) | instid1(VALU_DEP_2)
	v_add_f64 v[0:1], v[0:1], -v[15:16]
	v_add_f64 v[2:3], v[2:3], -v[11:12]
	scratch_store_b128 v10, v[0:3], off
	s_cbranch_scc0 .LBB237_32
; %bb.33:                               ;   in Loop: Header=BB237_30 Depth=3
	s_sub_i32 s14, s8, s26
	s_delay_alu instid0(SALU_CYCLE_1) | instskip(NEXT) | instid1(SALU_CYCLE_1)
	s_ashr_i32 s15, s14, 31
	s_mov_b64 s[10:11], s[14:15]
	s_branch .LBB237_29
.LBB237_34:                             ;   in Loop: Header=BB237_30 Depth=3
                                        ; implicit-def: $vgpr0_vgpr1
                                        ; implicit-def: $sgpr14
                                        ; implicit-def: $sgpr10_sgpr11
	s_cbranch_execz .LBB237_29
; %bb.35:                               ;   in Loop: Header=BB237_30 Depth=3
	scratch_load_b128 v[0:3], off, off
	s_mov_b64 s[10:11], s[8:9]
	s_mov_b32 s14, s8
	s_branch .LBB237_29
.LBB237_36:
	s_mov_b32 s2, 0
.LBB237_37:
	s_delay_alu instid0(SALU_CYCLE_1)
	s_and_b32 vcc_lo, exec_lo, s2
	s_cbranch_vccz .LBB237_58
; %bb.38:
	s_add_u32 s0, s12, s0
	s_addc_u32 s1, s13, s1
	v_add_co_u32 v0, vcc_lo, s0, v4
	v_add_co_ci_u32_e32 v1, vcc_lo, s1, v5, vcc_lo
	s_mov_b32 s1, 0
	s_delay_alu instid0(VALU_DEP_2) | instskip(NEXT) | instid1(VALU_DEP_2)
	v_add_co_u32 v8, vcc_lo, v0, 8
	v_add_co_ci_u32_e32 v9, vcc_lo, 0, v1, vcc_lo
	s_mov_b32 s2, s1
	s_mov_b32 s8, s1
	s_branch .LBB237_40
.LBB237_39:                             ;   in Loop: Header=BB237_40 Depth=1
	s_cmp_ge_i32 s2, s18
	s_cselect_b32 s0, -1, 0
	s_add_i32 s8, s8, 1
	s_delay_alu instid0(SALU_CYCLE_1) | instskip(SKIP_1) | instid1(SALU_CYCLE_1)
	s_cmp_eq_u32 s8, 3
	s_cselect_b32 s3, -1, 0
	s_or_b32 s0, s0, s3
	s_delay_alu instid0(SALU_CYCLE_1)
	s_and_b32 vcc_lo, exec_lo, s0
	s_cbranch_vccnz .LBB237_58
.LBB237_40:                             ; =>This Loop Header: Depth=1
                                        ;     Child Loop BB237_43 Depth 2
                                        ;       Child Loop BB237_44 Depth 3
                                        ;       Child Loop BB237_47 Depth 3
                                        ;         Child Loop BB237_48 Depth 4
                                        ;       Child Loop BB237_52 Depth 3
                                        ;         Child Loop BB237_54 Depth 4
	s_mov_b32 s9, s1
	s_getpc_b64 s[10:11]
	s_add_u32 s10, s10, __const._ZL30rocblas_trsm_small_left_deviceILi32ELi32ELb1E19rocblas_complex_numIdES1_PKPKS1_PKPS1_Ev13rocblas_fill_18rocblas_operation_17rocblas_diagonal_iiT3_T4_lilT5_lili.step_sizes@rel32@lo+4
	s_addc_u32 s11, s11, __const._ZL30rocblas_trsm_small_left_deviceILi32ELi32ELb1E19rocblas_complex_numIdES1_PKPKS1_PKPS1_Ev13rocblas_fill_18rocblas_operation_17rocblas_diagonal_iiT3_T4_lilT5_lili.step_sizes@rel32@hi+12
	s_lshl_b64 s[12:13], s[8:9], 2
	s_delay_alu instid0(SALU_CYCLE_1) | instskip(SKIP_4) | instid1(SALU_CYCLE_1)
	s_add_u32 s10, s12, s10
	s_addc_u32 s11, s13, s11
	s_load_b32 s10, s[10:11], 0x0
	s_waitcnt lgkmcnt(0)
	s_add_i32 s9, s10, -1
	s_add_i32 s0, s9, s2
	s_delay_alu instid0(SALU_CYCLE_1)
	s_cmp_ge_i32 s0, s18
	s_cbranch_scc1 .LBB237_39
; %bb.41:                               ;   in Loop: Header=BB237_40 Depth=1
	s_ashr_i32 s3, s2, 31
	s_ashr_i32 s11, s10, 31
	s_lshl_b64 s[12:13], s[2:3], 4
	s_max_i32 s16, s10, 1
	v_add_co_u32 v4, vcc_lo, v8, s12
	v_add_co_ci_u32_e32 v5, vcc_lo, s13, v9, vcc_lo
	s_lshl_b64 s[12:13], s[10:11], 4
	s_lshl_b32 s3, s2, 4
	s_lshl_b32 s11, s10, 4
	s_mul_i32 s19, s2, 0x210
	s_mul_i32 s20, s10, 0x210
	s_branch .LBB237_43
.LBB237_42:                             ;   in Loop: Header=BB237_43 Depth=2
	v_add_co_u32 v4, vcc_lo, v4, s12
	s_add_i32 s2, s2, s10
	v_add_co_ci_u32_e32 v5, vcc_lo, s13, v5, vcc_lo
	s_add_i32 s0, s9, s2
	s_add_i32 s3, s3, s11
	;; [unrolled: 1-line block ×3, first 2 shown]
	s_cmp_ge_i32 s0, s18
	s_cbranch_scc1 .LBB237_39
.LBB237_43:                             ;   Parent Loop BB237_40 Depth=1
                                        ; =>  This Loop Header: Depth=2
                                        ;       Child Loop BB237_44 Depth 3
                                        ;       Child Loop BB237_47 Depth 3
                                        ;         Child Loop BB237_48 Depth 4
                                        ;       Child Loop BB237_52 Depth 3
                                        ;         Child Loop BB237_54 Depth 4
	v_dual_mov_b32 v0, v4 :: v_dual_mov_b32 v1, v5
	s_mov_b32 s0, 8
	s_mov_b32 s14, s16
	.p2align	6
.LBB237_44:                             ;   Parent Loop BB237_40 Depth=1
                                        ;     Parent Loop BB237_43 Depth=2
                                        ; =>    This Inner Loop Header: Depth=3
	global_load_b128 v[10:13], v[0:1], off offset:-8
	v_add_co_u32 v0, vcc_lo, v0, 16
	v_add_co_ci_u32_e32 v1, vcc_lo, 0, v1, vcc_lo
	s_add_i32 s14, s14, -1
	s_add_i32 s15, s0, 0
	s_add_i32 s0, s0, 16
	s_cmp_eq_u32 s14, 0
	s_waitcnt vmcnt(0)
	v_mul_f64 v[2:3], s[6:7], v[12:13]
	v_mul_f64 v[14:15], s[4:5], v[12:13]
	s_delay_alu instid0(VALU_DEP_2) | instskip(NEXT) | instid1(VALU_DEP_2)
	v_fma_f64 v[12:13], s[4:5], v[10:11], -v[2:3]
	v_fma_f64 v[14:15], s[6:7], v[10:11], v[14:15]
	scratch_store_b128 off, v[12:15], s15 offset:-8
	s_cbranch_scc0 .LBB237_44
; %bb.45:                               ;   in Loop: Header=BB237_43 Depth=2
	s_cmp_lt_i32 s2, 1
	s_cbranch_scc1 .LBB237_50
; %bb.46:                               ;   in Loop: Header=BB237_43 Depth=2
	s_mov_b32 s0, 0
	s_mov_b32 s14, s3
	s_set_inst_prefetch_distance 0x1
	.p2align	6
.LBB237_47:                             ;   Parent Loop BB237_40 Depth=1
                                        ;     Parent Loop BB237_43 Depth=2
                                        ; =>    This Loop Header: Depth=3
                                        ;         Child Loop BB237_48 Depth 4
	s_lshl_b64 s[22:23], s[0:1], 4
	s_mov_b32 s15, s17
	v_add_co_u32 v0, vcc_lo, v6, s22
	v_add_co_ci_u32_e32 v1, vcc_lo, s23, v7, vcc_lo
	s_mov_b32 s21, s14
	s_mov_b32 s22, s16
	global_load_b128 v[0:3], v[0:1], off
	.p2align	6
.LBB237_48:                             ;   Parent Loop BB237_40 Depth=1
                                        ;     Parent Loop BB237_43 Depth=2
                                        ;       Parent Loop BB237_47 Depth=3
                                        ; =>      This Inner Loop Header: Depth=4
	scratch_load_b128 v[10:13], off, s15 offset:-8
	v_mov_b32_e32 v14, s21
	s_add_i32 s22, s22, -1
	s_add_i32 s21, s21, 16
	ds_load_b128 v[14:17], v14
	s_waitcnt vmcnt(1) lgkmcnt(0)
	v_mul_f64 v[18:19], v[2:3], v[16:17]
	v_mul_f64 v[16:17], v[0:1], v[16:17]
	s_delay_alu instid0(VALU_DEP_2) | instskip(NEXT) | instid1(VALU_DEP_2)
	v_fma_f64 v[18:19], v[0:1], v[14:15], -v[18:19]
	v_fma_f64 v[14:15], v[2:3], v[14:15], v[16:17]
	s_waitcnt vmcnt(0)
	s_delay_alu instid0(VALU_DEP_2) | instskip(NEXT) | instid1(VALU_DEP_2)
	v_add_f64 v[10:11], v[10:11], -v[18:19]
	v_add_f64 v[12:13], v[12:13], -v[14:15]
	scratch_store_b128 off, v[10:13], s15 offset:-8
	s_add_i32 s15, s15, 16
	s_cmp_eq_u32 s22, 0
	s_cbranch_scc0 .LBB237_48
; %bb.49:                               ;   in Loop: Header=BB237_47 Depth=3
	s_add_i32 s0, s0, 1
	s_addk_i32 s14, 0x200
	s_cmp_ge_i32 s0, s2
	s_cbranch_scc0 .LBB237_47
.LBB237_50:                             ;   in Loop: Header=BB237_43 Depth=2
	s_set_inst_prefetch_distance 0x2
	s_mov_b32 s0, 0
	s_mov_b32 s21, s19
	s_branch .LBB237_52
.LBB237_51:                             ;   in Loop: Header=BB237_52 Depth=3
	s_mul_i32 s15, s14, 0x210
	s_lshl_b32 s22, s0, 4
	v_mov_b32_e32 v10, s15
	s_ashr_i32 s15, s14, 31
	s_add_i32 s0, s0, 1
	s_lshl_b64 s[14:15], s[14:15], 4
	s_add_i32 s21, s21, 16
	ds_load_b128 v[10:13], v10
	s_waitcnt vmcnt(0) lgkmcnt(0)
	v_mul_f64 v[14:15], v[12:13], v[2:3]
	v_mul_f64 v[2:3], v[10:11], v[2:3]
	s_delay_alu instid0(VALU_DEP_2) | instskip(NEXT) | instid1(VALU_DEP_2)
	v_fma_f64 v[10:11], v[10:11], v[0:1], -v[14:15]
	v_fma_f64 v[12:13], v[12:13], v[0:1], v[2:3]
	v_add_co_u32 v0, vcc_lo, v6, s14
	v_add_co_ci_u32_e32 v1, vcc_lo, s15, v7, vcc_lo
	s_add_i32 s14, s22, 0
	s_cmp_eq_u32 s0, s16
	scratch_store_b128 off, v[10:13], s14
	global_store_b128 v[0:1], v[10:13], off
	s_cbranch_scc1 .LBB237_42
.LBB237_52:                             ;   Parent Loop BB237_40 Depth=1
                                        ;     Parent Loop BB237_43 Depth=2
                                        ; =>    This Loop Header: Depth=3
                                        ;         Child Loop BB237_54 Depth 4
	s_cmp_lg_u32 s0, 0
	s_cbranch_scc0 .LBB237_56
; %bb.53:                               ;   in Loop: Header=BB237_52 Depth=3
	s_lshl_b32 s15, s0, 4
	s_mov_b32 s22, s17
	s_add_i32 s14, s15, 0
	v_add_nc_u32_e64 v10, s15, 0
	scratch_load_b128 v[0:3], off, s14
	s_add_i32 s14, s0, s2
	s_mov_b32 s15, 0
	s_mov_b32 s23, s21
	.p2align	6
.LBB237_54:                             ;   Parent Loop BB237_40 Depth=1
                                        ;     Parent Loop BB237_43 Depth=2
                                        ;       Parent Loop BB237_52 Depth=3
                                        ; =>      This Inner Loop Header: Depth=4
	scratch_load_b128 v[11:14], off, s22 offset:-8
	v_mov_b32_e32 v15, s23
	s_add_i32 s15, s15, 1
	s_addk_i32 s23, 0x200
	s_add_i32 s22, s22, 16
	s_cmp_ge_u32 s15, s0
	ds_load_b128 v[15:18], v15
	s_waitcnt vmcnt(0) lgkmcnt(0)
	v_mul_f64 v[19:20], v[17:18], v[13:14]
	v_mul_f64 v[13:14], v[15:16], v[13:14]
	s_delay_alu instid0(VALU_DEP_2) | instskip(NEXT) | instid1(VALU_DEP_2)
	v_fma_f64 v[15:16], v[15:16], v[11:12], -v[19:20]
	v_fma_f64 v[11:12], v[17:18], v[11:12], v[13:14]
	s_delay_alu instid0(VALU_DEP_2) | instskip(NEXT) | instid1(VALU_DEP_2)
	v_add_f64 v[0:1], v[0:1], -v[15:16]
	v_add_f64 v[2:3], v[2:3], -v[11:12]
	scratch_store_b128 v10, v[0:3], off
	s_cbranch_scc0 .LBB237_54
; %bb.55:                               ;   in Loop: Header=BB237_52 Depth=3
	s_branch .LBB237_51
.LBB237_56:                             ;   in Loop: Header=BB237_52 Depth=3
                                        ; implicit-def: $vgpr0_vgpr1
                                        ; implicit-def: $sgpr14
	s_cbranch_execz .LBB237_51
; %bb.57:                               ;   in Loop: Header=BB237_52 Depth=3
	scratch_load_b128 v[0:3], off, off
	s_mov_b32 s14, s2
	s_branch .LBB237_51
.LBB237_58:
	s_endpgm
	.section	.rodata,"a",@progbits
	.p2align	6, 0x0
	.amdhsa_kernel _ZL30rocblas_trsm_small_left_deviceILi32ELi32ELb1E19rocblas_complex_numIdES1_PKPKS1_PKPS1_Ev13rocblas_fill_18rocblas_operation_17rocblas_diagonal_iiT3_T4_lilT5_lili
		.amdhsa_group_segment_fixed_size 16384
		.amdhsa_private_segment_fixed_size 528
		.amdhsa_kernarg_size 368
		.amdhsa_user_sgpr_count 14
		.amdhsa_user_sgpr_dispatch_ptr 0
		.amdhsa_user_sgpr_queue_ptr 0
		.amdhsa_user_sgpr_kernarg_segment_ptr 1
		.amdhsa_user_sgpr_dispatch_id 0
		.amdhsa_user_sgpr_private_segment_size 0
		.amdhsa_wavefront_size32 1
		.amdhsa_uses_dynamic_stack 0
		.amdhsa_enable_private_segment 1
		.amdhsa_system_sgpr_workgroup_id_x 1
		.amdhsa_system_sgpr_workgroup_id_y 0
		.amdhsa_system_sgpr_workgroup_id_z 1
		.amdhsa_system_sgpr_workgroup_info 0
		.amdhsa_system_vgpr_workitem_id 0
		.amdhsa_next_free_vgpr 25
		.amdhsa_next_free_sgpr 31
		.amdhsa_reserve_vcc 1
		.amdhsa_float_round_mode_32 0
		.amdhsa_float_round_mode_16_64 0
		.amdhsa_float_denorm_mode_32 3
		.amdhsa_float_denorm_mode_16_64 3
		.amdhsa_dx10_clamp 1
		.amdhsa_ieee_mode 1
		.amdhsa_fp16_overflow 0
		.amdhsa_workgroup_processor_mode 1
		.amdhsa_memory_ordered 1
		.amdhsa_forward_progress 0
		.amdhsa_shared_vgpr_count 0
		.amdhsa_exception_fp_ieee_invalid_op 0
		.amdhsa_exception_fp_denorm_src 0
		.amdhsa_exception_fp_ieee_div_zero 0
		.amdhsa_exception_fp_ieee_overflow 0
		.amdhsa_exception_fp_ieee_underflow 0
		.amdhsa_exception_fp_ieee_inexact 0
		.amdhsa_exception_int_div_zero 0
	.end_amdhsa_kernel
	.section	.text._ZL30rocblas_trsm_small_left_deviceILi32ELi32ELb1E19rocblas_complex_numIdES1_PKPKS1_PKPS1_Ev13rocblas_fill_18rocblas_operation_17rocblas_diagonal_iiT3_T4_lilT5_lili,"axG",@progbits,_ZL30rocblas_trsm_small_left_deviceILi32ELi32ELb1E19rocblas_complex_numIdES1_PKPKS1_PKPS1_Ev13rocblas_fill_18rocblas_operation_17rocblas_diagonal_iiT3_T4_lilT5_lili,comdat
.Lfunc_end237:
	.size	_ZL30rocblas_trsm_small_left_deviceILi32ELi32ELb1E19rocblas_complex_numIdES1_PKPKS1_PKPS1_Ev13rocblas_fill_18rocblas_operation_17rocblas_diagonal_iiT3_T4_lilT5_lili, .Lfunc_end237-_ZL30rocblas_trsm_small_left_deviceILi32ELi32ELb1E19rocblas_complex_numIdES1_PKPKS1_PKPS1_Ev13rocblas_fill_18rocblas_operation_17rocblas_diagonal_iiT3_T4_lilT5_lili
                                        ; -- End function
	.section	.AMDGPU.csdata,"",@progbits
; Kernel info:
; codeLenInByte = 3168
; NumSgprs: 33
; NumVgprs: 25
; ScratchSize: 528
; MemoryBound: 0
; FloatMode: 240
; IeeeMode: 1
; LDSByteSize: 16384 bytes/workgroup (compile time only)
; SGPRBlocks: 4
; VGPRBlocks: 3
; NumSGPRsForWavesPerEU: 33
; NumVGPRsForWavesPerEU: 25
; Occupancy: 2
; WaveLimiterHint : 1
; COMPUTE_PGM_RSRC2:SCRATCH_EN: 1
; COMPUTE_PGM_RSRC2:USER_SGPR: 14
; COMPUTE_PGM_RSRC2:TRAP_HANDLER: 0
; COMPUTE_PGM_RSRC2:TGID_X_EN: 1
; COMPUTE_PGM_RSRC2:TGID_Y_EN: 0
; COMPUTE_PGM_RSRC2:TGID_Z_EN: 1
; COMPUTE_PGM_RSRC2:TIDIG_COMP_CNT: 0
	.section	.text._ZL31rocblas_trsm_small_right_deviceI19rocblas_complex_numIdES1_PKPKS1_PKPS1_Li32EEv13rocblas_fill_18rocblas_operation_17rocblas_diagonal_iiT0_T1_lilT2_lili,"axG",@progbits,_ZL31rocblas_trsm_small_right_deviceI19rocblas_complex_numIdES1_PKPKS1_PKPS1_Li32EEv13rocblas_fill_18rocblas_operation_17rocblas_diagonal_iiT0_T1_lilT2_lili,comdat
	.globl	_ZL31rocblas_trsm_small_right_deviceI19rocblas_complex_numIdES1_PKPKS1_PKPS1_Li32EEv13rocblas_fill_18rocblas_operation_17rocblas_diagonal_iiT0_T1_lilT2_lili ; -- Begin function _ZL31rocblas_trsm_small_right_deviceI19rocblas_complex_numIdES1_PKPKS1_PKPS1_Li32EEv13rocblas_fill_18rocblas_operation_17rocblas_diagonal_iiT0_T1_lilT2_lili
	.p2align	8
	.type	_ZL31rocblas_trsm_small_right_deviceI19rocblas_complex_numIdES1_PKPKS1_PKPS1_Li32EEv13rocblas_fill_18rocblas_operation_17rocblas_diagonal_iiT0_T1_lilT2_lili,@function
_ZL31rocblas_trsm_small_right_deviceI19rocblas_complex_numIdES1_PKPKS1_PKPS1_Li32EEv13rocblas_fill_18rocblas_operation_17rocblas_diagonal_iiT0_T1_lilT2_lili: ; @_ZL31rocblas_trsm_small_right_deviceI19rocblas_complex_numIdES1_PKPKS1_PKPS1_Li32EEv13rocblas_fill_18rocblas_operation_17rocblas_diagonal_iiT0_T1_lilT2_lili
; %bb.0:
	s_clause 0x1
	s_load_b128 s[20:23], s[0:1], 0x48
	s_load_b32 s28, s[0:1], 0x10
	s_mov_b32 s2, s15
	s_mov_b32 s3, 0
	s_load_b128 s[16:19], s[0:1], 0x0
	s_lshl_b64 s[24:25], s[2:3], 3
	s_mov_b32 s15, exec_lo
	s_waitcnt lgkmcnt(0)
	s_add_u32 s12, s20, s24
	s_addc_u32 s13, s21, s25
	s_load_b256 s[4:11], s[0:1], 0x18
	s_load_b64 s[12:13], s[12:13], 0x0
	s_min_i32 s29, s28, 32
	s_delay_alu instid0(SALU_CYCLE_1)
	s_add_i32 s30, s29, -1
	v_cmpx_gt_i32_e64 s29, v0
	s_cbranch_execz .LBB238_9
; %bb.1:
	s_load_b32 s20, s[0:1], 0x38
	s_waitcnt lgkmcnt(0)
	s_ashr_i32 s21, s20, 31
	s_cmpk_eq_i32 s17, 0x71
	s_cselect_b32 vcc_lo, -1, 0
	s_add_u32 s8, s8, s24
	s_addc_u32 s9, s9, s25
	s_cmp_lt_u32 s30, 3
	s_load_b64 s[8:9], s[8:9], 0x0
	s_cbranch_scc1 .LBB238_4
; %bb.2:
	v_lshlrev_b32_e32 v1, 4, v0
	s_lshl_b64 s[24:25], s[10:11], 4
	s_and_b32 s3, s29, -4
	s_waitcnt lgkmcnt(0)
	s_add_u32 s2, s8, s24
	s_addc_u32 s24, s9, s25
	v_add_co_u32 v1, s2, s2, v1
	s_delay_alu instid0(VALU_DEP_1) | instskip(SKIP_1) | instid1(VALU_DEP_3)
	v_add_co_ci_u32_e64 v2, null, s24, 0, s2
	v_lshlrev_b32_e32 v3, 4, v0
	v_add_co_u32 v1, s2, v1, 8
	s_delay_alu instid0(VALU_DEP_1)
	v_add_co_ci_u32_e64 v2, s2, 0, v2, s2
	s_lshl_b64 s[24:25], s[20:21], 6
	s_lshl_b64 s[26:27], s[20:21], 4
	s_mov_b32 s31, 0
.LBB238_3:                              ; =>This Inner Loop Header: Depth=1
	v_add_co_u32 v8, s2, v1, s26
	s_delay_alu instid0(VALU_DEP_1) | instskip(SKIP_1) | instid1(VALU_DEP_2)
	v_add_co_ci_u32_e64 v9, s2, s27, v2, s2
	s_add_i32 s31, s31, 4
	v_add_co_u32 v12, s2, v8, s26
	s_delay_alu instid0(VALU_DEP_1) | instskip(SKIP_1) | instid1(VALU_DEP_2)
	v_add_co_ci_u32_e64 v13, s2, s27, v9, s2
	s_cmp_eq_u32 s3, s31
	v_add_co_u32 v16, s2, v12, s26
	s_delay_alu instid0(VALU_DEP_1)
	v_add_co_ci_u32_e64 v17, s2, s27, v13, s2
	s_clause 0x3
	global_load_b128 v[4:7], v[1:2], off offset:-8
	global_load_b128 v[8:11], v[8:9], off offset:-8
	;; [unrolled: 1-line block ×4, first 2 shown]
	v_add_co_u32 v1, s2, v1, s24
	s_delay_alu instid0(VALU_DEP_1)
	v_add_co_ci_u32_e64 v2, s2, s25, v2, s2
	s_waitcnt vmcnt(3)
	v_xor_b32_e32 v20, 0x80000000, v7
	s_waitcnt vmcnt(2)
	v_xor_b32_e32 v21, 0x80000000, v11
	;; [unrolled: 2-line block ×4, first 2 shown]
	v_cndmask_b32_e32 v7, v7, v20, vcc_lo
	v_cndmask_b32_e32 v11, v11, v21, vcc_lo
	;; [unrolled: 1-line block ×3, first 2 shown]
	s_delay_alu instid0(VALU_DEP_4)
	v_cndmask_b32_e32 v19, v19, v23, vcc_lo
	ds_store_b128 v3, v[4:7]
	ds_store_b128 v3, v[8:11] offset:512
	ds_store_b128 v3, v[12:15] offset:1024
	;; [unrolled: 1-line block ×3, first 2 shown]
	v_add_nc_u32_e32 v3, 0x800, v3
	s_cbranch_scc0 .LBB238_3
.LBB238_4:
	s_and_b32 s24, s29, 3
	s_delay_alu instid0(SALU_CYCLE_1)
	s_cmp_eq_u32 s24, 0
	s_cbranch_scc1 .LBB238_7
; %bb.5:
	s_mul_i32 s2, s21, s3
	s_mul_hi_u32 s25, s20, s3
	s_mul_i32 s26, s20, s3
	s_add_i32 s27, s25, s2
	s_lshl_b64 s[10:11], s[10:11], 4
	s_lshl_b64 s[26:27], s[26:27], 4
	v_lshlrev_b32_e32 v1, 4, v0
	s_add_u32 s2, s26, s10
	s_addc_u32 s10, s27, s11
	s_waitcnt lgkmcnt(0)
	s_add_u32 s2, s8, s2
	s_addc_u32 s8, s9, s10
	v_add_co_u32 v2, s2, s2, v1
	s_delay_alu instid0(VALU_DEP_1) | instskip(SKIP_1) | instid1(VALU_DEP_3)
	v_add_co_ci_u32_e64 v4, null, s8, 0, s2
	v_lshl_or_b32 v3, s3, 9, v1
	v_add_co_u32 v1, s2, v2, 8
	s_delay_alu instid0(VALU_DEP_1)
	v_add_co_ci_u32_e64 v2, s2, 0, v4, s2
	s_lshl_b64 s[8:9], s[20:21], 4
.LBB238_6:                              ; =>This Inner Loop Header: Depth=1
	global_load_b128 v[4:7], v[1:2], off offset:-8
	v_add_co_u32 v1, s2, v1, s8
	s_delay_alu instid0(VALU_DEP_1) | instskip(SKIP_1) | instid1(SALU_CYCLE_1)
	v_add_co_ci_u32_e64 v2, s2, s9, v2, s2
	s_add_i32 s24, s24, -1
	s_cmp_lg_u32 s24, 0
	s_waitcnt vmcnt(0)
	v_xor_b32_e32 v8, 0x80000000, v7
	s_delay_alu instid0(VALU_DEP_1)
	v_cndmask_b32_e32 v7, v7, v8, vcc_lo
	ds_store_b128 v3, v[4:7]
	v_add_nc_u32_e32 v3, 0x200, v3
	s_cbranch_scc1 .LBB238_6
.LBB238_7:
	s_cmpk_eq_i32 s18, 0x84
	s_cbranch_scc0 .LBB238_9
; %bb.8:
	v_mul_u32_u24_e32 v3, 33, v0
	v_dual_mov_b32 v1, 0 :: v_dual_mov_b32 v2, 0x3ff00000
	s_delay_alu instid0(VALU_DEP_1)
	v_dual_mov_b32 v4, v1 :: v_dual_lshlrev_b32 v5, 4, v3
	v_mov_b32_e32 v3, v1
	ds_store_b128 v5, v[1:4]
.LBB238_9:
	s_or_b32 exec_lo, exec_lo, s15
	s_waitcnt lgkmcnt(0)
	s_load_b32 s8, s[0:1], 0x70
	s_lshl_b64 s[2:3], s[22:23], 4
	s_load_b32 s0, s[0:1], 0x58
	s_add_u32 s1, s12, s2
	s_addc_u32 s10, s13, s3
	s_lshl_b32 s9, s14, 5
	s_mov_b32 s22, 0
	s_sub_i32 s9, s19, s9
	s_waitcnt lgkmcnt(0)
	s_add_i32 s8, s8, -1
	s_delay_alu instid0(SALU_CYCLE_1) | instskip(SKIP_4) | instid1(SALU_CYCLE_1)
	s_cmp_ge_u32 s14, s8
	s_cselect_b32 s11, s9, 32
	s_ashr_i32 s15, s14, 31
	v_cmp_gt_i32_e32 vcc_lo, s11, v0
	s_lshl_b64 s[8:9], s[14:15], 9
	s_add_u32 s18, s1, s8
	s_addc_u32 s19, s10, s9
	s_cmp_gt_i32 s28, 0
	s_cselect_b32 s1, -1, 0
	s_delay_alu instid0(SALU_CYCLE_1) | instskip(NEXT) | instid1(SALU_CYCLE_1)
	s_and_b32 s20, vcc_lo, s1
	s_and_saveexec_b32 s21, s20
	s_cbranch_execz .LBB238_16
; %bb.10:
	s_ashr_i32 s1, s0, 31
	s_cmp_lt_u32 s28, 4
	s_cbranch_scc1 .LBB238_13
; %bb.11:
	v_lshlrev_b32_e32 v1, 4, v0
	v_lshl_or_b32 v3, v0, 4, 0x4000
	s_and_b32 s22, s28, 0x7ffffffc
	s_lshl_b64 s[14:15], s[0:1], 4
	s_mov_b32 s23, 0
	v_add_co_u32 v1, s10, s18, v1
	s_delay_alu instid0(VALU_DEP_1)
	v_add_co_ci_u32_e64 v2, null, s19, 0, s10
	s_lshl_b64 s[10:11], s[0:1], 6
.LBB238_12:                             ; =>This Inner Loop Header: Depth=1
	s_delay_alu instid0(VALU_DEP_2) | instskip(NEXT) | instid1(VALU_DEP_2)
	v_add_co_u32 v8, vcc_lo, v1, s14
	v_add_co_ci_u32_e32 v9, vcc_lo, s15, v2, vcc_lo
	global_load_b128 v[4:7], v[1:2], off
	v_add_co_u32 v12, vcc_lo, v8, s14
	v_add_co_ci_u32_e32 v13, vcc_lo, s15, v9, vcc_lo
	global_load_b128 v[8:11], v[8:9], off
	v_add_co_u32 v16, vcc_lo, v12, s14
	v_add_co_ci_u32_e32 v17, vcc_lo, s15, v13, vcc_lo
	v_add_co_u32 v1, vcc_lo, v1, s10
	s_clause 0x1
	global_load_b128 v[12:15], v[12:13], off
	global_load_b128 v[16:19], v[16:17], off
	v_add_co_ci_u32_e32 v2, vcc_lo, s11, v2, vcc_lo
	s_add_i32 s23, s23, 4
	s_delay_alu instid0(SALU_CYCLE_1)
	s_cmp_lg_u32 s22, s23
	s_waitcnt vmcnt(3)
	v_mul_f64 v[20:21], s[6:7], v[6:7]
	v_mul_f64 v[6:7], s[4:5], v[6:7]
	s_waitcnt vmcnt(2)
	v_mul_f64 v[22:23], s[6:7], v[10:11]
	v_mul_f64 v[10:11], s[4:5], v[10:11]
	;; [unrolled: 3-line block ×4, first 2 shown]
	v_fma_f64 v[18:19], s[4:5], v[4:5], -v[20:21]
	v_fma_f64 v[20:21], s[6:7], v[4:5], v[6:7]
	v_fma_f64 v[4:5], s[4:5], v[8:9], -v[22:23]
	v_fma_f64 v[6:7], s[6:7], v[8:9], v[10:11]
	;; [unrolled: 2-line block ×4, first 2 shown]
	ds_store_b128 v3, v[18:21]
	ds_store_b128 v3, v[4:7] offset:512
	ds_store_b128 v3, v[8:11] offset:1024
	;; [unrolled: 1-line block ×3, first 2 shown]
	v_add_nc_u32_e32 v3, 0x800, v3
	s_cbranch_scc1 .LBB238_12
.LBB238_13:
	s_and_b32 s14, s28, 3
	s_delay_alu instid0(SALU_CYCLE_1)
	s_cmp_eq_u32 s14, 0
	s_cbranch_scc1 .LBB238_16
; %bb.14:
	s_mul_hi_i32 s11, s0, s22
	s_mul_i32 s10, s0, s22
	v_lshlrev_b32_e32 v1, 4, v0
	s_lshl_b64 s[10:11], s[10:11], 4
	s_delay_alu instid0(SALU_CYCLE_1)
	s_add_u32 s10, s10, s8
	s_addc_u32 s11, s11, s9
	s_add_u32 s10, s10, s2
	s_addc_u32 s11, s11, s3
	s_add_u32 s10, s12, s10
	v_lshl_or_b32 v2, s22, 9, v1
	s_addc_u32 s11, s13, s11
	v_add_co_u32 v1, s10, s10, v1
	s_delay_alu instid0(VALU_DEP_1) | instskip(NEXT) | instid1(VALU_DEP_3)
	v_add_co_ci_u32_e64 v4, null, s11, 0, s10
	v_add_nc_u32_e32 v3, 0x4000, v2
	s_delay_alu instid0(VALU_DEP_3) | instskip(NEXT) | instid1(VALU_DEP_3)
	v_add_co_u32 v1, vcc_lo, v1, 8
	v_add_co_ci_u32_e32 v2, vcc_lo, 0, v4, vcc_lo
	s_lshl_b64 s[10:11], s[0:1], 4
	.p2align	6
.LBB238_15:                             ; =>This Inner Loop Header: Depth=1
	global_load_b128 v[4:7], v[1:2], off offset:-8
	v_add_co_u32 v1, vcc_lo, v1, s10
	v_add_co_ci_u32_e32 v2, vcc_lo, s11, v2, vcc_lo
	s_add_i32 s14, s14, -1
	s_delay_alu instid0(SALU_CYCLE_1) | instskip(SKIP_3) | instid1(VALU_DEP_2)
	s_cmp_lg_u32 s14, 0
	s_waitcnt vmcnt(0)
	v_mul_f64 v[8:9], s[6:7], v[6:7]
	v_mul_f64 v[10:11], s[4:5], v[6:7]
	v_fma_f64 v[6:7], s[4:5], v[4:5], -v[8:9]
	s_delay_alu instid0(VALU_DEP_2)
	v_fma_f64 v[8:9], s[6:7], v[4:5], v[10:11]
	ds_store_b128 v3, v[6:9]
	v_add_nc_u32_e32 v3, 0x200, v3
	s_cbranch_scc1 .LBB238_15
.LBB238_16:
	s_or_b32 exec_lo, exec_lo, s21
	s_cmpk_eq_i32 s17, 0x6f
	s_waitcnt lgkmcnt(0)
	s_cselect_b32 s1, -1, 0
	s_cmpk_eq_i32 s16, 0x79
	; wave barrier
	buffer_gl0_inv
	s_cselect_b32 s5, -1, 0
	s_cmpk_lg_i32 s16, 0x79
	s_cselect_b32 s4, -1, 0
	s_and_b32 s5, s5, s1
	s_delay_alu instid0(SALU_CYCLE_1)
	s_and_not1_b32 vcc_lo, exec_lo, s5
	s_mov_b32 s5, -1
	s_cbranch_vccz .LBB238_124
; %bb.17:
	s_cmpk_lg_i32 s16, 0x7a
	s_cselect_b32 s5, -1, 0
	s_xor_b32 s1, s1, -1
	s_delay_alu instid0(SALU_CYCLE_1)
	s_or_b32 s5, s5, s1
	s_cmp_gt_i32 s28, 3
	s_cselect_b32 s1, -1, 0
	s_and_b32 vcc_lo, exec_lo, s5
	s_mov_b32 s5, -1
	s_cbranch_vccz .LBB238_91
; %bb.18:
	s_and_not1_b32 vcc_lo, exec_lo, s4
	s_mov_b32 s4, -1
	s_cbranch_vccnz .LBB238_58
; %bb.19:
	s_and_not1_b32 vcc_lo, exec_lo, s1
	s_mov_b32 s6, 0
	s_cbranch_vccnz .LBB238_42
; %bb.20:
	v_lshl_or_b32 v25, v0, 4, 0x4000
	s_mov_b32 s4, 0
	s_mov_b32 s5, 0
.LBB238_21:                             ; =>This Loop Header: Depth=1
                                        ;     Child Loop BB238_23 Depth 2
	s_delay_alu instid0(SALU_CYCLE_1)
	s_lshl_b32 s6, s5, 5
	s_lshl_b32 s10, s5, 9
	s_or_b32 s7, s6, 32
	v_or_b32_e32 v1, s6, v0
	s_or_b32 s6, s6, 64
	v_or_b32_e32 v2, s7, v0
	v_or_b32_e32 v3, s6, v0
	v_lshl_or_b32 v16, v0, 4, s10
	v_lshlrev_b32_e32 v13, 4, v1
	s_cmp_eq_u32 s5, 0
	v_lshlrev_b32_e32 v14, 4, v2
	v_lshlrev_b32_e32 v15, 4, v3
	ds_load_b128 v[17:20], v13 offset:16384
	ds_load_b128 v[9:12], v14 offset:16384
	ds_load_b128 v[5:8], v15 offset:16384
	ds_load_b128 v[1:4], v16 offset:17920
	s_cbranch_scc1 .LBB238_24
; %bb.22:                               ;   in Loop: Header=BB238_21 Depth=1
	v_mov_b32_e32 v21, v25
	s_mov_b32 s10, 0
	s_mov_b32 s11, s4
.LBB238_23:                             ;   Parent Loop BB238_21 Depth=1
                                        ; =>  This Inner Loop Header: Depth=2
	s_delay_alu instid0(SALU_CYCLE_1)
	v_mov_b32_e32 v24, s11
	s_add_i32 s10, s10, 2
	s_addk_i32 s11, 0x400
	s_cmp_ge_u32 s10, s5
	ds_load_b128 v[26:29], v21
	ds_load_b128 v[30:33], v24
	ds_load_b128 v[34:37], v24 offset:16
	ds_load_b128 v[38:41], v24 offset:32
	;; [unrolled: 1-line block ×4, first 2 shown]
	v_add_nc_u32_e32 v21, 0x400, v21
	ds_load_b128 v[50:53], v24 offset:512
	ds_load_b128 v[54:57], v24 offset:528
	;; [unrolled: 1-line block ×4, first 2 shown]
	s_waitcnt lgkmcnt(8)
	v_mul_f64 v[22:23], v[28:29], v[32:33]
	v_mul_f64 v[32:33], v[26:27], v[32:33]
	s_waitcnt lgkmcnt(7)
	v_mul_f64 v[66:67], v[28:29], v[36:37]
	v_mul_f64 v[36:37], v[26:27], v[36:37]
	;; [unrolled: 3-line block ×8, first 2 shown]
	v_fma_f64 v[22:23], v[26:27], v[30:31], -v[22:23]
	v_fma_f64 v[30:31], v[28:29], v[30:31], v[32:33]
	v_fma_f64 v[32:33], v[26:27], v[34:35], -v[66:67]
	v_fma_f64 v[34:35], v[28:29], v[34:35], v[36:37]
	;; [unrolled: 2-line block ×8, first 2 shown]
	v_add_f64 v[17:18], v[17:18], -v[22:23]
	v_add_f64 v[19:20], v[19:20], -v[30:31]
	;; [unrolled: 1-line block ×16, first 2 shown]
	s_cbranch_scc0 .LBB238_23
.LBB238_24:                             ;   in Loop: Header=BB238_21 Depth=1
	s_mul_i32 s10, s5, 0x210
	v_add_nc_u32_e32 v29, 0x4000, v13
	v_dual_mov_b32 v13, s10 :: v_dual_add_nc_u32 v28, 0x4000, v14
	v_add_nc_u32_e32 v27, 0x4000, v15
	ds_load_b128 v[21:24], v13
	s_waitcnt lgkmcnt(0)
	v_dual_mov_b32 v13, v21 :: v_dual_add_nc_u32 v26, 0x4600, v16
	v_cmp_gt_f64_e32 vcc_lo, 0, v[21:22]
	v_xor_b32_e32 v14, 0x80000000, v22
	v_xor_b32_e32 v15, 0x80000000, v24
	s_delay_alu instid0(VALU_DEP_2) | instskip(SKIP_1) | instid1(VALU_DEP_3)
	v_cndmask_b32_e32 v14, v22, v14, vcc_lo
	v_cmp_gt_f64_e32 vcc_lo, 0, v[23:24]
	v_dual_cndmask_b32 v16, v24, v15 :: v_dual_mov_b32 v15, v23
	s_delay_alu instid0(VALU_DEP_1)
	v_cmp_ngt_f64_e32 vcc_lo, v[13:14], v[15:16]
	s_cbranch_vccz .LBB238_26
; %bb.25:                               ;   in Loop: Header=BB238_21 Depth=1
	v_div_scale_f64 v[13:14], null, v[23:24], v[23:24], v[21:22]
	v_div_scale_f64 v[32:33], vcc_lo, v[21:22], v[23:24], v[21:22]
	s_delay_alu instid0(VALU_DEP_2) | instskip(SKIP_2) | instid1(VALU_DEP_1)
	v_rcp_f64_e32 v[15:16], v[13:14]
	s_waitcnt_depctr 0xfff
	v_fma_f64 v[30:31], -v[13:14], v[15:16], 1.0
	v_fma_f64 v[15:16], v[15:16], v[30:31], v[15:16]
	s_delay_alu instid0(VALU_DEP_1) | instskip(NEXT) | instid1(VALU_DEP_1)
	v_fma_f64 v[30:31], -v[13:14], v[15:16], 1.0
	v_fma_f64 v[15:16], v[15:16], v[30:31], v[15:16]
	s_delay_alu instid0(VALU_DEP_1) | instskip(NEXT) | instid1(VALU_DEP_1)
	v_mul_f64 v[30:31], v[32:33], v[15:16]
	v_fma_f64 v[13:14], -v[13:14], v[30:31], v[32:33]
	s_delay_alu instid0(VALU_DEP_1) | instskip(NEXT) | instid1(VALU_DEP_1)
	v_div_fmas_f64 v[13:14], v[13:14], v[15:16], v[30:31]
	v_div_fixup_f64 v[13:14], v[13:14], v[23:24], v[21:22]
	s_delay_alu instid0(VALU_DEP_1) | instskip(NEXT) | instid1(VALU_DEP_1)
	v_fma_f64 v[15:16], v[21:22], v[13:14], v[23:24]
	v_div_scale_f64 v[30:31], null, v[15:16], v[15:16], 1.0
	v_div_scale_f64 v[36:37], vcc_lo, 1.0, v[15:16], 1.0
	s_delay_alu instid0(VALU_DEP_2) | instskip(SKIP_2) | instid1(VALU_DEP_1)
	v_rcp_f64_e32 v[32:33], v[30:31]
	s_waitcnt_depctr 0xfff
	v_fma_f64 v[34:35], -v[30:31], v[32:33], 1.0
	v_fma_f64 v[32:33], v[32:33], v[34:35], v[32:33]
	s_delay_alu instid0(VALU_DEP_1) | instskip(NEXT) | instid1(VALU_DEP_1)
	v_fma_f64 v[34:35], -v[30:31], v[32:33], 1.0
	v_fma_f64 v[32:33], v[32:33], v[34:35], v[32:33]
	s_delay_alu instid0(VALU_DEP_1) | instskip(NEXT) | instid1(VALU_DEP_1)
	v_mul_f64 v[34:35], v[36:37], v[32:33]
	v_fma_f64 v[30:31], -v[30:31], v[34:35], v[36:37]
	s_delay_alu instid0(VALU_DEP_1) | instskip(SKIP_1) | instid1(VALU_DEP_2)
	v_div_fmas_f64 v[30:31], v[30:31], v[32:33], v[34:35]
	v_fma_f64 v[32:33], v[17:18], v[13:14], v[19:20]
	v_div_fixup_f64 v[15:16], v[30:31], v[15:16], 1.0
	v_fma_f64 v[30:31], v[19:20], v[13:14], -v[17:18]
	s_delay_alu instid0(VALU_DEP_2) | instskip(NEXT) | instid1(VALU_DEP_2)
	v_mul_f64 v[13:14], v[32:33], v[15:16]
	v_mul_f64 v[15:16], v[30:31], v[15:16]
	s_cbranch_execz .LBB238_27
	s_branch .LBB238_28
.LBB238_26:                             ;   in Loop: Header=BB238_21 Depth=1
                                        ; implicit-def: $vgpr15_vgpr16
.LBB238_27:                             ;   in Loop: Header=BB238_21 Depth=1
	v_div_scale_f64 v[13:14], null, v[21:22], v[21:22], v[23:24]
	v_div_scale_f64 v[32:33], vcc_lo, v[23:24], v[21:22], v[23:24]
	s_delay_alu instid0(VALU_DEP_2) | instskip(SKIP_2) | instid1(VALU_DEP_1)
	v_rcp_f64_e32 v[15:16], v[13:14]
	s_waitcnt_depctr 0xfff
	v_fma_f64 v[30:31], -v[13:14], v[15:16], 1.0
	v_fma_f64 v[15:16], v[15:16], v[30:31], v[15:16]
	s_delay_alu instid0(VALU_DEP_1) | instskip(NEXT) | instid1(VALU_DEP_1)
	v_fma_f64 v[30:31], -v[13:14], v[15:16], 1.0
	v_fma_f64 v[15:16], v[15:16], v[30:31], v[15:16]
	s_delay_alu instid0(VALU_DEP_1) | instskip(NEXT) | instid1(VALU_DEP_1)
	v_mul_f64 v[30:31], v[32:33], v[15:16]
	v_fma_f64 v[13:14], -v[13:14], v[30:31], v[32:33]
	s_delay_alu instid0(VALU_DEP_1) | instskip(NEXT) | instid1(VALU_DEP_1)
	v_div_fmas_f64 v[13:14], v[13:14], v[15:16], v[30:31]
	v_div_fixup_f64 v[13:14], v[13:14], v[21:22], v[23:24]
	s_delay_alu instid0(VALU_DEP_1) | instskip(NEXT) | instid1(VALU_DEP_1)
	v_fma_f64 v[15:16], v[23:24], v[13:14], v[21:22]
	v_div_scale_f64 v[21:22], null, v[15:16], v[15:16], 1.0
	v_div_scale_f64 v[32:33], vcc_lo, 1.0, v[15:16], 1.0
	s_delay_alu instid0(VALU_DEP_2) | instskip(SKIP_2) | instid1(VALU_DEP_1)
	v_rcp_f64_e32 v[23:24], v[21:22]
	s_waitcnt_depctr 0xfff
	v_fma_f64 v[30:31], -v[21:22], v[23:24], 1.0
	v_fma_f64 v[23:24], v[23:24], v[30:31], v[23:24]
	s_delay_alu instid0(VALU_DEP_1) | instskip(NEXT) | instid1(VALU_DEP_1)
	v_fma_f64 v[30:31], -v[21:22], v[23:24], 1.0
	v_fma_f64 v[23:24], v[23:24], v[30:31], v[23:24]
	s_delay_alu instid0(VALU_DEP_1) | instskip(NEXT) | instid1(VALU_DEP_1)
	v_mul_f64 v[30:31], v[32:33], v[23:24]
	v_fma_f64 v[21:22], -v[21:22], v[30:31], v[32:33]
	s_delay_alu instid0(VALU_DEP_1) | instskip(SKIP_2) | instid1(VALU_DEP_3)
	v_div_fmas_f64 v[21:22], v[21:22], v[23:24], v[30:31]
	v_fma_f64 v[23:24], v[19:20], v[13:14], v[17:18]
	v_fma_f64 v[17:18], -v[17:18], v[13:14], v[19:20]
	v_div_fixup_f64 v[15:16], v[21:22], v[15:16], 1.0
	s_delay_alu instid0(VALU_DEP_1) | instskip(NEXT) | instid1(VALU_DEP_3)
	v_mul_f64 v[13:14], v[23:24], v[15:16]
	v_mul_f64 v[15:16], v[17:18], v[15:16]
.LBB238_28:                             ;   in Loop: Header=BB238_21 Depth=1
	v_mov_b32_e32 v17, s10
	ds_load_b128 v[21:24], v17 offset:16
	ds_load_b128 v[17:20], v17 offset:528
	ds_store_b128 v29, v[13:16]
	s_waitcnt lgkmcnt(2)
	v_mul_f64 v[30:31], v[15:16], v[23:24]
	s_waitcnt lgkmcnt(1)
	v_mov_b32_e32 v32, v19
	v_mul_f64 v[23:24], v[13:14], v[23:24]
	v_cmp_gt_f64_e32 vcc_lo, 0, v[17:18]
	v_xor_b32_e32 v33, 0x80000000, v20
	v_fma_f64 v[30:31], v[13:14], v[21:22], -v[30:31]
	s_delay_alu instid0(VALU_DEP_4) | instskip(SKIP_1) | instid1(VALU_DEP_1)
	v_fma_f64 v[23:24], v[15:16], v[21:22], v[23:24]
	v_xor_b32_e32 v22, 0x80000000, v18
	v_dual_mov_b32 v21, v17 :: v_dual_cndmask_b32 v22, v18, v22
	v_cmp_gt_f64_e32 vcc_lo, 0, v[19:20]
	s_delay_alu instid0(VALU_DEP_4) | instskip(SKIP_1) | instid1(VALU_DEP_1)
	v_add_f64 v[23:24], v[11:12], -v[23:24]
	v_cndmask_b32_e32 v33, v20, v33, vcc_lo
	v_cmp_ngt_f64_e32 vcc_lo, v[21:22], v[32:33]
	v_add_f64 v[21:22], v[9:10], -v[30:31]
	s_cbranch_vccz .LBB238_30
; %bb.29:                               ;   in Loop: Header=BB238_21 Depth=1
	v_div_scale_f64 v[9:10], null, v[19:20], v[19:20], v[17:18]
	v_div_scale_f64 v[31:32], vcc_lo, v[17:18], v[19:20], v[17:18]
	s_delay_alu instid0(VALU_DEP_2) | instskip(SKIP_2) | instid1(VALU_DEP_1)
	v_rcp_f64_e32 v[11:12], v[9:10]
	s_waitcnt_depctr 0xfff
	v_fma_f64 v[29:30], -v[9:10], v[11:12], 1.0
	v_fma_f64 v[11:12], v[11:12], v[29:30], v[11:12]
	s_delay_alu instid0(VALU_DEP_1) | instskip(NEXT) | instid1(VALU_DEP_1)
	v_fma_f64 v[29:30], -v[9:10], v[11:12], 1.0
	v_fma_f64 v[11:12], v[11:12], v[29:30], v[11:12]
	s_delay_alu instid0(VALU_DEP_1) | instskip(NEXT) | instid1(VALU_DEP_1)
	v_mul_f64 v[29:30], v[31:32], v[11:12]
	v_fma_f64 v[9:10], -v[9:10], v[29:30], v[31:32]
	s_delay_alu instid0(VALU_DEP_1) | instskip(NEXT) | instid1(VALU_DEP_1)
	v_div_fmas_f64 v[9:10], v[9:10], v[11:12], v[29:30]
	v_div_fixup_f64 v[9:10], v[9:10], v[19:20], v[17:18]
	s_delay_alu instid0(VALU_DEP_1) | instskip(NEXT) | instid1(VALU_DEP_1)
	v_fma_f64 v[11:12], v[17:18], v[9:10], v[19:20]
	v_div_scale_f64 v[29:30], null, v[11:12], v[11:12], 1.0
	v_div_scale_f64 v[35:36], vcc_lo, 1.0, v[11:12], 1.0
	s_delay_alu instid0(VALU_DEP_2) | instskip(SKIP_2) | instid1(VALU_DEP_1)
	v_rcp_f64_e32 v[31:32], v[29:30]
	s_waitcnt_depctr 0xfff
	v_fma_f64 v[33:34], -v[29:30], v[31:32], 1.0
	v_fma_f64 v[31:32], v[31:32], v[33:34], v[31:32]
	s_delay_alu instid0(VALU_DEP_1) | instskip(NEXT) | instid1(VALU_DEP_1)
	v_fma_f64 v[33:34], -v[29:30], v[31:32], 1.0
	v_fma_f64 v[31:32], v[31:32], v[33:34], v[31:32]
	s_delay_alu instid0(VALU_DEP_1) | instskip(NEXT) | instid1(VALU_DEP_1)
	v_mul_f64 v[33:34], v[35:36], v[31:32]
	v_fma_f64 v[29:30], -v[29:30], v[33:34], v[35:36]
	s_delay_alu instid0(VALU_DEP_1) | instskip(SKIP_1) | instid1(VALU_DEP_2)
	v_div_fmas_f64 v[29:30], v[29:30], v[31:32], v[33:34]
	v_fma_f64 v[31:32], v[9:10], v[21:22], v[23:24]
	v_div_fixup_f64 v[11:12], v[29:30], v[11:12], 1.0
	v_fma_f64 v[29:30], v[9:10], v[23:24], -v[21:22]
	s_delay_alu instid0(VALU_DEP_2) | instskip(NEXT) | instid1(VALU_DEP_2)
	v_mul_f64 v[9:10], v[31:32], v[11:12]
	v_mul_f64 v[11:12], v[29:30], v[11:12]
	s_cbranch_execz .LBB238_31
	s_branch .LBB238_32
.LBB238_30:                             ;   in Loop: Header=BB238_21 Depth=1
                                        ; implicit-def: $vgpr11_vgpr12
.LBB238_31:                             ;   in Loop: Header=BB238_21 Depth=1
	v_div_scale_f64 v[9:10], null, v[17:18], v[17:18], v[19:20]
	v_div_scale_f64 v[31:32], vcc_lo, v[19:20], v[17:18], v[19:20]
	s_delay_alu instid0(VALU_DEP_2) | instskip(SKIP_2) | instid1(VALU_DEP_1)
	v_rcp_f64_e32 v[11:12], v[9:10]
	s_waitcnt_depctr 0xfff
	v_fma_f64 v[29:30], -v[9:10], v[11:12], 1.0
	v_fma_f64 v[11:12], v[11:12], v[29:30], v[11:12]
	s_delay_alu instid0(VALU_DEP_1) | instskip(NEXT) | instid1(VALU_DEP_1)
	v_fma_f64 v[29:30], -v[9:10], v[11:12], 1.0
	v_fma_f64 v[11:12], v[11:12], v[29:30], v[11:12]
	s_delay_alu instid0(VALU_DEP_1) | instskip(NEXT) | instid1(VALU_DEP_1)
	v_mul_f64 v[29:30], v[31:32], v[11:12]
	v_fma_f64 v[9:10], -v[9:10], v[29:30], v[31:32]
	s_delay_alu instid0(VALU_DEP_1) | instskip(NEXT) | instid1(VALU_DEP_1)
	v_div_fmas_f64 v[9:10], v[9:10], v[11:12], v[29:30]
	v_div_fixup_f64 v[9:10], v[9:10], v[17:18], v[19:20]
	s_delay_alu instid0(VALU_DEP_1) | instskip(NEXT) | instid1(VALU_DEP_1)
	v_fma_f64 v[11:12], v[19:20], v[9:10], v[17:18]
	v_div_scale_f64 v[17:18], null, v[11:12], v[11:12], 1.0
	v_div_scale_f64 v[31:32], vcc_lo, 1.0, v[11:12], 1.0
	s_delay_alu instid0(VALU_DEP_2) | instskip(SKIP_2) | instid1(VALU_DEP_1)
	v_rcp_f64_e32 v[19:20], v[17:18]
	s_waitcnt_depctr 0xfff
	v_fma_f64 v[29:30], -v[17:18], v[19:20], 1.0
	v_fma_f64 v[19:20], v[19:20], v[29:30], v[19:20]
	s_delay_alu instid0(VALU_DEP_1) | instskip(NEXT) | instid1(VALU_DEP_1)
	v_fma_f64 v[29:30], -v[17:18], v[19:20], 1.0
	v_fma_f64 v[19:20], v[19:20], v[29:30], v[19:20]
	s_delay_alu instid0(VALU_DEP_1) | instskip(NEXT) | instid1(VALU_DEP_1)
	v_mul_f64 v[29:30], v[31:32], v[19:20]
	v_fma_f64 v[17:18], -v[17:18], v[29:30], v[31:32]
	s_delay_alu instid0(VALU_DEP_1) | instskip(SKIP_1) | instid1(VALU_DEP_2)
	v_div_fmas_f64 v[17:18], v[17:18], v[19:20], v[29:30]
	v_fma_f64 v[19:20], v[9:10], v[23:24], v[21:22]
	v_div_fixup_f64 v[11:12], v[17:18], v[11:12], 1.0
	v_fma_f64 v[17:18], -v[9:10], v[21:22], v[23:24]
	s_delay_alu instid0(VALU_DEP_2) | instskip(NEXT) | instid1(VALU_DEP_2)
	v_mul_f64 v[9:10], v[19:20], v[11:12]
	v_mul_f64 v[11:12], v[17:18], v[11:12]
.LBB238_32:                             ;   in Loop: Header=BB238_21 Depth=1
	v_mov_b32_e32 v17, s10
	s_add_i32 s7, s7, s5
	ds_load_b128 v[21:24], v17 offset:32
	ds_load_b128 v[17:20], v17 offset:1056
	s_lshl_b32 s7, s7, 4
	ds_store_b128 v28, v[9:12]
	s_waitcnt lgkmcnt(2)
	v_mul_f64 v[33:34], v[15:16], v[23:24]
	v_mul_f64 v[23:24], v[13:14], v[23:24]
	s_waitcnt lgkmcnt(1)
	v_cmp_gt_f64_e32 vcc_lo, 0, v[17:18]
	s_delay_alu instid0(VALU_DEP_3) | instskip(NEXT) | instid1(VALU_DEP_3)
	v_fma_f64 v[33:34], v[13:14], v[21:22], -v[33:34]
	v_fma_f64 v[21:22], v[15:16], v[21:22], v[23:24]
	s_delay_alu instid0(VALU_DEP_2) | instskip(NEXT) | instid1(VALU_DEP_2)
	v_add_f64 v[5:6], v[5:6], -v[33:34]
	v_add_f64 v[7:8], v[7:8], -v[21:22]
	v_xor_b32_e32 v22, 0x80000000, v18
	s_delay_alu instid0(VALU_DEP_1)
	v_dual_mov_b32 v21, v17 :: v_dual_cndmask_b32 v22, v18, v22
	v_cmp_gt_f64_e32 vcc_lo, 0, v[19:20]
	v_mov_b32_e32 v29, s7
	ds_load_b128 v[29:32], v29 offset:32
	s_waitcnt lgkmcnt(0)
	v_mul_f64 v[35:36], v[11:12], v[31:32]
	v_mul_f64 v[31:32], v[9:10], v[31:32]
	s_delay_alu instid0(VALU_DEP_2) | instskip(NEXT) | instid1(VALU_DEP_2)
	v_fma_f64 v[23:24], v[9:10], v[29:30], -v[35:36]
	v_fma_f64 v[29:30], v[11:12], v[29:30], v[31:32]
	v_xor_b32_e32 v32, 0x80000000, v20
	s_delay_alu instid0(VALU_DEP_1) | instskip(NEXT) | instid1(VALU_DEP_1)
	v_dual_mov_b32 v31, v19 :: v_dual_cndmask_b32 v32, v20, v32
	v_cmp_ngt_f64_e32 vcc_lo, v[21:22], v[31:32]
	v_add_f64 v[21:22], v[5:6], -v[23:24]
	v_add_f64 v[23:24], v[7:8], -v[29:30]
	s_cbranch_vccz .LBB238_34
; %bb.33:                               ;   in Loop: Header=BB238_21 Depth=1
	v_div_scale_f64 v[5:6], null, v[19:20], v[19:20], v[17:18]
	v_div_scale_f64 v[30:31], vcc_lo, v[17:18], v[19:20], v[17:18]
	s_delay_alu instid0(VALU_DEP_2) | instskip(SKIP_2) | instid1(VALU_DEP_1)
	v_rcp_f64_e32 v[7:8], v[5:6]
	s_waitcnt_depctr 0xfff
	v_fma_f64 v[28:29], -v[5:6], v[7:8], 1.0
	v_fma_f64 v[7:8], v[7:8], v[28:29], v[7:8]
	s_delay_alu instid0(VALU_DEP_1) | instskip(NEXT) | instid1(VALU_DEP_1)
	v_fma_f64 v[28:29], -v[5:6], v[7:8], 1.0
	v_fma_f64 v[7:8], v[7:8], v[28:29], v[7:8]
	s_delay_alu instid0(VALU_DEP_1) | instskip(NEXT) | instid1(VALU_DEP_1)
	v_mul_f64 v[28:29], v[30:31], v[7:8]
	v_fma_f64 v[5:6], -v[5:6], v[28:29], v[30:31]
	s_delay_alu instid0(VALU_DEP_1) | instskip(NEXT) | instid1(VALU_DEP_1)
	v_div_fmas_f64 v[5:6], v[5:6], v[7:8], v[28:29]
	v_div_fixup_f64 v[5:6], v[5:6], v[19:20], v[17:18]
	s_delay_alu instid0(VALU_DEP_1) | instskip(NEXT) | instid1(VALU_DEP_1)
	v_fma_f64 v[7:8], v[17:18], v[5:6], v[19:20]
	v_div_scale_f64 v[28:29], null, v[7:8], v[7:8], 1.0
	v_div_scale_f64 v[34:35], vcc_lo, 1.0, v[7:8], 1.0
	s_delay_alu instid0(VALU_DEP_2) | instskip(SKIP_2) | instid1(VALU_DEP_1)
	v_rcp_f64_e32 v[30:31], v[28:29]
	s_waitcnt_depctr 0xfff
	v_fma_f64 v[32:33], -v[28:29], v[30:31], 1.0
	v_fma_f64 v[30:31], v[30:31], v[32:33], v[30:31]
	s_delay_alu instid0(VALU_DEP_1) | instskip(NEXT) | instid1(VALU_DEP_1)
	v_fma_f64 v[32:33], -v[28:29], v[30:31], 1.0
	v_fma_f64 v[30:31], v[30:31], v[32:33], v[30:31]
	s_delay_alu instid0(VALU_DEP_1) | instskip(NEXT) | instid1(VALU_DEP_1)
	v_mul_f64 v[32:33], v[34:35], v[30:31]
	v_fma_f64 v[28:29], -v[28:29], v[32:33], v[34:35]
	s_delay_alu instid0(VALU_DEP_1) | instskip(SKIP_1) | instid1(VALU_DEP_2)
	v_div_fmas_f64 v[28:29], v[28:29], v[30:31], v[32:33]
	v_fma_f64 v[30:31], v[5:6], v[21:22], v[23:24]
	v_div_fixup_f64 v[7:8], v[28:29], v[7:8], 1.0
	v_fma_f64 v[28:29], v[5:6], v[23:24], -v[21:22]
	s_delay_alu instid0(VALU_DEP_2) | instskip(NEXT) | instid1(VALU_DEP_2)
	v_mul_f64 v[5:6], v[30:31], v[7:8]
	v_mul_f64 v[7:8], v[28:29], v[7:8]
	s_cbranch_execz .LBB238_35
	s_branch .LBB238_36
.LBB238_34:                             ;   in Loop: Header=BB238_21 Depth=1
                                        ; implicit-def: $vgpr7_vgpr8
.LBB238_35:                             ;   in Loop: Header=BB238_21 Depth=1
	v_div_scale_f64 v[5:6], null, v[17:18], v[17:18], v[19:20]
	v_div_scale_f64 v[30:31], vcc_lo, v[19:20], v[17:18], v[19:20]
	s_delay_alu instid0(VALU_DEP_2) | instskip(SKIP_2) | instid1(VALU_DEP_1)
	v_rcp_f64_e32 v[7:8], v[5:6]
	s_waitcnt_depctr 0xfff
	v_fma_f64 v[28:29], -v[5:6], v[7:8], 1.0
	v_fma_f64 v[7:8], v[7:8], v[28:29], v[7:8]
	s_delay_alu instid0(VALU_DEP_1) | instskip(NEXT) | instid1(VALU_DEP_1)
	v_fma_f64 v[28:29], -v[5:6], v[7:8], 1.0
	v_fma_f64 v[7:8], v[7:8], v[28:29], v[7:8]
	s_delay_alu instid0(VALU_DEP_1) | instskip(NEXT) | instid1(VALU_DEP_1)
	v_mul_f64 v[28:29], v[30:31], v[7:8]
	v_fma_f64 v[5:6], -v[5:6], v[28:29], v[30:31]
	s_delay_alu instid0(VALU_DEP_1) | instskip(NEXT) | instid1(VALU_DEP_1)
	v_div_fmas_f64 v[5:6], v[5:6], v[7:8], v[28:29]
	v_div_fixup_f64 v[5:6], v[5:6], v[17:18], v[19:20]
	s_delay_alu instid0(VALU_DEP_1) | instskip(NEXT) | instid1(VALU_DEP_1)
	v_fma_f64 v[7:8], v[19:20], v[5:6], v[17:18]
	v_div_scale_f64 v[17:18], null, v[7:8], v[7:8], 1.0
	v_div_scale_f64 v[30:31], vcc_lo, 1.0, v[7:8], 1.0
	s_delay_alu instid0(VALU_DEP_2) | instskip(SKIP_2) | instid1(VALU_DEP_1)
	v_rcp_f64_e32 v[19:20], v[17:18]
	s_waitcnt_depctr 0xfff
	v_fma_f64 v[28:29], -v[17:18], v[19:20], 1.0
	v_fma_f64 v[19:20], v[19:20], v[28:29], v[19:20]
	s_delay_alu instid0(VALU_DEP_1) | instskip(NEXT) | instid1(VALU_DEP_1)
	v_fma_f64 v[28:29], -v[17:18], v[19:20], 1.0
	v_fma_f64 v[19:20], v[19:20], v[28:29], v[19:20]
	s_delay_alu instid0(VALU_DEP_1) | instskip(NEXT) | instid1(VALU_DEP_1)
	v_mul_f64 v[28:29], v[30:31], v[19:20]
	v_fma_f64 v[17:18], -v[17:18], v[28:29], v[30:31]
	s_delay_alu instid0(VALU_DEP_1) | instskip(SKIP_1) | instid1(VALU_DEP_2)
	v_div_fmas_f64 v[17:18], v[17:18], v[19:20], v[28:29]
	v_fma_f64 v[19:20], v[5:6], v[23:24], v[21:22]
	v_div_fixup_f64 v[7:8], v[17:18], v[7:8], 1.0
	v_fma_f64 v[17:18], -v[5:6], v[21:22], v[23:24]
	s_delay_alu instid0(VALU_DEP_2) | instskip(NEXT) | instid1(VALU_DEP_2)
	v_mul_f64 v[5:6], v[19:20], v[7:8]
	v_mul_f64 v[7:8], v[17:18], v[7:8]
.LBB238_36:                             ;   in Loop: Header=BB238_21 Depth=1
	v_dual_mov_b32 v17, s10 :: v_dual_mov_b32 v28, s7
	s_add_i32 s6, s6, s5
	ds_load_b128 v[21:24], v17 offset:48
	ds_load_b128 v[17:20], v17 offset:1584
	ds_load_b128 v[28:31], v28 offset:48
	s_lshl_b32 s6, s6, 4
	ds_store_b128 v27, v[5:8]
	v_mov_b32_e32 v32, s6
	ds_load_b128 v[32:35], v32 offset:48
	s_waitcnt lgkmcnt(4)
	v_mul_f64 v[36:37], v[15:16], v[23:24]
	v_mul_f64 v[23:24], v[13:14], v[23:24]
	s_waitcnt lgkmcnt(2)
	v_mul_f64 v[38:39], v[11:12], v[30:31]
	v_mul_f64 v[30:31], v[9:10], v[30:31]
	v_cmp_gt_f64_e32 vcc_lo, 0, v[17:18]
	v_fma_f64 v[13:14], v[13:14], v[21:22], -v[36:37]
	v_fma_f64 v[15:16], v[15:16], v[21:22], v[23:24]
	v_fma_f64 v[9:10], v[9:10], v[28:29], -v[38:39]
	v_fma_f64 v[11:12], v[11:12], v[28:29], v[30:31]
	s_waitcnt lgkmcnt(0)
	v_mul_f64 v[21:22], v[7:8], v[34:35]
	v_mul_f64 v[23:24], v[5:6], v[34:35]
	v_add_f64 v[1:2], v[1:2], -v[13:14]
	v_add_f64 v[3:4], v[3:4], -v[15:16]
	s_delay_alu instid0(VALU_DEP_4) | instskip(NEXT) | instid1(VALU_DEP_4)
	v_fma_f64 v[13:14], v[5:6], v[32:33], -v[21:22]
	v_fma_f64 v[15:16], v[7:8], v[32:33], v[23:24]
	s_delay_alu instid0(VALU_DEP_4)
	v_add_f64 v[1:2], v[1:2], -v[9:10]
	v_mov_b32_e32 v9, v17
	v_xor_b32_e32 v10, 0x80000000, v18
	v_add_f64 v[3:4], v[3:4], -v[11:12]
	v_mov_b32_e32 v11, v19
	v_xor_b32_e32 v12, 0x80000000, v20
	s_delay_alu instid0(VALU_DEP_4) | instskip(SKIP_1) | instid1(VALU_DEP_3)
	v_cndmask_b32_e32 v10, v18, v10, vcc_lo
	v_cmp_gt_f64_e32 vcc_lo, 0, v[19:20]
	v_cndmask_b32_e32 v12, v20, v12, vcc_lo
	s_delay_alu instid0(VALU_DEP_1)
	v_cmp_ngt_f64_e32 vcc_lo, v[9:10], v[11:12]
	v_add_f64 v[9:10], v[1:2], -v[13:14]
	v_add_f64 v[11:12], v[3:4], -v[15:16]
	s_cbranch_vccz .LBB238_38
; %bb.37:                               ;   in Loop: Header=BB238_21 Depth=1
	v_div_scale_f64 v[1:2], null, v[19:20], v[19:20], v[17:18]
	v_div_scale_f64 v[7:8], vcc_lo, v[17:18], v[19:20], v[17:18]
	s_delay_alu instid0(VALU_DEP_2) | instskip(SKIP_2) | instid1(VALU_DEP_1)
	v_rcp_f64_e32 v[3:4], v[1:2]
	s_waitcnt_depctr 0xfff
	v_fma_f64 v[5:6], -v[1:2], v[3:4], 1.0
	v_fma_f64 v[3:4], v[3:4], v[5:6], v[3:4]
	s_delay_alu instid0(VALU_DEP_1) | instskip(NEXT) | instid1(VALU_DEP_1)
	v_fma_f64 v[5:6], -v[1:2], v[3:4], 1.0
	v_fma_f64 v[3:4], v[3:4], v[5:6], v[3:4]
	s_delay_alu instid0(VALU_DEP_1) | instskip(NEXT) | instid1(VALU_DEP_1)
	v_mul_f64 v[5:6], v[7:8], v[3:4]
	v_fma_f64 v[1:2], -v[1:2], v[5:6], v[7:8]
	s_delay_alu instid0(VALU_DEP_1) | instskip(NEXT) | instid1(VALU_DEP_1)
	v_div_fmas_f64 v[1:2], v[1:2], v[3:4], v[5:6]
	v_div_fixup_f64 v[1:2], v[1:2], v[19:20], v[17:18]
	s_delay_alu instid0(VALU_DEP_1) | instskip(NEXT) | instid1(VALU_DEP_1)
	v_fma_f64 v[3:4], v[17:18], v[1:2], v[19:20]
	v_div_scale_f64 v[5:6], null, v[3:4], v[3:4], 1.0
	v_div_scale_f64 v[15:16], vcc_lo, 1.0, v[3:4], 1.0
	s_delay_alu instid0(VALU_DEP_2) | instskip(SKIP_2) | instid1(VALU_DEP_1)
	v_rcp_f64_e32 v[7:8], v[5:6]
	s_waitcnt_depctr 0xfff
	v_fma_f64 v[13:14], -v[5:6], v[7:8], 1.0
	v_fma_f64 v[7:8], v[7:8], v[13:14], v[7:8]
	s_delay_alu instid0(VALU_DEP_1) | instskip(NEXT) | instid1(VALU_DEP_1)
	v_fma_f64 v[13:14], -v[5:6], v[7:8], 1.0
	v_fma_f64 v[7:8], v[7:8], v[13:14], v[7:8]
	s_delay_alu instid0(VALU_DEP_1) | instskip(NEXT) | instid1(VALU_DEP_1)
	v_mul_f64 v[13:14], v[15:16], v[7:8]
	v_fma_f64 v[5:6], -v[5:6], v[13:14], v[15:16]
	s_delay_alu instid0(VALU_DEP_1) | instskip(SKIP_1) | instid1(VALU_DEP_2)
	v_div_fmas_f64 v[5:6], v[5:6], v[7:8], v[13:14]
	v_fma_f64 v[7:8], v[1:2], v[9:10], v[11:12]
	v_div_fixup_f64 v[3:4], v[5:6], v[3:4], 1.0
	v_fma_f64 v[5:6], v[1:2], v[11:12], -v[9:10]
	s_delay_alu instid0(VALU_DEP_2) | instskip(NEXT) | instid1(VALU_DEP_2)
	v_mul_f64 v[1:2], v[7:8], v[3:4]
	v_mul_f64 v[3:4], v[5:6], v[3:4]
	s_cbranch_execz .LBB238_39
	s_branch .LBB238_40
.LBB238_38:                             ;   in Loop: Header=BB238_21 Depth=1
                                        ; implicit-def: $vgpr3_vgpr4
.LBB238_39:                             ;   in Loop: Header=BB238_21 Depth=1
	v_div_scale_f64 v[1:2], null, v[17:18], v[17:18], v[19:20]
	v_div_scale_f64 v[7:8], vcc_lo, v[19:20], v[17:18], v[19:20]
	s_delay_alu instid0(VALU_DEP_2) | instskip(SKIP_2) | instid1(VALU_DEP_1)
	v_rcp_f64_e32 v[3:4], v[1:2]
	s_waitcnt_depctr 0xfff
	v_fma_f64 v[5:6], -v[1:2], v[3:4], 1.0
	v_fma_f64 v[3:4], v[3:4], v[5:6], v[3:4]
	s_delay_alu instid0(VALU_DEP_1) | instskip(NEXT) | instid1(VALU_DEP_1)
	v_fma_f64 v[5:6], -v[1:2], v[3:4], 1.0
	v_fma_f64 v[3:4], v[3:4], v[5:6], v[3:4]
	s_delay_alu instid0(VALU_DEP_1) | instskip(NEXT) | instid1(VALU_DEP_1)
	v_mul_f64 v[5:6], v[7:8], v[3:4]
	v_fma_f64 v[1:2], -v[1:2], v[5:6], v[7:8]
	s_delay_alu instid0(VALU_DEP_1) | instskip(NEXT) | instid1(VALU_DEP_1)
	v_div_fmas_f64 v[1:2], v[1:2], v[3:4], v[5:6]
	v_div_fixup_f64 v[1:2], v[1:2], v[17:18], v[19:20]
	s_delay_alu instid0(VALU_DEP_1) | instskip(NEXT) | instid1(VALU_DEP_1)
	v_fma_f64 v[3:4], v[19:20], v[1:2], v[17:18]
	v_div_scale_f64 v[5:6], null, v[3:4], v[3:4], 1.0
	v_div_scale_f64 v[15:16], vcc_lo, 1.0, v[3:4], 1.0
	s_delay_alu instid0(VALU_DEP_2) | instskip(SKIP_2) | instid1(VALU_DEP_1)
	v_rcp_f64_e32 v[7:8], v[5:6]
	s_waitcnt_depctr 0xfff
	v_fma_f64 v[13:14], -v[5:6], v[7:8], 1.0
	v_fma_f64 v[7:8], v[7:8], v[13:14], v[7:8]
	s_delay_alu instid0(VALU_DEP_1) | instskip(NEXT) | instid1(VALU_DEP_1)
	v_fma_f64 v[13:14], -v[5:6], v[7:8], 1.0
	v_fma_f64 v[7:8], v[7:8], v[13:14], v[7:8]
	s_delay_alu instid0(VALU_DEP_1) | instskip(NEXT) | instid1(VALU_DEP_1)
	v_mul_f64 v[13:14], v[15:16], v[7:8]
	v_fma_f64 v[5:6], -v[5:6], v[13:14], v[15:16]
	s_delay_alu instid0(VALU_DEP_1) | instskip(SKIP_1) | instid1(VALU_DEP_2)
	v_div_fmas_f64 v[5:6], v[5:6], v[7:8], v[13:14]
	v_fma_f64 v[7:8], v[1:2], v[11:12], v[9:10]
	v_div_fixup_f64 v[3:4], v[5:6], v[3:4], 1.0
	v_fma_f64 v[5:6], -v[1:2], v[9:10], v[11:12]
	s_delay_alu instid0(VALU_DEP_2) | instskip(NEXT) | instid1(VALU_DEP_2)
	v_mul_f64 v[1:2], v[7:8], v[3:4]
	v_mul_f64 v[3:4], v[5:6], v[3:4]
.LBB238_40:                             ;   in Loop: Header=BB238_21 Depth=1
	s_add_i32 s6, s5, 4
	s_add_i32 s5, s5, 7
	;; [unrolled: 1-line block ×3, first 2 shown]
	s_cmp_ge_i32 s5, s29
	ds_store_b128 v26, v[1:4]
	s_cbranch_scc1 .LBB238_42
; %bb.41:                               ;   in Loop: Header=BB238_21 Depth=1
	s_mov_b32 s5, s6
	s_branch .LBB238_21
.LBB238_42:
	s_cmp_ge_i32 s6, s29
	s_cbranch_scc1 .LBB238_57
; %bb.43:
	v_lshl_or_b32 v13, v0, 4, 0x4000
	v_lshlrev_b32_e32 v14, 4, v0
	s_add_i32 s4, s6, -1
	s_lshl_b32 s5, s6, 4
	s_mov_b32 s7, 0
	s_mov_b32 s10, s6
	s_branch .LBB238_45
.LBB238_44:                             ;   in Loop: Header=BB238_45 Depth=1
	v_add_nc_u16 v1, s10, 1
	s_add_i32 s6, s6, 1
	s_add_i32 s7, s7, 1
	;; [unrolled: 1-line block ×3, first 2 shown]
	s_cmp_ge_i32 s6, s29
	v_readfirstlane_b32 s10, v1
	ds_store_b128 v15, v[9:12]
	s_cbranch_scc1 .LBB238_57
.LBB238_45:                             ; =>This Loop Header: Depth=1
                                        ;     Child Loop BB238_48 Depth 2
                                        ;     Child Loop BB238_52 Depth 2
	v_lshl_or_b32 v5, s6, 9, v14
	s_cmp_eq_u32 s6, 0
	ds_load_b128 v[1:4], v5 offset:16384
	s_cbranch_scc1 .LBB238_53
; %bb.46:                               ;   in Loop: Header=BB238_45 Depth=1
	s_add_i32 s11, s4, s7
	s_delay_alu instid0(SALU_CYCLE_1)
	s_cmp_lt_u32 s11, 3
	s_cbranch_scc1 .LBB238_50
; %bb.47:                               ;   in Loop: Header=BB238_45 Depth=1
	v_mov_b32_e32 v6, v13
	s_and_b32 s11, s6, -4
	s_mov_b32 s14, 0
	s_mov_b32 s15, s5
.LBB238_48:                             ;   Parent Loop BB238_45 Depth=1
                                        ; =>  This Inner Loop Header: Depth=2
	s_delay_alu instid0(SALU_CYCLE_1)
	v_mov_b32_e32 v31, s15
	s_add_i32 s14, s14, 4
	s_addk_i32 s15, 0x800
	s_cmp_eq_u32 s11, s14
	ds_load_b128 v[7:10], v6
	ds_load_b128 v[15:18], v31
	ds_load_b128 v[19:22], v6 offset:512
	ds_load_b128 v[23:26], v31 offset:512
	s_waitcnt lgkmcnt(2)
	v_mul_f64 v[11:12], v[17:18], v[9:10]
	v_mul_f64 v[9:10], v[15:16], v[9:10]
	s_waitcnt lgkmcnt(0)
	v_mul_f64 v[35:36], v[25:26], v[21:22]
	v_mul_f64 v[21:22], v[23:24], v[21:22]
	s_delay_alu instid0(VALU_DEP_4) | instskip(NEXT) | instid1(VALU_DEP_4)
	v_fma_f64 v[11:12], v[15:16], v[7:8], -v[11:12]
	v_fma_f64 v[37:38], v[17:18], v[7:8], v[9:10]
	ds_load_b128 v[7:10], v6 offset:1024
	ds_load_b128 v[15:18], v31 offset:1024
	ds_load_b128 v[27:30], v6 offset:1536
	ds_load_b128 v[31:34], v31 offset:1536
	v_add_nc_u32_e32 v6, 0x800, v6
	v_fma_f64 v[23:24], v[23:24], v[19:20], -v[35:36]
	v_fma_f64 v[19:20], v[25:26], v[19:20], v[21:22]
	s_waitcnt lgkmcnt(2)
	v_mul_f64 v[39:40], v[17:18], v[9:10]
	v_mul_f64 v[9:10], v[15:16], v[9:10]
	s_waitcnt lgkmcnt(0)
	v_mul_f64 v[21:22], v[31:32], v[29:30]
	v_add_f64 v[1:2], v[1:2], -v[11:12]
	v_add_f64 v[3:4], v[3:4], -v[37:38]
	v_mul_f64 v[11:12], v[33:34], v[29:30]
	v_fma_f64 v[15:16], v[15:16], v[7:8], -v[39:40]
	v_fma_f64 v[7:8], v[17:18], v[7:8], v[9:10]
	v_add_f64 v[1:2], v[1:2], -v[23:24]
	v_add_f64 v[3:4], v[3:4], -v[19:20]
	v_fma_f64 v[9:10], v[31:32], v[27:28], -v[11:12]
	v_fma_f64 v[11:12], v[33:34], v[27:28], v[21:22]
	s_delay_alu instid0(VALU_DEP_4) | instskip(NEXT) | instid1(VALU_DEP_4)
	v_add_f64 v[1:2], v[1:2], -v[15:16]
	v_add_f64 v[3:4], v[3:4], -v[7:8]
	s_delay_alu instid0(VALU_DEP_2) | instskip(NEXT) | instid1(VALU_DEP_2)
	v_add_f64 v[1:2], v[1:2], -v[9:10]
	v_add_f64 v[3:4], v[3:4], -v[11:12]
	s_cbranch_scc0 .LBB238_48
; %bb.49:                               ;   in Loop: Header=BB238_45 Depth=1
	s_and_b32 s14, s6, 3
	s_delay_alu instid0(SALU_CYCLE_1)
	s_cmp_eq_u32 s14, 0
	s_cbranch_scc0 .LBB238_51
	s_branch .LBB238_53
.LBB238_50:                             ;   in Loop: Header=BB238_45 Depth=1
	s_mov_b32 s11, 0
	s_and_b32 s14, s6, 3
	s_delay_alu instid0(SALU_CYCLE_1)
	s_cmp_eq_u32 s14, 0
	s_cbranch_scc1 .LBB238_53
.LBB238_51:                             ;   in Loop: Header=BB238_45 Depth=1
	s_and_b32 s14, s10, 3
	s_lshl_b32 s11, s11, 9
	.p2align	6
.LBB238_52:                             ;   Parent Loop BB238_45 Depth=1
                                        ; =>  This Inner Loop Header: Depth=2
	s_delay_alu instid0(SALU_CYCLE_1)
	s_add_i32 s15, s5, s11
	v_add_nc_u32_e32 v6, s11, v13
	v_mov_b32_e32 v10, s15
	s_add_i32 s14, s14, -1
	s_addk_i32 s11, 0x200
	s_cmp_lg_u32 s14, 0
	ds_load_b128 v[6:9], v6
	ds_load_b128 v[15:18], v10
	s_waitcnt lgkmcnt(0)
	v_mul_f64 v[10:11], v[17:18], v[8:9]
	v_mul_f64 v[8:9], v[15:16], v[8:9]
	s_delay_alu instid0(VALU_DEP_2) | instskip(NEXT) | instid1(VALU_DEP_2)
	v_fma_f64 v[10:11], v[15:16], v[6:7], -v[10:11]
	v_fma_f64 v[6:7], v[17:18], v[6:7], v[8:9]
	s_delay_alu instid0(VALU_DEP_2) | instskip(NEXT) | instid1(VALU_DEP_2)
	v_add_f64 v[1:2], v[1:2], -v[10:11]
	v_add_f64 v[3:4], v[3:4], -v[6:7]
	s_cbranch_scc1 .LBB238_52
.LBB238_53:                             ;   in Loop: Header=BB238_45 Depth=1
	s_mul_i32 s11, s6, 0x210
	v_add_nc_u32_e32 v15, 0x4000, v5
	v_mov_b32_e32 v5, s11
	ds_load_b128 v[5:8], v5
	s_waitcnt lgkmcnt(0)
	v_cmp_gt_f64_e32 vcc_lo, 0, v[5:6]
	v_xor_b32_e32 v10, 0x80000000, v6
	v_xor_b32_e32 v11, 0x80000000, v8
	s_delay_alu instid0(VALU_DEP_2) | instskip(SKIP_1) | instid1(VALU_DEP_3)
	v_dual_mov_b32 v9, v5 :: v_dual_cndmask_b32 v10, v6, v10
	v_cmp_gt_f64_e32 vcc_lo, 0, v[7:8]
	v_dual_cndmask_b32 v12, v8, v11 :: v_dual_mov_b32 v11, v7
	s_delay_alu instid0(VALU_DEP_1)
	v_cmp_ngt_f64_e32 vcc_lo, v[9:10], v[11:12]
	s_cbranch_vccz .LBB238_55
; %bb.54:                               ;   in Loop: Header=BB238_45 Depth=1
	v_div_scale_f64 v[9:10], null, v[7:8], v[7:8], v[5:6]
	v_div_scale_f64 v[18:19], vcc_lo, v[5:6], v[7:8], v[5:6]
	s_delay_alu instid0(VALU_DEP_2) | instskip(SKIP_2) | instid1(VALU_DEP_1)
	v_rcp_f64_e32 v[11:12], v[9:10]
	s_waitcnt_depctr 0xfff
	v_fma_f64 v[16:17], -v[9:10], v[11:12], 1.0
	v_fma_f64 v[11:12], v[11:12], v[16:17], v[11:12]
	s_delay_alu instid0(VALU_DEP_1) | instskip(NEXT) | instid1(VALU_DEP_1)
	v_fma_f64 v[16:17], -v[9:10], v[11:12], 1.0
	v_fma_f64 v[11:12], v[11:12], v[16:17], v[11:12]
	s_delay_alu instid0(VALU_DEP_1) | instskip(NEXT) | instid1(VALU_DEP_1)
	v_mul_f64 v[16:17], v[18:19], v[11:12]
	v_fma_f64 v[9:10], -v[9:10], v[16:17], v[18:19]
	s_delay_alu instid0(VALU_DEP_1) | instskip(NEXT) | instid1(VALU_DEP_1)
	v_div_fmas_f64 v[9:10], v[9:10], v[11:12], v[16:17]
	v_div_fixup_f64 v[9:10], v[9:10], v[7:8], v[5:6]
	s_delay_alu instid0(VALU_DEP_1) | instskip(NEXT) | instid1(VALU_DEP_1)
	v_fma_f64 v[11:12], v[5:6], v[9:10], v[7:8]
	v_div_scale_f64 v[16:17], null, v[11:12], v[11:12], 1.0
	v_div_scale_f64 v[22:23], vcc_lo, 1.0, v[11:12], 1.0
	s_delay_alu instid0(VALU_DEP_2) | instskip(SKIP_2) | instid1(VALU_DEP_1)
	v_rcp_f64_e32 v[18:19], v[16:17]
	s_waitcnt_depctr 0xfff
	v_fma_f64 v[20:21], -v[16:17], v[18:19], 1.0
	v_fma_f64 v[18:19], v[18:19], v[20:21], v[18:19]
	s_delay_alu instid0(VALU_DEP_1) | instskip(NEXT) | instid1(VALU_DEP_1)
	v_fma_f64 v[20:21], -v[16:17], v[18:19], 1.0
	v_fma_f64 v[18:19], v[18:19], v[20:21], v[18:19]
	s_delay_alu instid0(VALU_DEP_1) | instskip(NEXT) | instid1(VALU_DEP_1)
	v_mul_f64 v[20:21], v[22:23], v[18:19]
	v_fma_f64 v[16:17], -v[16:17], v[20:21], v[22:23]
	s_delay_alu instid0(VALU_DEP_1) | instskip(SKIP_1) | instid1(VALU_DEP_2)
	v_div_fmas_f64 v[16:17], v[16:17], v[18:19], v[20:21]
	v_fma_f64 v[18:19], v[1:2], v[9:10], v[3:4]
	v_div_fixup_f64 v[11:12], v[16:17], v[11:12], 1.0
	v_fma_f64 v[16:17], v[3:4], v[9:10], -v[1:2]
	s_delay_alu instid0(VALU_DEP_2) | instskip(NEXT) | instid1(VALU_DEP_2)
	v_mul_f64 v[9:10], v[18:19], v[11:12]
	v_mul_f64 v[11:12], v[16:17], v[11:12]
	s_cbranch_execnz .LBB238_44
	s_branch .LBB238_56
.LBB238_55:                             ;   in Loop: Header=BB238_45 Depth=1
                                        ; implicit-def: $vgpr9_vgpr10
.LBB238_56:                             ;   in Loop: Header=BB238_45 Depth=1
	v_div_scale_f64 v[9:10], null, v[5:6], v[5:6], v[7:8]
	v_div_scale_f64 v[18:19], vcc_lo, v[7:8], v[5:6], v[7:8]
	s_delay_alu instid0(VALU_DEP_2) | instskip(SKIP_2) | instid1(VALU_DEP_1)
	v_rcp_f64_e32 v[11:12], v[9:10]
	s_waitcnt_depctr 0xfff
	v_fma_f64 v[16:17], -v[9:10], v[11:12], 1.0
	v_fma_f64 v[11:12], v[11:12], v[16:17], v[11:12]
	s_delay_alu instid0(VALU_DEP_1) | instskip(NEXT) | instid1(VALU_DEP_1)
	v_fma_f64 v[16:17], -v[9:10], v[11:12], 1.0
	v_fma_f64 v[11:12], v[11:12], v[16:17], v[11:12]
	s_delay_alu instid0(VALU_DEP_1) | instskip(NEXT) | instid1(VALU_DEP_1)
	v_mul_f64 v[16:17], v[18:19], v[11:12]
	v_fma_f64 v[9:10], -v[9:10], v[16:17], v[18:19]
	s_delay_alu instid0(VALU_DEP_1) | instskip(NEXT) | instid1(VALU_DEP_1)
	v_div_fmas_f64 v[9:10], v[9:10], v[11:12], v[16:17]
	v_div_fixup_f64 v[9:10], v[9:10], v[5:6], v[7:8]
	s_delay_alu instid0(VALU_DEP_1) | instskip(NEXT) | instid1(VALU_DEP_1)
	v_fma_f64 v[5:6], v[7:8], v[9:10], v[5:6]
	v_div_scale_f64 v[7:8], null, v[5:6], v[5:6], 1.0
	v_div_scale_f64 v[18:19], vcc_lo, 1.0, v[5:6], 1.0
	s_delay_alu instid0(VALU_DEP_2) | instskip(SKIP_2) | instid1(VALU_DEP_1)
	v_rcp_f64_e32 v[11:12], v[7:8]
	s_waitcnt_depctr 0xfff
	v_fma_f64 v[16:17], -v[7:8], v[11:12], 1.0
	v_fma_f64 v[11:12], v[11:12], v[16:17], v[11:12]
	s_delay_alu instid0(VALU_DEP_1) | instskip(NEXT) | instid1(VALU_DEP_1)
	v_fma_f64 v[16:17], -v[7:8], v[11:12], 1.0
	v_fma_f64 v[11:12], v[11:12], v[16:17], v[11:12]
	s_delay_alu instid0(VALU_DEP_1) | instskip(NEXT) | instid1(VALU_DEP_1)
	v_mul_f64 v[16:17], v[18:19], v[11:12]
	v_fma_f64 v[7:8], -v[7:8], v[16:17], v[18:19]
	s_delay_alu instid0(VALU_DEP_1) | instskip(SKIP_2) | instid1(VALU_DEP_3)
	v_div_fmas_f64 v[7:8], v[7:8], v[11:12], v[16:17]
	v_fma_f64 v[11:12], v[3:4], v[9:10], v[1:2]
	v_fma_f64 v[1:2], -v[1:2], v[9:10], v[3:4]
	v_div_fixup_f64 v[5:6], v[7:8], v[5:6], 1.0
	s_delay_alu instid0(VALU_DEP_1) | instskip(NEXT) | instid1(VALU_DEP_3)
	v_mul_f64 v[9:10], v[11:12], v[5:6]
	v_mul_f64 v[11:12], v[1:2], v[5:6]
	s_branch .LBB238_44
.LBB238_57:
	s_mov_b32 s4, 0
.LBB238_58:
	s_delay_alu instid0(SALU_CYCLE_1)
	s_and_b32 vcc_lo, exec_lo, s4
	s_cbranch_vccz .LBB238_90
; %bb.59:
	s_and_not1_b32 vcc_lo, exec_lo, s1
	s_mov_b32 s6, s30
	s_cbranch_vccnz .LBB238_81
; %bb.60:
	v_lshlrev_b32_e32 v25, 4, v0
	s_mul_i32 s4, s29, 0x210
	s_mov_b32 s5, s30
	s_addk_i32 s4, 0xfbc0
	s_delay_alu instid0(VALU_DEP_1) | instskip(NEXT) | instid1(VALU_DEP_1)
	v_lshl_or_b32 v1, s29, 9, v25
	v_add_nc_u32_e32 v26, 0x3c00, v1
.LBB238_61:                             ; =>This Loop Header: Depth=1
                                        ;     Child Loop BB238_62 Depth 2
	s_add_i32 s15, s5, -1
	s_lshl_b32 s10, s5, 5
	s_add_i32 s14, s5, -2
	s_lshl_b32 s7, s15, 5
	v_or_b32_e32 v1, s10, v0
	s_lshl_b32 s6, s14, 5
	v_or_b32_e32 v2, s7, v0
	v_or_b32_e32 v3, s6, v0
	s_add_i32 s11, s5, -3
	v_lshlrev_b32_e32 v13, 4, v1
	v_lshl_or_b32 v16, s11, 9, v25
	v_dual_mov_b32 v21, v26 :: v_dual_lshlrev_b32 v14, 4, v2
	v_lshlrev_b32_e32 v15, 4, v3
	ds_load_b128 v[17:20], v13 offset:16384
	ds_load_b128 v[9:12], v14 offset:16384
	;; [unrolled: 1-line block ×4, first 2 shown]
	s_cmp_le_i32 s30, s5
	s_mov_b32 s16, s4
	s_mov_b32 s17, s30
	s_cbranch_scc1 .LBB238_63
.LBB238_62:                             ;   Parent Loop BB238_61 Depth=1
                                        ; =>  This Inner Loop Header: Depth=2
	v_mov_b32_e32 v24, s16
	s_add_i32 s17, s17, -2
	s_addk_i32 s16, 0xfc00
	s_cmp_le_i32 s17, s5
	ds_load_b128 v[27:30], v21 offset:512
	ds_load_b128 v[31:34], v24 offset:560
	;; [unrolled: 1-line block ×5, first 2 shown]
	ds_load_b128 v[47:50], v21
	v_add_nc_u32_e32 v21, 0xfffffc00, v21
	ds_load_b128 v[51:54], v24 offset:48
	ds_load_b128 v[55:58], v24 offset:32
	;; [unrolled: 1-line block ×3, first 2 shown]
	ds_load_b128 v[63:66], v24
	s_waitcnt lgkmcnt(8)
	v_mul_f64 v[22:23], v[29:30], v[33:34]
	v_mul_f64 v[33:34], v[27:28], v[33:34]
	s_waitcnt lgkmcnt(7)
	v_mul_f64 v[67:68], v[29:30], v[37:38]
	v_mul_f64 v[37:38], v[27:28], v[37:38]
	;; [unrolled: 3-line block ×8, first 2 shown]
	v_fma_f64 v[22:23], v[27:28], v[31:32], -v[22:23]
	v_fma_f64 v[31:32], v[29:30], v[31:32], v[33:34]
	v_fma_f64 v[33:34], v[27:28], v[35:36], -v[67:68]
	v_fma_f64 v[35:36], v[29:30], v[35:36], v[37:38]
	;; [unrolled: 2-line block ×8, first 2 shown]
	v_add_f64 v[17:18], v[17:18], -v[22:23]
	v_add_f64 v[19:20], v[19:20], -v[31:32]
	;; [unrolled: 1-line block ×16, first 2 shown]
	s_cbranch_scc0 .LBB238_62
.LBB238_63:                             ;   in Loop: Header=BB238_61 Depth=1
	s_mul_i32 s16, s5, 0x210
	s_delay_alu instid0(SALU_CYCLE_1)
	v_dual_mov_b32 v13, s16 :: v_dual_add_nc_u32 v30, 0x4000, v13
	ds_load_b128 v[21:24], v13
	s_waitcnt lgkmcnt(0)
	v_dual_mov_b32 v13, v21 :: v_dual_add_nc_u32 v28, 0x4000, v15
	v_cmp_gt_f64_e32 vcc_lo, 0, v[21:22]
	v_xor_b32_e32 v15, 0x80000000, v24
	v_add_nc_u32_e32 v29, 0x4000, v14
	v_xor_b32_e32 v14, 0x80000000, v22
	s_delay_alu instid0(VALU_DEP_1) | instskip(SKIP_2) | instid1(VALU_DEP_1)
	v_dual_cndmask_b32 v14, v22, v14 :: v_dual_add_nc_u32 v27, 0x4000, v16
	v_cmp_gt_f64_e32 vcc_lo, 0, v[23:24]
	v_dual_cndmask_b32 v16, v24, v15 :: v_dual_mov_b32 v15, v23
	v_cmp_ngt_f64_e32 vcc_lo, v[13:14], v[15:16]
	s_cbranch_vccz .LBB238_65
; %bb.64:                               ;   in Loop: Header=BB238_61 Depth=1
	v_div_scale_f64 v[13:14], null, v[23:24], v[23:24], v[21:22]
	v_div_scale_f64 v[33:34], vcc_lo, v[21:22], v[23:24], v[21:22]
	s_delay_alu instid0(VALU_DEP_2) | instskip(SKIP_2) | instid1(VALU_DEP_1)
	v_rcp_f64_e32 v[15:16], v[13:14]
	s_waitcnt_depctr 0xfff
	v_fma_f64 v[31:32], -v[13:14], v[15:16], 1.0
	v_fma_f64 v[15:16], v[15:16], v[31:32], v[15:16]
	s_delay_alu instid0(VALU_DEP_1) | instskip(NEXT) | instid1(VALU_DEP_1)
	v_fma_f64 v[31:32], -v[13:14], v[15:16], 1.0
	v_fma_f64 v[15:16], v[15:16], v[31:32], v[15:16]
	s_delay_alu instid0(VALU_DEP_1) | instskip(NEXT) | instid1(VALU_DEP_1)
	v_mul_f64 v[31:32], v[33:34], v[15:16]
	v_fma_f64 v[13:14], -v[13:14], v[31:32], v[33:34]
	s_delay_alu instid0(VALU_DEP_1) | instskip(NEXT) | instid1(VALU_DEP_1)
	v_div_fmas_f64 v[13:14], v[13:14], v[15:16], v[31:32]
	v_div_fixup_f64 v[13:14], v[13:14], v[23:24], v[21:22]
	s_delay_alu instid0(VALU_DEP_1) | instskip(NEXT) | instid1(VALU_DEP_1)
	v_fma_f64 v[15:16], v[21:22], v[13:14], v[23:24]
	v_div_scale_f64 v[31:32], null, v[15:16], v[15:16], 1.0
	v_div_scale_f64 v[37:38], vcc_lo, 1.0, v[15:16], 1.0
	s_delay_alu instid0(VALU_DEP_2) | instskip(SKIP_2) | instid1(VALU_DEP_1)
	v_rcp_f64_e32 v[33:34], v[31:32]
	s_waitcnt_depctr 0xfff
	v_fma_f64 v[35:36], -v[31:32], v[33:34], 1.0
	v_fma_f64 v[33:34], v[33:34], v[35:36], v[33:34]
	s_delay_alu instid0(VALU_DEP_1) | instskip(NEXT) | instid1(VALU_DEP_1)
	v_fma_f64 v[35:36], -v[31:32], v[33:34], 1.0
	v_fma_f64 v[33:34], v[33:34], v[35:36], v[33:34]
	s_delay_alu instid0(VALU_DEP_1) | instskip(NEXT) | instid1(VALU_DEP_1)
	v_mul_f64 v[35:36], v[37:38], v[33:34]
	v_fma_f64 v[31:32], -v[31:32], v[35:36], v[37:38]
	s_delay_alu instid0(VALU_DEP_1) | instskip(SKIP_1) | instid1(VALU_DEP_2)
	v_div_fmas_f64 v[31:32], v[31:32], v[33:34], v[35:36]
	v_fma_f64 v[33:34], v[17:18], v[13:14], v[19:20]
	v_div_fixup_f64 v[15:16], v[31:32], v[15:16], 1.0
	v_fma_f64 v[31:32], v[19:20], v[13:14], -v[17:18]
	s_delay_alu instid0(VALU_DEP_2) | instskip(NEXT) | instid1(VALU_DEP_2)
	v_mul_f64 v[13:14], v[33:34], v[15:16]
	v_mul_f64 v[15:16], v[31:32], v[15:16]
	s_cbranch_execz .LBB238_66
	s_branch .LBB238_67
.LBB238_65:                             ;   in Loop: Header=BB238_61 Depth=1
                                        ; implicit-def: $vgpr15_vgpr16
.LBB238_66:                             ;   in Loop: Header=BB238_61 Depth=1
	v_div_scale_f64 v[13:14], null, v[21:22], v[21:22], v[23:24]
	v_div_scale_f64 v[33:34], vcc_lo, v[23:24], v[21:22], v[23:24]
	s_delay_alu instid0(VALU_DEP_2) | instskip(SKIP_2) | instid1(VALU_DEP_1)
	v_rcp_f64_e32 v[15:16], v[13:14]
	s_waitcnt_depctr 0xfff
	v_fma_f64 v[31:32], -v[13:14], v[15:16], 1.0
	v_fma_f64 v[15:16], v[15:16], v[31:32], v[15:16]
	s_delay_alu instid0(VALU_DEP_1) | instskip(NEXT) | instid1(VALU_DEP_1)
	v_fma_f64 v[31:32], -v[13:14], v[15:16], 1.0
	v_fma_f64 v[15:16], v[15:16], v[31:32], v[15:16]
	s_delay_alu instid0(VALU_DEP_1) | instskip(NEXT) | instid1(VALU_DEP_1)
	v_mul_f64 v[31:32], v[33:34], v[15:16]
	v_fma_f64 v[13:14], -v[13:14], v[31:32], v[33:34]
	s_delay_alu instid0(VALU_DEP_1) | instskip(NEXT) | instid1(VALU_DEP_1)
	v_div_fmas_f64 v[13:14], v[13:14], v[15:16], v[31:32]
	v_div_fixup_f64 v[13:14], v[13:14], v[21:22], v[23:24]
	s_delay_alu instid0(VALU_DEP_1) | instskip(NEXT) | instid1(VALU_DEP_1)
	v_fma_f64 v[15:16], v[23:24], v[13:14], v[21:22]
	v_div_scale_f64 v[21:22], null, v[15:16], v[15:16], 1.0
	v_div_scale_f64 v[33:34], vcc_lo, 1.0, v[15:16], 1.0
	s_delay_alu instid0(VALU_DEP_2) | instskip(SKIP_2) | instid1(VALU_DEP_1)
	v_rcp_f64_e32 v[23:24], v[21:22]
	s_waitcnt_depctr 0xfff
	v_fma_f64 v[31:32], -v[21:22], v[23:24], 1.0
	v_fma_f64 v[23:24], v[23:24], v[31:32], v[23:24]
	s_delay_alu instid0(VALU_DEP_1) | instskip(NEXT) | instid1(VALU_DEP_1)
	v_fma_f64 v[31:32], -v[21:22], v[23:24], 1.0
	v_fma_f64 v[23:24], v[23:24], v[31:32], v[23:24]
	s_delay_alu instid0(VALU_DEP_1) | instskip(NEXT) | instid1(VALU_DEP_1)
	v_mul_f64 v[31:32], v[33:34], v[23:24]
	v_fma_f64 v[21:22], -v[21:22], v[31:32], v[33:34]
	s_delay_alu instid0(VALU_DEP_1) | instskip(SKIP_2) | instid1(VALU_DEP_3)
	v_div_fmas_f64 v[21:22], v[21:22], v[23:24], v[31:32]
	v_fma_f64 v[23:24], v[19:20], v[13:14], v[17:18]
	v_fma_f64 v[17:18], -v[17:18], v[13:14], v[19:20]
	v_div_fixup_f64 v[15:16], v[21:22], v[15:16], 1.0
	s_delay_alu instid0(VALU_DEP_1) | instskip(NEXT) | instid1(VALU_DEP_3)
	v_mul_f64 v[13:14], v[23:24], v[15:16]
	v_mul_f64 v[15:16], v[17:18], v[15:16]
.LBB238_67:                             ;   in Loop: Header=BB238_61 Depth=1
	s_add_i32 s15, s10, s15
	ds_store_b128 v30, v[13:16]
	s_lshl_b32 s15, s15, 4
	s_delay_alu instid0(SALU_CYCLE_1)
	v_mov_b32_e32 v17, s15
	s_add_i32 s15, s16, 0xfffffdf0
	ds_load_b128 v[21:24], v17
	v_mov_b32_e32 v17, s15
	ds_load_b128 v[17:20], v17
	s_waitcnt lgkmcnt(1)
	v_mul_f64 v[31:32], v[15:16], v[23:24]
	v_mul_f64 v[23:24], v[13:14], v[23:24]
	s_waitcnt lgkmcnt(0)
	v_cmp_gt_f64_e32 vcc_lo, 0, v[17:18]
	v_xor_b32_e32 v34, 0x80000000, v20
	v_mov_b32_e32 v33, v19
	v_fma_f64 v[31:32], v[13:14], v[21:22], -v[31:32]
	v_fma_f64 v[23:24], v[15:16], v[21:22], v[23:24]
	v_xor_b32_e32 v22, 0x80000000, v18
	s_delay_alu instid0(VALU_DEP_1) | instskip(SKIP_1) | instid1(VALU_DEP_4)
	v_dual_mov_b32 v21, v17 :: v_dual_cndmask_b32 v22, v18, v22
	v_cmp_gt_f64_e32 vcc_lo, 0, v[19:20]
	v_add_f64 v[23:24], v[11:12], -v[23:24]
	v_cndmask_b32_e32 v34, v20, v34, vcc_lo
	s_delay_alu instid0(VALU_DEP_1)
	v_cmp_ngt_f64_e32 vcc_lo, v[21:22], v[33:34]
	v_add_f64 v[21:22], v[9:10], -v[31:32]
	s_cbranch_vccz .LBB238_69
; %bb.68:                               ;   in Loop: Header=BB238_61 Depth=1
	v_div_scale_f64 v[9:10], null, v[19:20], v[19:20], v[17:18]
	v_div_scale_f64 v[32:33], vcc_lo, v[17:18], v[19:20], v[17:18]
	s_delay_alu instid0(VALU_DEP_2) | instskip(SKIP_2) | instid1(VALU_DEP_1)
	v_rcp_f64_e32 v[11:12], v[9:10]
	s_waitcnt_depctr 0xfff
	v_fma_f64 v[30:31], -v[9:10], v[11:12], 1.0
	v_fma_f64 v[11:12], v[11:12], v[30:31], v[11:12]
	s_delay_alu instid0(VALU_DEP_1) | instskip(NEXT) | instid1(VALU_DEP_1)
	v_fma_f64 v[30:31], -v[9:10], v[11:12], 1.0
	v_fma_f64 v[11:12], v[11:12], v[30:31], v[11:12]
	s_delay_alu instid0(VALU_DEP_1) | instskip(NEXT) | instid1(VALU_DEP_1)
	v_mul_f64 v[30:31], v[32:33], v[11:12]
	v_fma_f64 v[9:10], -v[9:10], v[30:31], v[32:33]
	s_delay_alu instid0(VALU_DEP_1) | instskip(NEXT) | instid1(VALU_DEP_1)
	v_div_fmas_f64 v[9:10], v[9:10], v[11:12], v[30:31]
	v_div_fixup_f64 v[9:10], v[9:10], v[19:20], v[17:18]
	s_delay_alu instid0(VALU_DEP_1) | instskip(NEXT) | instid1(VALU_DEP_1)
	v_fma_f64 v[11:12], v[17:18], v[9:10], v[19:20]
	v_div_scale_f64 v[30:31], null, v[11:12], v[11:12], 1.0
	v_div_scale_f64 v[36:37], vcc_lo, 1.0, v[11:12], 1.0
	s_delay_alu instid0(VALU_DEP_2) | instskip(SKIP_2) | instid1(VALU_DEP_1)
	v_rcp_f64_e32 v[32:33], v[30:31]
	s_waitcnt_depctr 0xfff
	v_fma_f64 v[34:35], -v[30:31], v[32:33], 1.0
	v_fma_f64 v[32:33], v[32:33], v[34:35], v[32:33]
	s_delay_alu instid0(VALU_DEP_1) | instskip(NEXT) | instid1(VALU_DEP_1)
	v_fma_f64 v[34:35], -v[30:31], v[32:33], 1.0
	v_fma_f64 v[32:33], v[32:33], v[34:35], v[32:33]
	s_delay_alu instid0(VALU_DEP_1) | instskip(NEXT) | instid1(VALU_DEP_1)
	v_mul_f64 v[34:35], v[36:37], v[32:33]
	v_fma_f64 v[30:31], -v[30:31], v[34:35], v[36:37]
	s_delay_alu instid0(VALU_DEP_1) | instskip(SKIP_1) | instid1(VALU_DEP_2)
	v_div_fmas_f64 v[30:31], v[30:31], v[32:33], v[34:35]
	v_fma_f64 v[32:33], v[9:10], v[21:22], v[23:24]
	v_div_fixup_f64 v[11:12], v[30:31], v[11:12], 1.0
	v_fma_f64 v[30:31], v[9:10], v[23:24], -v[21:22]
	s_delay_alu instid0(VALU_DEP_2) | instskip(NEXT) | instid1(VALU_DEP_2)
	v_mul_f64 v[9:10], v[32:33], v[11:12]
	v_mul_f64 v[11:12], v[30:31], v[11:12]
	s_cbranch_execz .LBB238_70
	s_branch .LBB238_71
.LBB238_69:                             ;   in Loop: Header=BB238_61 Depth=1
                                        ; implicit-def: $vgpr11_vgpr12
.LBB238_70:                             ;   in Loop: Header=BB238_61 Depth=1
	v_div_scale_f64 v[9:10], null, v[17:18], v[17:18], v[19:20]
	v_div_scale_f64 v[32:33], vcc_lo, v[19:20], v[17:18], v[19:20]
	s_delay_alu instid0(VALU_DEP_2) | instskip(SKIP_2) | instid1(VALU_DEP_1)
	v_rcp_f64_e32 v[11:12], v[9:10]
	s_waitcnt_depctr 0xfff
	v_fma_f64 v[30:31], -v[9:10], v[11:12], 1.0
	v_fma_f64 v[11:12], v[11:12], v[30:31], v[11:12]
	s_delay_alu instid0(VALU_DEP_1) | instskip(NEXT) | instid1(VALU_DEP_1)
	v_fma_f64 v[30:31], -v[9:10], v[11:12], 1.0
	v_fma_f64 v[11:12], v[11:12], v[30:31], v[11:12]
	s_delay_alu instid0(VALU_DEP_1) | instskip(NEXT) | instid1(VALU_DEP_1)
	v_mul_f64 v[30:31], v[32:33], v[11:12]
	v_fma_f64 v[9:10], -v[9:10], v[30:31], v[32:33]
	s_delay_alu instid0(VALU_DEP_1) | instskip(NEXT) | instid1(VALU_DEP_1)
	v_div_fmas_f64 v[9:10], v[9:10], v[11:12], v[30:31]
	v_div_fixup_f64 v[9:10], v[9:10], v[17:18], v[19:20]
	s_delay_alu instid0(VALU_DEP_1) | instskip(NEXT) | instid1(VALU_DEP_1)
	v_fma_f64 v[11:12], v[19:20], v[9:10], v[17:18]
	v_div_scale_f64 v[17:18], null, v[11:12], v[11:12], 1.0
	v_div_scale_f64 v[32:33], vcc_lo, 1.0, v[11:12], 1.0
	s_delay_alu instid0(VALU_DEP_2) | instskip(SKIP_2) | instid1(VALU_DEP_1)
	v_rcp_f64_e32 v[19:20], v[17:18]
	s_waitcnt_depctr 0xfff
	v_fma_f64 v[30:31], -v[17:18], v[19:20], 1.0
	v_fma_f64 v[19:20], v[19:20], v[30:31], v[19:20]
	s_delay_alu instid0(VALU_DEP_1) | instskip(NEXT) | instid1(VALU_DEP_1)
	v_fma_f64 v[30:31], -v[17:18], v[19:20], 1.0
	v_fma_f64 v[19:20], v[19:20], v[30:31], v[19:20]
	s_delay_alu instid0(VALU_DEP_1) | instskip(NEXT) | instid1(VALU_DEP_1)
	v_mul_f64 v[30:31], v[32:33], v[19:20]
	v_fma_f64 v[17:18], -v[17:18], v[30:31], v[32:33]
	s_delay_alu instid0(VALU_DEP_1) | instskip(SKIP_1) | instid1(VALU_DEP_2)
	v_div_fmas_f64 v[17:18], v[17:18], v[19:20], v[30:31]
	v_fma_f64 v[19:20], v[9:10], v[23:24], v[21:22]
	v_div_fixup_f64 v[11:12], v[17:18], v[11:12], 1.0
	v_fma_f64 v[17:18], -v[9:10], v[21:22], v[23:24]
	s_delay_alu instid0(VALU_DEP_2) | instskip(NEXT) | instid1(VALU_DEP_2)
	v_mul_f64 v[9:10], v[19:20], v[11:12]
	v_mul_f64 v[11:12], v[17:18], v[11:12]
.LBB238_71:                             ;   in Loop: Header=BB238_61 Depth=1
	s_add_i32 s16, s10, s14
	s_add_i32 s14, s7, s14
	s_lshl_b32 s16, s16, 4
	s_lshl_b32 s14, s14, 4
	v_mov_b32_e32 v17, s16
	v_mov_b32_e32 v21, s14
	s_add_i32 s14, s15, 0xfffffdf0
	ds_store_b128 v29, v[9:12]
	ds_load_b128 v[17:20], v17
	ds_load_b128 v[21:24], v21
	s_waitcnt lgkmcnt(1)
	v_mul_f64 v[30:31], v[15:16], v[19:20]
	v_mul_f64 v[19:20], v[13:14], v[19:20]
	s_waitcnt lgkmcnt(0)
	v_mul_f64 v[32:33], v[11:12], v[23:24]
	v_mul_f64 v[23:24], v[9:10], v[23:24]
	s_delay_alu instid0(VALU_DEP_4) | instskip(NEXT) | instid1(VALU_DEP_4)
	v_fma_f64 v[30:31], v[13:14], v[17:18], -v[30:31]
	v_fma_f64 v[17:18], v[15:16], v[17:18], v[19:20]
	v_mov_b32_e32 v19, s14
	v_fma_f64 v[32:33], v[9:10], v[21:22], -v[32:33]
	v_fma_f64 v[23:24], v[11:12], v[21:22], v[23:24]
	v_add_f64 v[5:6], v[5:6], -v[30:31]
	v_add_f64 v[7:8], v[7:8], -v[17:18]
	ds_load_b128 v[17:20], v19
	s_waitcnt lgkmcnt(0)
	v_cmp_gt_f64_e32 vcc_lo, 0, v[17:18]
	v_xor_b32_e32 v22, 0x80000000, v18
	v_xor_b32_e32 v31, 0x80000000, v20
	v_dual_mov_b32 v21, v17 :: v_dual_mov_b32 v30, v19
	v_add_f64 v[23:24], v[7:8], -v[23:24]
	s_delay_alu instid0(VALU_DEP_4) | instskip(SKIP_2) | instid1(VALU_DEP_1)
	v_cndmask_b32_e32 v22, v18, v22, vcc_lo
	v_cmp_gt_f64_e32 vcc_lo, 0, v[19:20]
	v_cndmask_b32_e32 v31, v20, v31, vcc_lo
	v_cmp_ngt_f64_e32 vcc_lo, v[21:22], v[30:31]
	v_add_f64 v[21:22], v[5:6], -v[32:33]
	s_cbranch_vccz .LBB238_73
; %bb.72:                               ;   in Loop: Header=BB238_61 Depth=1
	v_div_scale_f64 v[5:6], null, v[19:20], v[19:20], v[17:18]
	v_div_scale_f64 v[31:32], vcc_lo, v[17:18], v[19:20], v[17:18]
	s_delay_alu instid0(VALU_DEP_2) | instskip(SKIP_2) | instid1(VALU_DEP_1)
	v_rcp_f64_e32 v[7:8], v[5:6]
	s_waitcnt_depctr 0xfff
	v_fma_f64 v[29:30], -v[5:6], v[7:8], 1.0
	v_fma_f64 v[7:8], v[7:8], v[29:30], v[7:8]
	s_delay_alu instid0(VALU_DEP_1) | instskip(NEXT) | instid1(VALU_DEP_1)
	v_fma_f64 v[29:30], -v[5:6], v[7:8], 1.0
	v_fma_f64 v[7:8], v[7:8], v[29:30], v[7:8]
	s_delay_alu instid0(VALU_DEP_1) | instskip(NEXT) | instid1(VALU_DEP_1)
	v_mul_f64 v[29:30], v[31:32], v[7:8]
	v_fma_f64 v[5:6], -v[5:6], v[29:30], v[31:32]
	s_delay_alu instid0(VALU_DEP_1) | instskip(NEXT) | instid1(VALU_DEP_1)
	v_div_fmas_f64 v[5:6], v[5:6], v[7:8], v[29:30]
	v_div_fixup_f64 v[5:6], v[5:6], v[19:20], v[17:18]
	s_delay_alu instid0(VALU_DEP_1) | instskip(NEXT) | instid1(VALU_DEP_1)
	v_fma_f64 v[7:8], v[17:18], v[5:6], v[19:20]
	v_div_scale_f64 v[29:30], null, v[7:8], v[7:8], 1.0
	v_div_scale_f64 v[35:36], vcc_lo, 1.0, v[7:8], 1.0
	s_delay_alu instid0(VALU_DEP_2) | instskip(SKIP_2) | instid1(VALU_DEP_1)
	v_rcp_f64_e32 v[31:32], v[29:30]
	s_waitcnt_depctr 0xfff
	v_fma_f64 v[33:34], -v[29:30], v[31:32], 1.0
	v_fma_f64 v[31:32], v[31:32], v[33:34], v[31:32]
	s_delay_alu instid0(VALU_DEP_1) | instskip(NEXT) | instid1(VALU_DEP_1)
	v_fma_f64 v[33:34], -v[29:30], v[31:32], 1.0
	v_fma_f64 v[31:32], v[31:32], v[33:34], v[31:32]
	s_delay_alu instid0(VALU_DEP_1) | instskip(NEXT) | instid1(VALU_DEP_1)
	v_mul_f64 v[33:34], v[35:36], v[31:32]
	v_fma_f64 v[29:30], -v[29:30], v[33:34], v[35:36]
	s_delay_alu instid0(VALU_DEP_1) | instskip(SKIP_1) | instid1(VALU_DEP_2)
	v_div_fmas_f64 v[29:30], v[29:30], v[31:32], v[33:34]
	v_fma_f64 v[31:32], v[5:6], v[21:22], v[23:24]
	v_div_fixup_f64 v[7:8], v[29:30], v[7:8], 1.0
	v_fma_f64 v[29:30], v[5:6], v[23:24], -v[21:22]
	s_delay_alu instid0(VALU_DEP_2) | instskip(NEXT) | instid1(VALU_DEP_2)
	v_mul_f64 v[5:6], v[31:32], v[7:8]
	v_mul_f64 v[7:8], v[29:30], v[7:8]
	s_cbranch_execz .LBB238_74
	s_branch .LBB238_75
.LBB238_73:                             ;   in Loop: Header=BB238_61 Depth=1
                                        ; implicit-def: $vgpr7_vgpr8
.LBB238_74:                             ;   in Loop: Header=BB238_61 Depth=1
	v_div_scale_f64 v[5:6], null, v[17:18], v[17:18], v[19:20]
	v_div_scale_f64 v[31:32], vcc_lo, v[19:20], v[17:18], v[19:20]
	s_delay_alu instid0(VALU_DEP_2) | instskip(SKIP_2) | instid1(VALU_DEP_1)
	v_rcp_f64_e32 v[7:8], v[5:6]
	s_waitcnt_depctr 0xfff
	v_fma_f64 v[29:30], -v[5:6], v[7:8], 1.0
	v_fma_f64 v[7:8], v[7:8], v[29:30], v[7:8]
	s_delay_alu instid0(VALU_DEP_1) | instskip(NEXT) | instid1(VALU_DEP_1)
	v_fma_f64 v[29:30], -v[5:6], v[7:8], 1.0
	v_fma_f64 v[7:8], v[7:8], v[29:30], v[7:8]
	s_delay_alu instid0(VALU_DEP_1) | instskip(NEXT) | instid1(VALU_DEP_1)
	v_mul_f64 v[29:30], v[31:32], v[7:8]
	v_fma_f64 v[5:6], -v[5:6], v[29:30], v[31:32]
	s_delay_alu instid0(VALU_DEP_1) | instskip(NEXT) | instid1(VALU_DEP_1)
	v_div_fmas_f64 v[5:6], v[5:6], v[7:8], v[29:30]
	v_div_fixup_f64 v[5:6], v[5:6], v[17:18], v[19:20]
	s_delay_alu instid0(VALU_DEP_1) | instskip(NEXT) | instid1(VALU_DEP_1)
	v_fma_f64 v[7:8], v[19:20], v[5:6], v[17:18]
	v_div_scale_f64 v[17:18], null, v[7:8], v[7:8], 1.0
	v_div_scale_f64 v[31:32], vcc_lo, 1.0, v[7:8], 1.0
	s_delay_alu instid0(VALU_DEP_2) | instskip(SKIP_2) | instid1(VALU_DEP_1)
	v_rcp_f64_e32 v[19:20], v[17:18]
	s_waitcnt_depctr 0xfff
	v_fma_f64 v[29:30], -v[17:18], v[19:20], 1.0
	v_fma_f64 v[19:20], v[19:20], v[29:30], v[19:20]
	s_delay_alu instid0(VALU_DEP_1) | instskip(NEXT) | instid1(VALU_DEP_1)
	v_fma_f64 v[29:30], -v[17:18], v[19:20], 1.0
	v_fma_f64 v[19:20], v[19:20], v[29:30], v[19:20]
	s_delay_alu instid0(VALU_DEP_1) | instskip(NEXT) | instid1(VALU_DEP_1)
	v_mul_f64 v[29:30], v[31:32], v[19:20]
	v_fma_f64 v[17:18], -v[17:18], v[29:30], v[31:32]
	s_delay_alu instid0(VALU_DEP_1) | instskip(SKIP_1) | instid1(VALU_DEP_2)
	v_div_fmas_f64 v[17:18], v[17:18], v[19:20], v[29:30]
	v_fma_f64 v[19:20], v[5:6], v[23:24], v[21:22]
	v_div_fixup_f64 v[7:8], v[17:18], v[7:8], 1.0
	v_fma_f64 v[17:18], -v[5:6], v[21:22], v[23:24]
	s_delay_alu instid0(VALU_DEP_2) | instskip(NEXT) | instid1(VALU_DEP_2)
	v_mul_f64 v[5:6], v[19:20], v[7:8]
	v_mul_f64 v[7:8], v[17:18], v[7:8]
.LBB238_75:                             ;   in Loop: Header=BB238_61 Depth=1
	s_add_i32 s10, s10, s11
	s_add_i32 s7, s7, s11
	s_lshl_b32 s10, s10, 4
	s_lshl_b32 s7, s7, 4
	v_mov_b32_e32 v17, s10
	v_mov_b32_e32 v21, s7
	s_add_i32 s6, s6, s11
	ds_store_b128 v28, v[5:8]
	s_lshl_b32 s6, s6, 4
	ds_load_b128 v[17:20], v17
	ds_load_b128 v[21:24], v21
	s_waitcnt lgkmcnt(1)
	v_mul_f64 v[29:30], v[15:16], v[19:20]
	v_mul_f64 v[19:20], v[13:14], v[19:20]
	s_delay_alu instid0(VALU_DEP_2) | instskip(SKIP_1) | instid1(VALU_DEP_3)
	v_fma_f64 v[29:30], v[13:14], v[17:18], -v[29:30]
	v_mov_b32_e32 v13, s6
	v_fma_f64 v[33:34], v[15:16], v[17:18], v[19:20]
	s_add_i32 s6, s14, 0xfffffdf0
	ds_load_b128 v[17:20], v13
	s_waitcnt lgkmcnt(1)
	v_mul_f64 v[31:32], v[11:12], v[23:24]
	v_mul_f64 v[23:24], v[9:10], v[23:24]
	v_mov_b32_e32 v13, s6
	ds_load_b128 v[13:16], v13
	s_waitcnt lgkmcnt(1)
	v_mul_f64 v[35:36], v[7:8], v[19:20]
	v_mul_f64 v[19:20], v[5:6], v[19:20]
	s_waitcnt lgkmcnt(0)
	v_cmp_gt_f64_e32 vcc_lo, 0, v[13:14]
	v_add_f64 v[1:2], v[1:2], -v[29:30]
	v_add_f64 v[3:4], v[3:4], -v[33:34]
	v_fma_f64 v[9:10], v[9:10], v[21:22], -v[31:32]
	v_fma_f64 v[11:12], v[11:12], v[21:22], v[23:24]
	v_fma_f64 v[21:22], v[5:6], v[17:18], -v[35:36]
	v_fma_f64 v[17:18], v[7:8], v[17:18], v[19:20]
	s_delay_alu instid0(VALU_DEP_4) | instskip(SKIP_4) | instid1(VALU_DEP_4)
	v_add_f64 v[1:2], v[1:2], -v[9:10]
	v_xor_b32_e32 v10, 0x80000000, v14
	v_add_f64 v[3:4], v[3:4], -v[11:12]
	v_xor_b32_e32 v12, 0x80000000, v16
	v_mov_b32_e32 v9, v13
	v_dual_mov_b32 v11, v15 :: v_dual_cndmask_b32 v10, v14, v10
	v_cmp_gt_f64_e32 vcc_lo, 0, v[15:16]
	s_delay_alu instid0(VALU_DEP_4) | instskip(NEXT) | instid1(VALU_DEP_1)
	v_cndmask_b32_e32 v12, v16, v12, vcc_lo
	v_cmp_ngt_f64_e32 vcc_lo, v[9:10], v[11:12]
	v_add_f64 v[9:10], v[1:2], -v[21:22]
	v_add_f64 v[11:12], v[3:4], -v[17:18]
	s_cbranch_vccz .LBB238_77
; %bb.76:                               ;   in Loop: Header=BB238_61 Depth=1
	v_div_scale_f64 v[1:2], null, v[15:16], v[15:16], v[13:14]
	v_div_scale_f64 v[7:8], vcc_lo, v[13:14], v[15:16], v[13:14]
	s_delay_alu instid0(VALU_DEP_2) | instskip(SKIP_2) | instid1(VALU_DEP_1)
	v_rcp_f64_e32 v[3:4], v[1:2]
	s_waitcnt_depctr 0xfff
	v_fma_f64 v[5:6], -v[1:2], v[3:4], 1.0
	v_fma_f64 v[3:4], v[3:4], v[5:6], v[3:4]
	s_delay_alu instid0(VALU_DEP_1) | instskip(NEXT) | instid1(VALU_DEP_1)
	v_fma_f64 v[5:6], -v[1:2], v[3:4], 1.0
	v_fma_f64 v[3:4], v[3:4], v[5:6], v[3:4]
	s_delay_alu instid0(VALU_DEP_1) | instskip(NEXT) | instid1(VALU_DEP_1)
	v_mul_f64 v[5:6], v[7:8], v[3:4]
	v_fma_f64 v[1:2], -v[1:2], v[5:6], v[7:8]
	s_delay_alu instid0(VALU_DEP_1) | instskip(NEXT) | instid1(VALU_DEP_1)
	v_div_fmas_f64 v[1:2], v[1:2], v[3:4], v[5:6]
	v_div_fixup_f64 v[1:2], v[1:2], v[15:16], v[13:14]
	s_delay_alu instid0(VALU_DEP_1) | instskip(NEXT) | instid1(VALU_DEP_1)
	v_fma_f64 v[3:4], v[13:14], v[1:2], v[15:16]
	v_div_scale_f64 v[5:6], null, v[3:4], v[3:4], 1.0
	v_div_scale_f64 v[19:20], vcc_lo, 1.0, v[3:4], 1.0
	s_delay_alu instid0(VALU_DEP_2) | instskip(SKIP_2) | instid1(VALU_DEP_1)
	v_rcp_f64_e32 v[7:8], v[5:6]
	s_waitcnt_depctr 0xfff
	v_fma_f64 v[17:18], -v[5:6], v[7:8], 1.0
	v_fma_f64 v[7:8], v[7:8], v[17:18], v[7:8]
	s_delay_alu instid0(VALU_DEP_1) | instskip(NEXT) | instid1(VALU_DEP_1)
	v_fma_f64 v[17:18], -v[5:6], v[7:8], 1.0
	v_fma_f64 v[7:8], v[7:8], v[17:18], v[7:8]
	s_delay_alu instid0(VALU_DEP_1) | instskip(NEXT) | instid1(VALU_DEP_1)
	v_mul_f64 v[17:18], v[19:20], v[7:8]
	v_fma_f64 v[5:6], -v[5:6], v[17:18], v[19:20]
	s_delay_alu instid0(VALU_DEP_1) | instskip(SKIP_1) | instid1(VALU_DEP_2)
	v_div_fmas_f64 v[5:6], v[5:6], v[7:8], v[17:18]
	v_fma_f64 v[7:8], v[1:2], v[9:10], v[11:12]
	v_div_fixup_f64 v[3:4], v[5:6], v[3:4], 1.0
	v_fma_f64 v[5:6], v[1:2], v[11:12], -v[9:10]
	s_delay_alu instid0(VALU_DEP_2) | instskip(NEXT) | instid1(VALU_DEP_2)
	v_mul_f64 v[1:2], v[7:8], v[3:4]
	v_mul_f64 v[3:4], v[5:6], v[3:4]
	s_cbranch_execz .LBB238_78
	s_branch .LBB238_79
.LBB238_77:                             ;   in Loop: Header=BB238_61 Depth=1
                                        ; implicit-def: $vgpr3_vgpr4
.LBB238_78:                             ;   in Loop: Header=BB238_61 Depth=1
	v_div_scale_f64 v[1:2], null, v[13:14], v[13:14], v[15:16]
	v_div_scale_f64 v[7:8], vcc_lo, v[15:16], v[13:14], v[15:16]
	s_delay_alu instid0(VALU_DEP_2) | instskip(SKIP_2) | instid1(VALU_DEP_1)
	v_rcp_f64_e32 v[3:4], v[1:2]
	s_waitcnt_depctr 0xfff
	v_fma_f64 v[5:6], -v[1:2], v[3:4], 1.0
	v_fma_f64 v[3:4], v[3:4], v[5:6], v[3:4]
	s_delay_alu instid0(VALU_DEP_1) | instskip(NEXT) | instid1(VALU_DEP_1)
	v_fma_f64 v[5:6], -v[1:2], v[3:4], 1.0
	v_fma_f64 v[3:4], v[3:4], v[5:6], v[3:4]
	s_delay_alu instid0(VALU_DEP_1) | instskip(NEXT) | instid1(VALU_DEP_1)
	v_mul_f64 v[5:6], v[7:8], v[3:4]
	v_fma_f64 v[1:2], -v[1:2], v[5:6], v[7:8]
	s_delay_alu instid0(VALU_DEP_1) | instskip(NEXT) | instid1(VALU_DEP_1)
	v_div_fmas_f64 v[1:2], v[1:2], v[3:4], v[5:6]
	v_div_fixup_f64 v[1:2], v[1:2], v[13:14], v[15:16]
	s_delay_alu instid0(VALU_DEP_1) | instskip(NEXT) | instid1(VALU_DEP_1)
	v_fma_f64 v[3:4], v[15:16], v[1:2], v[13:14]
	v_div_scale_f64 v[5:6], null, v[3:4], v[3:4], 1.0
	v_div_scale_f64 v[15:16], vcc_lo, 1.0, v[3:4], 1.0
	s_delay_alu instid0(VALU_DEP_2) | instskip(SKIP_2) | instid1(VALU_DEP_1)
	v_rcp_f64_e32 v[7:8], v[5:6]
	s_waitcnt_depctr 0xfff
	v_fma_f64 v[13:14], -v[5:6], v[7:8], 1.0
	v_fma_f64 v[7:8], v[7:8], v[13:14], v[7:8]
	s_delay_alu instid0(VALU_DEP_1) | instskip(NEXT) | instid1(VALU_DEP_1)
	v_fma_f64 v[13:14], -v[5:6], v[7:8], 1.0
	v_fma_f64 v[7:8], v[7:8], v[13:14], v[7:8]
	s_delay_alu instid0(VALU_DEP_1) | instskip(NEXT) | instid1(VALU_DEP_1)
	v_mul_f64 v[13:14], v[15:16], v[7:8]
	v_fma_f64 v[5:6], -v[5:6], v[13:14], v[15:16]
	s_delay_alu instid0(VALU_DEP_1) | instskip(SKIP_1) | instid1(VALU_DEP_2)
	v_div_fmas_f64 v[5:6], v[5:6], v[7:8], v[13:14]
	v_fma_f64 v[7:8], v[1:2], v[11:12], v[9:10]
	v_div_fixup_f64 v[3:4], v[5:6], v[3:4], 1.0
	v_fma_f64 v[5:6], -v[1:2], v[9:10], v[11:12]
	s_delay_alu instid0(VALU_DEP_2) | instskip(NEXT) | instid1(VALU_DEP_2)
	v_mul_f64 v[1:2], v[7:8], v[3:4]
	v_mul_f64 v[3:4], v[5:6], v[3:4]
.LBB238_79:                             ;   in Loop: Header=BB238_61 Depth=1
	s_add_i32 s6, s5, -4
	s_sub_i32 s4, s4, 64
	s_cmp_lt_i32 s5, 7
	ds_store_b128 v27, v[1:4]
	s_cbranch_scc1 .LBB238_81
; %bb.80:                               ;   in Loop: Header=BB238_61 Depth=1
	s_mov_b32 s5, s6
	s_branch .LBB238_61
.LBB238_81:
	s_cmp_lt_i32 s6, 0
	s_cbranch_scc1 .LBB238_90
; %bb.82:
	s_lshl_b32 s4, s29, 9
	s_lshl_b32 s5, s6, 4
	v_lshl_or_b32 v1, v0, 4, s4
	v_lshlrev_b32_e32 v14, 4, v0
	s_add_i32 s4, s4, s5
	s_delay_alu instid0(SALU_CYCLE_1) | instskip(NEXT) | instid1(VALU_DEP_2)
	s_addk_i32 s4, 0xfe00
	v_add_nc_u32_e32 v13, 0x3e00, v1
	s_branch .LBB238_84
.LBB238_83:                             ;   in Loop: Header=BB238_84 Depth=1
	s_add_i32 s5, s6, -1
	s_add_i32 s4, s4, -16
	s_cmp_lt_i32 s6, 1
	s_mov_b32 s6, s5
	ds_store_b128 v15, v[9:12]
	s_cbranch_scc1 .LBB238_90
.LBB238_84:                             ; =>This Loop Header: Depth=1
                                        ;     Child Loop BB238_85 Depth 2
	v_lshl_or_b32 v5, s6, 9, v14
	s_delay_alu instid0(VALU_DEP_2)
	v_mov_b32_e32 v6, v13
	s_cmp_le_i32 s30, s6
	s_mov_b32 s5, s4
	s_mov_b32 s7, s30
	ds_load_b128 v[1:4], v5 offset:16384
	s_cbranch_scc1 .LBB238_86
	.p2align	6
.LBB238_85:                             ;   Parent Loop BB238_84 Depth=1
                                        ; =>  This Inner Loop Header: Depth=2
	v_mov_b32_e32 v11, s5
	s_add_i32 s7, s7, -1
	s_addk_i32 s5, 0xfe00
	s_cmp_le_i32 s7, s6
	ds_load_b128 v[7:10], v6
	ds_load_b128 v[15:18], v11
	v_add_nc_u32_e32 v6, 0xfffffe00, v6
	s_waitcnt lgkmcnt(0)
	v_mul_f64 v[11:12], v[17:18], v[9:10]
	v_mul_f64 v[9:10], v[15:16], v[9:10]
	s_delay_alu instid0(VALU_DEP_2) | instskip(NEXT) | instid1(VALU_DEP_2)
	v_fma_f64 v[11:12], v[15:16], v[7:8], -v[11:12]
	v_fma_f64 v[7:8], v[17:18], v[7:8], v[9:10]
	s_delay_alu instid0(VALU_DEP_2) | instskip(NEXT) | instid1(VALU_DEP_2)
	v_add_f64 v[1:2], v[1:2], -v[11:12]
	v_add_f64 v[3:4], v[3:4], -v[7:8]
	s_cbranch_scc0 .LBB238_85
.LBB238_86:                             ;   in Loop: Header=BB238_84 Depth=1
	s_mul_i32 s5, s6, 0x210
	v_add_nc_u32_e32 v15, 0x4000, v5
	v_mov_b32_e32 v5, s5
	ds_load_b128 v[5:8], v5
	s_waitcnt lgkmcnt(0)
	v_cmp_gt_f64_e32 vcc_lo, 0, v[5:6]
	v_xor_b32_e32 v10, 0x80000000, v6
	v_xor_b32_e32 v11, 0x80000000, v8
	s_delay_alu instid0(VALU_DEP_2) | instskip(SKIP_1) | instid1(VALU_DEP_3)
	v_dual_mov_b32 v9, v5 :: v_dual_cndmask_b32 v10, v6, v10
	v_cmp_gt_f64_e32 vcc_lo, 0, v[7:8]
	v_dual_cndmask_b32 v12, v8, v11 :: v_dual_mov_b32 v11, v7
	s_delay_alu instid0(VALU_DEP_1)
	v_cmp_ngt_f64_e32 vcc_lo, v[9:10], v[11:12]
	s_cbranch_vccz .LBB238_88
; %bb.87:                               ;   in Loop: Header=BB238_84 Depth=1
	v_div_scale_f64 v[9:10], null, v[7:8], v[7:8], v[5:6]
	v_div_scale_f64 v[18:19], vcc_lo, v[5:6], v[7:8], v[5:6]
	s_delay_alu instid0(VALU_DEP_2) | instskip(SKIP_2) | instid1(VALU_DEP_1)
	v_rcp_f64_e32 v[11:12], v[9:10]
	s_waitcnt_depctr 0xfff
	v_fma_f64 v[16:17], -v[9:10], v[11:12], 1.0
	v_fma_f64 v[11:12], v[11:12], v[16:17], v[11:12]
	s_delay_alu instid0(VALU_DEP_1) | instskip(NEXT) | instid1(VALU_DEP_1)
	v_fma_f64 v[16:17], -v[9:10], v[11:12], 1.0
	v_fma_f64 v[11:12], v[11:12], v[16:17], v[11:12]
	s_delay_alu instid0(VALU_DEP_1) | instskip(NEXT) | instid1(VALU_DEP_1)
	v_mul_f64 v[16:17], v[18:19], v[11:12]
	v_fma_f64 v[9:10], -v[9:10], v[16:17], v[18:19]
	s_delay_alu instid0(VALU_DEP_1) | instskip(NEXT) | instid1(VALU_DEP_1)
	v_div_fmas_f64 v[9:10], v[9:10], v[11:12], v[16:17]
	v_div_fixup_f64 v[9:10], v[9:10], v[7:8], v[5:6]
	s_delay_alu instid0(VALU_DEP_1) | instskip(NEXT) | instid1(VALU_DEP_1)
	v_fma_f64 v[11:12], v[5:6], v[9:10], v[7:8]
	v_div_scale_f64 v[16:17], null, v[11:12], v[11:12], 1.0
	v_div_scale_f64 v[22:23], vcc_lo, 1.0, v[11:12], 1.0
	s_delay_alu instid0(VALU_DEP_2) | instskip(SKIP_2) | instid1(VALU_DEP_1)
	v_rcp_f64_e32 v[18:19], v[16:17]
	s_waitcnt_depctr 0xfff
	v_fma_f64 v[20:21], -v[16:17], v[18:19], 1.0
	v_fma_f64 v[18:19], v[18:19], v[20:21], v[18:19]
	s_delay_alu instid0(VALU_DEP_1) | instskip(NEXT) | instid1(VALU_DEP_1)
	v_fma_f64 v[20:21], -v[16:17], v[18:19], 1.0
	v_fma_f64 v[18:19], v[18:19], v[20:21], v[18:19]
	s_delay_alu instid0(VALU_DEP_1) | instskip(NEXT) | instid1(VALU_DEP_1)
	v_mul_f64 v[20:21], v[22:23], v[18:19]
	v_fma_f64 v[16:17], -v[16:17], v[20:21], v[22:23]
	s_delay_alu instid0(VALU_DEP_1) | instskip(SKIP_1) | instid1(VALU_DEP_2)
	v_div_fmas_f64 v[16:17], v[16:17], v[18:19], v[20:21]
	v_fma_f64 v[18:19], v[1:2], v[9:10], v[3:4]
	v_div_fixup_f64 v[11:12], v[16:17], v[11:12], 1.0
	v_fma_f64 v[16:17], v[3:4], v[9:10], -v[1:2]
	s_delay_alu instid0(VALU_DEP_2) | instskip(NEXT) | instid1(VALU_DEP_2)
	v_mul_f64 v[9:10], v[18:19], v[11:12]
	v_mul_f64 v[11:12], v[16:17], v[11:12]
	s_cbranch_execnz .LBB238_83
	s_branch .LBB238_89
.LBB238_88:                             ;   in Loop: Header=BB238_84 Depth=1
                                        ; implicit-def: $vgpr9_vgpr10
.LBB238_89:                             ;   in Loop: Header=BB238_84 Depth=1
	v_div_scale_f64 v[9:10], null, v[5:6], v[5:6], v[7:8]
	v_div_scale_f64 v[18:19], vcc_lo, v[7:8], v[5:6], v[7:8]
	s_delay_alu instid0(VALU_DEP_2) | instskip(SKIP_2) | instid1(VALU_DEP_1)
	v_rcp_f64_e32 v[11:12], v[9:10]
	s_waitcnt_depctr 0xfff
	v_fma_f64 v[16:17], -v[9:10], v[11:12], 1.0
	v_fma_f64 v[11:12], v[11:12], v[16:17], v[11:12]
	s_delay_alu instid0(VALU_DEP_1) | instskip(NEXT) | instid1(VALU_DEP_1)
	v_fma_f64 v[16:17], -v[9:10], v[11:12], 1.0
	v_fma_f64 v[11:12], v[11:12], v[16:17], v[11:12]
	s_delay_alu instid0(VALU_DEP_1) | instskip(NEXT) | instid1(VALU_DEP_1)
	v_mul_f64 v[16:17], v[18:19], v[11:12]
	v_fma_f64 v[9:10], -v[9:10], v[16:17], v[18:19]
	s_delay_alu instid0(VALU_DEP_1) | instskip(NEXT) | instid1(VALU_DEP_1)
	v_div_fmas_f64 v[9:10], v[9:10], v[11:12], v[16:17]
	v_div_fixup_f64 v[9:10], v[9:10], v[5:6], v[7:8]
	s_delay_alu instid0(VALU_DEP_1) | instskip(NEXT) | instid1(VALU_DEP_1)
	v_fma_f64 v[5:6], v[7:8], v[9:10], v[5:6]
	v_div_scale_f64 v[7:8], null, v[5:6], v[5:6], 1.0
	v_div_scale_f64 v[18:19], vcc_lo, 1.0, v[5:6], 1.0
	s_delay_alu instid0(VALU_DEP_2) | instskip(SKIP_2) | instid1(VALU_DEP_1)
	v_rcp_f64_e32 v[11:12], v[7:8]
	s_waitcnt_depctr 0xfff
	v_fma_f64 v[16:17], -v[7:8], v[11:12], 1.0
	v_fma_f64 v[11:12], v[11:12], v[16:17], v[11:12]
	s_delay_alu instid0(VALU_DEP_1) | instskip(NEXT) | instid1(VALU_DEP_1)
	v_fma_f64 v[16:17], -v[7:8], v[11:12], 1.0
	v_fma_f64 v[11:12], v[11:12], v[16:17], v[11:12]
	s_delay_alu instid0(VALU_DEP_1) | instskip(NEXT) | instid1(VALU_DEP_1)
	v_mul_f64 v[16:17], v[18:19], v[11:12]
	v_fma_f64 v[7:8], -v[7:8], v[16:17], v[18:19]
	s_delay_alu instid0(VALU_DEP_1) | instskip(SKIP_2) | instid1(VALU_DEP_3)
	v_div_fmas_f64 v[7:8], v[7:8], v[11:12], v[16:17]
	v_fma_f64 v[11:12], v[3:4], v[9:10], v[1:2]
	v_fma_f64 v[1:2], -v[1:2], v[9:10], v[3:4]
	v_div_fixup_f64 v[5:6], v[7:8], v[5:6], 1.0
	s_delay_alu instid0(VALU_DEP_1) | instskip(NEXT) | instid1(VALU_DEP_3)
	v_mul_f64 v[9:10], v[11:12], v[5:6]
	v_mul_f64 v[11:12], v[1:2], v[5:6]
	s_branch .LBB238_83
.LBB238_90:
	s_mov_b32 s5, 0
.LBB238_91:
	s_delay_alu instid0(SALU_CYCLE_1)
	s_and_not1_b32 vcc_lo, exec_lo, s5
	s_cbranch_vccnz .LBB238_123
; %bb.92:
	s_and_not1_b32 vcc_lo, exec_lo, s1
	s_mov_b32 s5, s30
	s_cbranch_vccnz .LBB238_114
; %bb.93:
	v_lshlrev_b32_e32 v1, 4, v0
	s_mul_i32 s1, s29, 0x210
	s_mov_b32 s4, s30
	s_addk_i32 s1, 0xf7e0
	s_delay_alu instid0(VALU_DEP_1) | instskip(NEXT) | instid1(VALU_DEP_1)
	v_lshl_or_b32 v1, s29, 9, v1
	v_add_nc_u32_e32 v25, 0x3c00, v1
.LBB238_94:                             ; =>This Loop Header: Depth=1
                                        ;     Child Loop BB238_95 Depth 2
	s_add_i32 s6, s4, -1
	s_lshl_b32 s7, s4, 5
	s_add_i32 s5, s4, -2
	s_lshl_b32 s11, s6, 5
	v_or_b32_e32 v1, s7, v0
	s_lshl_b32 s10, s5, 5
	v_or_b32_e32 v2, s11, v0
	s_addk_i32 s7, 0xffa0
	v_or_b32_e32 v3, s10, v0
	v_or_b32_e32 v4, s7, v0
	v_lshlrev_b32_e32 v13, 4, v1
	v_dual_mov_b32 v21, v25 :: v_dual_lshlrev_b32 v14, 4, v2
	s_delay_alu instid0(VALU_DEP_4) | instskip(NEXT) | instid1(VALU_DEP_4)
	v_lshlrev_b32_e32 v15, 4, v3
	v_lshlrev_b32_e32 v16, 4, v4
	ds_load_b128 v[17:20], v13 offset:16384
	ds_load_b128 v[9:12], v14 offset:16384
	;; [unrolled: 1-line block ×4, first 2 shown]
	s_cmp_le_i32 s30, s4
	s_mov_b32 s14, s1
	s_mov_b32 s15, s30
	s_cbranch_scc1 .LBB238_96
.LBB238_95:                             ;   Parent Loop BB238_94 Depth=1
                                        ; =>  This Inner Loop Header: Depth=2
	v_mov_b32_e32 v22, s14
	s_add_i32 s15, s15, -2
	s_sub_i32 s14, s14, 32
	s_cmp_le_i32 s15, s4
	ds_load_b128 v[26:29], v21 offset:512
	ds_load_b128 v[30:33], v22 offset:1552
	;; [unrolled: 1-line block ×5, first 2 shown]
	ds_load_b128 v[46:49], v22
	ds_load_b128 v[50:53], v21
	ds_load_b128 v[54:57], v22 offset:1536
	ds_load_b128 v[58:61], v22 offset:1024
	;; [unrolled: 1-line block ×3, first 2 shown]
	v_add_nc_u32_e32 v21, 0xfffffc00, v21
	s_waitcnt lgkmcnt(8)
	v_mul_f64 v[22:23], v[28:29], v[32:33]
	v_mul_f64 v[32:33], v[26:27], v[32:33]
	s_waitcnt lgkmcnt(7)
	v_mul_f64 v[66:67], v[28:29], v[36:37]
	v_mul_f64 v[36:37], v[26:27], v[36:37]
	;; [unrolled: 3-line block ×7, first 2 shown]
	v_mul_f64 v[78:79], v[52:53], v[48:49]
	v_mul_f64 v[48:49], v[50:51], v[48:49]
	v_fma_f64 v[22:23], v[26:27], v[30:31], -v[22:23]
	v_fma_f64 v[30:31], v[28:29], v[30:31], v[32:33]
	v_fma_f64 v[32:33], v[26:27], v[34:35], -v[66:67]
	v_fma_f64 v[34:35], v[28:29], v[34:35], v[36:37]
	;; [unrolled: 2-line block ×8, first 2 shown]
	v_add_f64 v[17:18], v[17:18], -v[22:23]
	v_add_f64 v[19:20], v[19:20], -v[30:31]
	;; [unrolled: 1-line block ×16, first 2 shown]
	s_cbranch_scc0 .LBB238_95
.LBB238_96:                             ;   in Loop: Header=BB238_94 Depth=1
	s_mul_i32 s14, s4, 0x210
	v_add_nc_u32_e32 v29, 0x4000, v13
	v_dual_mov_b32 v13, s14 :: v_dual_add_nc_u32 v28, 0x4000, v14
	v_add_nc_u32_e32 v27, 0x4000, v15
	ds_load_b128 v[21:24], v13
	s_waitcnt lgkmcnt(0)
	v_dual_mov_b32 v13, v21 :: v_dual_add_nc_u32 v26, 0x4000, v16
	v_cmp_gt_f64_e32 vcc_lo, 0, v[21:22]
	v_xor_b32_e32 v14, 0x80000000, v22
	v_xor_b32_e32 v15, 0x80000000, v24
	s_delay_alu instid0(VALU_DEP_2) | instskip(SKIP_1) | instid1(VALU_DEP_3)
	v_cndmask_b32_e32 v14, v22, v14, vcc_lo
	v_cmp_gt_f64_e32 vcc_lo, 0, v[23:24]
	v_dual_cndmask_b32 v16, v24, v15 :: v_dual_mov_b32 v15, v23
	s_delay_alu instid0(VALU_DEP_1)
	v_cmp_ngt_f64_e32 vcc_lo, v[13:14], v[15:16]
	s_cbranch_vccz .LBB238_98
; %bb.97:                               ;   in Loop: Header=BB238_94 Depth=1
	v_div_scale_f64 v[13:14], null, v[23:24], v[23:24], v[21:22]
	v_div_scale_f64 v[32:33], vcc_lo, v[21:22], v[23:24], v[21:22]
	s_delay_alu instid0(VALU_DEP_2) | instskip(SKIP_2) | instid1(VALU_DEP_1)
	v_rcp_f64_e32 v[15:16], v[13:14]
	s_waitcnt_depctr 0xfff
	v_fma_f64 v[30:31], -v[13:14], v[15:16], 1.0
	v_fma_f64 v[15:16], v[15:16], v[30:31], v[15:16]
	s_delay_alu instid0(VALU_DEP_1) | instskip(NEXT) | instid1(VALU_DEP_1)
	v_fma_f64 v[30:31], -v[13:14], v[15:16], 1.0
	v_fma_f64 v[15:16], v[15:16], v[30:31], v[15:16]
	s_delay_alu instid0(VALU_DEP_1) | instskip(NEXT) | instid1(VALU_DEP_1)
	v_mul_f64 v[30:31], v[32:33], v[15:16]
	v_fma_f64 v[13:14], -v[13:14], v[30:31], v[32:33]
	s_delay_alu instid0(VALU_DEP_1) | instskip(NEXT) | instid1(VALU_DEP_1)
	v_div_fmas_f64 v[13:14], v[13:14], v[15:16], v[30:31]
	v_div_fixup_f64 v[13:14], v[13:14], v[23:24], v[21:22]
	s_delay_alu instid0(VALU_DEP_1) | instskip(NEXT) | instid1(VALU_DEP_1)
	v_fma_f64 v[15:16], v[21:22], v[13:14], v[23:24]
	v_div_scale_f64 v[30:31], null, v[15:16], v[15:16], 1.0
	v_div_scale_f64 v[36:37], vcc_lo, 1.0, v[15:16], 1.0
	s_delay_alu instid0(VALU_DEP_2) | instskip(SKIP_2) | instid1(VALU_DEP_1)
	v_rcp_f64_e32 v[32:33], v[30:31]
	s_waitcnt_depctr 0xfff
	v_fma_f64 v[34:35], -v[30:31], v[32:33], 1.0
	v_fma_f64 v[32:33], v[32:33], v[34:35], v[32:33]
	s_delay_alu instid0(VALU_DEP_1) | instskip(NEXT) | instid1(VALU_DEP_1)
	v_fma_f64 v[34:35], -v[30:31], v[32:33], 1.0
	v_fma_f64 v[32:33], v[32:33], v[34:35], v[32:33]
	s_delay_alu instid0(VALU_DEP_1) | instskip(NEXT) | instid1(VALU_DEP_1)
	v_mul_f64 v[34:35], v[36:37], v[32:33]
	v_fma_f64 v[30:31], -v[30:31], v[34:35], v[36:37]
	s_delay_alu instid0(VALU_DEP_1) | instskip(SKIP_1) | instid1(VALU_DEP_2)
	v_div_fmas_f64 v[30:31], v[30:31], v[32:33], v[34:35]
	v_fma_f64 v[32:33], v[17:18], v[13:14], v[19:20]
	v_div_fixup_f64 v[15:16], v[30:31], v[15:16], 1.0
	v_fma_f64 v[30:31], v[19:20], v[13:14], -v[17:18]
	s_delay_alu instid0(VALU_DEP_2) | instskip(NEXT) | instid1(VALU_DEP_2)
	v_mul_f64 v[13:14], v[32:33], v[15:16]
	v_mul_f64 v[15:16], v[30:31], v[15:16]
	s_cbranch_execz .LBB238_99
	s_branch .LBB238_100
.LBB238_98:                             ;   in Loop: Header=BB238_94 Depth=1
                                        ; implicit-def: $vgpr15_vgpr16
.LBB238_99:                             ;   in Loop: Header=BB238_94 Depth=1
	v_div_scale_f64 v[13:14], null, v[21:22], v[21:22], v[23:24]
	v_div_scale_f64 v[32:33], vcc_lo, v[23:24], v[21:22], v[23:24]
	s_delay_alu instid0(VALU_DEP_2) | instskip(SKIP_2) | instid1(VALU_DEP_1)
	v_rcp_f64_e32 v[15:16], v[13:14]
	s_waitcnt_depctr 0xfff
	v_fma_f64 v[30:31], -v[13:14], v[15:16], 1.0
	v_fma_f64 v[15:16], v[15:16], v[30:31], v[15:16]
	s_delay_alu instid0(VALU_DEP_1) | instskip(NEXT) | instid1(VALU_DEP_1)
	v_fma_f64 v[30:31], -v[13:14], v[15:16], 1.0
	v_fma_f64 v[15:16], v[15:16], v[30:31], v[15:16]
	s_delay_alu instid0(VALU_DEP_1) | instskip(NEXT) | instid1(VALU_DEP_1)
	v_mul_f64 v[30:31], v[32:33], v[15:16]
	v_fma_f64 v[13:14], -v[13:14], v[30:31], v[32:33]
	s_delay_alu instid0(VALU_DEP_1) | instskip(NEXT) | instid1(VALU_DEP_1)
	v_div_fmas_f64 v[13:14], v[13:14], v[15:16], v[30:31]
	v_div_fixup_f64 v[13:14], v[13:14], v[21:22], v[23:24]
	s_delay_alu instid0(VALU_DEP_1) | instskip(NEXT) | instid1(VALU_DEP_1)
	v_fma_f64 v[15:16], v[23:24], v[13:14], v[21:22]
	v_div_scale_f64 v[21:22], null, v[15:16], v[15:16], 1.0
	v_div_scale_f64 v[32:33], vcc_lo, 1.0, v[15:16], 1.0
	s_delay_alu instid0(VALU_DEP_2) | instskip(SKIP_2) | instid1(VALU_DEP_1)
	v_rcp_f64_e32 v[23:24], v[21:22]
	s_waitcnt_depctr 0xfff
	v_fma_f64 v[30:31], -v[21:22], v[23:24], 1.0
	v_fma_f64 v[23:24], v[23:24], v[30:31], v[23:24]
	s_delay_alu instid0(VALU_DEP_1) | instskip(NEXT) | instid1(VALU_DEP_1)
	v_fma_f64 v[30:31], -v[21:22], v[23:24], 1.0
	v_fma_f64 v[23:24], v[23:24], v[30:31], v[23:24]
	s_delay_alu instid0(VALU_DEP_1) | instskip(NEXT) | instid1(VALU_DEP_1)
	v_mul_f64 v[30:31], v[32:33], v[23:24]
	v_fma_f64 v[21:22], -v[21:22], v[30:31], v[32:33]
	s_delay_alu instid0(VALU_DEP_1) | instskip(SKIP_2) | instid1(VALU_DEP_3)
	v_div_fmas_f64 v[21:22], v[21:22], v[23:24], v[30:31]
	v_fma_f64 v[23:24], v[19:20], v[13:14], v[17:18]
	v_fma_f64 v[17:18], -v[17:18], v[13:14], v[19:20]
	v_div_fixup_f64 v[15:16], v[21:22], v[15:16], 1.0
	s_delay_alu instid0(VALU_DEP_1) | instskip(NEXT) | instid1(VALU_DEP_3)
	v_mul_f64 v[13:14], v[23:24], v[15:16]
	v_mul_f64 v[15:16], v[17:18], v[15:16]
.LBB238_100:                            ;   in Loop: Header=BB238_94 Depth=1
	s_add_i32 s11, s11, s4
	ds_store_b128 v29, v[13:16]
	s_lshl_b32 s11, s11, 4
	s_delay_alu instid0(SALU_CYCLE_1)
	v_mov_b32_e32 v17, s11
	s_add_i32 s11, s14, 0xfffffdf0
	ds_load_b128 v[21:24], v17
	v_mov_b32_e32 v17, s11
	ds_load_b128 v[17:20], v17
	s_waitcnt lgkmcnt(1)
	v_mul_f64 v[30:31], v[15:16], v[23:24]
	v_mul_f64 v[23:24], v[13:14], v[23:24]
	s_waitcnt lgkmcnt(0)
	v_cmp_gt_f64_e32 vcc_lo, 0, v[17:18]
	v_xor_b32_e32 v33, 0x80000000, v20
	v_mov_b32_e32 v32, v19
	v_fma_f64 v[30:31], v[13:14], v[21:22], -v[30:31]
	v_fma_f64 v[23:24], v[15:16], v[21:22], v[23:24]
	v_xor_b32_e32 v22, 0x80000000, v18
	s_delay_alu instid0(VALU_DEP_1) | instskip(SKIP_1) | instid1(VALU_DEP_4)
	v_dual_mov_b32 v21, v17 :: v_dual_cndmask_b32 v22, v18, v22
	v_cmp_gt_f64_e32 vcc_lo, 0, v[19:20]
	v_add_f64 v[23:24], v[11:12], -v[23:24]
	v_cndmask_b32_e32 v33, v20, v33, vcc_lo
	s_delay_alu instid0(VALU_DEP_1)
	v_cmp_ngt_f64_e32 vcc_lo, v[21:22], v[32:33]
	v_add_f64 v[21:22], v[9:10], -v[30:31]
	s_cbranch_vccz .LBB238_102
; %bb.101:                              ;   in Loop: Header=BB238_94 Depth=1
	v_div_scale_f64 v[9:10], null, v[19:20], v[19:20], v[17:18]
	v_div_scale_f64 v[31:32], vcc_lo, v[17:18], v[19:20], v[17:18]
	s_delay_alu instid0(VALU_DEP_2) | instskip(SKIP_2) | instid1(VALU_DEP_1)
	v_rcp_f64_e32 v[11:12], v[9:10]
	s_waitcnt_depctr 0xfff
	v_fma_f64 v[29:30], -v[9:10], v[11:12], 1.0
	v_fma_f64 v[11:12], v[11:12], v[29:30], v[11:12]
	s_delay_alu instid0(VALU_DEP_1) | instskip(NEXT) | instid1(VALU_DEP_1)
	v_fma_f64 v[29:30], -v[9:10], v[11:12], 1.0
	v_fma_f64 v[11:12], v[11:12], v[29:30], v[11:12]
	s_delay_alu instid0(VALU_DEP_1) | instskip(NEXT) | instid1(VALU_DEP_1)
	v_mul_f64 v[29:30], v[31:32], v[11:12]
	v_fma_f64 v[9:10], -v[9:10], v[29:30], v[31:32]
	s_delay_alu instid0(VALU_DEP_1) | instskip(NEXT) | instid1(VALU_DEP_1)
	v_div_fmas_f64 v[9:10], v[9:10], v[11:12], v[29:30]
	v_div_fixup_f64 v[9:10], v[9:10], v[19:20], v[17:18]
	s_delay_alu instid0(VALU_DEP_1) | instskip(NEXT) | instid1(VALU_DEP_1)
	v_fma_f64 v[11:12], v[17:18], v[9:10], v[19:20]
	v_div_scale_f64 v[29:30], null, v[11:12], v[11:12], 1.0
	v_div_scale_f64 v[35:36], vcc_lo, 1.0, v[11:12], 1.0
	s_delay_alu instid0(VALU_DEP_2) | instskip(SKIP_2) | instid1(VALU_DEP_1)
	v_rcp_f64_e32 v[31:32], v[29:30]
	s_waitcnt_depctr 0xfff
	v_fma_f64 v[33:34], -v[29:30], v[31:32], 1.0
	v_fma_f64 v[31:32], v[31:32], v[33:34], v[31:32]
	s_delay_alu instid0(VALU_DEP_1) | instskip(NEXT) | instid1(VALU_DEP_1)
	v_fma_f64 v[33:34], -v[29:30], v[31:32], 1.0
	v_fma_f64 v[31:32], v[31:32], v[33:34], v[31:32]
	s_delay_alu instid0(VALU_DEP_1) | instskip(NEXT) | instid1(VALU_DEP_1)
	v_mul_f64 v[33:34], v[35:36], v[31:32]
	v_fma_f64 v[29:30], -v[29:30], v[33:34], v[35:36]
	s_delay_alu instid0(VALU_DEP_1) | instskip(SKIP_1) | instid1(VALU_DEP_2)
	v_div_fmas_f64 v[29:30], v[29:30], v[31:32], v[33:34]
	v_fma_f64 v[31:32], v[9:10], v[21:22], v[23:24]
	v_div_fixup_f64 v[11:12], v[29:30], v[11:12], 1.0
	v_fma_f64 v[29:30], v[9:10], v[23:24], -v[21:22]
	s_delay_alu instid0(VALU_DEP_2) | instskip(NEXT) | instid1(VALU_DEP_2)
	v_mul_f64 v[9:10], v[31:32], v[11:12]
	v_mul_f64 v[11:12], v[29:30], v[11:12]
	s_cbranch_execz .LBB238_103
	s_branch .LBB238_104
.LBB238_102:                            ;   in Loop: Header=BB238_94 Depth=1
                                        ; implicit-def: $vgpr11_vgpr12
.LBB238_103:                            ;   in Loop: Header=BB238_94 Depth=1
	v_div_scale_f64 v[9:10], null, v[17:18], v[17:18], v[19:20]
	v_div_scale_f64 v[31:32], vcc_lo, v[19:20], v[17:18], v[19:20]
	s_delay_alu instid0(VALU_DEP_2) | instskip(SKIP_2) | instid1(VALU_DEP_1)
	v_rcp_f64_e32 v[11:12], v[9:10]
	s_waitcnt_depctr 0xfff
	v_fma_f64 v[29:30], -v[9:10], v[11:12], 1.0
	v_fma_f64 v[11:12], v[11:12], v[29:30], v[11:12]
	s_delay_alu instid0(VALU_DEP_1) | instskip(NEXT) | instid1(VALU_DEP_1)
	v_fma_f64 v[29:30], -v[9:10], v[11:12], 1.0
	v_fma_f64 v[11:12], v[11:12], v[29:30], v[11:12]
	s_delay_alu instid0(VALU_DEP_1) | instskip(NEXT) | instid1(VALU_DEP_1)
	v_mul_f64 v[29:30], v[31:32], v[11:12]
	v_fma_f64 v[9:10], -v[9:10], v[29:30], v[31:32]
	s_delay_alu instid0(VALU_DEP_1) | instskip(NEXT) | instid1(VALU_DEP_1)
	v_div_fmas_f64 v[9:10], v[9:10], v[11:12], v[29:30]
	v_div_fixup_f64 v[9:10], v[9:10], v[17:18], v[19:20]
	s_delay_alu instid0(VALU_DEP_1) | instskip(NEXT) | instid1(VALU_DEP_1)
	v_fma_f64 v[11:12], v[19:20], v[9:10], v[17:18]
	v_div_scale_f64 v[17:18], null, v[11:12], v[11:12], 1.0
	v_div_scale_f64 v[31:32], vcc_lo, 1.0, v[11:12], 1.0
	s_delay_alu instid0(VALU_DEP_2) | instskip(SKIP_2) | instid1(VALU_DEP_1)
	v_rcp_f64_e32 v[19:20], v[17:18]
	s_waitcnt_depctr 0xfff
	v_fma_f64 v[29:30], -v[17:18], v[19:20], 1.0
	v_fma_f64 v[19:20], v[19:20], v[29:30], v[19:20]
	s_delay_alu instid0(VALU_DEP_1) | instskip(NEXT) | instid1(VALU_DEP_1)
	v_fma_f64 v[29:30], -v[17:18], v[19:20], 1.0
	v_fma_f64 v[19:20], v[19:20], v[29:30], v[19:20]
	s_delay_alu instid0(VALU_DEP_1) | instskip(NEXT) | instid1(VALU_DEP_1)
	v_mul_f64 v[29:30], v[31:32], v[19:20]
	v_fma_f64 v[17:18], -v[17:18], v[29:30], v[31:32]
	s_delay_alu instid0(VALU_DEP_1) | instskip(SKIP_1) | instid1(VALU_DEP_2)
	v_div_fmas_f64 v[17:18], v[17:18], v[19:20], v[29:30]
	v_fma_f64 v[19:20], v[9:10], v[23:24], v[21:22]
	v_div_fixup_f64 v[11:12], v[17:18], v[11:12], 1.0
	v_fma_f64 v[17:18], -v[9:10], v[21:22], v[23:24]
	s_delay_alu instid0(VALU_DEP_2) | instskip(NEXT) | instid1(VALU_DEP_2)
	v_mul_f64 v[9:10], v[19:20], v[11:12]
	v_mul_f64 v[11:12], v[17:18], v[11:12]
.LBB238_104:                            ;   in Loop: Header=BB238_94 Depth=1
	s_add_i32 s14, s10, s4
	s_add_i32 s10, s10, s6
	s_lshl_b32 s14, s14, 4
	s_lshl_b32 s10, s10, 4
	v_mov_b32_e32 v17, s14
	v_mov_b32_e32 v21, s10
	s_add_i32 s10, s11, 0xfffffdf0
	ds_store_b128 v28, v[9:12]
	ds_load_b128 v[17:20], v17
	ds_load_b128 v[21:24], v21
	s_waitcnt lgkmcnt(1)
	v_mul_f64 v[29:30], v[15:16], v[19:20]
	v_mul_f64 v[19:20], v[13:14], v[19:20]
	s_waitcnt lgkmcnt(0)
	v_mul_f64 v[31:32], v[11:12], v[23:24]
	v_mul_f64 v[23:24], v[9:10], v[23:24]
	s_delay_alu instid0(VALU_DEP_4) | instskip(NEXT) | instid1(VALU_DEP_4)
	v_fma_f64 v[29:30], v[13:14], v[17:18], -v[29:30]
	v_fma_f64 v[17:18], v[15:16], v[17:18], v[19:20]
	v_mov_b32_e32 v19, s10
	v_fma_f64 v[31:32], v[9:10], v[21:22], -v[31:32]
	v_fma_f64 v[23:24], v[11:12], v[21:22], v[23:24]
	v_add_f64 v[5:6], v[5:6], -v[29:30]
	v_add_f64 v[7:8], v[7:8], -v[17:18]
	ds_load_b128 v[17:20], v19
	s_waitcnt lgkmcnt(0)
	v_cmp_gt_f64_e32 vcc_lo, 0, v[17:18]
	v_xor_b32_e32 v22, 0x80000000, v18
	v_xor_b32_e32 v30, 0x80000000, v20
	v_mov_b32_e32 v21, v17
	v_mov_b32_e32 v29, v19
	v_add_f64 v[23:24], v[7:8], -v[23:24]
	v_cndmask_b32_e32 v22, v18, v22, vcc_lo
	v_cmp_gt_f64_e32 vcc_lo, 0, v[19:20]
	v_cndmask_b32_e32 v30, v20, v30, vcc_lo
	s_delay_alu instid0(VALU_DEP_1)
	v_cmp_ngt_f64_e32 vcc_lo, v[21:22], v[29:30]
	v_add_f64 v[21:22], v[5:6], -v[31:32]
	s_cbranch_vccz .LBB238_106
; %bb.105:                              ;   in Loop: Header=BB238_94 Depth=1
	v_div_scale_f64 v[5:6], null, v[19:20], v[19:20], v[17:18]
	v_div_scale_f64 v[30:31], vcc_lo, v[17:18], v[19:20], v[17:18]
	s_delay_alu instid0(VALU_DEP_2) | instskip(SKIP_2) | instid1(VALU_DEP_1)
	v_rcp_f64_e32 v[7:8], v[5:6]
	s_waitcnt_depctr 0xfff
	v_fma_f64 v[28:29], -v[5:6], v[7:8], 1.0
	v_fma_f64 v[7:8], v[7:8], v[28:29], v[7:8]
	s_delay_alu instid0(VALU_DEP_1) | instskip(NEXT) | instid1(VALU_DEP_1)
	v_fma_f64 v[28:29], -v[5:6], v[7:8], 1.0
	v_fma_f64 v[7:8], v[7:8], v[28:29], v[7:8]
	s_delay_alu instid0(VALU_DEP_1) | instskip(NEXT) | instid1(VALU_DEP_1)
	v_mul_f64 v[28:29], v[30:31], v[7:8]
	v_fma_f64 v[5:6], -v[5:6], v[28:29], v[30:31]
	s_delay_alu instid0(VALU_DEP_1) | instskip(NEXT) | instid1(VALU_DEP_1)
	v_div_fmas_f64 v[5:6], v[5:6], v[7:8], v[28:29]
	v_div_fixup_f64 v[5:6], v[5:6], v[19:20], v[17:18]
	s_delay_alu instid0(VALU_DEP_1) | instskip(NEXT) | instid1(VALU_DEP_1)
	v_fma_f64 v[7:8], v[17:18], v[5:6], v[19:20]
	v_div_scale_f64 v[28:29], null, v[7:8], v[7:8], 1.0
	v_div_scale_f64 v[34:35], vcc_lo, 1.0, v[7:8], 1.0
	s_delay_alu instid0(VALU_DEP_2) | instskip(SKIP_2) | instid1(VALU_DEP_1)
	v_rcp_f64_e32 v[30:31], v[28:29]
	s_waitcnt_depctr 0xfff
	v_fma_f64 v[32:33], -v[28:29], v[30:31], 1.0
	v_fma_f64 v[30:31], v[30:31], v[32:33], v[30:31]
	s_delay_alu instid0(VALU_DEP_1) | instskip(NEXT) | instid1(VALU_DEP_1)
	v_fma_f64 v[32:33], -v[28:29], v[30:31], 1.0
	v_fma_f64 v[30:31], v[30:31], v[32:33], v[30:31]
	s_delay_alu instid0(VALU_DEP_1) | instskip(NEXT) | instid1(VALU_DEP_1)
	v_mul_f64 v[32:33], v[34:35], v[30:31]
	v_fma_f64 v[28:29], -v[28:29], v[32:33], v[34:35]
	s_delay_alu instid0(VALU_DEP_1) | instskip(SKIP_1) | instid1(VALU_DEP_2)
	v_div_fmas_f64 v[28:29], v[28:29], v[30:31], v[32:33]
	v_fma_f64 v[30:31], v[5:6], v[21:22], v[23:24]
	v_div_fixup_f64 v[7:8], v[28:29], v[7:8], 1.0
	v_fma_f64 v[28:29], v[5:6], v[23:24], -v[21:22]
	s_delay_alu instid0(VALU_DEP_2) | instskip(NEXT) | instid1(VALU_DEP_2)
	v_mul_f64 v[5:6], v[30:31], v[7:8]
	v_mul_f64 v[7:8], v[28:29], v[7:8]
	s_cbranch_execz .LBB238_107
	s_branch .LBB238_108
.LBB238_106:                            ;   in Loop: Header=BB238_94 Depth=1
                                        ; implicit-def: $vgpr7_vgpr8
.LBB238_107:                            ;   in Loop: Header=BB238_94 Depth=1
	v_div_scale_f64 v[5:6], null, v[17:18], v[17:18], v[19:20]
	v_div_scale_f64 v[30:31], vcc_lo, v[19:20], v[17:18], v[19:20]
	s_delay_alu instid0(VALU_DEP_2) | instskip(SKIP_2) | instid1(VALU_DEP_1)
	v_rcp_f64_e32 v[7:8], v[5:6]
	s_waitcnt_depctr 0xfff
	v_fma_f64 v[28:29], -v[5:6], v[7:8], 1.0
	v_fma_f64 v[7:8], v[7:8], v[28:29], v[7:8]
	s_delay_alu instid0(VALU_DEP_1) | instskip(NEXT) | instid1(VALU_DEP_1)
	v_fma_f64 v[28:29], -v[5:6], v[7:8], 1.0
	v_fma_f64 v[7:8], v[7:8], v[28:29], v[7:8]
	s_delay_alu instid0(VALU_DEP_1) | instskip(NEXT) | instid1(VALU_DEP_1)
	v_mul_f64 v[28:29], v[30:31], v[7:8]
	v_fma_f64 v[5:6], -v[5:6], v[28:29], v[30:31]
	s_delay_alu instid0(VALU_DEP_1) | instskip(NEXT) | instid1(VALU_DEP_1)
	v_div_fmas_f64 v[5:6], v[5:6], v[7:8], v[28:29]
	v_div_fixup_f64 v[5:6], v[5:6], v[17:18], v[19:20]
	s_delay_alu instid0(VALU_DEP_1) | instskip(NEXT) | instid1(VALU_DEP_1)
	v_fma_f64 v[7:8], v[19:20], v[5:6], v[17:18]
	v_div_scale_f64 v[17:18], null, v[7:8], v[7:8], 1.0
	v_div_scale_f64 v[30:31], vcc_lo, 1.0, v[7:8], 1.0
	s_delay_alu instid0(VALU_DEP_2) | instskip(SKIP_2) | instid1(VALU_DEP_1)
	v_rcp_f64_e32 v[19:20], v[17:18]
	s_waitcnt_depctr 0xfff
	v_fma_f64 v[28:29], -v[17:18], v[19:20], 1.0
	v_fma_f64 v[19:20], v[19:20], v[28:29], v[19:20]
	s_delay_alu instid0(VALU_DEP_1) | instskip(NEXT) | instid1(VALU_DEP_1)
	v_fma_f64 v[28:29], -v[17:18], v[19:20], 1.0
	v_fma_f64 v[19:20], v[19:20], v[28:29], v[19:20]
	s_delay_alu instid0(VALU_DEP_1) | instskip(NEXT) | instid1(VALU_DEP_1)
	v_mul_f64 v[28:29], v[30:31], v[19:20]
	v_fma_f64 v[17:18], -v[17:18], v[28:29], v[30:31]
	s_delay_alu instid0(VALU_DEP_1) | instskip(SKIP_1) | instid1(VALU_DEP_2)
	v_div_fmas_f64 v[17:18], v[17:18], v[19:20], v[28:29]
	v_fma_f64 v[19:20], v[5:6], v[23:24], v[21:22]
	v_div_fixup_f64 v[7:8], v[17:18], v[7:8], 1.0
	v_fma_f64 v[17:18], -v[5:6], v[21:22], v[23:24]
	s_delay_alu instid0(VALU_DEP_2) | instskip(NEXT) | instid1(VALU_DEP_2)
	v_mul_f64 v[5:6], v[19:20], v[7:8]
	v_mul_f64 v[7:8], v[17:18], v[7:8]
.LBB238_108:                            ;   in Loop: Header=BB238_94 Depth=1
	s_add_i32 s11, s7, s4
	s_add_i32 s6, s7, s6
	s_lshl_b32 s11, s11, 4
	s_lshl_b32 s6, s6, 4
	v_mov_b32_e32 v17, s11
	v_mov_b32_e32 v21, s6
	s_add_i32 s7, s7, s5
	ds_store_b128 v27, v[5:8]
	s_lshl_b32 s5, s7, 4
	ds_load_b128 v[17:20], v17
	ds_load_b128 v[21:24], v21
	s_waitcnt lgkmcnt(1)
	v_mul_f64 v[28:29], v[15:16], v[19:20]
	v_mul_f64 v[19:20], v[13:14], v[19:20]
	s_delay_alu instid0(VALU_DEP_2) | instskip(SKIP_1) | instid1(VALU_DEP_3)
	v_fma_f64 v[28:29], v[13:14], v[17:18], -v[28:29]
	v_mov_b32_e32 v13, s5
	v_fma_f64 v[32:33], v[15:16], v[17:18], v[19:20]
	s_add_i32 s5, s10, 0xfffffdf0
	ds_load_b128 v[17:20], v13
	s_waitcnt lgkmcnt(1)
	v_mul_f64 v[30:31], v[11:12], v[23:24]
	v_mul_f64 v[23:24], v[9:10], v[23:24]
	v_mov_b32_e32 v13, s5
	ds_load_b128 v[13:16], v13
	s_waitcnt lgkmcnt(1)
	v_mul_f64 v[34:35], v[7:8], v[19:20]
	v_mul_f64 v[19:20], v[5:6], v[19:20]
	s_waitcnt lgkmcnt(0)
	v_cmp_gt_f64_e32 vcc_lo, 0, v[13:14]
	v_add_f64 v[1:2], v[1:2], -v[28:29]
	v_add_f64 v[3:4], v[3:4], -v[32:33]
	v_fma_f64 v[9:10], v[9:10], v[21:22], -v[30:31]
	v_fma_f64 v[11:12], v[11:12], v[21:22], v[23:24]
	v_fma_f64 v[21:22], v[5:6], v[17:18], -v[34:35]
	v_fma_f64 v[17:18], v[7:8], v[17:18], v[19:20]
	s_delay_alu instid0(VALU_DEP_4) | instskip(SKIP_4) | instid1(VALU_DEP_4)
	v_add_f64 v[1:2], v[1:2], -v[9:10]
	v_xor_b32_e32 v10, 0x80000000, v14
	v_add_f64 v[3:4], v[3:4], -v[11:12]
	v_xor_b32_e32 v12, 0x80000000, v16
	v_mov_b32_e32 v9, v13
	v_dual_mov_b32 v11, v15 :: v_dual_cndmask_b32 v10, v14, v10
	v_cmp_gt_f64_e32 vcc_lo, 0, v[15:16]
	s_delay_alu instid0(VALU_DEP_4) | instskip(NEXT) | instid1(VALU_DEP_1)
	v_cndmask_b32_e32 v12, v16, v12, vcc_lo
	v_cmp_ngt_f64_e32 vcc_lo, v[9:10], v[11:12]
	v_add_f64 v[9:10], v[1:2], -v[21:22]
	v_add_f64 v[11:12], v[3:4], -v[17:18]
	s_cbranch_vccz .LBB238_110
; %bb.109:                              ;   in Loop: Header=BB238_94 Depth=1
	v_div_scale_f64 v[1:2], null, v[15:16], v[15:16], v[13:14]
	v_div_scale_f64 v[7:8], vcc_lo, v[13:14], v[15:16], v[13:14]
	s_delay_alu instid0(VALU_DEP_2) | instskip(SKIP_2) | instid1(VALU_DEP_1)
	v_rcp_f64_e32 v[3:4], v[1:2]
	s_waitcnt_depctr 0xfff
	v_fma_f64 v[5:6], -v[1:2], v[3:4], 1.0
	v_fma_f64 v[3:4], v[3:4], v[5:6], v[3:4]
	s_delay_alu instid0(VALU_DEP_1) | instskip(NEXT) | instid1(VALU_DEP_1)
	v_fma_f64 v[5:6], -v[1:2], v[3:4], 1.0
	v_fma_f64 v[3:4], v[3:4], v[5:6], v[3:4]
	s_delay_alu instid0(VALU_DEP_1) | instskip(NEXT) | instid1(VALU_DEP_1)
	v_mul_f64 v[5:6], v[7:8], v[3:4]
	v_fma_f64 v[1:2], -v[1:2], v[5:6], v[7:8]
	s_delay_alu instid0(VALU_DEP_1) | instskip(NEXT) | instid1(VALU_DEP_1)
	v_div_fmas_f64 v[1:2], v[1:2], v[3:4], v[5:6]
	v_div_fixup_f64 v[1:2], v[1:2], v[15:16], v[13:14]
	s_delay_alu instid0(VALU_DEP_1) | instskip(NEXT) | instid1(VALU_DEP_1)
	v_fma_f64 v[3:4], v[13:14], v[1:2], v[15:16]
	v_div_scale_f64 v[5:6], null, v[3:4], v[3:4], 1.0
	v_div_scale_f64 v[19:20], vcc_lo, 1.0, v[3:4], 1.0
	s_delay_alu instid0(VALU_DEP_2) | instskip(SKIP_2) | instid1(VALU_DEP_1)
	v_rcp_f64_e32 v[7:8], v[5:6]
	s_waitcnt_depctr 0xfff
	v_fma_f64 v[17:18], -v[5:6], v[7:8], 1.0
	v_fma_f64 v[7:8], v[7:8], v[17:18], v[7:8]
	s_delay_alu instid0(VALU_DEP_1) | instskip(NEXT) | instid1(VALU_DEP_1)
	v_fma_f64 v[17:18], -v[5:6], v[7:8], 1.0
	v_fma_f64 v[7:8], v[7:8], v[17:18], v[7:8]
	s_delay_alu instid0(VALU_DEP_1) | instskip(NEXT) | instid1(VALU_DEP_1)
	v_mul_f64 v[17:18], v[19:20], v[7:8]
	v_fma_f64 v[5:6], -v[5:6], v[17:18], v[19:20]
	s_delay_alu instid0(VALU_DEP_1) | instskip(SKIP_1) | instid1(VALU_DEP_2)
	v_div_fmas_f64 v[5:6], v[5:6], v[7:8], v[17:18]
	v_fma_f64 v[7:8], v[1:2], v[9:10], v[11:12]
	v_div_fixup_f64 v[3:4], v[5:6], v[3:4], 1.0
	v_fma_f64 v[5:6], v[1:2], v[11:12], -v[9:10]
	s_delay_alu instid0(VALU_DEP_2) | instskip(NEXT) | instid1(VALU_DEP_2)
	v_mul_f64 v[1:2], v[7:8], v[3:4]
	v_mul_f64 v[3:4], v[5:6], v[3:4]
	s_cbranch_execz .LBB238_111
	s_branch .LBB238_112
.LBB238_110:                            ;   in Loop: Header=BB238_94 Depth=1
                                        ; implicit-def: $vgpr3_vgpr4
.LBB238_111:                            ;   in Loop: Header=BB238_94 Depth=1
	v_div_scale_f64 v[1:2], null, v[13:14], v[13:14], v[15:16]
	v_div_scale_f64 v[7:8], vcc_lo, v[15:16], v[13:14], v[15:16]
	s_delay_alu instid0(VALU_DEP_2) | instskip(SKIP_2) | instid1(VALU_DEP_1)
	v_rcp_f64_e32 v[3:4], v[1:2]
	s_waitcnt_depctr 0xfff
	v_fma_f64 v[5:6], -v[1:2], v[3:4], 1.0
	v_fma_f64 v[3:4], v[3:4], v[5:6], v[3:4]
	s_delay_alu instid0(VALU_DEP_1) | instskip(NEXT) | instid1(VALU_DEP_1)
	v_fma_f64 v[5:6], -v[1:2], v[3:4], 1.0
	v_fma_f64 v[3:4], v[3:4], v[5:6], v[3:4]
	s_delay_alu instid0(VALU_DEP_1) | instskip(NEXT) | instid1(VALU_DEP_1)
	v_mul_f64 v[5:6], v[7:8], v[3:4]
	v_fma_f64 v[1:2], -v[1:2], v[5:6], v[7:8]
	s_delay_alu instid0(VALU_DEP_1) | instskip(NEXT) | instid1(VALU_DEP_1)
	v_div_fmas_f64 v[1:2], v[1:2], v[3:4], v[5:6]
	v_div_fixup_f64 v[1:2], v[1:2], v[13:14], v[15:16]
	s_delay_alu instid0(VALU_DEP_1) | instskip(NEXT) | instid1(VALU_DEP_1)
	v_fma_f64 v[3:4], v[15:16], v[1:2], v[13:14]
	v_div_scale_f64 v[5:6], null, v[3:4], v[3:4], 1.0
	v_div_scale_f64 v[15:16], vcc_lo, 1.0, v[3:4], 1.0
	s_delay_alu instid0(VALU_DEP_2) | instskip(SKIP_2) | instid1(VALU_DEP_1)
	v_rcp_f64_e32 v[7:8], v[5:6]
	s_waitcnt_depctr 0xfff
	v_fma_f64 v[13:14], -v[5:6], v[7:8], 1.0
	v_fma_f64 v[7:8], v[7:8], v[13:14], v[7:8]
	s_delay_alu instid0(VALU_DEP_1) | instskip(NEXT) | instid1(VALU_DEP_1)
	v_fma_f64 v[13:14], -v[5:6], v[7:8], 1.0
	v_fma_f64 v[7:8], v[7:8], v[13:14], v[7:8]
	s_delay_alu instid0(VALU_DEP_1) | instskip(NEXT) | instid1(VALU_DEP_1)
	v_mul_f64 v[13:14], v[15:16], v[7:8]
	v_fma_f64 v[5:6], -v[5:6], v[13:14], v[15:16]
	s_delay_alu instid0(VALU_DEP_1) | instskip(SKIP_1) | instid1(VALU_DEP_2)
	v_div_fmas_f64 v[5:6], v[5:6], v[7:8], v[13:14]
	v_fma_f64 v[7:8], v[1:2], v[11:12], v[9:10]
	v_div_fixup_f64 v[3:4], v[5:6], v[3:4], 1.0
	v_fma_f64 v[5:6], -v[1:2], v[9:10], v[11:12]
	s_delay_alu instid0(VALU_DEP_2) | instskip(NEXT) | instid1(VALU_DEP_2)
	v_mul_f64 v[1:2], v[7:8], v[3:4]
	v_mul_f64 v[3:4], v[5:6], v[3:4]
.LBB238_112:                            ;   in Loop: Header=BB238_94 Depth=1
	s_add_i32 s5, s4, -4
	s_addk_i32 s1, 0xf800
	s_cmp_lt_i32 s4, 7
	ds_store_b128 v26, v[1:4]
	s_cbranch_scc1 .LBB238_114
; %bb.113:                              ;   in Loop: Header=BB238_94 Depth=1
	s_mov_b32 s4, s5
	s_branch .LBB238_94
.LBB238_114:
	s_cmp_lt_i32 s5, 0
	s_cbranch_scc1 .LBB238_123
; %bb.115:
	v_lshlrev_b32_e32 v13, 4, v0
	s_lshl_b32 s1, s5, 9
	s_lshl_b32 s4, s29, 4
	s_delay_alu instid0(SALU_CYCLE_1) | instskip(NEXT) | instid1(VALU_DEP_1)
	s_add_i32 s1, s1, s4
	v_lshl_or_b32 v1, s29, 9, v13
	s_add_i32 s1, s1, -16
	s_delay_alu instid0(VALU_DEP_1)
	v_add_nc_u32_e32 v14, 0x3e00, v1
	s_branch .LBB238_117
.LBB238_116:                            ;   in Loop: Header=BB238_117 Depth=1
	s_add_i32 s4, s5, -1
	s_addk_i32 s1, 0xfe00
	s_cmp_lt_i32 s5, 1
	s_mov_b32 s5, s4
	ds_store_b128 v15, v[9:12]
	s_cbranch_scc1 .LBB238_123
.LBB238_117:                            ; =>This Loop Header: Depth=1
                                        ;     Child Loop BB238_118 Depth 2
	v_lshl_or_b32 v5, s5, 9, v13
	s_delay_alu instid0(VALU_DEP_2)
	v_mov_b32_e32 v6, v14
	s_cmp_le_i32 s30, s5
	s_mov_b32 s4, s1
	s_mov_b32 s6, s30
	ds_load_b128 v[1:4], v5 offset:16384
	s_cbranch_scc1 .LBB238_119
	.p2align	6
.LBB238_118:                            ;   Parent Loop BB238_117 Depth=1
                                        ; =>  This Inner Loop Header: Depth=2
	v_mov_b32_e32 v11, s4
	s_add_i32 s6, s6, -1
	s_add_i32 s4, s4, -16
	s_cmp_le_i32 s6, s5
	ds_load_b128 v[7:10], v6
	ds_load_b128 v[15:18], v11
	v_add_nc_u32_e32 v6, 0xfffffe00, v6
	s_waitcnt lgkmcnt(0)
	v_mul_f64 v[11:12], v[17:18], v[9:10]
	v_mul_f64 v[9:10], v[15:16], v[9:10]
	s_delay_alu instid0(VALU_DEP_2) | instskip(NEXT) | instid1(VALU_DEP_2)
	v_fma_f64 v[11:12], v[15:16], v[7:8], -v[11:12]
	v_fma_f64 v[7:8], v[17:18], v[7:8], v[9:10]
	s_delay_alu instid0(VALU_DEP_2) | instskip(NEXT) | instid1(VALU_DEP_2)
	v_add_f64 v[1:2], v[1:2], -v[11:12]
	v_add_f64 v[3:4], v[3:4], -v[7:8]
	s_cbranch_scc0 .LBB238_118
.LBB238_119:                            ;   in Loop: Header=BB238_117 Depth=1
	s_mul_i32 s4, s5, 0x210
	v_add_nc_u32_e32 v15, 0x4000, v5
	v_mov_b32_e32 v5, s4
	ds_load_b128 v[5:8], v5
	s_waitcnt lgkmcnt(0)
	v_cmp_gt_f64_e32 vcc_lo, 0, v[5:6]
	v_xor_b32_e32 v10, 0x80000000, v6
	v_xor_b32_e32 v11, 0x80000000, v8
	s_delay_alu instid0(VALU_DEP_2) | instskip(SKIP_1) | instid1(VALU_DEP_3)
	v_dual_mov_b32 v9, v5 :: v_dual_cndmask_b32 v10, v6, v10
	v_cmp_gt_f64_e32 vcc_lo, 0, v[7:8]
	v_dual_cndmask_b32 v12, v8, v11 :: v_dual_mov_b32 v11, v7
	s_delay_alu instid0(VALU_DEP_1)
	v_cmp_ngt_f64_e32 vcc_lo, v[9:10], v[11:12]
	s_cbranch_vccz .LBB238_121
; %bb.120:                              ;   in Loop: Header=BB238_117 Depth=1
	v_div_scale_f64 v[9:10], null, v[7:8], v[7:8], v[5:6]
	v_div_scale_f64 v[18:19], vcc_lo, v[5:6], v[7:8], v[5:6]
	s_delay_alu instid0(VALU_DEP_2) | instskip(SKIP_2) | instid1(VALU_DEP_1)
	v_rcp_f64_e32 v[11:12], v[9:10]
	s_waitcnt_depctr 0xfff
	v_fma_f64 v[16:17], -v[9:10], v[11:12], 1.0
	v_fma_f64 v[11:12], v[11:12], v[16:17], v[11:12]
	s_delay_alu instid0(VALU_DEP_1) | instskip(NEXT) | instid1(VALU_DEP_1)
	v_fma_f64 v[16:17], -v[9:10], v[11:12], 1.0
	v_fma_f64 v[11:12], v[11:12], v[16:17], v[11:12]
	s_delay_alu instid0(VALU_DEP_1) | instskip(NEXT) | instid1(VALU_DEP_1)
	v_mul_f64 v[16:17], v[18:19], v[11:12]
	v_fma_f64 v[9:10], -v[9:10], v[16:17], v[18:19]
	s_delay_alu instid0(VALU_DEP_1) | instskip(NEXT) | instid1(VALU_DEP_1)
	v_div_fmas_f64 v[9:10], v[9:10], v[11:12], v[16:17]
	v_div_fixup_f64 v[9:10], v[9:10], v[7:8], v[5:6]
	s_delay_alu instid0(VALU_DEP_1) | instskip(NEXT) | instid1(VALU_DEP_1)
	v_fma_f64 v[11:12], v[5:6], v[9:10], v[7:8]
	v_div_scale_f64 v[16:17], null, v[11:12], v[11:12], 1.0
	v_div_scale_f64 v[22:23], vcc_lo, 1.0, v[11:12], 1.0
	s_delay_alu instid0(VALU_DEP_2) | instskip(SKIP_2) | instid1(VALU_DEP_1)
	v_rcp_f64_e32 v[18:19], v[16:17]
	s_waitcnt_depctr 0xfff
	v_fma_f64 v[20:21], -v[16:17], v[18:19], 1.0
	v_fma_f64 v[18:19], v[18:19], v[20:21], v[18:19]
	s_delay_alu instid0(VALU_DEP_1) | instskip(NEXT) | instid1(VALU_DEP_1)
	v_fma_f64 v[20:21], -v[16:17], v[18:19], 1.0
	v_fma_f64 v[18:19], v[18:19], v[20:21], v[18:19]
	s_delay_alu instid0(VALU_DEP_1) | instskip(NEXT) | instid1(VALU_DEP_1)
	v_mul_f64 v[20:21], v[22:23], v[18:19]
	v_fma_f64 v[16:17], -v[16:17], v[20:21], v[22:23]
	s_delay_alu instid0(VALU_DEP_1) | instskip(SKIP_1) | instid1(VALU_DEP_2)
	v_div_fmas_f64 v[16:17], v[16:17], v[18:19], v[20:21]
	v_fma_f64 v[18:19], v[1:2], v[9:10], v[3:4]
	v_div_fixup_f64 v[11:12], v[16:17], v[11:12], 1.0
	v_fma_f64 v[16:17], v[3:4], v[9:10], -v[1:2]
	s_delay_alu instid0(VALU_DEP_2) | instskip(NEXT) | instid1(VALU_DEP_2)
	v_mul_f64 v[9:10], v[18:19], v[11:12]
	v_mul_f64 v[11:12], v[16:17], v[11:12]
	s_cbranch_execnz .LBB238_116
	s_branch .LBB238_122
.LBB238_121:                            ;   in Loop: Header=BB238_117 Depth=1
                                        ; implicit-def: $vgpr9_vgpr10
.LBB238_122:                            ;   in Loop: Header=BB238_117 Depth=1
	v_div_scale_f64 v[9:10], null, v[5:6], v[5:6], v[7:8]
	v_div_scale_f64 v[18:19], vcc_lo, v[7:8], v[5:6], v[7:8]
	s_delay_alu instid0(VALU_DEP_2) | instskip(SKIP_2) | instid1(VALU_DEP_1)
	v_rcp_f64_e32 v[11:12], v[9:10]
	s_waitcnt_depctr 0xfff
	v_fma_f64 v[16:17], -v[9:10], v[11:12], 1.0
	v_fma_f64 v[11:12], v[11:12], v[16:17], v[11:12]
	s_delay_alu instid0(VALU_DEP_1) | instskip(NEXT) | instid1(VALU_DEP_1)
	v_fma_f64 v[16:17], -v[9:10], v[11:12], 1.0
	v_fma_f64 v[11:12], v[11:12], v[16:17], v[11:12]
	s_delay_alu instid0(VALU_DEP_1) | instskip(NEXT) | instid1(VALU_DEP_1)
	v_mul_f64 v[16:17], v[18:19], v[11:12]
	v_fma_f64 v[9:10], -v[9:10], v[16:17], v[18:19]
	s_delay_alu instid0(VALU_DEP_1) | instskip(NEXT) | instid1(VALU_DEP_1)
	v_div_fmas_f64 v[9:10], v[9:10], v[11:12], v[16:17]
	v_div_fixup_f64 v[9:10], v[9:10], v[5:6], v[7:8]
	s_delay_alu instid0(VALU_DEP_1) | instskip(NEXT) | instid1(VALU_DEP_1)
	v_fma_f64 v[5:6], v[7:8], v[9:10], v[5:6]
	v_div_scale_f64 v[7:8], null, v[5:6], v[5:6], 1.0
	v_div_scale_f64 v[18:19], vcc_lo, 1.0, v[5:6], 1.0
	s_delay_alu instid0(VALU_DEP_2) | instskip(SKIP_2) | instid1(VALU_DEP_1)
	v_rcp_f64_e32 v[11:12], v[7:8]
	s_waitcnt_depctr 0xfff
	v_fma_f64 v[16:17], -v[7:8], v[11:12], 1.0
	v_fma_f64 v[11:12], v[11:12], v[16:17], v[11:12]
	s_delay_alu instid0(VALU_DEP_1) | instskip(NEXT) | instid1(VALU_DEP_1)
	v_fma_f64 v[16:17], -v[7:8], v[11:12], 1.0
	v_fma_f64 v[11:12], v[11:12], v[16:17], v[11:12]
	s_delay_alu instid0(VALU_DEP_1) | instskip(NEXT) | instid1(VALU_DEP_1)
	v_mul_f64 v[16:17], v[18:19], v[11:12]
	v_fma_f64 v[7:8], -v[7:8], v[16:17], v[18:19]
	s_delay_alu instid0(VALU_DEP_1) | instskip(SKIP_2) | instid1(VALU_DEP_3)
	v_div_fmas_f64 v[7:8], v[7:8], v[11:12], v[16:17]
	v_fma_f64 v[11:12], v[3:4], v[9:10], v[1:2]
	v_fma_f64 v[1:2], -v[1:2], v[9:10], v[3:4]
	v_div_fixup_f64 v[5:6], v[7:8], v[5:6], 1.0
	s_delay_alu instid0(VALU_DEP_1) | instskip(NEXT) | instid1(VALU_DEP_3)
	v_mul_f64 v[9:10], v[11:12], v[5:6]
	v_mul_f64 v[11:12], v[1:2], v[5:6]
	s_branch .LBB238_116
.LBB238_123:
	s_mov_b32 s5, 0
.LBB238_124:
	s_delay_alu instid0(SALU_CYCLE_1)
	s_and_not1_b32 vcc_lo, exec_lo, s5
	s_cbranch_vccnz .LBB238_163
; %bb.125:
	s_cmp_lt_i32 s28, 4
	s_mov_b32 s5, 0
	s_cbranch_scc1 .LBB238_148
; %bb.126:
	v_lshl_or_b32 v25, v0, 4, 0x4000
	s_mov_b32 s1, 0
	s_mov_b32 s4, 0
.LBB238_127:                            ; =>This Loop Header: Depth=1
                                        ;     Child Loop BB238_129 Depth 2
	s_delay_alu instid0(SALU_CYCLE_1) | instskip(NEXT) | instid1(SALU_CYCLE_1)
	s_lshl_b32 s5, s4, 5
	s_or_b32 s10, s5, 32
	v_or_b32_e32 v1, s5, v0
	s_or_b32 s6, s5, 64
	v_or_b32_e32 v2, s10, v0
	;; [unrolled: 2-line block ×3, first 2 shown]
	v_or_b32_e32 v4, s5, v0
	v_lshlrev_b32_e32 v13, 4, v1
	v_lshlrev_b32_e32 v14, 4, v2
	s_cmp_eq_u32 s4, 0
	v_lshlrev_b32_e32 v15, 4, v3
	v_lshlrev_b32_e32 v16, 4, v4
	ds_load_b128 v[17:20], v13 offset:16384
	ds_load_b128 v[9:12], v14 offset:16384
	;; [unrolled: 1-line block ×4, first 2 shown]
	s_cbranch_scc1 .LBB238_130
; %bb.128:                              ;   in Loop: Header=BB238_127 Depth=1
	v_mov_b32_e32 v21, v25
	s_mov_b32 s7, 0
	s_mov_b32 s11, s1
.LBB238_129:                            ;   Parent Loop BB238_127 Depth=1
                                        ; =>  This Inner Loop Header: Depth=2
	s_delay_alu instid0(SALU_CYCLE_1)
	v_mov_b32_e32 v22, s11
	s_add_i32 s7, s7, 2
	s_add_i32 s11, s11, 32
	s_cmp_ge_u32 s7, s4
	ds_load_b128 v[26:29], v21
	ds_load_b128 v[30:33], v22
	ds_load_b128 v[34:37], v22 offset:512
	ds_load_b128 v[38:41], v22 offset:1024
	;; [unrolled: 1-line block ×8, first 2 shown]
	v_add_nc_u32_e32 v21, 0x400, v21
	s_waitcnt lgkmcnt(8)
	v_mul_f64 v[22:23], v[28:29], v[32:33]
	v_mul_f64 v[32:33], v[26:27], v[32:33]
	s_waitcnt lgkmcnt(7)
	v_mul_f64 v[66:67], v[28:29], v[36:37]
	v_mul_f64 v[36:37], v[26:27], v[36:37]
	;; [unrolled: 3-line block ×8, first 2 shown]
	v_fma_f64 v[22:23], v[26:27], v[30:31], -v[22:23]
	v_fma_f64 v[30:31], v[28:29], v[30:31], v[32:33]
	v_fma_f64 v[32:33], v[26:27], v[34:35], -v[66:67]
	v_fma_f64 v[34:35], v[28:29], v[34:35], v[36:37]
	v_fma_f64 v[36:37], v[26:27], v[38:39], -v[68:69]
	v_fma_f64 v[38:39], v[28:29], v[38:39], v[40:41]
	v_fma_f64 v[26:27], v[26:27], v[42:43], -v[70:71]
	v_fma_f64 v[28:29], v[28:29], v[42:43], v[44:45]
	v_fma_f64 v[40:41], v[46:47], v[50:51], -v[72:73]
	v_fma_f64 v[42:43], v[48:49], v[50:51], v[52:53]
	v_fma_f64 v[44:45], v[46:47], v[54:55], -v[74:75]
	v_fma_f64 v[50:51], v[48:49], v[54:55], v[56:57]
	v_fma_f64 v[52:53], v[46:47], v[58:59], -v[76:77]
	v_fma_f64 v[54:55], v[48:49], v[58:59], v[60:61]
	v_fma_f64 v[46:47], v[46:47], v[62:63], -v[78:79]
	v_fma_f64 v[48:49], v[48:49], v[62:63], v[64:65]
	v_add_f64 v[17:18], v[17:18], -v[22:23]
	v_add_f64 v[19:20], v[19:20], -v[30:31]
	;; [unrolled: 1-line block ×16, first 2 shown]
	s_cbranch_scc0 .LBB238_129
.LBB238_130:                            ;   in Loop: Header=BB238_127 Depth=1
	s_mul_i32 s7, s4, 0x210
	v_add_nc_u32_e32 v29, 0x4000, v13
	v_dual_mov_b32 v13, s7 :: v_dual_add_nc_u32 v28, 0x4000, v14
	v_add_nc_u32_e32 v27, 0x4000, v15
	ds_load_b128 v[21:24], v13
	s_waitcnt lgkmcnt(0)
	v_dual_mov_b32 v13, v21 :: v_dual_add_nc_u32 v26, 0x4000, v16
	v_cmp_gt_f64_e32 vcc_lo, 0, v[21:22]
	v_xor_b32_e32 v14, 0x80000000, v22
	v_xor_b32_e32 v15, 0x80000000, v24
	s_delay_alu instid0(VALU_DEP_2) | instskip(SKIP_1) | instid1(VALU_DEP_3)
	v_cndmask_b32_e32 v14, v22, v14, vcc_lo
	v_cmp_gt_f64_e32 vcc_lo, 0, v[23:24]
	v_dual_cndmask_b32 v16, v24, v15 :: v_dual_mov_b32 v15, v23
	s_delay_alu instid0(VALU_DEP_1)
	v_cmp_ngt_f64_e32 vcc_lo, v[13:14], v[15:16]
	s_cbranch_vccz .LBB238_132
; %bb.131:                              ;   in Loop: Header=BB238_127 Depth=1
	v_div_scale_f64 v[13:14], null, v[23:24], v[23:24], v[21:22]
	v_div_scale_f64 v[32:33], vcc_lo, v[21:22], v[23:24], v[21:22]
	s_delay_alu instid0(VALU_DEP_2) | instskip(SKIP_2) | instid1(VALU_DEP_1)
	v_rcp_f64_e32 v[15:16], v[13:14]
	s_waitcnt_depctr 0xfff
	v_fma_f64 v[30:31], -v[13:14], v[15:16], 1.0
	v_fma_f64 v[15:16], v[15:16], v[30:31], v[15:16]
	s_delay_alu instid0(VALU_DEP_1) | instskip(NEXT) | instid1(VALU_DEP_1)
	v_fma_f64 v[30:31], -v[13:14], v[15:16], 1.0
	v_fma_f64 v[15:16], v[15:16], v[30:31], v[15:16]
	s_delay_alu instid0(VALU_DEP_1) | instskip(NEXT) | instid1(VALU_DEP_1)
	v_mul_f64 v[30:31], v[32:33], v[15:16]
	v_fma_f64 v[13:14], -v[13:14], v[30:31], v[32:33]
	s_delay_alu instid0(VALU_DEP_1) | instskip(NEXT) | instid1(VALU_DEP_1)
	v_div_fmas_f64 v[13:14], v[13:14], v[15:16], v[30:31]
	v_div_fixup_f64 v[13:14], v[13:14], v[23:24], v[21:22]
	s_delay_alu instid0(VALU_DEP_1) | instskip(NEXT) | instid1(VALU_DEP_1)
	v_fma_f64 v[15:16], v[21:22], v[13:14], v[23:24]
	v_div_scale_f64 v[30:31], null, v[15:16], v[15:16], 1.0
	v_div_scale_f64 v[36:37], vcc_lo, 1.0, v[15:16], 1.0
	s_delay_alu instid0(VALU_DEP_2) | instskip(SKIP_2) | instid1(VALU_DEP_1)
	v_rcp_f64_e32 v[32:33], v[30:31]
	s_waitcnt_depctr 0xfff
	v_fma_f64 v[34:35], -v[30:31], v[32:33], 1.0
	v_fma_f64 v[32:33], v[32:33], v[34:35], v[32:33]
	s_delay_alu instid0(VALU_DEP_1) | instskip(NEXT) | instid1(VALU_DEP_1)
	v_fma_f64 v[34:35], -v[30:31], v[32:33], 1.0
	v_fma_f64 v[32:33], v[32:33], v[34:35], v[32:33]
	s_delay_alu instid0(VALU_DEP_1) | instskip(NEXT) | instid1(VALU_DEP_1)
	v_mul_f64 v[34:35], v[36:37], v[32:33]
	v_fma_f64 v[30:31], -v[30:31], v[34:35], v[36:37]
	s_delay_alu instid0(VALU_DEP_1) | instskip(SKIP_1) | instid1(VALU_DEP_2)
	v_div_fmas_f64 v[30:31], v[30:31], v[32:33], v[34:35]
	v_fma_f64 v[32:33], v[17:18], v[13:14], v[19:20]
	v_div_fixup_f64 v[15:16], v[30:31], v[15:16], 1.0
	v_fma_f64 v[30:31], v[19:20], v[13:14], -v[17:18]
	s_delay_alu instid0(VALU_DEP_2) | instskip(NEXT) | instid1(VALU_DEP_2)
	v_mul_f64 v[13:14], v[32:33], v[15:16]
	v_mul_f64 v[15:16], v[30:31], v[15:16]
	s_cbranch_execz .LBB238_133
	s_branch .LBB238_134
.LBB238_132:                            ;   in Loop: Header=BB238_127 Depth=1
                                        ; implicit-def: $vgpr15_vgpr16
.LBB238_133:                            ;   in Loop: Header=BB238_127 Depth=1
	v_div_scale_f64 v[13:14], null, v[21:22], v[21:22], v[23:24]
	v_div_scale_f64 v[32:33], vcc_lo, v[23:24], v[21:22], v[23:24]
	s_delay_alu instid0(VALU_DEP_2) | instskip(SKIP_2) | instid1(VALU_DEP_1)
	v_rcp_f64_e32 v[15:16], v[13:14]
	s_waitcnt_depctr 0xfff
	v_fma_f64 v[30:31], -v[13:14], v[15:16], 1.0
	v_fma_f64 v[15:16], v[15:16], v[30:31], v[15:16]
	s_delay_alu instid0(VALU_DEP_1) | instskip(NEXT) | instid1(VALU_DEP_1)
	v_fma_f64 v[30:31], -v[13:14], v[15:16], 1.0
	v_fma_f64 v[15:16], v[15:16], v[30:31], v[15:16]
	s_delay_alu instid0(VALU_DEP_1) | instskip(NEXT) | instid1(VALU_DEP_1)
	v_mul_f64 v[30:31], v[32:33], v[15:16]
	v_fma_f64 v[13:14], -v[13:14], v[30:31], v[32:33]
	s_delay_alu instid0(VALU_DEP_1) | instskip(NEXT) | instid1(VALU_DEP_1)
	v_div_fmas_f64 v[13:14], v[13:14], v[15:16], v[30:31]
	v_div_fixup_f64 v[13:14], v[13:14], v[21:22], v[23:24]
	s_delay_alu instid0(VALU_DEP_1) | instskip(NEXT) | instid1(VALU_DEP_1)
	v_fma_f64 v[15:16], v[23:24], v[13:14], v[21:22]
	v_div_scale_f64 v[21:22], null, v[15:16], v[15:16], 1.0
	v_div_scale_f64 v[32:33], vcc_lo, 1.0, v[15:16], 1.0
	s_delay_alu instid0(VALU_DEP_2) | instskip(SKIP_2) | instid1(VALU_DEP_1)
	v_rcp_f64_e32 v[23:24], v[21:22]
	s_waitcnt_depctr 0xfff
	v_fma_f64 v[30:31], -v[21:22], v[23:24], 1.0
	v_fma_f64 v[23:24], v[23:24], v[30:31], v[23:24]
	s_delay_alu instid0(VALU_DEP_1) | instskip(NEXT) | instid1(VALU_DEP_1)
	v_fma_f64 v[30:31], -v[21:22], v[23:24], 1.0
	v_fma_f64 v[23:24], v[23:24], v[30:31], v[23:24]
	s_delay_alu instid0(VALU_DEP_1) | instskip(NEXT) | instid1(VALU_DEP_1)
	v_mul_f64 v[30:31], v[32:33], v[23:24]
	v_fma_f64 v[21:22], -v[21:22], v[30:31], v[32:33]
	s_delay_alu instid0(VALU_DEP_1) | instskip(SKIP_2) | instid1(VALU_DEP_3)
	v_div_fmas_f64 v[21:22], v[21:22], v[23:24], v[30:31]
	v_fma_f64 v[23:24], v[19:20], v[13:14], v[17:18]
	v_fma_f64 v[17:18], -v[17:18], v[13:14], v[19:20]
	v_div_fixup_f64 v[15:16], v[21:22], v[15:16], 1.0
	s_delay_alu instid0(VALU_DEP_1) | instskip(NEXT) | instid1(VALU_DEP_3)
	v_mul_f64 v[13:14], v[23:24], v[15:16]
	v_mul_f64 v[15:16], v[17:18], v[15:16]
.LBB238_134:                            ;   in Loop: Header=BB238_127 Depth=1
	s_add_i32 s10, s10, s4
	ds_store_b128 v29, v[13:16]
	s_lshl_b32 s10, s10, 4
	s_delay_alu instid0(SALU_CYCLE_1)
	v_mov_b32_e32 v17, s10
	ds_load_b128 v[21:24], v17
	v_mov_b32_e32 v17, s7
	ds_load_b128 v[17:20], v17 offset:528
	s_waitcnt lgkmcnt(1)
	v_mul_f64 v[30:31], v[15:16], v[23:24]
	v_mul_f64 v[23:24], v[13:14], v[23:24]
	s_waitcnt lgkmcnt(0)
	v_cmp_gt_f64_e32 vcc_lo, 0, v[17:18]
	v_xor_b32_e32 v33, 0x80000000, v20
	v_mov_b32_e32 v32, v19
	v_fma_f64 v[30:31], v[13:14], v[21:22], -v[30:31]
	v_fma_f64 v[23:24], v[15:16], v[21:22], v[23:24]
	v_xor_b32_e32 v22, 0x80000000, v18
	s_delay_alu instid0(VALU_DEP_1) | instskip(SKIP_1) | instid1(VALU_DEP_4)
	v_dual_mov_b32 v21, v17 :: v_dual_cndmask_b32 v22, v18, v22
	v_cmp_gt_f64_e32 vcc_lo, 0, v[19:20]
	v_add_f64 v[23:24], v[11:12], -v[23:24]
	v_cndmask_b32_e32 v33, v20, v33, vcc_lo
	s_delay_alu instid0(VALU_DEP_1)
	v_cmp_ngt_f64_e32 vcc_lo, v[21:22], v[32:33]
	v_add_f64 v[21:22], v[9:10], -v[30:31]
	s_cbranch_vccz .LBB238_136
; %bb.135:                              ;   in Loop: Header=BB238_127 Depth=1
	v_div_scale_f64 v[9:10], null, v[19:20], v[19:20], v[17:18]
	v_div_scale_f64 v[31:32], vcc_lo, v[17:18], v[19:20], v[17:18]
	s_delay_alu instid0(VALU_DEP_2) | instskip(SKIP_2) | instid1(VALU_DEP_1)
	v_rcp_f64_e32 v[11:12], v[9:10]
	s_waitcnt_depctr 0xfff
	v_fma_f64 v[29:30], -v[9:10], v[11:12], 1.0
	v_fma_f64 v[11:12], v[11:12], v[29:30], v[11:12]
	s_delay_alu instid0(VALU_DEP_1) | instskip(NEXT) | instid1(VALU_DEP_1)
	v_fma_f64 v[29:30], -v[9:10], v[11:12], 1.0
	v_fma_f64 v[11:12], v[11:12], v[29:30], v[11:12]
	s_delay_alu instid0(VALU_DEP_1) | instskip(NEXT) | instid1(VALU_DEP_1)
	v_mul_f64 v[29:30], v[31:32], v[11:12]
	v_fma_f64 v[9:10], -v[9:10], v[29:30], v[31:32]
	s_delay_alu instid0(VALU_DEP_1) | instskip(NEXT) | instid1(VALU_DEP_1)
	v_div_fmas_f64 v[9:10], v[9:10], v[11:12], v[29:30]
	v_div_fixup_f64 v[9:10], v[9:10], v[19:20], v[17:18]
	s_delay_alu instid0(VALU_DEP_1) | instskip(NEXT) | instid1(VALU_DEP_1)
	v_fma_f64 v[11:12], v[17:18], v[9:10], v[19:20]
	v_div_scale_f64 v[29:30], null, v[11:12], v[11:12], 1.0
	v_div_scale_f64 v[35:36], vcc_lo, 1.0, v[11:12], 1.0
	s_delay_alu instid0(VALU_DEP_2) | instskip(SKIP_2) | instid1(VALU_DEP_1)
	v_rcp_f64_e32 v[31:32], v[29:30]
	s_waitcnt_depctr 0xfff
	v_fma_f64 v[33:34], -v[29:30], v[31:32], 1.0
	v_fma_f64 v[31:32], v[31:32], v[33:34], v[31:32]
	s_delay_alu instid0(VALU_DEP_1) | instskip(NEXT) | instid1(VALU_DEP_1)
	v_fma_f64 v[33:34], -v[29:30], v[31:32], 1.0
	v_fma_f64 v[31:32], v[31:32], v[33:34], v[31:32]
	s_delay_alu instid0(VALU_DEP_1) | instskip(NEXT) | instid1(VALU_DEP_1)
	v_mul_f64 v[33:34], v[35:36], v[31:32]
	v_fma_f64 v[29:30], -v[29:30], v[33:34], v[35:36]
	s_delay_alu instid0(VALU_DEP_1) | instskip(SKIP_1) | instid1(VALU_DEP_2)
	v_div_fmas_f64 v[29:30], v[29:30], v[31:32], v[33:34]
	v_fma_f64 v[31:32], v[9:10], v[21:22], v[23:24]
	v_div_fixup_f64 v[11:12], v[29:30], v[11:12], 1.0
	v_fma_f64 v[29:30], v[9:10], v[23:24], -v[21:22]
	s_delay_alu instid0(VALU_DEP_2) | instskip(NEXT) | instid1(VALU_DEP_2)
	v_mul_f64 v[9:10], v[31:32], v[11:12]
	v_mul_f64 v[11:12], v[29:30], v[11:12]
	s_cbranch_execz .LBB238_137
	s_branch .LBB238_138
.LBB238_136:                            ;   in Loop: Header=BB238_127 Depth=1
                                        ; implicit-def: $vgpr11_vgpr12
.LBB238_137:                            ;   in Loop: Header=BB238_127 Depth=1
	v_div_scale_f64 v[9:10], null, v[17:18], v[17:18], v[19:20]
	v_div_scale_f64 v[31:32], vcc_lo, v[19:20], v[17:18], v[19:20]
	s_delay_alu instid0(VALU_DEP_2) | instskip(SKIP_2) | instid1(VALU_DEP_1)
	v_rcp_f64_e32 v[11:12], v[9:10]
	s_waitcnt_depctr 0xfff
	v_fma_f64 v[29:30], -v[9:10], v[11:12], 1.0
	v_fma_f64 v[11:12], v[11:12], v[29:30], v[11:12]
	s_delay_alu instid0(VALU_DEP_1) | instskip(NEXT) | instid1(VALU_DEP_1)
	v_fma_f64 v[29:30], -v[9:10], v[11:12], 1.0
	v_fma_f64 v[11:12], v[11:12], v[29:30], v[11:12]
	s_delay_alu instid0(VALU_DEP_1) | instskip(NEXT) | instid1(VALU_DEP_1)
	v_mul_f64 v[29:30], v[31:32], v[11:12]
	v_fma_f64 v[9:10], -v[9:10], v[29:30], v[31:32]
	s_delay_alu instid0(VALU_DEP_1) | instskip(NEXT) | instid1(VALU_DEP_1)
	v_div_fmas_f64 v[9:10], v[9:10], v[11:12], v[29:30]
	v_div_fixup_f64 v[9:10], v[9:10], v[17:18], v[19:20]
	s_delay_alu instid0(VALU_DEP_1) | instskip(NEXT) | instid1(VALU_DEP_1)
	v_fma_f64 v[11:12], v[19:20], v[9:10], v[17:18]
	v_div_scale_f64 v[17:18], null, v[11:12], v[11:12], 1.0
	v_div_scale_f64 v[31:32], vcc_lo, 1.0, v[11:12], 1.0
	s_delay_alu instid0(VALU_DEP_2) | instskip(SKIP_2) | instid1(VALU_DEP_1)
	v_rcp_f64_e32 v[19:20], v[17:18]
	s_waitcnt_depctr 0xfff
	v_fma_f64 v[29:30], -v[17:18], v[19:20], 1.0
	v_fma_f64 v[19:20], v[19:20], v[29:30], v[19:20]
	s_delay_alu instid0(VALU_DEP_1) | instskip(NEXT) | instid1(VALU_DEP_1)
	v_fma_f64 v[29:30], -v[17:18], v[19:20], 1.0
	v_fma_f64 v[19:20], v[19:20], v[29:30], v[19:20]
	s_delay_alu instid0(VALU_DEP_1) | instskip(NEXT) | instid1(VALU_DEP_1)
	v_mul_f64 v[29:30], v[31:32], v[19:20]
	v_fma_f64 v[17:18], -v[17:18], v[29:30], v[31:32]
	s_delay_alu instid0(VALU_DEP_1) | instskip(SKIP_1) | instid1(VALU_DEP_2)
	v_div_fmas_f64 v[17:18], v[17:18], v[19:20], v[29:30]
	v_fma_f64 v[19:20], v[9:10], v[23:24], v[21:22]
	v_div_fixup_f64 v[11:12], v[17:18], v[11:12], 1.0
	v_fma_f64 v[17:18], -v[9:10], v[21:22], v[23:24]
	s_delay_alu instid0(VALU_DEP_2) | instskip(NEXT) | instid1(VALU_DEP_2)
	v_mul_f64 v[9:10], v[19:20], v[11:12]
	v_mul_f64 v[11:12], v[17:18], v[11:12]
.LBB238_138:                            ;   in Loop: Header=BB238_127 Depth=1
	s_add_i32 s6, s6, s4
	s_delay_alu instid0(SALU_CYCLE_1) | instskip(NEXT) | instid1(SALU_CYCLE_1)
	s_lshl_b32 s6, s6, 4
	v_mov_b32_e32 v21, s6
	ds_load_b128 v[17:20], v21
	ds_load_b128 v[21:24], v21 offset:16
	ds_store_b128 v28, v[9:12]
	s_waitcnt lgkmcnt(2)
	v_mul_f64 v[29:30], v[15:16], v[19:20]
	v_mul_f64 v[19:20], v[13:14], v[19:20]
	s_waitcnt lgkmcnt(1)
	v_mul_f64 v[31:32], v[11:12], v[23:24]
	v_mul_f64 v[23:24], v[9:10], v[23:24]
	s_delay_alu instid0(VALU_DEP_4) | instskip(NEXT) | instid1(VALU_DEP_4)
	v_fma_f64 v[29:30], v[13:14], v[17:18], -v[29:30]
	v_fma_f64 v[17:18], v[15:16], v[17:18], v[19:20]
	v_mov_b32_e32 v19, s7
	v_fma_f64 v[31:32], v[9:10], v[21:22], -v[31:32]
	v_fma_f64 v[23:24], v[11:12], v[21:22], v[23:24]
	v_add_f64 v[5:6], v[5:6], -v[29:30]
	v_add_f64 v[7:8], v[7:8], -v[17:18]
	ds_load_b128 v[17:20], v19 offset:1056
	s_waitcnt lgkmcnt(0)
	v_cmp_gt_f64_e32 vcc_lo, 0, v[17:18]
	v_xor_b32_e32 v22, 0x80000000, v18
	v_xor_b32_e32 v30, 0x80000000, v20
	v_mov_b32_e32 v21, v17
	v_mov_b32_e32 v29, v19
	v_add_f64 v[23:24], v[7:8], -v[23:24]
	v_cndmask_b32_e32 v22, v18, v22, vcc_lo
	v_cmp_gt_f64_e32 vcc_lo, 0, v[19:20]
	v_cndmask_b32_e32 v30, v20, v30, vcc_lo
	s_delay_alu instid0(VALU_DEP_1)
	v_cmp_ngt_f64_e32 vcc_lo, v[21:22], v[29:30]
	v_add_f64 v[21:22], v[5:6], -v[31:32]
	s_cbranch_vccz .LBB238_140
; %bb.139:                              ;   in Loop: Header=BB238_127 Depth=1
	v_div_scale_f64 v[5:6], null, v[19:20], v[19:20], v[17:18]
	v_div_scale_f64 v[30:31], vcc_lo, v[17:18], v[19:20], v[17:18]
	s_delay_alu instid0(VALU_DEP_2) | instskip(SKIP_2) | instid1(VALU_DEP_1)
	v_rcp_f64_e32 v[7:8], v[5:6]
	s_waitcnt_depctr 0xfff
	v_fma_f64 v[28:29], -v[5:6], v[7:8], 1.0
	v_fma_f64 v[7:8], v[7:8], v[28:29], v[7:8]
	s_delay_alu instid0(VALU_DEP_1) | instskip(NEXT) | instid1(VALU_DEP_1)
	v_fma_f64 v[28:29], -v[5:6], v[7:8], 1.0
	v_fma_f64 v[7:8], v[7:8], v[28:29], v[7:8]
	s_delay_alu instid0(VALU_DEP_1) | instskip(NEXT) | instid1(VALU_DEP_1)
	v_mul_f64 v[28:29], v[30:31], v[7:8]
	v_fma_f64 v[5:6], -v[5:6], v[28:29], v[30:31]
	s_delay_alu instid0(VALU_DEP_1) | instskip(NEXT) | instid1(VALU_DEP_1)
	v_div_fmas_f64 v[5:6], v[5:6], v[7:8], v[28:29]
	v_div_fixup_f64 v[5:6], v[5:6], v[19:20], v[17:18]
	s_delay_alu instid0(VALU_DEP_1) | instskip(NEXT) | instid1(VALU_DEP_1)
	v_fma_f64 v[7:8], v[17:18], v[5:6], v[19:20]
	v_div_scale_f64 v[28:29], null, v[7:8], v[7:8], 1.0
	v_div_scale_f64 v[34:35], vcc_lo, 1.0, v[7:8], 1.0
	s_delay_alu instid0(VALU_DEP_2) | instskip(SKIP_2) | instid1(VALU_DEP_1)
	v_rcp_f64_e32 v[30:31], v[28:29]
	s_waitcnt_depctr 0xfff
	v_fma_f64 v[32:33], -v[28:29], v[30:31], 1.0
	v_fma_f64 v[30:31], v[30:31], v[32:33], v[30:31]
	s_delay_alu instid0(VALU_DEP_1) | instskip(NEXT) | instid1(VALU_DEP_1)
	v_fma_f64 v[32:33], -v[28:29], v[30:31], 1.0
	v_fma_f64 v[30:31], v[30:31], v[32:33], v[30:31]
	s_delay_alu instid0(VALU_DEP_1) | instskip(NEXT) | instid1(VALU_DEP_1)
	v_mul_f64 v[32:33], v[34:35], v[30:31]
	v_fma_f64 v[28:29], -v[28:29], v[32:33], v[34:35]
	s_delay_alu instid0(VALU_DEP_1) | instskip(SKIP_1) | instid1(VALU_DEP_2)
	v_div_fmas_f64 v[28:29], v[28:29], v[30:31], v[32:33]
	v_fma_f64 v[30:31], v[5:6], v[21:22], v[23:24]
	v_div_fixup_f64 v[7:8], v[28:29], v[7:8], 1.0
	v_fma_f64 v[28:29], v[5:6], v[23:24], -v[21:22]
	s_delay_alu instid0(VALU_DEP_2) | instskip(NEXT) | instid1(VALU_DEP_2)
	v_mul_f64 v[5:6], v[30:31], v[7:8]
	v_mul_f64 v[7:8], v[28:29], v[7:8]
	s_cbranch_execz .LBB238_141
	s_branch .LBB238_142
.LBB238_140:                            ;   in Loop: Header=BB238_127 Depth=1
                                        ; implicit-def: $vgpr7_vgpr8
.LBB238_141:                            ;   in Loop: Header=BB238_127 Depth=1
	v_div_scale_f64 v[5:6], null, v[17:18], v[17:18], v[19:20]
	v_div_scale_f64 v[30:31], vcc_lo, v[19:20], v[17:18], v[19:20]
	s_delay_alu instid0(VALU_DEP_2) | instskip(SKIP_2) | instid1(VALU_DEP_1)
	v_rcp_f64_e32 v[7:8], v[5:6]
	s_waitcnt_depctr 0xfff
	v_fma_f64 v[28:29], -v[5:6], v[7:8], 1.0
	v_fma_f64 v[7:8], v[7:8], v[28:29], v[7:8]
	s_delay_alu instid0(VALU_DEP_1) | instskip(NEXT) | instid1(VALU_DEP_1)
	v_fma_f64 v[28:29], -v[5:6], v[7:8], 1.0
	v_fma_f64 v[7:8], v[7:8], v[28:29], v[7:8]
	s_delay_alu instid0(VALU_DEP_1) | instskip(NEXT) | instid1(VALU_DEP_1)
	v_mul_f64 v[28:29], v[30:31], v[7:8]
	v_fma_f64 v[5:6], -v[5:6], v[28:29], v[30:31]
	s_delay_alu instid0(VALU_DEP_1) | instskip(NEXT) | instid1(VALU_DEP_1)
	v_div_fmas_f64 v[5:6], v[5:6], v[7:8], v[28:29]
	v_div_fixup_f64 v[5:6], v[5:6], v[17:18], v[19:20]
	s_delay_alu instid0(VALU_DEP_1) | instskip(NEXT) | instid1(VALU_DEP_1)
	v_fma_f64 v[7:8], v[19:20], v[5:6], v[17:18]
	v_div_scale_f64 v[17:18], null, v[7:8], v[7:8], 1.0
	v_div_scale_f64 v[30:31], vcc_lo, 1.0, v[7:8], 1.0
	s_delay_alu instid0(VALU_DEP_2) | instskip(SKIP_2) | instid1(VALU_DEP_1)
	v_rcp_f64_e32 v[19:20], v[17:18]
	s_waitcnt_depctr 0xfff
	v_fma_f64 v[28:29], -v[17:18], v[19:20], 1.0
	v_fma_f64 v[19:20], v[19:20], v[28:29], v[19:20]
	s_delay_alu instid0(VALU_DEP_1) | instskip(NEXT) | instid1(VALU_DEP_1)
	v_fma_f64 v[28:29], -v[17:18], v[19:20], 1.0
	v_fma_f64 v[19:20], v[19:20], v[28:29], v[19:20]
	s_delay_alu instid0(VALU_DEP_1) | instskip(NEXT) | instid1(VALU_DEP_1)
	v_mul_f64 v[28:29], v[30:31], v[19:20]
	v_fma_f64 v[17:18], -v[17:18], v[28:29], v[30:31]
	s_delay_alu instid0(VALU_DEP_1) | instskip(SKIP_1) | instid1(VALU_DEP_2)
	v_div_fmas_f64 v[17:18], v[17:18], v[19:20], v[28:29]
	v_fma_f64 v[19:20], v[5:6], v[23:24], v[21:22]
	v_div_fixup_f64 v[7:8], v[17:18], v[7:8], 1.0
	v_fma_f64 v[17:18], -v[5:6], v[21:22], v[23:24]
	s_delay_alu instid0(VALU_DEP_2) | instskip(NEXT) | instid1(VALU_DEP_2)
	v_mul_f64 v[5:6], v[19:20], v[7:8]
	v_mul_f64 v[7:8], v[17:18], v[7:8]
.LBB238_142:                            ;   in Loop: Header=BB238_127 Depth=1
	s_add_i32 s5, s5, s4
	s_delay_alu instid0(SALU_CYCLE_1) | instskip(NEXT) | instid1(SALU_CYCLE_1)
	s_lshl_b32 s5, s5, 4
	v_mov_b32_e32 v34, s5
	ds_load_b128 v[17:20], v34
	ds_load_b128 v[21:24], v34 offset:16
	ds_store_b128 v27, v[5:8]
	s_waitcnt lgkmcnt(2)
	v_mul_f64 v[28:29], v[15:16], v[19:20]
	v_mul_f64 v[19:20], v[13:14], v[19:20]
	s_waitcnt lgkmcnt(1)
	v_mul_f64 v[30:31], v[11:12], v[23:24]
	v_mul_f64 v[23:24], v[9:10], v[23:24]
	s_delay_alu instid0(VALU_DEP_4)
	v_fma_f64 v[28:29], v[13:14], v[17:18], -v[28:29]
	v_mov_b32_e32 v13, s7
	v_fma_f64 v[32:33], v[15:16], v[17:18], v[19:20]
	ds_load_b128 v[17:20], v34 offset:32
	v_fma_f64 v[9:10], v[9:10], v[21:22], -v[30:31]
	v_fma_f64 v[11:12], v[11:12], v[21:22], v[23:24]
	ds_load_b128 v[13:16], v13 offset:1584
	s_waitcnt lgkmcnt(1)
	v_mul_f64 v[34:35], v[7:8], v[19:20]
	v_mul_f64 v[19:20], v[5:6], v[19:20]
	s_waitcnt lgkmcnt(0)
	v_cmp_gt_f64_e32 vcc_lo, 0, v[13:14]
	v_add_f64 v[1:2], v[1:2], -v[28:29]
	v_add_f64 v[3:4], v[3:4], -v[32:33]
	v_fma_f64 v[21:22], v[5:6], v[17:18], -v[34:35]
	v_fma_f64 v[17:18], v[7:8], v[17:18], v[19:20]
	s_delay_alu instid0(VALU_DEP_4) | instskip(SKIP_4) | instid1(VALU_DEP_4)
	v_add_f64 v[1:2], v[1:2], -v[9:10]
	v_xor_b32_e32 v10, 0x80000000, v14
	v_mov_b32_e32 v9, v13
	v_add_f64 v[3:4], v[3:4], -v[11:12]
	v_xor_b32_e32 v12, 0x80000000, v16
	v_cndmask_b32_e32 v10, v14, v10, vcc_lo
	v_cmp_gt_f64_e32 vcc_lo, 0, v[15:16]
	s_delay_alu instid0(VALU_DEP_3) | instskip(NEXT) | instid1(VALU_DEP_1)
	v_dual_mov_b32 v11, v15 :: v_dual_cndmask_b32 v12, v16, v12
	v_cmp_ngt_f64_e32 vcc_lo, v[9:10], v[11:12]
	v_add_f64 v[9:10], v[1:2], -v[21:22]
	v_add_f64 v[11:12], v[3:4], -v[17:18]
	s_cbranch_vccz .LBB238_144
; %bb.143:                              ;   in Loop: Header=BB238_127 Depth=1
	v_div_scale_f64 v[1:2], null, v[15:16], v[15:16], v[13:14]
	v_div_scale_f64 v[7:8], vcc_lo, v[13:14], v[15:16], v[13:14]
	s_delay_alu instid0(VALU_DEP_2) | instskip(SKIP_2) | instid1(VALU_DEP_1)
	v_rcp_f64_e32 v[3:4], v[1:2]
	s_waitcnt_depctr 0xfff
	v_fma_f64 v[5:6], -v[1:2], v[3:4], 1.0
	v_fma_f64 v[3:4], v[3:4], v[5:6], v[3:4]
	s_delay_alu instid0(VALU_DEP_1) | instskip(NEXT) | instid1(VALU_DEP_1)
	v_fma_f64 v[5:6], -v[1:2], v[3:4], 1.0
	v_fma_f64 v[3:4], v[3:4], v[5:6], v[3:4]
	s_delay_alu instid0(VALU_DEP_1) | instskip(NEXT) | instid1(VALU_DEP_1)
	v_mul_f64 v[5:6], v[7:8], v[3:4]
	v_fma_f64 v[1:2], -v[1:2], v[5:6], v[7:8]
	s_delay_alu instid0(VALU_DEP_1) | instskip(NEXT) | instid1(VALU_DEP_1)
	v_div_fmas_f64 v[1:2], v[1:2], v[3:4], v[5:6]
	v_div_fixup_f64 v[1:2], v[1:2], v[15:16], v[13:14]
	s_delay_alu instid0(VALU_DEP_1) | instskip(NEXT) | instid1(VALU_DEP_1)
	v_fma_f64 v[3:4], v[13:14], v[1:2], v[15:16]
	v_div_scale_f64 v[5:6], null, v[3:4], v[3:4], 1.0
	v_div_scale_f64 v[19:20], vcc_lo, 1.0, v[3:4], 1.0
	s_delay_alu instid0(VALU_DEP_2) | instskip(SKIP_2) | instid1(VALU_DEP_1)
	v_rcp_f64_e32 v[7:8], v[5:6]
	s_waitcnt_depctr 0xfff
	v_fma_f64 v[17:18], -v[5:6], v[7:8], 1.0
	v_fma_f64 v[7:8], v[7:8], v[17:18], v[7:8]
	s_delay_alu instid0(VALU_DEP_1) | instskip(NEXT) | instid1(VALU_DEP_1)
	v_fma_f64 v[17:18], -v[5:6], v[7:8], 1.0
	v_fma_f64 v[7:8], v[7:8], v[17:18], v[7:8]
	s_delay_alu instid0(VALU_DEP_1) | instskip(NEXT) | instid1(VALU_DEP_1)
	v_mul_f64 v[17:18], v[19:20], v[7:8]
	v_fma_f64 v[5:6], -v[5:6], v[17:18], v[19:20]
	s_delay_alu instid0(VALU_DEP_1) | instskip(SKIP_1) | instid1(VALU_DEP_2)
	v_div_fmas_f64 v[5:6], v[5:6], v[7:8], v[17:18]
	v_fma_f64 v[7:8], v[1:2], v[9:10], v[11:12]
	v_div_fixup_f64 v[3:4], v[5:6], v[3:4], 1.0
	v_fma_f64 v[5:6], v[1:2], v[11:12], -v[9:10]
	s_delay_alu instid0(VALU_DEP_2) | instskip(NEXT) | instid1(VALU_DEP_2)
	v_mul_f64 v[1:2], v[7:8], v[3:4]
	v_mul_f64 v[3:4], v[5:6], v[3:4]
	s_cbranch_execz .LBB238_145
	s_branch .LBB238_146
.LBB238_144:                            ;   in Loop: Header=BB238_127 Depth=1
                                        ; implicit-def: $vgpr3_vgpr4
.LBB238_145:                            ;   in Loop: Header=BB238_127 Depth=1
	v_div_scale_f64 v[1:2], null, v[13:14], v[13:14], v[15:16]
	v_div_scale_f64 v[7:8], vcc_lo, v[15:16], v[13:14], v[15:16]
	s_delay_alu instid0(VALU_DEP_2) | instskip(SKIP_2) | instid1(VALU_DEP_1)
	v_rcp_f64_e32 v[3:4], v[1:2]
	s_waitcnt_depctr 0xfff
	v_fma_f64 v[5:6], -v[1:2], v[3:4], 1.0
	v_fma_f64 v[3:4], v[3:4], v[5:6], v[3:4]
	s_delay_alu instid0(VALU_DEP_1) | instskip(NEXT) | instid1(VALU_DEP_1)
	v_fma_f64 v[5:6], -v[1:2], v[3:4], 1.0
	v_fma_f64 v[3:4], v[3:4], v[5:6], v[3:4]
	s_delay_alu instid0(VALU_DEP_1) | instskip(NEXT) | instid1(VALU_DEP_1)
	v_mul_f64 v[5:6], v[7:8], v[3:4]
	v_fma_f64 v[1:2], -v[1:2], v[5:6], v[7:8]
	s_delay_alu instid0(VALU_DEP_1) | instskip(NEXT) | instid1(VALU_DEP_1)
	v_div_fmas_f64 v[1:2], v[1:2], v[3:4], v[5:6]
	v_div_fixup_f64 v[1:2], v[1:2], v[13:14], v[15:16]
	s_delay_alu instid0(VALU_DEP_1) | instskip(NEXT) | instid1(VALU_DEP_1)
	v_fma_f64 v[3:4], v[15:16], v[1:2], v[13:14]
	v_div_scale_f64 v[5:6], null, v[3:4], v[3:4], 1.0
	v_div_scale_f64 v[15:16], vcc_lo, 1.0, v[3:4], 1.0
	s_delay_alu instid0(VALU_DEP_2) | instskip(SKIP_2) | instid1(VALU_DEP_1)
	v_rcp_f64_e32 v[7:8], v[5:6]
	s_waitcnt_depctr 0xfff
	v_fma_f64 v[13:14], -v[5:6], v[7:8], 1.0
	v_fma_f64 v[7:8], v[7:8], v[13:14], v[7:8]
	s_delay_alu instid0(VALU_DEP_1) | instskip(NEXT) | instid1(VALU_DEP_1)
	v_fma_f64 v[13:14], -v[5:6], v[7:8], 1.0
	v_fma_f64 v[7:8], v[7:8], v[13:14], v[7:8]
	s_delay_alu instid0(VALU_DEP_1) | instskip(NEXT) | instid1(VALU_DEP_1)
	v_mul_f64 v[13:14], v[15:16], v[7:8]
	v_fma_f64 v[5:6], -v[5:6], v[13:14], v[15:16]
	s_delay_alu instid0(VALU_DEP_1) | instskip(SKIP_1) | instid1(VALU_DEP_2)
	v_div_fmas_f64 v[5:6], v[5:6], v[7:8], v[13:14]
	v_fma_f64 v[7:8], v[1:2], v[11:12], v[9:10]
	v_div_fixup_f64 v[3:4], v[5:6], v[3:4], 1.0
	v_fma_f64 v[5:6], -v[1:2], v[9:10], v[11:12]
	s_delay_alu instid0(VALU_DEP_2) | instskip(NEXT) | instid1(VALU_DEP_2)
	v_mul_f64 v[1:2], v[7:8], v[3:4]
	v_mul_f64 v[3:4], v[5:6], v[3:4]
.LBB238_146:                            ;   in Loop: Header=BB238_127 Depth=1
	s_add_i32 s5, s4, 4
	s_add_i32 s4, s4, 7
	s_addk_i32 s1, 0x800
	s_cmp_ge_i32 s4, s29
	ds_store_b128 v26, v[1:4]
	s_cbranch_scc1 .LBB238_148
; %bb.147:                              ;   in Loop: Header=BB238_127 Depth=1
	s_mov_b32 s4, s5
	s_branch .LBB238_127
.LBB238_148:
	s_cmp_ge_i32 s5, s29
	s_cbranch_scc1 .LBB238_163
; %bb.149:
	v_lshl_or_b32 v13, v0, 4, 0x4000
	v_lshlrev_b32_e32 v14, 4, v0
	s_add_i32 s1, s5, -1
	s_lshl_b32 s4, s5, 9
	s_mov_b32 s6, 0
	s_mov_b32 s7, s5
	s_branch .LBB238_151
.LBB238_150:                            ;   in Loop: Header=BB238_151 Depth=1
	v_add_nc_u16 v1, s7, 1
	s_add_i32 s5, s5, 1
	s_add_i32 s6, s6, 1
	s_addk_i32 s4, 0x200
	s_cmp_ge_i32 s5, s29
	v_readfirstlane_b32 s7, v1
	ds_store_b128 v15, v[9:12]
	s_cbranch_scc1 .LBB238_163
.LBB238_151:                            ; =>This Loop Header: Depth=1
                                        ;     Child Loop BB238_154 Depth 2
                                        ;     Child Loop BB238_158 Depth 2
	v_lshl_or_b32 v5, s5, 9, v14
	s_cmp_eq_u32 s5, 0
	ds_load_b128 v[1:4], v5 offset:16384
	s_cbranch_scc1 .LBB238_159
; %bb.152:                              ;   in Loop: Header=BB238_151 Depth=1
	s_add_i32 s10, s1, s6
	s_delay_alu instid0(SALU_CYCLE_1)
	s_cmp_lt_u32 s10, 3
	s_cbranch_scc1 .LBB238_156
; %bb.153:                              ;   in Loop: Header=BB238_151 Depth=1
	v_mov_b32_e32 v6, v13
	s_and_b32 s10, s5, -4
	s_mov_b32 s11, 0
	s_mov_b32 s14, s4
.LBB238_154:                            ;   Parent Loop BB238_151 Depth=1
                                        ; =>  This Inner Loop Header: Depth=2
	s_delay_alu instid0(SALU_CYCLE_1)
	v_mov_b32_e32 v31, s14
	s_add_i32 s11, s11, 4
	s_add_i32 s14, s14, 64
	s_cmp_eq_u32 s10, s11
	ds_load_b128 v[7:10], v6
	ds_load_b128 v[15:18], v31
	ds_load_b128 v[19:22], v6 offset:512
	ds_load_b128 v[23:26], v31 offset:16
	s_waitcnt lgkmcnt(2)
	v_mul_f64 v[11:12], v[17:18], v[9:10]
	v_mul_f64 v[9:10], v[15:16], v[9:10]
	s_waitcnt lgkmcnt(0)
	v_mul_f64 v[35:36], v[25:26], v[21:22]
	v_mul_f64 v[21:22], v[23:24], v[21:22]
	s_delay_alu instid0(VALU_DEP_4) | instskip(NEXT) | instid1(VALU_DEP_4)
	v_fma_f64 v[11:12], v[15:16], v[7:8], -v[11:12]
	v_fma_f64 v[37:38], v[17:18], v[7:8], v[9:10]
	ds_load_b128 v[7:10], v6 offset:1024
	ds_load_b128 v[15:18], v31 offset:32
	;; [unrolled: 1-line block ×4, first 2 shown]
	v_add_nc_u32_e32 v6, 0x800, v6
	v_fma_f64 v[23:24], v[23:24], v[19:20], -v[35:36]
	v_fma_f64 v[19:20], v[25:26], v[19:20], v[21:22]
	s_waitcnt lgkmcnt(2)
	v_mul_f64 v[39:40], v[17:18], v[9:10]
	v_mul_f64 v[9:10], v[15:16], v[9:10]
	s_waitcnt lgkmcnt(0)
	v_mul_f64 v[21:22], v[31:32], v[29:30]
	v_add_f64 v[1:2], v[1:2], -v[11:12]
	v_add_f64 v[3:4], v[3:4], -v[37:38]
	v_mul_f64 v[11:12], v[33:34], v[29:30]
	v_fma_f64 v[15:16], v[15:16], v[7:8], -v[39:40]
	v_fma_f64 v[7:8], v[17:18], v[7:8], v[9:10]
	v_add_f64 v[1:2], v[1:2], -v[23:24]
	v_add_f64 v[3:4], v[3:4], -v[19:20]
	v_fma_f64 v[9:10], v[31:32], v[27:28], -v[11:12]
	v_fma_f64 v[11:12], v[33:34], v[27:28], v[21:22]
	s_delay_alu instid0(VALU_DEP_4) | instskip(NEXT) | instid1(VALU_DEP_4)
	v_add_f64 v[1:2], v[1:2], -v[15:16]
	v_add_f64 v[3:4], v[3:4], -v[7:8]
	s_delay_alu instid0(VALU_DEP_2) | instskip(NEXT) | instid1(VALU_DEP_2)
	v_add_f64 v[1:2], v[1:2], -v[9:10]
	v_add_f64 v[3:4], v[3:4], -v[11:12]
	s_cbranch_scc0 .LBB238_154
; %bb.155:                              ;   in Loop: Header=BB238_151 Depth=1
	s_and_b32 s11, s5, 3
	s_delay_alu instid0(SALU_CYCLE_1)
	s_cmp_eq_u32 s11, 0
	s_cbranch_scc0 .LBB238_157
	s_branch .LBB238_159
.LBB238_156:                            ;   in Loop: Header=BB238_151 Depth=1
	s_mov_b32 s10, 0
	s_and_b32 s11, s5, 3
	s_delay_alu instid0(SALU_CYCLE_1)
	s_cmp_eq_u32 s11, 0
	s_cbranch_scc1 .LBB238_159
.LBB238_157:                            ;   in Loop: Header=BB238_151 Depth=1
	v_lshl_add_u32 v6, s10, 9, v13
	s_and_b32 s11, s7, 3
	s_lshl_b32 s10, s10, 4
	.p2align	6
.LBB238_158:                            ;   Parent Loop BB238_151 Depth=1
                                        ; =>  This Inner Loop Header: Depth=2
	s_delay_alu instid0(SALU_CYCLE_1)
	s_add_i32 s14, s4, s10
	s_add_i32 s11, s11, -1
	v_mov_b32_e32 v11, s14
	s_add_i32 s10, s10, 16
	s_cmp_lg_u32 s11, 0
	ds_load_b128 v[7:10], v6
	ds_load_b128 v[15:18], v11
	v_add_nc_u32_e32 v6, 0x200, v6
	s_waitcnt lgkmcnt(0)
	v_mul_f64 v[11:12], v[17:18], v[9:10]
	v_mul_f64 v[9:10], v[15:16], v[9:10]
	s_delay_alu instid0(VALU_DEP_2) | instskip(NEXT) | instid1(VALU_DEP_2)
	v_fma_f64 v[11:12], v[15:16], v[7:8], -v[11:12]
	v_fma_f64 v[7:8], v[17:18], v[7:8], v[9:10]
	s_delay_alu instid0(VALU_DEP_2) | instskip(NEXT) | instid1(VALU_DEP_2)
	v_add_f64 v[1:2], v[1:2], -v[11:12]
	v_add_f64 v[3:4], v[3:4], -v[7:8]
	s_cbranch_scc1 .LBB238_158
.LBB238_159:                            ;   in Loop: Header=BB238_151 Depth=1
	s_mul_i32 s10, s5, 0x210
	v_add_nc_u32_e32 v15, 0x4000, v5
	v_mov_b32_e32 v5, s10
	ds_load_b128 v[5:8], v5
	s_waitcnt lgkmcnt(0)
	v_cmp_gt_f64_e32 vcc_lo, 0, v[5:6]
	v_xor_b32_e32 v10, 0x80000000, v6
	v_xor_b32_e32 v11, 0x80000000, v8
	s_delay_alu instid0(VALU_DEP_2) | instskip(SKIP_1) | instid1(VALU_DEP_3)
	v_dual_mov_b32 v9, v5 :: v_dual_cndmask_b32 v10, v6, v10
	v_cmp_gt_f64_e32 vcc_lo, 0, v[7:8]
	v_dual_cndmask_b32 v12, v8, v11 :: v_dual_mov_b32 v11, v7
	s_delay_alu instid0(VALU_DEP_1)
	v_cmp_ngt_f64_e32 vcc_lo, v[9:10], v[11:12]
	s_cbranch_vccz .LBB238_161
; %bb.160:                              ;   in Loop: Header=BB238_151 Depth=1
	v_div_scale_f64 v[9:10], null, v[7:8], v[7:8], v[5:6]
	v_div_scale_f64 v[18:19], vcc_lo, v[5:6], v[7:8], v[5:6]
	s_delay_alu instid0(VALU_DEP_2) | instskip(SKIP_2) | instid1(VALU_DEP_1)
	v_rcp_f64_e32 v[11:12], v[9:10]
	s_waitcnt_depctr 0xfff
	v_fma_f64 v[16:17], -v[9:10], v[11:12], 1.0
	v_fma_f64 v[11:12], v[11:12], v[16:17], v[11:12]
	s_delay_alu instid0(VALU_DEP_1) | instskip(NEXT) | instid1(VALU_DEP_1)
	v_fma_f64 v[16:17], -v[9:10], v[11:12], 1.0
	v_fma_f64 v[11:12], v[11:12], v[16:17], v[11:12]
	s_delay_alu instid0(VALU_DEP_1) | instskip(NEXT) | instid1(VALU_DEP_1)
	v_mul_f64 v[16:17], v[18:19], v[11:12]
	v_fma_f64 v[9:10], -v[9:10], v[16:17], v[18:19]
	s_delay_alu instid0(VALU_DEP_1) | instskip(NEXT) | instid1(VALU_DEP_1)
	v_div_fmas_f64 v[9:10], v[9:10], v[11:12], v[16:17]
	v_div_fixup_f64 v[9:10], v[9:10], v[7:8], v[5:6]
	s_delay_alu instid0(VALU_DEP_1) | instskip(NEXT) | instid1(VALU_DEP_1)
	v_fma_f64 v[11:12], v[5:6], v[9:10], v[7:8]
	v_div_scale_f64 v[16:17], null, v[11:12], v[11:12], 1.0
	v_div_scale_f64 v[22:23], vcc_lo, 1.0, v[11:12], 1.0
	s_delay_alu instid0(VALU_DEP_2) | instskip(SKIP_2) | instid1(VALU_DEP_1)
	v_rcp_f64_e32 v[18:19], v[16:17]
	s_waitcnt_depctr 0xfff
	v_fma_f64 v[20:21], -v[16:17], v[18:19], 1.0
	v_fma_f64 v[18:19], v[18:19], v[20:21], v[18:19]
	s_delay_alu instid0(VALU_DEP_1) | instskip(NEXT) | instid1(VALU_DEP_1)
	v_fma_f64 v[20:21], -v[16:17], v[18:19], 1.0
	v_fma_f64 v[18:19], v[18:19], v[20:21], v[18:19]
	s_delay_alu instid0(VALU_DEP_1) | instskip(NEXT) | instid1(VALU_DEP_1)
	v_mul_f64 v[20:21], v[22:23], v[18:19]
	v_fma_f64 v[16:17], -v[16:17], v[20:21], v[22:23]
	s_delay_alu instid0(VALU_DEP_1) | instskip(SKIP_1) | instid1(VALU_DEP_2)
	v_div_fmas_f64 v[16:17], v[16:17], v[18:19], v[20:21]
	v_fma_f64 v[18:19], v[1:2], v[9:10], v[3:4]
	v_div_fixup_f64 v[11:12], v[16:17], v[11:12], 1.0
	v_fma_f64 v[16:17], v[3:4], v[9:10], -v[1:2]
	s_delay_alu instid0(VALU_DEP_2) | instskip(NEXT) | instid1(VALU_DEP_2)
	v_mul_f64 v[9:10], v[18:19], v[11:12]
	v_mul_f64 v[11:12], v[16:17], v[11:12]
	s_cbranch_execnz .LBB238_150
	s_branch .LBB238_162
.LBB238_161:                            ;   in Loop: Header=BB238_151 Depth=1
                                        ; implicit-def: $vgpr9_vgpr10
.LBB238_162:                            ;   in Loop: Header=BB238_151 Depth=1
	v_div_scale_f64 v[9:10], null, v[5:6], v[5:6], v[7:8]
	v_div_scale_f64 v[18:19], vcc_lo, v[7:8], v[5:6], v[7:8]
	s_delay_alu instid0(VALU_DEP_2) | instskip(SKIP_2) | instid1(VALU_DEP_1)
	v_rcp_f64_e32 v[11:12], v[9:10]
	s_waitcnt_depctr 0xfff
	v_fma_f64 v[16:17], -v[9:10], v[11:12], 1.0
	v_fma_f64 v[11:12], v[11:12], v[16:17], v[11:12]
	s_delay_alu instid0(VALU_DEP_1) | instskip(NEXT) | instid1(VALU_DEP_1)
	v_fma_f64 v[16:17], -v[9:10], v[11:12], 1.0
	v_fma_f64 v[11:12], v[11:12], v[16:17], v[11:12]
	s_delay_alu instid0(VALU_DEP_1) | instskip(NEXT) | instid1(VALU_DEP_1)
	v_mul_f64 v[16:17], v[18:19], v[11:12]
	v_fma_f64 v[9:10], -v[9:10], v[16:17], v[18:19]
	s_delay_alu instid0(VALU_DEP_1) | instskip(NEXT) | instid1(VALU_DEP_1)
	v_div_fmas_f64 v[9:10], v[9:10], v[11:12], v[16:17]
	v_div_fixup_f64 v[9:10], v[9:10], v[5:6], v[7:8]
	s_delay_alu instid0(VALU_DEP_1) | instskip(NEXT) | instid1(VALU_DEP_1)
	v_fma_f64 v[5:6], v[7:8], v[9:10], v[5:6]
	v_div_scale_f64 v[7:8], null, v[5:6], v[5:6], 1.0
	v_div_scale_f64 v[18:19], vcc_lo, 1.0, v[5:6], 1.0
	s_delay_alu instid0(VALU_DEP_2) | instskip(SKIP_2) | instid1(VALU_DEP_1)
	v_rcp_f64_e32 v[11:12], v[7:8]
	s_waitcnt_depctr 0xfff
	v_fma_f64 v[16:17], -v[7:8], v[11:12], 1.0
	v_fma_f64 v[11:12], v[11:12], v[16:17], v[11:12]
	s_delay_alu instid0(VALU_DEP_1) | instskip(NEXT) | instid1(VALU_DEP_1)
	v_fma_f64 v[16:17], -v[7:8], v[11:12], 1.0
	v_fma_f64 v[11:12], v[11:12], v[16:17], v[11:12]
	s_delay_alu instid0(VALU_DEP_1) | instskip(NEXT) | instid1(VALU_DEP_1)
	v_mul_f64 v[16:17], v[18:19], v[11:12]
	v_fma_f64 v[7:8], -v[7:8], v[16:17], v[18:19]
	s_delay_alu instid0(VALU_DEP_1) | instskip(SKIP_2) | instid1(VALU_DEP_3)
	v_div_fmas_f64 v[7:8], v[7:8], v[11:12], v[16:17]
	v_fma_f64 v[11:12], v[3:4], v[9:10], v[1:2]
	v_fma_f64 v[1:2], -v[1:2], v[9:10], v[3:4]
	v_div_fixup_f64 v[5:6], v[7:8], v[5:6], 1.0
	s_delay_alu instid0(VALU_DEP_1) | instskip(NEXT) | instid1(VALU_DEP_3)
	v_mul_f64 v[9:10], v[11:12], v[5:6]
	v_mul_f64 v[11:12], v[1:2], v[5:6]
	s_branch .LBB238_150
.LBB238_163:
	s_and_saveexec_b32 s1, s20
	s_cbranch_execz .LBB238_170
; %bb.164:
	v_lshlrev_b32_e32 v3, 4, v0
	s_ashr_i32 s1, s0, 31
	s_cmp_lt_u32 s28, 4
	s_mov_b32 s14, 0
	s_cbranch_scc1 .LBB238_167
; %bb.165:
	v_add_co_u32 v1, s4, s18, v3
	s_delay_alu instid0(VALU_DEP_1)
	v_add_co_ci_u32_e64 v2, null, s19, 0, s4
	v_lshl_or_b32 v0, v0, 4, 0x4000
	s_and_b32 s14, s28, 0x7ffffffc
	s_mul_hi_i32 s15, s0, 48
	s_mul_i32 s16, s0, 48
	s_lshl_b64 s[4:5], s[0:1], 6
	s_lshl_b64 s[6:7], s[0:1], 5
	;; [unrolled: 1-line block ×3, first 2 shown]
	s_mov_b32 s17, 0
	s_set_inst_prefetch_distance 0x1
	.p2align	6
.LBB238_166:                            ; =>This Inner Loop Header: Depth=1
	ds_load_2addr_b64 v[4:7], v0 offset1:1
	ds_load_2addr_b64 v[8:11], v0 offset0:64 offset1:65
	ds_load_2addr_b64 v[12:15], v0 offset0:128 offset1:129
	;; [unrolled: 1-line block ×3, first 2 shown]
	v_add_co_u32 v20, vcc_lo, v1, s10
	v_add_co_ci_u32_e32 v21, vcc_lo, s11, v2, vcc_lo
	v_add_co_u32 v22, vcc_lo, v1, s6
	v_add_co_ci_u32_e32 v23, vcc_lo, s7, v2, vcc_lo
	;; [unrolled: 2-line block ×3, first 2 shown]
	v_add_nc_u32_e32 v0, 0x800, v0
	s_add_i32 s17, s17, 4
	s_delay_alu instid0(SALU_CYCLE_1)
	s_cmp_lg_u32 s14, s17
	s_waitcnt lgkmcnt(3)
	global_store_b128 v[1:2], v[4:7], off
	v_add_co_u32 v1, vcc_lo, v1, s4
	v_add_co_ci_u32_e32 v2, vcc_lo, s5, v2, vcc_lo
	s_waitcnt lgkmcnt(2)
	global_store_b128 v[20:21], v[8:11], off
	s_waitcnt lgkmcnt(1)
	global_store_b128 v[22:23], v[12:15], off
	;; [unrolled: 2-line block ×3, first 2 shown]
	s_cbranch_scc1 .LBB238_166
.LBB238_167:
	s_set_inst_prefetch_distance 0x2
	s_and_b32 s4, s28, 3
	s_delay_alu instid0(SALU_CYCLE_1)
	s_cmp_eq_u32 s4, 0
	s_cbranch_scc1 .LBB238_170
; %bb.168:
	s_mul_hi_i32 s7, s0, s14
	s_mul_i32 s6, s0, s14
	v_lshl_or_b32 v2, s14, 9, v3
	s_lshl_b64 s[6:7], s[6:7], 4
	s_delay_alu instid0(SALU_CYCLE_1)
	s_add_u32 s5, s6, s8
	s_addc_u32 s6, s7, s9
	s_add_u32 s2, s5, s2
	s_addc_u32 s3, s6, s3
	;; [unrolled: 2-line block ×3, first 2 shown]
	v_add_co_u32 v0, s2, s2, v3
	s_delay_alu instid0(VALU_DEP_1)
	v_add_co_ci_u32_e64 v1, null, s3, 0, s2
	v_add_nc_u32_e32 v2, 0x4000, v2
	s_lshl_b64 s[0:1], s[0:1], 4
.LBB238_169:                            ; =>This Inner Loop Header: Depth=1
	ds_load_2addr_b64 v[3:6], v2 offset1:1
	v_add_nc_u32_e32 v2, 0x200, v2
	s_add_i32 s4, s4, -1
	s_delay_alu instid0(SALU_CYCLE_1)
	s_cmp_lg_u32 s4, 0
	s_waitcnt lgkmcnt(0)
	global_store_b128 v[0:1], v[3:6], off
	v_add_co_u32 v0, vcc_lo, v0, s0
	v_add_co_ci_u32_e32 v1, vcc_lo, s1, v1, vcc_lo
	s_cbranch_scc1 .LBB238_169
.LBB238_170:
	s_nop 0
	s_sendmsg sendmsg(MSG_DEALLOC_VGPRS)
	s_endpgm
	.section	.rodata,"a",@progbits
	.p2align	6, 0x0
	.amdhsa_kernel _ZL31rocblas_trsm_small_right_deviceI19rocblas_complex_numIdES1_PKPKS1_PKPS1_Li32EEv13rocblas_fill_18rocblas_operation_17rocblas_diagonal_iiT0_T1_lilT2_lili
		.amdhsa_group_segment_fixed_size 32768
		.amdhsa_private_segment_fixed_size 0
		.amdhsa_kernarg_size 368
		.amdhsa_user_sgpr_count 14
		.amdhsa_user_sgpr_dispatch_ptr 0
		.amdhsa_user_sgpr_queue_ptr 0
		.amdhsa_user_sgpr_kernarg_segment_ptr 1
		.amdhsa_user_sgpr_dispatch_id 0
		.amdhsa_user_sgpr_private_segment_size 0
		.amdhsa_wavefront_size32 1
		.amdhsa_uses_dynamic_stack 0
		.amdhsa_enable_private_segment 0
		.amdhsa_system_sgpr_workgroup_id_x 1
		.amdhsa_system_sgpr_workgroup_id_y 0
		.amdhsa_system_sgpr_workgroup_id_z 1
		.amdhsa_system_sgpr_workgroup_info 0
		.amdhsa_system_vgpr_workitem_id 0
		.amdhsa_next_free_vgpr 81
		.amdhsa_next_free_sgpr 32
		.amdhsa_reserve_vcc 1
		.amdhsa_float_round_mode_32 0
		.amdhsa_float_round_mode_16_64 0
		.amdhsa_float_denorm_mode_32 3
		.amdhsa_float_denorm_mode_16_64 3
		.amdhsa_dx10_clamp 1
		.amdhsa_ieee_mode 1
		.amdhsa_fp16_overflow 0
		.amdhsa_workgroup_processor_mode 1
		.amdhsa_memory_ordered 1
		.amdhsa_forward_progress 0
		.amdhsa_shared_vgpr_count 0
		.amdhsa_exception_fp_ieee_invalid_op 0
		.amdhsa_exception_fp_denorm_src 0
		.amdhsa_exception_fp_ieee_div_zero 0
		.amdhsa_exception_fp_ieee_overflow 0
		.amdhsa_exception_fp_ieee_underflow 0
		.amdhsa_exception_fp_ieee_inexact 0
		.amdhsa_exception_int_div_zero 0
	.end_amdhsa_kernel
	.section	.text._ZL31rocblas_trsm_small_right_deviceI19rocblas_complex_numIdES1_PKPKS1_PKPS1_Li32EEv13rocblas_fill_18rocblas_operation_17rocblas_diagonal_iiT0_T1_lilT2_lili,"axG",@progbits,_ZL31rocblas_trsm_small_right_deviceI19rocblas_complex_numIdES1_PKPKS1_PKPS1_Li32EEv13rocblas_fill_18rocblas_operation_17rocblas_diagonal_iiT0_T1_lilT2_lili,comdat
.Lfunc_end238:
	.size	_ZL31rocblas_trsm_small_right_deviceI19rocblas_complex_numIdES1_PKPKS1_PKPS1_Li32EEv13rocblas_fill_18rocblas_operation_17rocblas_diagonal_iiT0_T1_lilT2_lili, .Lfunc_end238-_ZL31rocblas_trsm_small_right_deviceI19rocblas_complex_numIdES1_PKPKS1_PKPS1_Li32EEv13rocblas_fill_18rocblas_operation_17rocblas_diagonal_iiT0_T1_lilT2_lili
                                        ; -- End function
	.section	.AMDGPU.csdata,"",@progbits
; Kernel info:
; codeLenInByte = 20396
; NumSgprs: 34
; NumVgprs: 81
; ScratchSize: 0
; MemoryBound: 0
; FloatMode: 240
; IeeeMode: 1
; LDSByteSize: 32768 bytes/workgroup (compile time only)
; SGPRBlocks: 4
; VGPRBlocks: 10
; NumSGPRsForWavesPerEU: 34
; NumVGPRsForWavesPerEU: 81
; Occupancy: 1
; WaveLimiterHint : 0
; COMPUTE_PGM_RSRC2:SCRATCH_EN: 0
; COMPUTE_PGM_RSRC2:USER_SGPR: 14
; COMPUTE_PGM_RSRC2:TRAP_HANDLER: 0
; COMPUTE_PGM_RSRC2:TGID_X_EN: 1
; COMPUTE_PGM_RSRC2:TGID_Y_EN: 0
; COMPUTE_PGM_RSRC2:TGID_Z_EN: 1
; COMPUTE_PGM_RSRC2:TIDIG_COMP_CNT: 0
	.section	.text._ZL33rocblas_trsm_small_64_left_deviceI19rocblas_complex_numIdES1_PKPKS1_PKPS1_Li64EEv13rocblas_fill_18rocblas_operation_17rocblas_diagonal_iiT0_T1_lilT2_lili,"axG",@progbits,_ZL33rocblas_trsm_small_64_left_deviceI19rocblas_complex_numIdES1_PKPKS1_PKPS1_Li64EEv13rocblas_fill_18rocblas_operation_17rocblas_diagonal_iiT0_T1_lilT2_lili,comdat
	.globl	_ZL33rocblas_trsm_small_64_left_deviceI19rocblas_complex_numIdES1_PKPKS1_PKPS1_Li64EEv13rocblas_fill_18rocblas_operation_17rocblas_diagonal_iiT0_T1_lilT2_lili ; -- Begin function _ZL33rocblas_trsm_small_64_left_deviceI19rocblas_complex_numIdES1_PKPKS1_PKPS1_Li64EEv13rocblas_fill_18rocblas_operation_17rocblas_diagonal_iiT0_T1_lilT2_lili
	.p2align	8
	.type	_ZL33rocblas_trsm_small_64_left_deviceI19rocblas_complex_numIdES1_PKPKS1_PKPS1_Li64EEv13rocblas_fill_18rocblas_operation_17rocblas_diagonal_iiT0_T1_lilT2_lili,@function
_ZL33rocblas_trsm_small_64_left_deviceI19rocblas_complex_numIdES1_PKPKS1_PKPS1_Li64EEv13rocblas_fill_18rocblas_operation_17rocblas_diagonal_iiT0_T1_lilT2_lili: ; @_ZL33rocblas_trsm_small_64_left_deviceI19rocblas_complex_numIdES1_PKPKS1_PKPS1_Li64EEv13rocblas_fill_18rocblas_operation_17rocblas_diagonal_iiT0_T1_lilT2_lili
; %bb.0:
	s_clause 0x2
	s_load_b32 s34, s[0:1], 0x58
	s_load_b256 s[4:11], s[0:1], 0x18
	s_load_b128 s[16:19], s[0:1], 0x48
	s_mov_b32 s12, s15
	s_mov_b32 s13, 0
	s_delay_alu instid0(SALU_CYCLE_1)
	s_lshl_b64 s[2:3], s[12:13], 3
	s_load_b32 s12, s[0:1], 0x70
	s_waitcnt lgkmcnt(0)
	s_ashr_i32 s35, s34, 31
	s_add_u32 s8, s8, s2
	s_addc_u32 s9, s9, s3
	s_add_u32 s2, s16, s2
	s_addc_u32 s3, s17, s3
	s_lshl_b64 s[42:43], s[18:19], 4
	s_load_b64 s[40:41], s[2:3], 0x0
	s_clause 0x1
	s_load_b128 s[36:39], s[0:1], 0x0
	s_load_b32 s15, s[0:1], 0x10
	s_load_b64 s[2:3], s[8:9], 0x0
	s_waitcnt lgkmcnt(0)
	s_add_u32 s16, s40, s42
	s_addc_u32 s17, s41, s43
	s_lshl_b32 s44, s14, 6
	s_add_i32 s12, s12, -1
	s_min_i32 s60, s39, 64
	s_sub_i32 s15, s15, s44
	s_mul_hi_i32 s9, s34, s44
	s_cmp_ge_u32 s14, s12
	s_mul_i32 s8, s34, s44
	s_cselect_b32 s33, s15, 64
	s_lshl_b64 s[8:9], s[8:9], 4
	s_ashr_i32 s45, s44, 31
	s_add_u32 s58, s16, s8
	s_addc_u32 s59, s17, s9
	v_cmp_gt_i32_e32 vcc_lo, s60, v0
	s_cmp_gt_i32 s33, 0
	s_cselect_b32 s61, -1, 0
	s_delay_alu instid0(SALU_CYCLE_1) | instskip(NEXT) | instid1(SALU_CYCLE_1)
	s_and_b32 s8, vcc_lo, s61
	s_and_saveexec_b32 s12, s8
	s_cbranch_execz .LBB239_7
; %bb.1:
	s_cmp_lt_u32 s33, 4
	s_cbranch_scc1 .LBB239_4
; %bb.2:
	v_lshlrev_b32_e32 v3, 4, v0
	s_and_b32 s13, s33, 0x7ffffffc
	s_lshl_b64 s[14:15], s[34:35], 4
	s_mov_b32 s16, 0
	s_delay_alu instid0(VALU_DEP_1) | instskip(NEXT) | instid1(VALU_DEP_1)
	v_add_co_u32 v1, s8, s58, v3
	v_add_co_ci_u32_e64 v2, null, s59, 0, s8
	s_lshl_b64 s[8:9], s[34:35], 6
.LBB239_3:                              ; =>This Inner Loop Header: Depth=1
	s_delay_alu instid0(VALU_DEP_2) | instskip(NEXT) | instid1(VALU_DEP_2)
	v_add_co_u32 v8, vcc_lo, v1, s14
	v_add_co_ci_u32_e32 v9, vcc_lo, s15, v2, vcc_lo
	global_load_b128 v[4:7], v[1:2], off
	v_add_co_u32 v12, vcc_lo, v8, s14
	v_add_co_ci_u32_e32 v13, vcc_lo, s15, v9, vcc_lo
	global_load_b128 v[8:11], v[8:9], off
	v_add_co_u32 v16, vcc_lo, v12, s14
	v_add_co_ci_u32_e32 v17, vcc_lo, s15, v13, vcc_lo
	v_add_co_u32 v1, vcc_lo, v1, s8
	s_clause 0x1
	global_load_b128 v[12:15], v[12:13], off
	global_load_b128 v[16:19], v[16:17], off
	v_add_co_ci_u32_e32 v2, vcc_lo, s9, v2, vcc_lo
	s_add_i32 s16, s16, 4
	s_delay_alu instid0(SALU_CYCLE_1)
	s_cmp_lg_u32 s13, s16
	s_waitcnt vmcnt(3)
	v_mul_f64 v[20:21], s[6:7], v[6:7]
	v_mul_f64 v[6:7], s[4:5], v[6:7]
	s_waitcnt vmcnt(2)
	v_mul_f64 v[22:23], s[6:7], v[10:11]
	v_mul_f64 v[10:11], s[4:5], v[10:11]
	;; [unrolled: 3-line block ×4, first 2 shown]
	v_fma_f64 v[18:19], s[4:5], v[4:5], -v[20:21]
	v_fma_f64 v[20:21], s[6:7], v[4:5], v[6:7]
	v_fma_f64 v[4:5], s[4:5], v[8:9], -v[22:23]
	v_fma_f64 v[6:7], s[6:7], v[8:9], v[10:11]
	;; [unrolled: 2-line block ×4, first 2 shown]
	ds_store_b128 v3, v[18:21]
	ds_store_b128 v3, v[4:7] offset:1024
	ds_store_b128 v3, v[8:11] offset:2048
	;; [unrolled: 1-line block ×3, first 2 shown]
	v_add_nc_u32_e32 v3, 0x1000, v3
	s_cbranch_scc1 .LBB239_3
.LBB239_4:
	s_and_b32 s14, s33, 3
	s_mov_b32 s9, 0
	s_cmp_eq_u32 s14, 0
	s_cbranch_scc1 .LBB239_7
; %bb.5:
	s_mov_b32 s8, s13
	s_lshl_b64 s[16:17], s[44:45], 4
	s_lshl_b64 s[8:9], s[8:9], 4
	v_lshlrev_b32_e32 v1, 4, v0
	s_add_u32 s8, s16, s8
	s_addc_u32 s9, s17, s9
	s_mul_i32 s15, s8, s35
	s_mul_hi_u32 s16, s8, s34
	s_mul_i32 s9, s9, s34
	s_add_i32 s15, s16, s15
	s_mul_i32 s8, s8, s34
	s_add_i32 s15, s15, s9
	s_add_u32 s8, s8, s42
	s_addc_u32 s9, s15, s43
	s_add_u32 s8, s40, s8
	s_addc_u32 s9, s41, s9
	v_add_co_u32 v2, s8, s8, v1
	s_delay_alu instid0(VALU_DEP_1) | instskip(SKIP_1) | instid1(VALU_DEP_3)
	v_add_co_ci_u32_e64 v4, null, s9, 0, s8
	v_lshl_or_b32 v3, s13, 10, v1
	v_add_co_u32 v1, vcc_lo, v2, 8
	s_delay_alu instid0(VALU_DEP_3)
	v_add_co_ci_u32_e32 v2, vcc_lo, 0, v4, vcc_lo
	s_lshl_b64 s[8:9], s[34:35], 4
	.p2align	6
.LBB239_6:                              ; =>This Inner Loop Header: Depth=1
	global_load_b128 v[4:7], v[1:2], off offset:-8
	v_add_co_u32 v1, vcc_lo, v1, s8
	v_add_co_ci_u32_e32 v2, vcc_lo, s9, v2, vcc_lo
	s_add_i32 s14, s14, -1
	s_delay_alu instid0(SALU_CYCLE_1) | instskip(SKIP_3) | instid1(VALU_DEP_2)
	s_cmp_lg_u32 s14, 0
	s_waitcnt vmcnt(0)
	v_mul_f64 v[8:9], s[6:7], v[6:7]
	v_mul_f64 v[10:11], s[4:5], v[6:7]
	v_fma_f64 v[6:7], s[4:5], v[4:5], -v[8:9]
	s_delay_alu instid0(VALU_DEP_2)
	v_fma_f64 v[8:9], s[6:7], v[4:5], v[10:11]
	ds_store_b128 v3, v[6:9]
	v_add_nc_u32_e32 v3, 0x400, v3
	s_cbranch_scc1 .LBB239_6
.LBB239_7:
	s_or_b32 exec_lo, exec_lo, s12
	s_lshl_b64 s[4:5], s[10:11], 4
	s_waitcnt lgkmcnt(0)
	s_add_u32 s46, s2, s4
	s_addc_u32 s47, s3, s5
	s_cmpk_eq_i32 s36, 0x7a
	s_barrier
	s_cselect_b32 s6, -1, 0
	s_cmpk_lg_i32 s36, 0x7a
	s_load_b32 s36, s[0:1], 0x38
	s_cselect_b32 s0, -1, 0
	s_cmpk_eq_i32 s37, 0x6f
	s_waitcnt lgkmcnt(0)
	buffer_gl0_inv
	s_cselect_b32 s1, -1, 0
	s_delay_alu instid0(SALU_CYCLE_1) | instskip(NEXT) | instid1(SALU_CYCLE_1)
	s_and_b32 s7, s6, s1
	s_and_not1_b32 vcc_lo, exec_lo, s7
	s_mov_b32 s7, -1
	s_cbranch_vccz .LBB239_66
; %bb.8:
	s_xor_b32 s6, s6, -1
	s_add_i32 s62, s60, -1
	s_and_b32 s1, s1, s6
	s_cmp_gt_i32 s39, 0
	s_cselect_b32 s63, -1, 0
	s_and_not1_b32 vcc_lo, exec_lo, s1
	s_mov_b32 s1, -1
	s_cbranch_vccz .LBB239_47
; %bb.9:
	s_cmpk_eq_i32 s37, 0x71
	s_cselect_b32 s64, -1, 0
	s_and_not1_b32 vcc_lo, exec_lo, s0
	s_mov_b32 s0, -1
	s_cbranch_vccnz .LBB239_28
; %bb.10:
	s_and_not1_b32 vcc_lo, exec_lo, s63
	s_cbranch_vccnz .LBB239_27
; %bb.11:
	s_ashr_i32 s37, s36, 31
	s_cmpk_lg_i32 s38, 0x84
	v_lshlrev_b32_e32 v9, 6, v0
	s_cselect_b32 s65, -1, 0
	s_add_u32 s66, s36, 1
	s_addc_u32 s67, s37, 0
	v_lshlrev_b32_e32 v10, 10, v0
	s_add_u32 s0, s2, s4
	s_addc_u32 s1, s3, s5
	s_add_u32 s48, s0, 0x78
	s_addc_u32 s49, s1, 0
	s_lshl_b64 s[50:51], s[36:37], 4
	s_mov_b32 s53, 0
	s_mov_b32 s68, 0
	s_mov_b64 s[54:55], s[46:47]
	s_mov_b32 s37, 0
	s_branch .LBB239_14
.LBB239_12:                             ;   in Loop: Header=BB239_14 Depth=1
	ds_store_b128 v11, v[5:8]
.LBB239_13:                             ;   in Loop: Header=BB239_14 Depth=1
	v_add_nc_u16 v1, s68, 1
	s_add_i32 s37, s37, 1
	s_add_u32 s48, s48, s50
	s_addc_u32 s49, s49, s51
	s_add_u32 s54, s54, s50
	v_readfirstlane_b32 s68, v1
	s_addc_u32 s55, s55, s51
	s_cmp_lg_u32 s37, s60
	s_cbranch_scc0 .LBB239_27
.LBB239_14:                             ; =>This Loop Header: Depth=1
                                        ;     Child Loop BB239_17 Depth 2
                                        ;     Child Loop BB239_21 Depth 2
	v_add_lshl_u32 v11, s37, v9, 4
	s_cmp_eq_u32 s37, 0
	ds_load_b128 v[1:4], v11
	s_cbranch_scc1 .LBB239_22
; %bb.15:                               ;   in Loop: Header=BB239_14 Depth=1
	s_cmp_lt_u32 s37, 8
	s_cbranch_scc1 .LBB239_19
; %bb.16:                               ;   in Loop: Header=BB239_14 Depth=1
	v_mov_b32_e32 v5, v10
	s_and_b32 s52, s37, -8
	s_mov_b32 s69, 0
	s_mov_b64 s[56:57], s[48:49]
.LBB239_17:                             ;   Parent Loop BB239_14 Depth=1
                                        ; =>  This Inner Loop Header: Depth=2
	s_delay_alu instid0(SALU_CYCLE_1)
	s_add_u32 s0, s56, 0xffffff88
	s_addc_u32 s1, s57, -1
	s_load_b512 s[0:15], s[0:1], 0x0
	ds_load_b128 v[12:15], v5
	ds_load_b128 v[16:19], v5 offset:16
	s_waitcnt lgkmcnt(0)
	s_xor_b32 s16, s3, 0x80000000
	s_and_b32 s17, s64, exec_lo
	s_cselect_b32 s3, s16, s3
	s_cselect_b32 s2, s2, s2
	v_mul_f64 v[6:7], s[0:1], v[14:15]
	v_mul_f64 v[14:15], s[2:3], v[14:15]
	s_xor_b32 s16, s7, 0x80000000
	s_and_b32 s17, s64, exec_lo
	s_cselect_b32 s7, s16, s7
	s_cselect_b32 s6, s6, s6
	v_mul_f64 v[22:23], s[4:5], v[18:19]
	v_mul_f64 v[24:25], s[6:7], v[18:19]
	s_delay_alu instid0(VALU_DEP_4) | instskip(NEXT) | instid1(VALU_DEP_4)
	v_fma_f64 v[6:7], s[2:3], v[12:13], v[6:7]
	v_fma_f64 v[26:27], s[0:1], v[12:13], -v[14:15]
	ds_load_b128 v[12:15], v5 offset:32
	ds_load_b128 v[18:21], v5 offset:48
	s_xor_b32 s0, s11, 0x80000000
	s_and_b32 s1, s64, exec_lo
	s_cselect_b32 s1, s0, s11
	s_cselect_b32 s0, s10, s10
	v_fma_f64 v[22:23], s[6:7], v[16:17], v[22:23]
	v_fma_f64 v[16:17], s[4:5], v[16:17], -v[24:25]
	s_xor_b32 s2, s15, 0x80000000
	s_and_b32 s3, s64, exec_lo
	s_cselect_b32 s3, s2, s15
	s_cselect_b32 s2, s14, s14
	s_waitcnt lgkmcnt(1)
	v_mul_f64 v[28:29], s[8:9], v[14:15]
	v_mul_f64 v[14:15], s[0:1], v[14:15]
	v_add_f64 v[3:4], v[3:4], -v[6:7]
	v_add_f64 v[1:2], v[1:2], -v[26:27]
	s_waitcnt lgkmcnt(0)
	v_mul_f64 v[6:7], s[12:13], v[20:21]
	v_mul_f64 v[20:21], s[2:3], v[20:21]
	v_fma_f64 v[24:25], s[0:1], v[12:13], v[28:29]
	v_fma_f64 v[26:27], s[8:9], v[12:13], -v[14:15]
	s_add_u32 s0, s56, 0xffffffc8
	s_addc_u32 s1, s57, -1
	s_load_b512 s[16:31], s[0:1], 0x0
	v_add_f64 v[22:23], v[3:4], -v[22:23]
	v_add_f64 v[16:17], v[1:2], -v[16:17]
	ds_load_b128 v[1:4], v5 offset:64
	ds_load_b128 v[12:15], v5 offset:80
	v_fma_f64 v[6:7], s[2:3], v[18:19], v[6:7]
	v_fma_f64 v[18:19], s[12:13], v[18:19], -v[20:21]
	s_waitcnt lgkmcnt(0)
	s_xor_b32 s0, s19, 0x80000000
	s_and_b32 s1, s64, exec_lo
	s_cselect_b32 s1, s0, s19
	s_cselect_b32 s0, s18, s18
	s_xor_b32 s2, s23, 0x80000000
	s_and_b32 s3, s64, exec_lo
	s_cselect_b32 s3, s2, s23
	s_cselect_b32 s2, s22, s22
	v_mul_f64 v[28:29], s[16:17], v[3:4]
	v_mul_f64 v[3:4], s[0:1], v[3:4]
	v_add_f64 v[20:21], v[22:23], -v[24:25]
	v_add_f64 v[16:17], v[16:17], -v[26:27]
	v_mul_f64 v[22:23], s[20:21], v[14:15]
	v_mul_f64 v[24:25], s[2:3], v[14:15]
	v_fma_f64 v[26:27], s[0:1], v[1:2], v[28:29]
	v_fma_f64 v[28:29], s[16:17], v[1:2], -v[3:4]
	s_xor_b32 s0, s27, 0x80000000
	s_and_b32 s1, s64, exec_lo
	s_cselect_b32 s1, s0, s27
	s_cselect_b32 s0, s26, s26
	v_add_f64 v[6:7], v[20:21], -v[6:7]
	v_add_f64 v[18:19], v[16:17], -v[18:19]
	ds_load_b128 v[1:4], v5 offset:96
	ds_load_b128 v[14:17], v5 offset:112
	v_fma_f64 v[22:23], s[2:3], v[12:13], v[22:23]
	v_fma_f64 v[12:13], s[20:21], v[12:13], -v[24:25]
	s_xor_b32 s2, s31, 0x80000000
	s_and_b32 s3, s64, exec_lo
	s_cselect_b32 s3, s2, s31
	s_cselect_b32 s2, s30, s30
	v_add_nc_u32_e32 v5, 0x80, v5
	s_add_i32 s69, s69, 8
	s_add_u32 s56, s56, 0x80
	s_addc_u32 s57, s57, 0
	s_cmp_eq_u32 s52, s69
	s_waitcnt lgkmcnt(1)
	v_mul_f64 v[20:21], s[24:25], v[3:4]
	v_mul_f64 v[3:4], s[0:1], v[3:4]
	s_waitcnt lgkmcnt(0)
	v_mul_f64 v[24:25], s[28:29], v[16:17]
	v_mul_f64 v[16:17], s[2:3], v[16:17]
	v_add_f64 v[6:7], v[6:7], -v[26:27]
	v_add_f64 v[18:19], v[18:19], -v[28:29]
	v_fma_f64 v[20:21], s[0:1], v[1:2], v[20:21]
	v_fma_f64 v[1:2], s[24:25], v[1:2], -v[3:4]
	s_delay_alu instid0(VALU_DEP_4) | instskip(NEXT) | instid1(VALU_DEP_4)
	v_add_f64 v[3:4], v[6:7], -v[22:23]
	v_add_f64 v[6:7], v[18:19], -v[12:13]
	v_fma_f64 v[12:13], s[2:3], v[14:15], v[24:25]
	v_fma_f64 v[14:15], s[28:29], v[14:15], -v[16:17]
	s_delay_alu instid0(VALU_DEP_4) | instskip(NEXT) | instid1(VALU_DEP_4)
	v_add_f64 v[3:4], v[3:4], -v[20:21]
	v_add_f64 v[1:2], v[6:7], -v[1:2]
	s_delay_alu instid0(VALU_DEP_2) | instskip(NEXT) | instid1(VALU_DEP_2)
	v_add_f64 v[3:4], v[3:4], -v[12:13]
	v_add_f64 v[1:2], v[1:2], -v[14:15]
	s_cbranch_scc0 .LBB239_17
; %bb.18:                               ;   in Loop: Header=BB239_14 Depth=1
	s_and_b32 s0, s37, 7
	s_delay_alu instid0(SALU_CYCLE_1)
	s_cmp_eq_u32 s0, 0
	s_cbranch_scc0 .LBB239_20
	s_branch .LBB239_22
.LBB239_19:                             ;   in Loop: Header=BB239_14 Depth=1
	s_mov_b32 s52, 0
	s_and_b32 s0, s37, 7
	s_delay_alu instid0(SALU_CYCLE_1)
	s_cmp_eq_u32 s0, 0
	s_cbranch_scc1 .LBB239_22
.LBB239_20:                             ;   in Loop: Header=BB239_14 Depth=1
	s_and_b32 s2, s68, 7
	s_lshl_b64 s[0:1], s[52:53], 4
	v_lshl_add_u32 v5, s52, 4, v10
	s_lshl_b32 s2, s2, 4
	s_add_u32 s3, s54, s0
	s_addc_u32 s4, s55, s1
	s_mov_b64 s[0:1], 0
	.p2align	6
.LBB239_21:                             ;   Parent Loop BB239_14 Depth=1
                                        ; =>  This Inner Loop Header: Depth=2
	s_delay_alu instid0(SALU_CYCLE_1)
	s_add_u32 s6, s3, s0
	s_addc_u32 s7, s4, s1
	ds_load_b128 v[12:15], v5
	s_load_b128 s[8:11], s[6:7], 0x0
	v_add_nc_u32_e32 v5, 16, v5
	s_waitcnt lgkmcnt(0)
	s_xor_b32 s5, s11, 0x80000000
	s_and_b32 s6, s64, exec_lo
	s_cselect_b32 s7, s5, s11
	s_cselect_b32 s6, s10, s10
	v_mul_f64 v[6:7], s[8:9], v[14:15]
	v_mul_f64 v[14:15], s[6:7], v[14:15]
	s_add_u32 s0, s0, 16
	s_addc_u32 s1, s1, 0
	s_cmp_lg_u32 s2, s0
	s_delay_alu instid0(VALU_DEP_2) | instskip(NEXT) | instid1(VALU_DEP_2)
	v_fma_f64 v[6:7], s[6:7], v[12:13], v[6:7]
	v_fma_f64 v[12:13], s[8:9], v[12:13], -v[14:15]
	s_delay_alu instid0(VALU_DEP_2) | instskip(NEXT) | instid1(VALU_DEP_2)
	v_add_f64 v[3:4], v[3:4], -v[6:7]
	v_add_f64 v[1:2], v[1:2], -v[12:13]
	s_cbranch_scc1 .LBB239_21
.LBB239_22:                             ;   in Loop: Header=BB239_14 Depth=1
	s_and_b32 vcc_lo, exec_lo, s65
	s_waitcnt lgkmcnt(0)
	ds_store_b128 v11, v[1:4]
	s_cbranch_vccz .LBB239_13
; %bb.23:                               ;   in Loop: Header=BB239_14 Depth=1
	s_mul_i32 s1, s67, s37
	s_mul_hi_u32 s2, s66, s37
	s_mul_i32 s0, s66, s37
	s_add_i32 s1, s2, s1
	s_delay_alu instid0(SALU_CYCLE_1) | instskip(NEXT) | instid1(SALU_CYCLE_1)
	s_lshl_b64 s[0:1], s[0:1], 4
	s_add_u32 s0, s46, s0
	s_addc_u32 s1, s47, s1
	s_load_b128 s[0:3], s[0:1], 0x0
	s_waitcnt lgkmcnt(0)
	s_xor_b32 s4, s3, 0x80000000
	s_and_b32 s6, s64, exec_lo
	v_cmp_lt_f64_e64 s5, s[0:1], 0
	s_cselect_b32 s3, s4, s3
	s_cselect_b32 s2, s2, s2
	s_xor_b32 s4, s1, 0x80000000
	v_cmp_lt_f64_e64 s6, s[2:3], 0
	s_delay_alu instid0(VALU_DEP_2) | instskip(SKIP_3) | instid1(VALU_DEP_1)
	s_and_b32 s5, s5, exec_lo
	s_cselect_b32 s5, s4, s1
	s_cselect_b32 s4, s0, s0
	s_xor_b32 s7, s3, 0x80000000
	s_and_b32 s6, s6, exec_lo
	s_cselect_b32 s7, s7, s3
	s_cselect_b32 s6, s2, s2
	s_delay_alu instid0(SALU_CYCLE_1) | instskip(NEXT) | instid1(VALU_DEP_1)
	v_cmp_ngt_f64_e64 s4, s[4:5], s[6:7]
	s_and_b32 vcc_lo, exec_lo, s4
	s_cbranch_vccz .LBB239_25
; %bb.24:                               ;   in Loop: Header=BB239_14 Depth=1
	v_div_scale_f64 v[5:6], null, s[2:3], s[2:3], s[0:1]
	v_div_scale_f64 v[14:15], vcc_lo, s[0:1], s[2:3], s[0:1]
	s_delay_alu instid0(VALU_DEP_2) | instskip(SKIP_2) | instid1(VALU_DEP_1)
	v_rcp_f64_e32 v[7:8], v[5:6]
	s_waitcnt_depctr 0xfff
	v_fma_f64 v[12:13], -v[5:6], v[7:8], 1.0
	v_fma_f64 v[7:8], v[7:8], v[12:13], v[7:8]
	s_delay_alu instid0(VALU_DEP_1) | instskip(NEXT) | instid1(VALU_DEP_1)
	v_fma_f64 v[12:13], -v[5:6], v[7:8], 1.0
	v_fma_f64 v[7:8], v[7:8], v[12:13], v[7:8]
	s_delay_alu instid0(VALU_DEP_1) | instskip(NEXT) | instid1(VALU_DEP_1)
	v_mul_f64 v[12:13], v[14:15], v[7:8]
	v_fma_f64 v[5:6], -v[5:6], v[12:13], v[14:15]
	s_delay_alu instid0(VALU_DEP_1) | instskip(NEXT) | instid1(VALU_DEP_1)
	v_div_fmas_f64 v[5:6], v[5:6], v[7:8], v[12:13]
	v_div_fixup_f64 v[5:6], v[5:6], s[2:3], s[0:1]
	s_delay_alu instid0(VALU_DEP_1) | instskip(NEXT) | instid1(VALU_DEP_1)
	v_fma_f64 v[7:8], s[0:1], v[5:6], s[2:3]
	v_div_scale_f64 v[12:13], null, v[7:8], v[7:8], 1.0
	v_div_scale_f64 v[18:19], vcc_lo, 1.0, v[7:8], 1.0
	s_delay_alu instid0(VALU_DEP_2) | instskip(SKIP_2) | instid1(VALU_DEP_1)
	v_rcp_f64_e32 v[14:15], v[12:13]
	s_waitcnt_depctr 0xfff
	v_fma_f64 v[16:17], -v[12:13], v[14:15], 1.0
	v_fma_f64 v[14:15], v[14:15], v[16:17], v[14:15]
	s_delay_alu instid0(VALU_DEP_1) | instskip(NEXT) | instid1(VALU_DEP_1)
	v_fma_f64 v[16:17], -v[12:13], v[14:15], 1.0
	v_fma_f64 v[14:15], v[14:15], v[16:17], v[14:15]
	s_delay_alu instid0(VALU_DEP_1) | instskip(NEXT) | instid1(VALU_DEP_1)
	v_mul_f64 v[16:17], v[18:19], v[14:15]
	v_fma_f64 v[12:13], -v[12:13], v[16:17], v[18:19]
	s_delay_alu instid0(VALU_DEP_1) | instskip(SKIP_1) | instid1(VALU_DEP_2)
	v_div_fmas_f64 v[12:13], v[12:13], v[14:15], v[16:17]
	v_fma_f64 v[14:15], v[1:2], v[5:6], v[3:4]
	v_div_fixup_f64 v[7:8], v[12:13], v[7:8], 1.0
	v_fma_f64 v[12:13], v[3:4], v[5:6], -v[1:2]
	s_delay_alu instid0(VALU_DEP_2) | instskip(NEXT) | instid1(VALU_DEP_2)
	v_mul_f64 v[5:6], v[14:15], v[7:8]
	v_mul_f64 v[7:8], v[12:13], v[7:8]
	s_cbranch_execnz .LBB239_12
	s_branch .LBB239_26
.LBB239_25:                             ;   in Loop: Header=BB239_14 Depth=1
                                        ; implicit-def: $vgpr7_vgpr8
.LBB239_26:                             ;   in Loop: Header=BB239_14 Depth=1
	v_div_scale_f64 v[5:6], null, s[0:1], s[0:1], s[2:3]
	v_div_scale_f64 v[14:15], vcc_lo, s[2:3], s[0:1], s[2:3]
	s_delay_alu instid0(VALU_DEP_2) | instskip(SKIP_2) | instid1(VALU_DEP_1)
	v_rcp_f64_e32 v[7:8], v[5:6]
	s_waitcnt_depctr 0xfff
	v_fma_f64 v[12:13], -v[5:6], v[7:8], 1.0
	v_fma_f64 v[7:8], v[7:8], v[12:13], v[7:8]
	s_delay_alu instid0(VALU_DEP_1) | instskip(NEXT) | instid1(VALU_DEP_1)
	v_fma_f64 v[12:13], -v[5:6], v[7:8], 1.0
	v_fma_f64 v[7:8], v[7:8], v[12:13], v[7:8]
	s_delay_alu instid0(VALU_DEP_1) | instskip(NEXT) | instid1(VALU_DEP_1)
	v_mul_f64 v[12:13], v[14:15], v[7:8]
	v_fma_f64 v[5:6], -v[5:6], v[12:13], v[14:15]
	s_delay_alu instid0(VALU_DEP_1) | instskip(NEXT) | instid1(VALU_DEP_1)
	v_div_fmas_f64 v[5:6], v[5:6], v[7:8], v[12:13]
	v_div_fixup_f64 v[5:6], v[5:6], s[0:1], s[2:3]
	s_delay_alu instid0(VALU_DEP_1) | instskip(NEXT) | instid1(VALU_DEP_1)
	v_fma_f64 v[7:8], s[2:3], v[5:6], s[0:1]
	v_div_scale_f64 v[12:13], null, v[7:8], v[7:8], 1.0
	v_div_scale_f64 v[18:19], vcc_lo, 1.0, v[7:8], 1.0
	s_delay_alu instid0(VALU_DEP_2) | instskip(SKIP_2) | instid1(VALU_DEP_1)
	v_rcp_f64_e32 v[14:15], v[12:13]
	s_waitcnt_depctr 0xfff
	v_fma_f64 v[16:17], -v[12:13], v[14:15], 1.0
	v_fma_f64 v[14:15], v[14:15], v[16:17], v[14:15]
	s_delay_alu instid0(VALU_DEP_1) | instskip(NEXT) | instid1(VALU_DEP_1)
	v_fma_f64 v[16:17], -v[12:13], v[14:15], 1.0
	v_fma_f64 v[14:15], v[14:15], v[16:17], v[14:15]
	s_delay_alu instid0(VALU_DEP_1) | instskip(NEXT) | instid1(VALU_DEP_1)
	v_mul_f64 v[16:17], v[18:19], v[14:15]
	v_fma_f64 v[12:13], -v[12:13], v[16:17], v[18:19]
	s_delay_alu instid0(VALU_DEP_1) | instskip(SKIP_2) | instid1(VALU_DEP_3)
	v_div_fmas_f64 v[12:13], v[12:13], v[14:15], v[16:17]
	v_fma_f64 v[14:15], v[3:4], v[5:6], v[1:2]
	v_fma_f64 v[1:2], -v[1:2], v[5:6], v[3:4]
	v_div_fixup_f64 v[7:8], v[12:13], v[7:8], 1.0
	s_delay_alu instid0(VALU_DEP_1) | instskip(NEXT) | instid1(VALU_DEP_3)
	v_mul_f64 v[5:6], v[14:15], v[7:8]
	v_mul_f64 v[7:8], v[1:2], v[7:8]
	s_branch .LBB239_12
.LBB239_27:
	s_mov_b32 s0, 0
.LBB239_28:
	s_delay_alu instid0(SALU_CYCLE_1)
	s_and_not1_b32 vcc_lo, exec_lo, s0
	s_cbranch_vccnz .LBB239_46
; %bb.29:
	s_and_not1_b32 vcc_lo, exec_lo, s63
	s_cbranch_vccnz .LBB239_46
; %bb.30:
	s_ashr_i32 s14, s36, 31
	s_cmpk_lg_i32 s38, 0x84
	v_lshlrev_b32_e32 v1, 10, v0
	s_cselect_b32 s15, -1, 0
	s_add_u32 s16, s36, 1
	s_addc_u32 s17, s14, 0
	s_lshl_b32 s0, s60, 4
	v_lshlrev_b32_e32 v9, 6, v0
	v_add3_u32 v10, v1, s0, -16
	v_add_nc_u32_e32 v11, 0xffffff90, v1
	s_mov_b32 s13, 0
	s_mov_b32 s18, 0
	;; [unrolled: 1-line block ×4, first 2 shown]
	s_branch .LBB239_33
.LBB239_31:                             ;   in Loop: Header=BB239_33 Depth=1
	ds_store_b128 v12, v[5:8]
.LBB239_32:                             ;   in Loop: Header=BB239_33 Depth=1
	v_add_nc_u16 v1, s18, 1
	s_add_i32 s0, s20, -1
	s_add_i32 s19, s19, 1
	s_cmp_lt_i32 s20, 1
	s_mov_b32 s20, s0
	v_readfirstlane_b32 s18, v1
	s_cbranch_scc1 .LBB239_46
.LBB239_33:                             ; =>This Loop Header: Depth=1
                                        ;     Child Loop BB239_36 Depth 2
                                        ;     Child Loop BB239_40 Depth 2
	v_add_lshl_u32 v12, s20, v9, 4
	s_cmp_le_i32 s62, s20
	ds_load_b128 v[1:4], v12
	s_cbranch_scc1 .LBB239_41
; %bb.34:                               ;   in Loop: Header=BB239_33 Depth=1
	s_mul_i32 s1, s20, s14
	s_mul_hi_u32 s2, s20, s36
	s_mul_i32 s0, s20, s36
	s_add_i32 s1, s2, s1
	s_delay_alu instid0(SALU_CYCLE_1) | instskip(NEXT) | instid1(SALU_CYCLE_1)
	s_lshl_b64 s[0:1], s[0:1], 4
	s_add_u32 s21, s46, s0
	s_addc_u32 s22, s47, s1
	s_and_b32 s0, s19, 7
	s_delay_alu instid0(SALU_CYCLE_1)
	s_cmp_eq_u32 s0, 0
	s_cbranch_scc1 .LBB239_38
; %bb.35:                               ;   in Loop: Header=BB239_33 Depth=1
	v_mov_b32_e32 v5, v10
	s_and_b32 s0, s18, 7
	s_mov_b32 s12, s62
	.p2align	6
.LBB239_36:                             ;   Parent Loop BB239_33 Depth=1
                                        ; =>  This Inner Loop Header: Depth=2
	s_delay_alu instid0(SALU_CYCLE_1)
	s_lshl_b64 s[2:3], s[12:13], 4
	ds_load_b128 v[13:16], v5
	s_add_u32 s2, s21, s2
	s_addc_u32 s3, s22, s3
	v_add_nc_u32_e32 v5, -16, v5
	s_load_b128 s[4:7], s[2:3], 0x0
	s_waitcnt lgkmcnt(0)
	s_xor_b32 s1, s7, 0x80000000
	s_and_b32 s2, s64, exec_lo
	s_cselect_b32 s3, s1, s7
	s_cselect_b32 s2, s6, s6
	v_mul_f64 v[6:7], s[4:5], v[15:16]
	v_mul_f64 v[15:16], s[2:3], v[15:16]
	s_add_i32 s0, s0, -1
	s_add_i32 s12, s12, -1
	s_cmp_lg_u32 s0, 0
	s_delay_alu instid0(VALU_DEP_2) | instskip(NEXT) | instid1(VALU_DEP_2)
	v_fma_f64 v[6:7], s[2:3], v[13:14], v[6:7]
	v_fma_f64 v[13:14], s[4:5], v[13:14], -v[15:16]
	s_delay_alu instid0(VALU_DEP_2) | instskip(NEXT) | instid1(VALU_DEP_2)
	v_add_f64 v[3:4], v[3:4], -v[6:7]
	v_add_f64 v[1:2], v[1:2], -v[13:14]
	s_cbranch_scc1 .LBB239_36
; %bb.37:                               ;   in Loop: Header=BB239_33 Depth=1
	s_add_i32 s0, s19, -1
	s_delay_alu instid0(SALU_CYCLE_1)
	s_cmp_lt_u32 s0, 7
	s_cbranch_scc0 .LBB239_39
	s_branch .LBB239_41
.LBB239_38:                             ;   in Loop: Header=BB239_33 Depth=1
	s_mov_b32 s12, s62
	s_add_i32 s0, s19, -1
	s_delay_alu instid0(SALU_CYCLE_1)
	s_cmp_lt_u32 s0, 7
	s_cbranch_scc1 .LBB239_41
.LBB239_39:                             ;   in Loop: Header=BB239_33 Depth=1
	v_lshl_add_u32 v5, s12, 4, v11
.LBB239_40:                             ;   Parent Loop BB239_33 Depth=1
                                        ; =>  This Inner Loop Header: Depth=2
	s_lshl_b64 s[0:1], s[12:13], 4
	s_mov_b32 s9, s13
	s_add_u32 s0, s21, s0
	s_addc_u32 s1, s22, s1
	s_load_b128 s[4:7], s[0:1], 0x0
	ds_load_b128 v[13:16], v5 offset:112
	ds_load_b128 v[17:20], v5 offset:96
	s_waitcnt lgkmcnt(0)
	s_xor_b32 s0, s7, 0x80000000
	s_and_b32 s1, s64, exec_lo
	s_cselect_b32 s7, s0, s7
	s_cselect_b32 s6, s6, s6
	v_mul_f64 v[6:7], s[4:5], v[15:16]
	v_mul_f64 v[15:16], s[6:7], v[15:16]
	s_mov_b32 s1, s13
	s_add_i32 s0, s12, -1
	s_delay_alu instid0(SALU_CYCLE_1) | instskip(NEXT) | instid1(SALU_CYCLE_1)
	s_lshl_b64 s[0:1], s[0:1], 4
	s_add_u32 s0, s21, s0
	s_addc_u32 s1, s22, s1
	s_load_b128 s[0:3], s[0:1], 0x0
	s_waitcnt lgkmcnt(0)
	s_xor_b32 s8, s3, 0x80000000
	s_and_b32 s10, s64, exec_lo
	s_cselect_b32 s3, s8, s3
	s_cselect_b32 s2, s2, s2
	v_mul_f64 v[23:24], s[0:1], v[19:20]
	v_mul_f64 v[25:26], s[2:3], v[19:20]
	s_add_i32 s8, s12, -2
	s_delay_alu instid0(VALU_DEP_4) | instskip(NEXT) | instid1(VALU_DEP_4)
	v_fma_f64 v[6:7], s[6:7], v[13:14], v[6:7]
	v_fma_f64 v[27:28], s[4:5], v[13:14], -v[15:16]
	s_lshl_b64 s[4:5], s[8:9], 4
	s_delay_alu instid0(SALU_CYCLE_1)
	s_add_u32 s4, s21, s4
	s_addc_u32 s5, s22, s5
	s_load_b128 s[4:7], s[4:5], 0x0
	ds_load_b128 v[13:16], v5 offset:80
	ds_load_b128 v[19:22], v5 offset:64
	s_waitcnt lgkmcnt(0)
	s_xor_b32 s8, s7, 0x80000000
	s_and_b32 s10, s64, exec_lo
	s_cselect_b32 s7, s8, s7
	s_cselect_b32 s6, s6, s6
	v_mul_f64 v[29:30], s[4:5], v[15:16]
	v_mul_f64 v[15:16], s[6:7], v[15:16]
	s_add_i32 s8, s12, -3
	v_fma_f64 v[23:24], s[2:3], v[17:18], v[23:24]
	v_fma_f64 v[17:18], s[0:1], v[17:18], -v[25:26]
	s_lshl_b64 s[0:1], s[8:9], 4
	v_add_f64 v[3:4], v[3:4], -v[6:7]
	v_add_f64 v[1:2], v[1:2], -v[27:28]
	s_add_u32 s0, s21, s0
	s_addc_u32 s1, s22, s1
	s_load_b128 s[8:11], s[0:1], 0x0
	s_mov_b32 s1, s13
	s_waitcnt lgkmcnt(0)
	s_xor_b32 s0, s11, 0x80000000
	s_and_b32 s2, s64, exec_lo
	s_cselect_b32 s11, s0, s11
	s_cselect_b32 s10, s10, s10
	v_mul_f64 v[6:7], s[8:9], v[21:22]
	v_mul_f64 v[21:22], s[10:11], v[21:22]
	v_fma_f64 v[25:26], s[6:7], v[13:14], v[29:30]
	v_fma_f64 v[27:28], s[4:5], v[13:14], -v[15:16]
	s_add_i32 s0, s12, -4
	s_mov_b32 s5, s13
	s_lshl_b64 s[0:1], s[0:1], 4
	s_delay_alu instid0(SALU_CYCLE_1)
	s_add_u32 s0, s21, s0
	v_add_f64 v[23:24], v[3:4], -v[23:24]
	v_add_f64 v[17:18], v[1:2], -v[17:18]
	s_addc_u32 s1, s22, s1
	s_load_b128 s[0:3], s[0:1], 0x0
	ds_load_b128 v[1:4], v5 offset:48
	ds_load_b128 v[13:16], v5 offset:32
	s_waitcnt lgkmcnt(0)
	s_xor_b32 s4, s3, 0x80000000
	s_and_b32 s6, s64, exec_lo
	s_cselect_b32 s3, s4, s3
	s_cselect_b32 s2, s2, s2
	v_mul_f64 v[29:30], s[0:1], v[3:4]
	v_mul_f64 v[3:4], s[2:3], v[3:4]
	v_fma_f64 v[6:7], s[10:11], v[19:20], v[6:7]
	v_fma_f64 v[19:20], s[8:9], v[19:20], -v[21:22]
	s_add_i32 s4, s12, -5
	s_mov_b32 s9, s13
	s_lshl_b64 s[4:5], s[4:5], 4
	s_delay_alu instid0(SALU_CYCLE_1)
	s_add_u32 s4, s21, s4
	s_addc_u32 s5, s22, s5
	v_add_f64 v[21:22], v[23:24], -v[25:26]
	v_add_f64 v[17:18], v[17:18], -v[27:28]
	s_load_b128 s[4:7], s[4:5], 0x0
	s_waitcnt lgkmcnt(0)
	s_xor_b32 s8, s7, 0x80000000
	s_and_b32 s10, s64, exec_lo
	s_cselect_b32 s7, s8, s7
	s_cselect_b32 s6, s6, s6
	v_mul_f64 v[23:24], s[4:5], v[15:16]
	v_mul_f64 v[25:26], s[6:7], v[15:16]
	v_fma_f64 v[27:28], s[2:3], v[1:2], v[29:30]
	v_fma_f64 v[29:30], s[0:1], v[1:2], -v[3:4]
	s_add_i32 s8, s12, -6
	s_delay_alu instid0(SALU_CYCLE_1) | instskip(NEXT) | instid1(SALU_CYCLE_1)
	s_lshl_b64 s[0:1], s[8:9], 4
	s_add_u32 s0, s21, s0
	s_addc_u32 s1, s22, s1
	s_load_b128 s[0:3], s[0:1], 0x0
	v_add_f64 v[6:7], v[21:22], -v[6:7]
	v_add_f64 v[19:20], v[17:18], -v[19:20]
	ds_load_b128 v[1:4], v5 offset:16
	ds_load_b128 v[15:18], v5
	v_add_nc_u32_e32 v5, 0xffffff80, v5
	s_waitcnt lgkmcnt(0)
	s_xor_b32 s8, s3, 0x80000000
	s_and_b32 s10, s64, exec_lo
	s_cselect_b32 s3, s8, s3
	s_cselect_b32 s2, s2, s2
	v_mul_f64 v[21:22], s[0:1], v[3:4]
	v_mul_f64 v[3:4], s[2:3], v[3:4]
	s_add_i32 s8, s12, -7
	v_fma_f64 v[23:24], s[6:7], v[13:14], v[23:24]
	v_fma_f64 v[13:14], s[4:5], v[13:14], -v[25:26]
	s_lshl_b64 s[4:5], s[8:9], 4
	s_delay_alu instid0(SALU_CYCLE_1)
	s_add_u32 s4, s21, s4
	s_addc_u32 s5, s22, s5
	s_load_b128 s[4:7], s[4:5], 0x0
	v_add_f64 v[6:7], v[6:7], -v[27:28]
	v_add_f64 v[19:20], v[19:20], -v[29:30]
	s_waitcnt lgkmcnt(0)
	s_xor_b32 s8, s7, 0x80000000
	s_and_b32 s9, s64, exec_lo
	s_cselect_b32 s7, s8, s7
	s_cselect_b32 s6, s6, s6
	v_mul_f64 v[25:26], s[4:5], v[17:18]
	v_mul_f64 v[17:18], s[6:7], v[17:18]
	s_add_i32 s12, s12, -8
	v_fma_f64 v[21:22], s[2:3], v[1:2], v[21:22]
	v_fma_f64 v[1:2], s[0:1], v[1:2], -v[3:4]
	s_cmp_le_i32 s12, s20
	v_add_f64 v[3:4], v[6:7], -v[23:24]
	v_add_f64 v[6:7], v[19:20], -v[13:14]
	v_fma_f64 v[13:14], s[6:7], v[15:16], v[25:26]
	v_fma_f64 v[15:16], s[4:5], v[15:16], -v[17:18]
	s_delay_alu instid0(VALU_DEP_4) | instskip(NEXT) | instid1(VALU_DEP_4)
	v_add_f64 v[3:4], v[3:4], -v[21:22]
	v_add_f64 v[1:2], v[6:7], -v[1:2]
	s_delay_alu instid0(VALU_DEP_2) | instskip(NEXT) | instid1(VALU_DEP_2)
	v_add_f64 v[3:4], v[3:4], -v[13:14]
	v_add_f64 v[1:2], v[1:2], -v[15:16]
	s_cbranch_scc0 .LBB239_40
.LBB239_41:                             ;   in Loop: Header=BB239_33 Depth=1
	s_and_b32 vcc_lo, exec_lo, s15
	s_waitcnt lgkmcnt(0)
	ds_store_b128 v12, v[1:4]
	s_cbranch_vccz .LBB239_32
; %bb.42:                               ;   in Loop: Header=BB239_33 Depth=1
	s_mul_i32 s1, s17, s20
	s_mul_hi_u32 s2, s16, s20
	s_mul_i32 s0, s16, s20
	s_add_i32 s1, s2, s1
	s_delay_alu instid0(SALU_CYCLE_1) | instskip(NEXT) | instid1(SALU_CYCLE_1)
	s_lshl_b64 s[0:1], s[0:1], 4
	s_add_u32 s0, s46, s0
	s_addc_u32 s1, s47, s1
	s_load_b128 s[0:3], s[0:1], 0x0
	s_waitcnt lgkmcnt(0)
	s_xor_b32 s4, s3, 0x80000000
	s_and_b32 s6, s64, exec_lo
	v_cmp_lt_f64_e64 s5, s[0:1], 0
	s_cselect_b32 s3, s4, s3
	s_cselect_b32 s2, s2, s2
	s_xor_b32 s4, s1, 0x80000000
	v_cmp_lt_f64_e64 s6, s[2:3], 0
	s_delay_alu instid0(VALU_DEP_2) | instskip(SKIP_3) | instid1(VALU_DEP_1)
	s_and_b32 s5, s5, exec_lo
	s_cselect_b32 s5, s4, s1
	s_cselect_b32 s4, s0, s0
	s_xor_b32 s7, s3, 0x80000000
	s_and_b32 s6, s6, exec_lo
	s_cselect_b32 s7, s7, s3
	s_cselect_b32 s6, s2, s2
	s_delay_alu instid0(SALU_CYCLE_1) | instskip(NEXT) | instid1(VALU_DEP_1)
	v_cmp_ngt_f64_e64 s4, s[4:5], s[6:7]
	s_and_b32 vcc_lo, exec_lo, s4
	s_cbranch_vccz .LBB239_44
; %bb.43:                               ;   in Loop: Header=BB239_33 Depth=1
	v_div_scale_f64 v[5:6], null, s[2:3], s[2:3], s[0:1]
	v_div_scale_f64 v[15:16], vcc_lo, s[0:1], s[2:3], s[0:1]
	s_delay_alu instid0(VALU_DEP_2) | instskip(SKIP_2) | instid1(VALU_DEP_1)
	v_rcp_f64_e32 v[7:8], v[5:6]
	s_waitcnt_depctr 0xfff
	v_fma_f64 v[13:14], -v[5:6], v[7:8], 1.0
	v_fma_f64 v[7:8], v[7:8], v[13:14], v[7:8]
	s_delay_alu instid0(VALU_DEP_1) | instskip(NEXT) | instid1(VALU_DEP_1)
	v_fma_f64 v[13:14], -v[5:6], v[7:8], 1.0
	v_fma_f64 v[7:8], v[7:8], v[13:14], v[7:8]
	s_delay_alu instid0(VALU_DEP_1) | instskip(NEXT) | instid1(VALU_DEP_1)
	v_mul_f64 v[13:14], v[15:16], v[7:8]
	v_fma_f64 v[5:6], -v[5:6], v[13:14], v[15:16]
	s_delay_alu instid0(VALU_DEP_1) | instskip(NEXT) | instid1(VALU_DEP_1)
	v_div_fmas_f64 v[5:6], v[5:6], v[7:8], v[13:14]
	v_div_fixup_f64 v[5:6], v[5:6], s[2:3], s[0:1]
	s_delay_alu instid0(VALU_DEP_1) | instskip(NEXT) | instid1(VALU_DEP_1)
	v_fma_f64 v[7:8], s[0:1], v[5:6], s[2:3]
	v_div_scale_f64 v[13:14], null, v[7:8], v[7:8], 1.0
	v_div_scale_f64 v[19:20], vcc_lo, 1.0, v[7:8], 1.0
	s_delay_alu instid0(VALU_DEP_2) | instskip(SKIP_2) | instid1(VALU_DEP_1)
	v_rcp_f64_e32 v[15:16], v[13:14]
	s_waitcnt_depctr 0xfff
	v_fma_f64 v[17:18], -v[13:14], v[15:16], 1.0
	v_fma_f64 v[15:16], v[15:16], v[17:18], v[15:16]
	s_delay_alu instid0(VALU_DEP_1) | instskip(NEXT) | instid1(VALU_DEP_1)
	v_fma_f64 v[17:18], -v[13:14], v[15:16], 1.0
	v_fma_f64 v[15:16], v[15:16], v[17:18], v[15:16]
	s_delay_alu instid0(VALU_DEP_1) | instskip(NEXT) | instid1(VALU_DEP_1)
	v_mul_f64 v[17:18], v[19:20], v[15:16]
	v_fma_f64 v[13:14], -v[13:14], v[17:18], v[19:20]
	s_delay_alu instid0(VALU_DEP_1) | instskip(SKIP_1) | instid1(VALU_DEP_2)
	v_div_fmas_f64 v[13:14], v[13:14], v[15:16], v[17:18]
	v_fma_f64 v[15:16], v[1:2], v[5:6], v[3:4]
	v_div_fixup_f64 v[7:8], v[13:14], v[7:8], 1.0
	v_fma_f64 v[13:14], v[3:4], v[5:6], -v[1:2]
	s_delay_alu instid0(VALU_DEP_2) | instskip(NEXT) | instid1(VALU_DEP_2)
	v_mul_f64 v[5:6], v[15:16], v[7:8]
	v_mul_f64 v[7:8], v[13:14], v[7:8]
	s_cbranch_execnz .LBB239_31
	s_branch .LBB239_45
.LBB239_44:                             ;   in Loop: Header=BB239_33 Depth=1
                                        ; implicit-def: $vgpr7_vgpr8
.LBB239_45:                             ;   in Loop: Header=BB239_33 Depth=1
	v_div_scale_f64 v[5:6], null, s[0:1], s[0:1], s[2:3]
	v_div_scale_f64 v[15:16], vcc_lo, s[2:3], s[0:1], s[2:3]
	s_delay_alu instid0(VALU_DEP_2) | instskip(SKIP_2) | instid1(VALU_DEP_1)
	v_rcp_f64_e32 v[7:8], v[5:6]
	s_waitcnt_depctr 0xfff
	v_fma_f64 v[13:14], -v[5:6], v[7:8], 1.0
	v_fma_f64 v[7:8], v[7:8], v[13:14], v[7:8]
	s_delay_alu instid0(VALU_DEP_1) | instskip(NEXT) | instid1(VALU_DEP_1)
	v_fma_f64 v[13:14], -v[5:6], v[7:8], 1.0
	v_fma_f64 v[7:8], v[7:8], v[13:14], v[7:8]
	s_delay_alu instid0(VALU_DEP_1) | instskip(NEXT) | instid1(VALU_DEP_1)
	v_mul_f64 v[13:14], v[15:16], v[7:8]
	v_fma_f64 v[5:6], -v[5:6], v[13:14], v[15:16]
	s_delay_alu instid0(VALU_DEP_1) | instskip(NEXT) | instid1(VALU_DEP_1)
	v_div_fmas_f64 v[5:6], v[5:6], v[7:8], v[13:14]
	v_div_fixup_f64 v[5:6], v[5:6], s[0:1], s[2:3]
	s_delay_alu instid0(VALU_DEP_1) | instskip(NEXT) | instid1(VALU_DEP_1)
	v_fma_f64 v[7:8], s[2:3], v[5:6], s[0:1]
	v_div_scale_f64 v[13:14], null, v[7:8], v[7:8], 1.0
	v_div_scale_f64 v[19:20], vcc_lo, 1.0, v[7:8], 1.0
	s_delay_alu instid0(VALU_DEP_2) | instskip(SKIP_2) | instid1(VALU_DEP_1)
	v_rcp_f64_e32 v[15:16], v[13:14]
	s_waitcnt_depctr 0xfff
	v_fma_f64 v[17:18], -v[13:14], v[15:16], 1.0
	v_fma_f64 v[15:16], v[15:16], v[17:18], v[15:16]
	s_delay_alu instid0(VALU_DEP_1) | instskip(NEXT) | instid1(VALU_DEP_1)
	v_fma_f64 v[17:18], -v[13:14], v[15:16], 1.0
	v_fma_f64 v[15:16], v[15:16], v[17:18], v[15:16]
	s_delay_alu instid0(VALU_DEP_1) | instskip(NEXT) | instid1(VALU_DEP_1)
	v_mul_f64 v[17:18], v[19:20], v[15:16]
	v_fma_f64 v[13:14], -v[13:14], v[17:18], v[19:20]
	s_delay_alu instid0(VALU_DEP_1) | instskip(SKIP_2) | instid1(VALU_DEP_3)
	v_div_fmas_f64 v[13:14], v[13:14], v[15:16], v[17:18]
	v_fma_f64 v[15:16], v[3:4], v[5:6], v[1:2]
	v_fma_f64 v[1:2], -v[1:2], v[5:6], v[3:4]
	v_div_fixup_f64 v[7:8], v[13:14], v[7:8], 1.0
	s_delay_alu instid0(VALU_DEP_1) | instskip(NEXT) | instid1(VALU_DEP_3)
	v_mul_f64 v[5:6], v[15:16], v[7:8]
	v_mul_f64 v[7:8], v[1:2], v[7:8]
	s_branch .LBB239_31
.LBB239_46:
	s_mov_b32 s1, 0
.LBB239_47:
	s_delay_alu instid0(SALU_CYCLE_1)
	s_and_not1_b32 vcc_lo, exec_lo, s1
	s_cbranch_vccnz .LBB239_65
; %bb.48:
	s_and_not1_b32 vcc_lo, exec_lo, s63
	s_cbranch_vccnz .LBB239_65
; %bb.49:
	s_ashr_i32 s10, s36, 31
	s_cmpk_lg_i32 s38, 0x84
	v_lshlrev_b32_e32 v1, 10, v0
	s_cselect_b32 s11, -1, 0
	s_add_u32 s12, s36, 1
	s_addc_u32 s13, s10, 0
	s_lshl_b32 s0, s60, 4
	v_lshlrev_b32_e32 v9, 6, v0
	v_add3_u32 v10, v1, s0, -16
	v_subrev_nc_u32_e32 v11, 48, v1
	s_mov_b32 s9, 0
	s_mov_b32 s14, 0
	;; [unrolled: 1-line block ×4, first 2 shown]
	s_branch .LBB239_52
.LBB239_50:                             ;   in Loop: Header=BB239_52 Depth=1
	ds_store_b128 v12, v[5:8]
.LBB239_51:                             ;   in Loop: Header=BB239_52 Depth=1
	v_add_nc_u16 v1, s14, 1
	s_add_i32 s0, s8, -1
	s_add_i32 s15, s15, 1
	s_cmp_lt_i32 s8, 1
	s_mov_b32 s8, s0
	v_readfirstlane_b32 s14, v1
	s_cbranch_scc1 .LBB239_65
.LBB239_52:                             ; =>This Loop Header: Depth=1
                                        ;     Child Loop BB239_55 Depth 2
                                        ;     Child Loop BB239_59 Depth 2
	v_add_lshl_u32 v12, s8, v9, 4
	s_cmp_le_i32 s62, s8
	ds_load_b128 v[1:4], v12
	s_cbranch_scc1 .LBB239_60
; %bb.53:                               ;   in Loop: Header=BB239_52 Depth=1
	s_lshl_b64 s[0:1], s[8:9], 4
	s_delay_alu instid0(SALU_CYCLE_1) | instskip(SKIP_2) | instid1(SALU_CYCLE_1)
	s_add_u32 s16, s46, s0
	s_addc_u32 s17, s47, s1
	s_and_b32 s0, s15, 3
	s_cmp_eq_u32 s0, 0
	s_cbranch_scc1 .LBB239_57
; %bb.54:                               ;   in Loop: Header=BB239_52 Depth=1
	v_mov_b32_e32 v5, v10
	s_and_b32 s0, s14, 3
	s_mov_b32 s18, s62
	.p2align	6
.LBB239_55:                             ;   Parent Loop BB239_52 Depth=1
                                        ; =>  This Inner Loop Header: Depth=2
	s_delay_alu instid0(SALU_CYCLE_1)
	s_mul_i32 s1, s18, s10
	s_mul_hi_u32 s3, s18, s36
	s_mul_i32 s2, s18, s36
	s_add_i32 s3, s3, s1
	ds_load_b128 v[13:16], v5
	s_lshl_b64 s[2:3], s[2:3], 4
	v_add_nc_u32_e32 v5, -16, v5
	s_add_u32 s2, s16, s2
	s_addc_u32 s3, s17, s3
	s_add_i32 s0, s0, -1
	s_load_b128 s[4:7], s[2:3], 0x0
	s_add_i32 s18, s18, -1
	s_cmp_lg_u32 s0, 0
	s_waitcnt lgkmcnt(0)
	v_mul_f64 v[6:7], s[6:7], v[15:16]
	v_mul_f64 v[15:16], s[4:5], v[15:16]
	s_delay_alu instid0(VALU_DEP_2) | instskip(NEXT) | instid1(VALU_DEP_2)
	v_fma_f64 v[6:7], s[4:5], v[13:14], -v[6:7]
	v_fma_f64 v[13:14], s[6:7], v[13:14], v[15:16]
	s_delay_alu instid0(VALU_DEP_2) | instskip(NEXT) | instid1(VALU_DEP_2)
	v_add_f64 v[1:2], v[1:2], -v[6:7]
	v_add_f64 v[3:4], v[3:4], -v[13:14]
	s_cbranch_scc1 .LBB239_55
; %bb.56:                               ;   in Loop: Header=BB239_52 Depth=1
	s_add_i32 s0, s15, -1
	s_delay_alu instid0(SALU_CYCLE_1)
	s_cmp_lt_u32 s0, 3
	s_cbranch_scc0 .LBB239_58
	s_branch .LBB239_60
.LBB239_57:                             ;   in Loop: Header=BB239_52 Depth=1
	s_mov_b32 s18, s62
	s_add_i32 s0, s15, -1
	s_delay_alu instid0(SALU_CYCLE_1)
	s_cmp_lt_u32 s0, 3
	s_cbranch_scc1 .LBB239_60
.LBB239_58:                             ;   in Loop: Header=BB239_52 Depth=1
	v_lshl_add_u32 v5, s18, 4, v11
.LBB239_59:                             ;   Parent Loop BB239_52 Depth=1
                                        ; =>  This Inner Loop Header: Depth=2
	s_mul_i32 s1, s18, s10
	s_mul_hi_u32 s2, s18, s36
	s_mul_i32 s0, s18, s36
	s_add_i32 s1, s2, s1
	ds_load_b128 v[13:16], v5 offset:32
	ds_load_b128 v[17:20], v5 offset:48
	s_lshl_b64 s[0:1], s[0:1], 4
	s_delay_alu instid0(SALU_CYCLE_1) | instskip(SKIP_3) | instid1(SALU_CYCLE_1)
	s_add_u32 s0, s16, s0
	s_addc_u32 s1, s17, s1
	s_load_b128 s[4:7], s[0:1], 0x0
	s_add_i32 s0, s18, -1
	s_mul_i32 s1, s0, s10
	s_mul_hi_u32 s2, s0, s36
	s_mul_i32 s0, s0, s36
	s_add_i32 s1, s2, s1
	s_delay_alu instid0(SALU_CYCLE_1) | instskip(NEXT) | instid1(SALU_CYCLE_1)
	s_lshl_b64 s[0:1], s[0:1], 4
	s_add_u32 s0, s16, s0
	s_addc_u32 s1, s17, s1
	s_load_b128 s[0:3], s[0:1], 0x0
	s_waitcnt lgkmcnt(0)
	v_mul_f64 v[6:7], s[6:7], v[19:20]
	v_mul_f64 v[27:28], s[4:5], v[19:20]
	ds_load_b128 v[19:22], v5
	ds_load_b128 v[23:26], v5 offset:16
	v_subrev_nc_u32_e32 v5, 64, v5
	v_mul_f64 v[29:30], s[2:3], v[15:16]
	v_mul_f64 v[15:16], s[0:1], v[15:16]
	v_fma_f64 v[6:7], s[4:5], v[17:18], -v[6:7]
	v_fma_f64 v[17:18], s[6:7], v[17:18], v[27:28]
	s_add_i32 s4, s18, -2
	s_delay_alu instid0(SALU_CYCLE_1) | instskip(SKIP_3) | instid1(SALU_CYCLE_1)
	s_mul_i32 s5, s4, s10
	s_mul_hi_u32 s6, s4, s36
	s_mul_i32 s4, s4, s36
	s_add_i32 s5, s6, s5
	s_lshl_b64 s[4:5], s[4:5], 4
	s_delay_alu instid0(SALU_CYCLE_1)
	s_add_u32 s4, s16, s4
	s_addc_u32 s5, s17, s5
	s_add_i32 s19, s18, -3
	s_load_b128 s[4:7], s[4:5], 0x0
	s_mul_i32 s21, s19, s10
	s_mul_hi_u32 s22, s19, s36
	s_mul_i32 s20, s19, s36
	s_add_i32 s21, s22, s21
	s_delay_alu instid0(VALU_DEP_4) | instskip(SKIP_1) | instid1(VALU_DEP_4)
	v_fma_f64 v[29:30], s[0:1], v[13:14], -v[29:30]
	s_lshl_b64 s[20:21], s[20:21], 4
	v_fma_f64 v[13:14], s[2:3], v[13:14], v[15:16]
	s_add_u32 s20, s16, s20
	s_addc_u32 s21, s17, s21
	s_add_i32 s18, s18, -4
	s_load_b128 s[20:23], s[20:21], 0x0
	s_cmp_le_i32 s18, s8
	s_waitcnt lgkmcnt(0)
	v_mul_f64 v[27:28], s[6:7], v[25:26]
	v_mul_f64 v[25:26], s[4:5], v[25:26]
	v_add_f64 v[1:2], v[1:2], -v[6:7]
	v_add_f64 v[3:4], v[3:4], -v[17:18]
	v_mul_f64 v[6:7], s[22:23], v[21:22]
	v_mul_f64 v[15:16], s[20:21], v[21:22]
	v_fma_f64 v[17:18], s[4:5], v[23:24], -v[27:28]
	v_fma_f64 v[21:22], s[6:7], v[23:24], v[25:26]
	v_add_f64 v[1:2], v[1:2], -v[29:30]
	v_add_f64 v[3:4], v[3:4], -v[13:14]
	v_fma_f64 v[6:7], s[20:21], v[19:20], -v[6:7]
	v_fma_f64 v[13:14], s[22:23], v[19:20], v[15:16]
	s_delay_alu instid0(VALU_DEP_4) | instskip(NEXT) | instid1(VALU_DEP_4)
	v_add_f64 v[1:2], v[1:2], -v[17:18]
	v_add_f64 v[3:4], v[3:4], -v[21:22]
	s_delay_alu instid0(VALU_DEP_2) | instskip(NEXT) | instid1(VALU_DEP_2)
	v_add_f64 v[1:2], v[1:2], -v[6:7]
	v_add_f64 v[3:4], v[3:4], -v[13:14]
	s_cbranch_scc0 .LBB239_59
.LBB239_60:                             ;   in Loop: Header=BB239_52 Depth=1
	s_and_b32 vcc_lo, exec_lo, s11
	s_waitcnt lgkmcnt(0)
	ds_store_b128 v12, v[1:4]
	s_cbranch_vccz .LBB239_51
; %bb.61:                               ;   in Loop: Header=BB239_52 Depth=1
	s_mul_i32 s1, s13, s8
	s_mul_hi_u32 s2, s12, s8
	s_mul_i32 s0, s12, s8
	s_add_i32 s1, s2, s1
	s_delay_alu instid0(SALU_CYCLE_1) | instskip(NEXT) | instid1(SALU_CYCLE_1)
	s_lshl_b64 s[0:1], s[0:1], 4
	s_add_u32 s0, s46, s0
	s_addc_u32 s1, s47, s1
	s_load_b128 s[0:3], s[0:1], 0x0
	s_waitcnt lgkmcnt(0)
	v_cmp_lt_f64_e64 s4, s[0:1], 0
	v_cmp_lt_f64_e64 s6, s[2:3], 0
	s_xor_b32 s5, s1, 0x80000000
	s_delay_alu instid0(VALU_DEP_2) | instskip(SKIP_3) | instid1(VALU_DEP_1)
	s_and_b32 s4, s4, exec_lo
	s_cselect_b32 s5, s5, s1
	s_cselect_b32 s4, s0, s0
	s_xor_b32 s7, s3, 0x80000000
	s_and_b32 s6, s6, exec_lo
	s_cselect_b32 s7, s7, s3
	s_cselect_b32 s6, s2, s2
	s_delay_alu instid0(SALU_CYCLE_1) | instskip(NEXT) | instid1(VALU_DEP_1)
	v_cmp_ngt_f64_e64 s4, s[4:5], s[6:7]
	s_and_b32 vcc_lo, exec_lo, s4
	s_cbranch_vccz .LBB239_63
; %bb.62:                               ;   in Loop: Header=BB239_52 Depth=1
	v_div_scale_f64 v[5:6], null, s[2:3], s[2:3], s[0:1]
	v_div_scale_f64 v[15:16], vcc_lo, s[0:1], s[2:3], s[0:1]
	s_delay_alu instid0(VALU_DEP_2) | instskip(SKIP_2) | instid1(VALU_DEP_1)
	v_rcp_f64_e32 v[7:8], v[5:6]
	s_waitcnt_depctr 0xfff
	v_fma_f64 v[13:14], -v[5:6], v[7:8], 1.0
	v_fma_f64 v[7:8], v[7:8], v[13:14], v[7:8]
	s_delay_alu instid0(VALU_DEP_1) | instskip(NEXT) | instid1(VALU_DEP_1)
	v_fma_f64 v[13:14], -v[5:6], v[7:8], 1.0
	v_fma_f64 v[7:8], v[7:8], v[13:14], v[7:8]
	s_delay_alu instid0(VALU_DEP_1) | instskip(NEXT) | instid1(VALU_DEP_1)
	v_mul_f64 v[13:14], v[15:16], v[7:8]
	v_fma_f64 v[5:6], -v[5:6], v[13:14], v[15:16]
	s_delay_alu instid0(VALU_DEP_1) | instskip(NEXT) | instid1(VALU_DEP_1)
	v_div_fmas_f64 v[5:6], v[5:6], v[7:8], v[13:14]
	v_div_fixup_f64 v[5:6], v[5:6], s[2:3], s[0:1]
	s_delay_alu instid0(VALU_DEP_1) | instskip(NEXT) | instid1(VALU_DEP_1)
	v_fma_f64 v[7:8], s[0:1], v[5:6], s[2:3]
	v_div_scale_f64 v[13:14], null, v[7:8], v[7:8], 1.0
	v_div_scale_f64 v[19:20], vcc_lo, 1.0, v[7:8], 1.0
	s_delay_alu instid0(VALU_DEP_2) | instskip(SKIP_2) | instid1(VALU_DEP_1)
	v_rcp_f64_e32 v[15:16], v[13:14]
	s_waitcnt_depctr 0xfff
	v_fma_f64 v[17:18], -v[13:14], v[15:16], 1.0
	v_fma_f64 v[15:16], v[15:16], v[17:18], v[15:16]
	s_delay_alu instid0(VALU_DEP_1) | instskip(NEXT) | instid1(VALU_DEP_1)
	v_fma_f64 v[17:18], -v[13:14], v[15:16], 1.0
	v_fma_f64 v[15:16], v[15:16], v[17:18], v[15:16]
	s_delay_alu instid0(VALU_DEP_1) | instskip(NEXT) | instid1(VALU_DEP_1)
	v_mul_f64 v[17:18], v[19:20], v[15:16]
	v_fma_f64 v[13:14], -v[13:14], v[17:18], v[19:20]
	s_delay_alu instid0(VALU_DEP_1) | instskip(SKIP_1) | instid1(VALU_DEP_2)
	v_div_fmas_f64 v[13:14], v[13:14], v[15:16], v[17:18]
	v_fma_f64 v[15:16], v[1:2], v[5:6], v[3:4]
	v_div_fixup_f64 v[7:8], v[13:14], v[7:8], 1.0
	v_fma_f64 v[13:14], v[3:4], v[5:6], -v[1:2]
	s_delay_alu instid0(VALU_DEP_2) | instskip(NEXT) | instid1(VALU_DEP_2)
	v_mul_f64 v[5:6], v[15:16], v[7:8]
	v_mul_f64 v[7:8], v[13:14], v[7:8]
	s_cbranch_execnz .LBB239_50
	s_branch .LBB239_64
.LBB239_63:                             ;   in Loop: Header=BB239_52 Depth=1
                                        ; implicit-def: $vgpr7_vgpr8
.LBB239_64:                             ;   in Loop: Header=BB239_52 Depth=1
	v_div_scale_f64 v[5:6], null, s[0:1], s[0:1], s[2:3]
	v_div_scale_f64 v[15:16], vcc_lo, s[2:3], s[0:1], s[2:3]
	s_delay_alu instid0(VALU_DEP_2) | instskip(SKIP_2) | instid1(VALU_DEP_1)
	v_rcp_f64_e32 v[7:8], v[5:6]
	s_waitcnt_depctr 0xfff
	v_fma_f64 v[13:14], -v[5:6], v[7:8], 1.0
	v_fma_f64 v[7:8], v[7:8], v[13:14], v[7:8]
	s_delay_alu instid0(VALU_DEP_1) | instskip(NEXT) | instid1(VALU_DEP_1)
	v_fma_f64 v[13:14], -v[5:6], v[7:8], 1.0
	v_fma_f64 v[7:8], v[7:8], v[13:14], v[7:8]
	s_delay_alu instid0(VALU_DEP_1) | instskip(NEXT) | instid1(VALU_DEP_1)
	v_mul_f64 v[13:14], v[15:16], v[7:8]
	v_fma_f64 v[5:6], -v[5:6], v[13:14], v[15:16]
	s_delay_alu instid0(VALU_DEP_1) | instskip(NEXT) | instid1(VALU_DEP_1)
	v_div_fmas_f64 v[5:6], v[5:6], v[7:8], v[13:14]
	v_div_fixup_f64 v[5:6], v[5:6], s[0:1], s[2:3]
	s_delay_alu instid0(VALU_DEP_1) | instskip(NEXT) | instid1(VALU_DEP_1)
	v_fma_f64 v[7:8], s[2:3], v[5:6], s[0:1]
	v_div_scale_f64 v[13:14], null, v[7:8], v[7:8], 1.0
	v_div_scale_f64 v[19:20], vcc_lo, 1.0, v[7:8], 1.0
	s_delay_alu instid0(VALU_DEP_2) | instskip(SKIP_2) | instid1(VALU_DEP_1)
	v_rcp_f64_e32 v[15:16], v[13:14]
	s_waitcnt_depctr 0xfff
	v_fma_f64 v[17:18], -v[13:14], v[15:16], 1.0
	v_fma_f64 v[15:16], v[15:16], v[17:18], v[15:16]
	s_delay_alu instid0(VALU_DEP_1) | instskip(NEXT) | instid1(VALU_DEP_1)
	v_fma_f64 v[17:18], -v[13:14], v[15:16], 1.0
	v_fma_f64 v[15:16], v[15:16], v[17:18], v[15:16]
	s_delay_alu instid0(VALU_DEP_1) | instskip(NEXT) | instid1(VALU_DEP_1)
	v_mul_f64 v[17:18], v[19:20], v[15:16]
	v_fma_f64 v[13:14], -v[13:14], v[17:18], v[19:20]
	s_delay_alu instid0(VALU_DEP_1) | instskip(SKIP_2) | instid1(VALU_DEP_3)
	v_div_fmas_f64 v[13:14], v[13:14], v[15:16], v[17:18]
	v_fma_f64 v[15:16], v[3:4], v[5:6], v[1:2]
	v_fma_f64 v[1:2], -v[1:2], v[5:6], v[3:4]
	v_div_fixup_f64 v[7:8], v[13:14], v[7:8], 1.0
	s_delay_alu instid0(VALU_DEP_1) | instskip(NEXT) | instid1(VALU_DEP_3)
	v_mul_f64 v[5:6], v[15:16], v[7:8]
	v_mul_f64 v[7:8], v[1:2], v[7:8]
	s_branch .LBB239_50
.LBB239_65:
	s_mov_b32 s7, 0
.LBB239_66:
	s_delay_alu instid0(SALU_CYCLE_1)
	s_and_not1_b32 vcc_lo, exec_lo, s7
	s_cbranch_vccnz .LBB239_82
; %bb.67:
	s_cmp_lt_i32 s39, 1
	s_cbranch_scc1 .LBB239_82
; %bb.68:
	s_ashr_i32 s37, s36, 31
	s_cmpk_lg_i32 s38, 0x84
	v_lshlrev_b32_e32 v5, 6, v0
	v_lshlrev_b32_e32 v6, 10, v0
	s_cselect_b32 s12, -1, 0
	s_add_u32 s13, s36, 1
	s_addc_u32 s14, s37, 0
	s_lshl_b64 s[4:5], s[36:37], 6
	s_lshl_b64 s[6:7], s[36:37], 4
	s_mov_b32 s15, 0
	s_mov_b32 s16, 0
	s_mov_b64 s[8:9], s[46:47]
	s_branch .LBB239_70
.LBB239_69:                             ;   in Loop: Header=BB239_70 Depth=1
	s_waitcnt lgkmcnt(0)
	v_add_nc_u16 v1, s16, 1
	s_add_i32 s15, s15, 1
	s_add_u32 s8, s8, 16
	s_addc_u32 s9, s9, 0
	s_cmp_eq_u32 s15, s60
	v_readfirstlane_b32 s16, v1
	s_cbranch_scc1 .LBB239_82
.LBB239_70:                             ; =>This Loop Header: Depth=1
                                        ;     Child Loop BB239_73 Depth 2
                                        ;     Child Loop BB239_76 Depth 2
	v_add_lshl_u32 v7, s15, v5, 4
	s_cmp_eq_u32 s15, 0
	s_cbranch_scc1 .LBB239_77
; %bb.71:                               ;   in Loop: Header=BB239_70 Depth=1
	ds_load_b128 v[1:4], v7
	s_cmp_lt_u32 s15, 4
	s_mov_b32 s17, 0
	s_cbranch_scc1 .LBB239_74
; %bb.72:                               ;   in Loop: Header=BB239_70 Depth=1
	v_mov_b32_e32 v8, v6
	s_and_b32 s17, s15, -4
	s_mov_b32 s18, 0
	s_mov_b64 s[10:11], s[8:9]
.LBB239_73:                             ;   Parent Loop BB239_70 Depth=1
                                        ; =>  This Inner Loop Header: Depth=2
	ds_load_b128 v[9:12], v8
	s_load_b128 s[0:3], s[10:11], 0x0
	s_add_u32 s24, s10, s6
	s_addc_u32 s25, s11, s7
	s_add_u32 s26, s24, s6
	s_addc_u32 s27, s25, s7
	s_add_u32 s20, s26, s6
	s_addc_u32 s21, s27, s7
	s_add_i32 s18, s18, 4
	s_load_b128 s[20:23], s[20:21], 0x0
	s_add_u32 s10, s10, s4
	s_addc_u32 s11, s11, s5
	s_cmp_eq_u32 s17, s18
	s_waitcnt lgkmcnt(0)
	v_mul_f64 v[13:14], s[2:3], v[11:12]
	v_mul_f64 v[11:12], s[0:1], v[11:12]
	s_delay_alu instid0(VALU_DEP_2) | instskip(NEXT) | instid1(VALU_DEP_2)
	v_fma_f64 v[13:14], s[0:1], v[9:10], -v[13:14]
	v_fma_f64 v[9:10], s[2:3], v[9:10], v[11:12]
	s_clause 0x1
	s_load_b128 s[0:3], s[24:25], 0x0
	s_load_b128 s[24:27], s[26:27], 0x0
	s_delay_alu instid0(VALU_DEP_2) | instskip(NEXT) | instid1(VALU_DEP_2)
	v_add_f64 v[1:2], v[1:2], -v[13:14]
	v_add_f64 v[3:4], v[3:4], -v[9:10]
	ds_store_b128 v7, v[1:4]
	ds_load_b128 v[9:12], v8 offset:16
	s_waitcnt lgkmcnt(0)
	v_mul_f64 v[13:14], s[2:3], v[11:12]
	v_mul_f64 v[11:12], s[0:1], v[11:12]
	s_delay_alu instid0(VALU_DEP_2) | instskip(NEXT) | instid1(VALU_DEP_2)
	v_fma_f64 v[13:14], s[0:1], v[9:10], -v[13:14]
	v_fma_f64 v[9:10], s[2:3], v[9:10], v[11:12]
	s_delay_alu instid0(VALU_DEP_2) | instskip(NEXT) | instid1(VALU_DEP_2)
	v_add_f64 v[1:2], v[1:2], -v[13:14]
	v_add_f64 v[3:4], v[3:4], -v[9:10]
	ds_store_b128 v7, v[1:4]
	ds_load_b128 v[9:12], v8 offset:32
	s_waitcnt lgkmcnt(0)
	v_mul_f64 v[13:14], s[26:27], v[11:12]
	v_mul_f64 v[11:12], s[24:25], v[11:12]
	s_delay_alu instid0(VALU_DEP_2) | instskip(NEXT) | instid1(VALU_DEP_2)
	v_fma_f64 v[13:14], s[24:25], v[9:10], -v[13:14]
	v_fma_f64 v[9:10], s[26:27], v[9:10], v[11:12]
	s_delay_alu instid0(VALU_DEP_2) | instskip(NEXT) | instid1(VALU_DEP_2)
	v_add_f64 v[1:2], v[1:2], -v[13:14]
	v_add_f64 v[3:4], v[3:4], -v[9:10]
	ds_store_b128 v7, v[1:4]
	ds_load_b128 v[9:12], v8 offset:48
	v_add_nc_u32_e32 v8, 64, v8
	s_waitcnt lgkmcnt(0)
	v_mul_f64 v[13:14], s[22:23], v[11:12]
	v_mul_f64 v[11:12], s[20:21], v[11:12]
	s_delay_alu instid0(VALU_DEP_2) | instskip(NEXT) | instid1(VALU_DEP_2)
	v_fma_f64 v[13:14], s[20:21], v[9:10], -v[13:14]
	v_fma_f64 v[9:10], s[22:23], v[9:10], v[11:12]
	s_delay_alu instid0(VALU_DEP_2) | instskip(NEXT) | instid1(VALU_DEP_2)
	v_add_f64 v[1:2], v[1:2], -v[13:14]
	v_add_f64 v[3:4], v[3:4], -v[9:10]
	ds_store_b128 v7, v[1:4]
	s_cbranch_scc0 .LBB239_73
.LBB239_74:                             ;   in Loop: Header=BB239_70 Depth=1
	s_and_b32 s0, s15, 3
	s_delay_alu instid0(SALU_CYCLE_1)
	s_cmp_eq_u32 s0, 0
	s_cbranch_scc1 .LBB239_77
; %bb.75:                               ;   in Loop: Header=BB239_70 Depth=1
	v_lshl_add_u32 v8, s17, 4, v6
	s_mul_i32 s1, s7, s17
	s_mul_hi_u32 s2, s6, s17
	s_and_b32 s0, s16, 3
	s_add_i32 s1, s2, s1
	s_mul_i32 s2, s6, s17
	.p2align	6
.LBB239_76:                             ;   Parent Loop BB239_70 Depth=1
                                        ; =>  This Inner Loop Header: Depth=2
	s_delay_alu instid0(SALU_CYCLE_1)
	s_add_u32 s10, s8, s2
	s_addc_u32 s11, s9, s1
	ds_load_b128 v[9:12], v8
	s_load_b128 s[20:23], s[10:11], 0x0
	v_add_nc_u32_e32 v8, 16, v8
	s_add_u32 s2, s2, s6
	s_addc_u32 s1, s1, s7
	s_add_i32 s0, s0, -1
	s_delay_alu instid0(SALU_CYCLE_1) | instskip(SKIP_3) | instid1(VALU_DEP_2)
	s_cmp_lg_u32 s0, 0
	s_waitcnt lgkmcnt(0)
	v_mul_f64 v[13:14], s[22:23], v[11:12]
	v_mul_f64 v[11:12], s[20:21], v[11:12]
	v_fma_f64 v[13:14], s[20:21], v[9:10], -v[13:14]
	s_delay_alu instid0(VALU_DEP_2) | instskip(NEXT) | instid1(VALU_DEP_2)
	v_fma_f64 v[9:10], s[22:23], v[9:10], v[11:12]
	v_add_f64 v[1:2], v[1:2], -v[13:14]
	s_delay_alu instid0(VALU_DEP_2)
	v_add_f64 v[3:4], v[3:4], -v[9:10]
	ds_store_b128 v7, v[1:4]
	s_cbranch_scc1 .LBB239_76
.LBB239_77:                             ;   in Loop: Header=BB239_70 Depth=1
	s_and_b32 vcc_lo, exec_lo, s12
	s_cbranch_vccz .LBB239_69
; %bb.78:                               ;   in Loop: Header=BB239_70 Depth=1
	s_mul_i32 s1, s14, s15
	s_mul_hi_u32 s2, s13, s15
	s_mul_i32 s0, s13, s15
	s_add_i32 s1, s2, s1
	s_delay_alu instid0(SALU_CYCLE_1) | instskip(NEXT) | instid1(SALU_CYCLE_1)
	s_lshl_b64 s[0:1], s[0:1], 4
	s_add_u32 s0, s46, s0
	s_addc_u32 s1, s47, s1
	s_load_b128 s[0:3], s[0:1], 0x0
	s_waitcnt lgkmcnt(0)
	v_cmp_lt_f64_e64 s10, s[0:1], 0
	v_cmp_lt_f64_e64 s17, s[2:3], 0
	s_xor_b32 s11, s1, 0x80000000
	s_delay_alu instid0(VALU_DEP_2) | instskip(SKIP_3) | instid1(VALU_DEP_1)
	s_and_b32 s10, s10, exec_lo
	s_cselect_b32 s11, s11, s1
	s_cselect_b32 s10, s0, s0
	s_xor_b32 s18, s3, 0x80000000
	s_and_b32 s17, s17, exec_lo
	s_cselect_b32 s19, s18, s3
	s_cselect_b32 s18, s2, s2
	s_delay_alu instid0(SALU_CYCLE_1) | instskip(NEXT) | instid1(VALU_DEP_1)
	v_cmp_ngt_f64_e64 s10, s[10:11], s[18:19]
	s_and_b32 vcc_lo, exec_lo, s10
	s_mov_b32 s10, -1
	s_cbranch_vccz .LBB239_80
; %bb.79:                               ;   in Loop: Header=BB239_70 Depth=1
	v_div_scale_f64 v[1:2], null, s[2:3], s[2:3], s[0:1]
	v_div_scale_f64 v[10:11], vcc_lo, s[0:1], s[2:3], s[0:1]
	s_mov_b32 s10, 0
	s_delay_alu instid0(VALU_DEP_2) | instskip(SKIP_2) | instid1(VALU_DEP_1)
	v_rcp_f64_e32 v[3:4], v[1:2]
	s_waitcnt_depctr 0xfff
	v_fma_f64 v[8:9], -v[1:2], v[3:4], 1.0
	v_fma_f64 v[3:4], v[3:4], v[8:9], v[3:4]
	s_delay_alu instid0(VALU_DEP_1) | instskip(NEXT) | instid1(VALU_DEP_1)
	v_fma_f64 v[8:9], -v[1:2], v[3:4], 1.0
	v_fma_f64 v[3:4], v[3:4], v[8:9], v[3:4]
	s_delay_alu instid0(VALU_DEP_1) | instskip(NEXT) | instid1(VALU_DEP_1)
	v_mul_f64 v[8:9], v[10:11], v[3:4]
	v_fma_f64 v[1:2], -v[1:2], v[8:9], v[10:11]
	s_delay_alu instid0(VALU_DEP_1) | instskip(NEXT) | instid1(VALU_DEP_1)
	v_div_fmas_f64 v[1:2], v[1:2], v[3:4], v[8:9]
	v_div_fixup_f64 v[8:9], v[1:2], s[2:3], s[0:1]
	s_delay_alu instid0(VALU_DEP_1) | instskip(NEXT) | instid1(VALU_DEP_1)
	v_fma_f64 v[10:11], s[0:1], v[8:9], s[2:3]
	v_div_scale_f64 v[1:2], null, v[10:11], v[10:11], 1.0
	v_div_scale_f64 v[14:15], vcc_lo, 1.0, v[10:11], 1.0
	s_delay_alu instid0(VALU_DEP_2) | instskip(SKIP_2) | instid1(VALU_DEP_1)
	v_rcp_f64_e32 v[3:4], v[1:2]
	s_waitcnt_depctr 0xfff
	v_fma_f64 v[12:13], -v[1:2], v[3:4], 1.0
	v_fma_f64 v[3:4], v[3:4], v[12:13], v[3:4]
	s_delay_alu instid0(VALU_DEP_1) | instskip(NEXT) | instid1(VALU_DEP_1)
	v_fma_f64 v[12:13], -v[1:2], v[3:4], 1.0
	v_fma_f64 v[3:4], v[3:4], v[12:13], v[3:4]
	s_delay_alu instid0(VALU_DEP_1) | instskip(NEXT) | instid1(VALU_DEP_1)
	v_mul_f64 v[12:13], v[14:15], v[3:4]
	v_fma_f64 v[1:2], -v[1:2], v[12:13], v[14:15]
	s_delay_alu instid0(VALU_DEP_1)
	v_div_fmas_f64 v[12:13], v[1:2], v[3:4], v[12:13]
	ds_load_b128 v[1:4], v7
	s_waitcnt lgkmcnt(0)
	v_fma_f64 v[14:15], v[8:9], v[1:2], v[3:4]
	v_fma_f64 v[3:4], v[8:9], v[3:4], -v[1:2]
	v_div_fixup_f64 v[10:11], v[12:13], v[10:11], 1.0
	s_delay_alu instid0(VALU_DEP_1) | instskip(NEXT) | instid1(VALU_DEP_3)
	v_mul_f64 v[1:2], v[10:11], v[14:15]
	v_mul_f64 v[3:4], v[10:11], v[3:4]
	ds_store_b128 v7, v[1:4]
.LBB239_80:                             ;   in Loop: Header=BB239_70 Depth=1
	s_and_not1_b32 vcc_lo, exec_lo, s10
	s_cbranch_vccnz .LBB239_69
; %bb.81:                               ;   in Loop: Header=BB239_70 Depth=1
	v_div_scale_f64 v[1:2], null, s[0:1], s[0:1], s[2:3]
	v_div_scale_f64 v[10:11], vcc_lo, s[2:3], s[0:1], s[2:3]
	s_delay_alu instid0(VALU_DEP_2) | instskip(SKIP_2) | instid1(VALU_DEP_1)
	v_rcp_f64_e32 v[3:4], v[1:2]
	s_waitcnt_depctr 0xfff
	v_fma_f64 v[8:9], -v[1:2], v[3:4], 1.0
	v_fma_f64 v[3:4], v[3:4], v[8:9], v[3:4]
	s_delay_alu instid0(VALU_DEP_1) | instskip(NEXT) | instid1(VALU_DEP_1)
	v_fma_f64 v[8:9], -v[1:2], v[3:4], 1.0
	v_fma_f64 v[3:4], v[3:4], v[8:9], v[3:4]
	s_delay_alu instid0(VALU_DEP_1) | instskip(NEXT) | instid1(VALU_DEP_1)
	v_mul_f64 v[8:9], v[10:11], v[3:4]
	v_fma_f64 v[1:2], -v[1:2], v[8:9], v[10:11]
	s_delay_alu instid0(VALU_DEP_1) | instskip(NEXT) | instid1(VALU_DEP_1)
	v_div_fmas_f64 v[1:2], v[1:2], v[3:4], v[8:9]
	v_div_fixup_f64 v[8:9], v[1:2], s[0:1], s[2:3]
	s_delay_alu instid0(VALU_DEP_1) | instskip(NEXT) | instid1(VALU_DEP_1)
	v_fma_f64 v[10:11], s[2:3], v[8:9], s[0:1]
	v_div_scale_f64 v[1:2], null, v[10:11], v[10:11], 1.0
	v_div_scale_f64 v[14:15], vcc_lo, 1.0, v[10:11], 1.0
	s_delay_alu instid0(VALU_DEP_2) | instskip(SKIP_2) | instid1(VALU_DEP_1)
	v_rcp_f64_e32 v[3:4], v[1:2]
	s_waitcnt_depctr 0xfff
	v_fma_f64 v[12:13], -v[1:2], v[3:4], 1.0
	v_fma_f64 v[3:4], v[3:4], v[12:13], v[3:4]
	s_delay_alu instid0(VALU_DEP_1) | instskip(NEXT) | instid1(VALU_DEP_1)
	v_fma_f64 v[12:13], -v[1:2], v[3:4], 1.0
	v_fma_f64 v[3:4], v[3:4], v[12:13], v[3:4]
	s_delay_alu instid0(VALU_DEP_1) | instskip(NEXT) | instid1(VALU_DEP_1)
	v_mul_f64 v[12:13], v[14:15], v[3:4]
	v_fma_f64 v[1:2], -v[1:2], v[12:13], v[14:15]
	s_delay_alu instid0(VALU_DEP_1)
	v_div_fmas_f64 v[12:13], v[1:2], v[3:4], v[12:13]
	ds_load_b128 v[1:4], v7
	s_waitcnt lgkmcnt(0)
	v_fma_f64 v[14:15], v[8:9], v[3:4], v[1:2]
	v_fma_f64 v[3:4], -v[8:9], v[1:2], v[3:4]
	v_div_fixup_f64 v[10:11], v[12:13], v[10:11], 1.0
	s_delay_alu instid0(VALU_DEP_1) | instskip(NEXT) | instid1(VALU_DEP_3)
	v_mul_f64 v[1:2], v[10:11], v[14:15]
	v_mul_f64 v[3:4], v[10:11], v[3:4]
	ds_store_b128 v7, v[1:4]
	s_branch .LBB239_69
.LBB239_82:
	v_cmp_gt_i32_e32 vcc_lo, s39, v0
	s_waitcnt lgkmcnt(0)
	s_barrier
	buffer_gl0_inv
	s_and_b32 s0, vcc_lo, s61
	s_delay_alu instid0(SALU_CYCLE_1)
	s_and_saveexec_b32 s1, s0
	s_cbranch_execz .LBB239_89
; %bb.83:
	v_lshlrev_b32_e32 v2, 4, v0
	s_cmp_lt_u32 s33, 4
	s_mov_b32 s0, 0
	s_cbranch_scc1 .LBB239_86
; %bb.84:
	s_lshl_b64 s[8:9], s[44:45], 4
	s_and_b32 s0, s33, 0x7ffffffc
	s_add_u32 s1, s8, 48
	s_addc_u32 s4, s9, 0
	s_mul_i32 s2, s1, s35
	s_mul_hi_u32 s3, s1, s34
	s_mul_i32 s4, s4, s34
	s_add_i32 s2, s3, s2
	s_mul_i32 s1, s1, s34
	s_add_i32 s2, s2, s4
	s_add_u32 s1, s1, s42
	s_addc_u32 s2, s2, s43
	s_add_u32 s1, s40, s1
	s_addc_u32 s4, s41, s2
	s_lshl_b64 s[2:3], s[34:35], 6
	s_add_u32 s5, s8, 32
	s_addc_u32 s10, s9, 0
	s_mul_i32 s6, s5, s35
	s_mul_hi_u32 s7, s5, s34
	s_mul_i32 s10, s10, s34
	s_add_i32 s6, s7, s6
	s_mul_i32 s5, s5, s34
	s_add_i32 s6, s6, s10
	s_add_u32 s5, s5, s42
	s_addc_u32 s6, s6, s43
	s_add_u32 s5, s40, s5
	s_addc_u32 s6, s41, s6
	s_add_u32 s7, s8, 16
	s_addc_u32 s9, s9, 0
	s_mul_i32 s8, s7, s35
	s_mul_hi_u32 s10, s7, s34
	s_mul_i32 s9, s9, s34
	s_add_i32 s8, s10, s8
	s_mul_i32 s7, s7, s34
	s_add_i32 s8, s8, s9
	v_dual_mov_b32 v1, v2 :: v_dual_lshlrev_b32 v0, 4, v0
	s_add_u32 s7, s7, s42
	s_addc_u32 s8, s8, s43
	s_add_u32 s7, s40, s7
	s_addc_u32 s8, s41, s8
	s_mov_b32 s9, 0
.LBB239_85:                             ; =>This Inner Loop Header: Depth=1
	v_add_nc_u32_e32 v11, 0x800, v1
	v_add_nc_u32_e32 v15, 0xc00, v1
	ds_load_2addr_b64 v[3:6], v1 offset1:1
	ds_load_2addr_b64 v[7:10], v1 offset0:128 offset1:129
	v_add_co_u32 v19, s10, s58, v0
	ds_load_2addr_b64 v[11:14], v11 offset1:1
	ds_load_2addr_b64 v[15:18], v15 offset1:1
	v_add_co_ci_u32_e64 v20, null, s59, 0, s10
	v_add_co_u32 v21, s10, s7, v0
	s_delay_alu instid0(VALU_DEP_1) | instskip(SKIP_1) | instid1(VALU_DEP_1)
	v_add_co_ci_u32_e64 v22, null, s8, 0, s10
	v_add_co_u32 v23, s10, s5, v0
	v_add_co_ci_u32_e64 v24, null, s6, 0, s10
	v_add_co_u32 v25, s10, s1, v0
	s_add_i32 s9, s9, 4
	s_add_u32 s1, s1, s2
	v_add_co_ci_u32_e64 v26, null, s4, 0, s10
	s_addc_u32 s4, s4, s3
	s_add_u32 s5, s5, s2
	s_addc_u32 s6, s6, s3
	s_add_u32 s7, s7, s2
	v_add_nc_u32_e32 v1, 0x1000, v1
	s_addc_u32 s8, s8, s3
	s_add_u32 s58, s58, s2
	s_addc_u32 s59, s59, s3
	s_cmp_lg_u32 s0, s9
	s_waitcnt lgkmcnt(3)
	global_store_b128 v[19:20], v[3:6], off
	s_waitcnt lgkmcnt(2)
	global_store_b128 v[21:22], v[7:10], off
	;; [unrolled: 2-line block ×4, first 2 shown]
	s_cbranch_scc1 .LBB239_85
.LBB239_86:
	s_and_b32 s2, s33, 3
	s_mov_b32 s1, 0
	s_cmp_eq_u32 s2, 0
	s_cbranch_scc1 .LBB239_89
; %bb.87:
	s_lshl_b64 s[4:5], s[44:45], 4
	s_lshl_b64 s[6:7], s[0:1], 4
	s_delay_alu instid0(SALU_CYCLE_1)
	s_add_u32 s1, s4, s6
	s_addc_u32 s5, s5, s7
	s_mul_i32 s3, s1, s35
	s_mul_hi_u32 s4, s1, s34
	s_mul_i32 s5, s5, s34
	s_add_i32 s3, s4, s3
	s_mul_i32 s1, s1, s34
	s_add_i32 s3, s3, s5
	s_add_u32 s1, s1, s42
	s_addc_u32 s3, s3, s43
	s_add_u32 s1, s40, s1
	s_addc_u32 s3, s41, s3
	v_add_co_u32 v0, s1, s1, v2
	s_delay_alu instid0(VALU_DEP_1)
	v_add_co_ci_u32_e64 v1, null, s3, 0, s1
	v_lshl_or_b32 v2, s0, 10, v2
	s_lshl_b64 s[0:1], s[34:35], 4
.LBB239_88:                             ; =>This Inner Loop Header: Depth=1
	ds_load_2addr_b64 v[3:6], v2 offset1:1
	v_add_nc_u32_e32 v2, 0x400, v2
	s_add_i32 s2, s2, -1
	s_delay_alu instid0(SALU_CYCLE_1)
	s_cmp_lg_u32 s2, 0
	s_waitcnt lgkmcnt(0)
	global_store_b128 v[0:1], v[3:6], off
	v_add_co_u32 v0, vcc_lo, v0, s0
	v_add_co_ci_u32_e32 v1, vcc_lo, s1, v1, vcc_lo
	s_cbranch_scc1 .LBB239_88
.LBB239_89:
	s_nop 0
	s_sendmsg sendmsg(MSG_DEALLOC_VGPRS)
	s_endpgm
	.section	.rodata,"a",@progbits
	.p2align	6, 0x0
	.amdhsa_kernel _ZL33rocblas_trsm_small_64_left_deviceI19rocblas_complex_numIdES1_PKPKS1_PKPS1_Li64EEv13rocblas_fill_18rocblas_operation_17rocblas_diagonal_iiT0_T1_lilT2_lili
		.amdhsa_group_segment_fixed_size 65536
		.amdhsa_private_segment_fixed_size 0
		.amdhsa_kernarg_size 368
		.amdhsa_user_sgpr_count 14
		.amdhsa_user_sgpr_dispatch_ptr 0
		.amdhsa_user_sgpr_queue_ptr 0
		.amdhsa_user_sgpr_kernarg_segment_ptr 1
		.amdhsa_user_sgpr_dispatch_id 0
		.amdhsa_user_sgpr_private_segment_size 0
		.amdhsa_wavefront_size32 1
		.amdhsa_uses_dynamic_stack 0
		.amdhsa_enable_private_segment 0
		.amdhsa_system_sgpr_workgroup_id_x 1
		.amdhsa_system_sgpr_workgroup_id_y 0
		.amdhsa_system_sgpr_workgroup_id_z 1
		.amdhsa_system_sgpr_workgroup_info 0
		.amdhsa_system_vgpr_workitem_id 0
		.amdhsa_next_free_vgpr 31
		.amdhsa_next_free_sgpr 70
		.amdhsa_reserve_vcc 1
		.amdhsa_float_round_mode_32 0
		.amdhsa_float_round_mode_16_64 0
		.amdhsa_float_denorm_mode_32 3
		.amdhsa_float_denorm_mode_16_64 3
		.amdhsa_dx10_clamp 1
		.amdhsa_ieee_mode 1
		.amdhsa_fp16_overflow 0
		.amdhsa_workgroup_processor_mode 1
		.amdhsa_memory_ordered 1
		.amdhsa_forward_progress 0
		.amdhsa_shared_vgpr_count 0
		.amdhsa_exception_fp_ieee_invalid_op 0
		.amdhsa_exception_fp_denorm_src 0
		.amdhsa_exception_fp_ieee_div_zero 0
		.amdhsa_exception_fp_ieee_overflow 0
		.amdhsa_exception_fp_ieee_underflow 0
		.amdhsa_exception_fp_ieee_inexact 0
		.amdhsa_exception_int_div_zero 0
	.end_amdhsa_kernel
	.section	.text._ZL33rocblas_trsm_small_64_left_deviceI19rocblas_complex_numIdES1_PKPKS1_PKPS1_Li64EEv13rocblas_fill_18rocblas_operation_17rocblas_diagonal_iiT0_T1_lilT2_lili,"axG",@progbits,_ZL33rocblas_trsm_small_64_left_deviceI19rocblas_complex_numIdES1_PKPKS1_PKPS1_Li64EEv13rocblas_fill_18rocblas_operation_17rocblas_diagonal_iiT0_T1_lilT2_lili,comdat
.Lfunc_end239:
	.size	_ZL33rocblas_trsm_small_64_left_deviceI19rocblas_complex_numIdES1_PKPKS1_PKPS1_Li64EEv13rocblas_fill_18rocblas_operation_17rocblas_diagonal_iiT0_T1_lilT2_lili, .Lfunc_end239-_ZL33rocblas_trsm_small_64_left_deviceI19rocblas_complex_numIdES1_PKPKS1_PKPS1_Li64EEv13rocblas_fill_18rocblas_operation_17rocblas_diagonal_iiT0_T1_lilT2_lili
                                        ; -- End function
	.section	.AMDGPU.csdata,"",@progbits
; Kernel info:
; codeLenInByte = 8188
; NumSgprs: 72
; NumVgprs: 31
; ScratchSize: 0
; MemoryBound: 0
; FloatMode: 240
; IeeeMode: 1
; LDSByteSize: 65536 bytes/workgroup (compile time only)
; SGPRBlocks: 8
; VGPRBlocks: 3
; NumSGPRsForWavesPerEU: 72
; NumVGPRsForWavesPerEU: 31
; Occupancy: 1
; WaveLimiterHint : 1
; COMPUTE_PGM_RSRC2:SCRATCH_EN: 0
; COMPUTE_PGM_RSRC2:USER_SGPR: 14
; COMPUTE_PGM_RSRC2:TRAP_HANDLER: 0
; COMPUTE_PGM_RSRC2:TGID_X_EN: 1
; COMPUTE_PGM_RSRC2:TGID_Y_EN: 0
; COMPUTE_PGM_RSRC2:TGID_Z_EN: 1
; COMPUTE_PGM_RSRC2:TIDIG_COMP_CNT: 0
	.section	.text._ZL34rocblas_trsm_small_64_right_deviceI19rocblas_complex_numIdES1_PKPKS1_PKPS1_Li64EEv13rocblas_fill_18rocblas_operation_17rocblas_diagonal_iiT0_T1_lilT2_lili,"axG",@progbits,_ZL34rocblas_trsm_small_64_right_deviceI19rocblas_complex_numIdES1_PKPKS1_PKPS1_Li64EEv13rocblas_fill_18rocblas_operation_17rocblas_diagonal_iiT0_T1_lilT2_lili,comdat
	.globl	_ZL34rocblas_trsm_small_64_right_deviceI19rocblas_complex_numIdES1_PKPKS1_PKPS1_Li64EEv13rocblas_fill_18rocblas_operation_17rocblas_diagonal_iiT0_T1_lilT2_lili ; -- Begin function _ZL34rocblas_trsm_small_64_right_deviceI19rocblas_complex_numIdES1_PKPKS1_PKPS1_Li64EEv13rocblas_fill_18rocblas_operation_17rocblas_diagonal_iiT0_T1_lilT2_lili
	.p2align	8
	.type	_ZL34rocblas_trsm_small_64_right_deviceI19rocblas_complex_numIdES1_PKPKS1_PKPS1_Li64EEv13rocblas_fill_18rocblas_operation_17rocblas_diagonal_iiT0_T1_lilT2_lili,@function
_ZL34rocblas_trsm_small_64_right_deviceI19rocblas_complex_numIdES1_PKPKS1_PKPS1_Li64EEv13rocblas_fill_18rocblas_operation_17rocblas_diagonal_iiT0_T1_lilT2_lili: ; @_ZL34rocblas_trsm_small_64_right_deviceI19rocblas_complex_numIdES1_PKPKS1_PKPS1_Li64EEv13rocblas_fill_18rocblas_operation_17rocblas_diagonal_iiT0_T1_lilT2_lili
; %bb.0:
	s_clause 0x1
	s_load_b256 s[4:11], s[0:1], 0x18
	s_load_b128 s[20:23], s[0:1], 0x48
	s_mov_b32 s2, s15
	s_mov_b32 s3, 0
	s_delay_alu instid0(SALU_CYCLE_1)
	s_lshl_b64 s[12:13], s[2:3], 3
	s_clause 0x1
	s_load_b32 s34, s[0:1], 0x58
	s_load_b32 s2, s[0:1], 0x70
	s_waitcnt lgkmcnt(0)
	s_add_u32 s8, s8, s12
	s_addc_u32 s9, s9, s13
	s_add_u32 s12, s20, s12
	s_addc_u32 s13, s21, s13
	s_lshl_b64 s[38:39], s[22:23], 4
	s_load_b64 s[36:37], s[12:13], 0x0
	s_clause 0x1
	s_load_b128 s[16:19], s[0:1], 0x0
	s_load_b32 s33, s[0:1], 0x10
	s_load_b64 s[12:13], s[8:9], 0x0
	s_waitcnt lgkmcnt(0)
	s_add_u32 s8, s36, s38
	s_addc_u32 s9, s37, s39
	s_lshl_b32 s15, s14, 6
	s_add_i32 s2, s2, -1
	s_sub_i32 s15, s19, s15
	s_cmp_ge_u32 s14, s2
	s_cselect_b32 s2, s15, 64
	s_ashr_i32 s15, s14, 31
	v_cmp_gt_i32_e32 vcc_lo, s2, v0
	s_lshl_b64 s[40:41], s[14:15], 10
	s_delay_alu instid0(SALU_CYCLE_1) | instskip(SKIP_3) | instid1(SALU_CYCLE_1)
	s_add_u32 s54, s8, s40
	s_addc_u32 s55, s9, s41
	s_cmp_gt_i32 s33, 0
	s_cselect_b32 s19, -1, 0
	s_and_b32 s56, vcc_lo, s19
	s_delay_alu instid0(SALU_CYCLE_1)
	s_and_saveexec_b32 s20, s56
	s_cbranch_execz .LBB240_7
; %bb.1:
	s_ashr_i32 s35, s34, 31
	s_cmp_lt_u32 s33, 4
	s_cbranch_scc1 .LBB240_4
; %bb.2:
	v_lshlrev_b32_e32 v3, 4, v0
	s_and_b32 s3, s33, 0x7ffffffc
	s_lshl_b64 s[8:9], s[34:35], 6
	s_lshl_b64 s[14:15], s[34:35], 4
	s_delay_alu instid0(VALU_DEP_1) | instskip(NEXT) | instid1(VALU_DEP_1)
	v_add_co_u32 v1, s2, s54, v3
	v_add_co_ci_u32_e64 v2, null, s55, 0, s2
	s_mov_b32 s2, 0
.LBB240_3:                              ; =>This Inner Loop Header: Depth=1
	s_delay_alu instid0(VALU_DEP_2) | instskip(NEXT) | instid1(VALU_DEP_2)
	v_add_co_u32 v8, vcc_lo, v1, s14
	v_add_co_ci_u32_e32 v9, vcc_lo, s15, v2, vcc_lo
	global_load_b128 v[4:7], v[1:2], off
	v_add_co_u32 v12, vcc_lo, v8, s14
	v_add_co_ci_u32_e32 v13, vcc_lo, s15, v9, vcc_lo
	global_load_b128 v[8:11], v[8:9], off
	v_add_co_u32 v16, vcc_lo, v12, s14
	v_add_co_ci_u32_e32 v17, vcc_lo, s15, v13, vcc_lo
	v_add_co_u32 v1, vcc_lo, v1, s8
	s_clause 0x1
	global_load_b128 v[12:15], v[12:13], off
	global_load_b128 v[16:19], v[16:17], off
	v_add_co_ci_u32_e32 v2, vcc_lo, s9, v2, vcc_lo
	s_add_i32 s2, s2, 4
	s_delay_alu instid0(SALU_CYCLE_1)
	s_cmp_lg_u32 s3, s2
	s_waitcnt vmcnt(3)
	v_mul_f64 v[20:21], s[6:7], v[6:7]
	v_mul_f64 v[6:7], s[4:5], v[6:7]
	s_waitcnt vmcnt(2)
	v_mul_f64 v[22:23], s[6:7], v[10:11]
	v_mul_f64 v[10:11], s[4:5], v[10:11]
	s_waitcnt vmcnt(1)
	v_mul_f64 v[24:25], s[6:7], v[14:15]
	v_mul_f64 v[14:15], s[4:5], v[14:15]
	s_waitcnt vmcnt(0)
	v_mul_f64 v[26:27], s[6:7], v[18:19]
	v_mul_f64 v[28:29], s[4:5], v[18:19]
	v_fma_f64 v[18:19], s[4:5], v[4:5], -v[20:21]
	v_fma_f64 v[20:21], s[6:7], v[4:5], v[6:7]
	v_fma_f64 v[4:5], s[4:5], v[8:9], -v[22:23]
	v_fma_f64 v[6:7], s[6:7], v[8:9], v[10:11]
	;; [unrolled: 2-line block ×4, first 2 shown]
	ds_store_b128 v3, v[18:21]
	ds_store_b128 v3, v[4:7] offset:1024
	ds_store_b128 v3, v[8:11] offset:2048
	;; [unrolled: 1-line block ×3, first 2 shown]
	v_add_nc_u32_e32 v3, 0x1000, v3
	s_cbranch_scc1 .LBB240_3
.LBB240_4:
	s_and_b32 s8, s33, 3
	s_delay_alu instid0(SALU_CYCLE_1)
	s_cmp_eq_u32 s8, 0
	s_cbranch_scc1 .LBB240_7
; %bb.5:
	s_mul_hi_i32 s15, s34, s3
	s_mul_i32 s14, s34, s3
	v_lshlrev_b32_e32 v1, 4, v0
	s_lshl_b64 s[14:15], s[14:15], 4
	s_delay_alu instid0(SALU_CYCLE_1)
	s_add_u32 s2, s14, s40
	s_addc_u32 s9, s15, s41
	s_add_u32 s2, s2, s38
	s_addc_u32 s9, s9, s39
	;; [unrolled: 2-line block ×3, first 2 shown]
	v_add_co_u32 v2, s2, s2, v1
	s_delay_alu instid0(VALU_DEP_1) | instskip(SKIP_1) | instid1(VALU_DEP_3)
	v_add_co_ci_u32_e64 v4, null, s9, 0, s2
	v_lshl_or_b32 v3, s3, 10, v1
	v_add_co_u32 v1, vcc_lo, v2, 8
	s_delay_alu instid0(VALU_DEP_3)
	v_add_co_ci_u32_e32 v2, vcc_lo, 0, v4, vcc_lo
	s_lshl_b64 s[2:3], s[34:35], 4
	.p2align	6
.LBB240_6:                              ; =>This Inner Loop Header: Depth=1
	global_load_b128 v[4:7], v[1:2], off offset:-8
	v_add_co_u32 v1, vcc_lo, v1, s2
	v_add_co_ci_u32_e32 v2, vcc_lo, s3, v2, vcc_lo
	s_add_i32 s8, s8, -1
	s_delay_alu instid0(SALU_CYCLE_1) | instskip(SKIP_3) | instid1(VALU_DEP_2)
	s_cmp_lg_u32 s8, 0
	s_waitcnt vmcnt(0)
	v_mul_f64 v[8:9], s[6:7], v[6:7]
	v_mul_f64 v[10:11], s[4:5], v[6:7]
	v_fma_f64 v[6:7], s[4:5], v[4:5], -v[8:9]
	s_delay_alu instid0(VALU_DEP_2)
	v_fma_f64 v[8:9], s[6:7], v[4:5], v[10:11]
	ds_store_b128 v3, v[6:9]
	v_add_nc_u32_e32 v3, 0x400, v3
	s_cbranch_scc1 .LBB240_6
.LBB240_7:
	s_or_b32 exec_lo, exec_lo, s20
	s_load_b32 s20, s[0:1], 0x38
	s_lshl_b64 s[14:15], s[10:11], 4
	s_waitcnt lgkmcnt(0)
	s_add_u32 s42, s12, s14
	s_addc_u32 s43, s13, s15
	s_min_i32 s35, s33, 64
	s_cmpk_eq_i32 s17, 0x6f
	s_barrier
	s_cselect_b32 s1, -1, 0
	s_cmpk_eq_i32 s16, 0x79
	buffer_gl0_inv
	s_cselect_b32 s2, -1, 0
	s_cmpk_lg_i32 s16, 0x79
	s_cselect_b32 s0, -1, 0
	s_and_b32 s2, s2, s1
	s_delay_alu instid0(SALU_CYCLE_1)
	s_and_not1_b32 vcc_lo, exec_lo, s2
	s_mov_b32 s2, -1
	s_cbranch_vccz .LBB240_66
; %bb.8:
	s_cmpk_lg_i32 s16, 0x7a
	s_cselect_b32 s2, -1, 0
	s_xor_b32 s1, s1, -1
	s_add_i32 s26, s35, -1
	s_or_b32 s2, s2, s1
	s_mov_b32 s1, -1
	s_and_b32 vcc_lo, exec_lo, s2
	s_cbranch_vccz .LBB240_47
; %bb.9:
	s_cmpk_eq_i32 s17, 0x71
	s_cselect_b32 s27, -1, 0
	s_and_not1_b32 vcc_lo, exec_lo, s0
	s_mov_b32 s0, -1
	s_cbranch_vccnz .LBB240_28
; %bb.10:
	s_and_not1_b32 vcc_lo, exec_lo, s19
	s_cbranch_vccnz .LBB240_27
; %bb.11:
	s_ashr_i32 s21, s20, 31
	s_cmpk_lg_i32 s18, 0x84
	v_lshlrev_b32_e32 v9, 4, v0
	s_cselect_b32 s28, -1, 0
	s_add_u32 s29, s20, 1
	s_addc_u32 s30, s21, 0
	s_add_u32 s0, s12, s14
	s_addc_u32 s1, s13, s15
	;; [unrolled: 2-line block ×3, first 2 shown]
	s_lshl_b64 s[10:11], s[20:21], 6
	s_lshl_b64 s[16:17], s[20:21], 4
	s_mov_b32 s21, 0
	s_mov_b32 s31, 0
	s_mov_b64 s[22:23], s[42:43]
	s_branch .LBB240_14
.LBB240_12:                             ;   in Loop: Header=BB240_14 Depth=1
	ds_store_b128 v10, v[5:8]
.LBB240_13:                             ;   in Loop: Header=BB240_14 Depth=1
	v_add_nc_u16 v1, s31, 1
	s_add_i32 s21, s21, 1
	s_add_u32 s8, s8, 16
	s_addc_u32 s9, s9, 0
	s_add_u32 s22, s22, 16
	v_readfirstlane_b32 s31, v1
	s_addc_u32 s23, s23, 0
	s_cmp_lg_u32 s21, s35
	s_cbranch_scc0 .LBB240_27
.LBB240_14:                             ; =>This Loop Header: Depth=1
                                        ;     Child Loop BB240_17 Depth 2
                                        ;     Child Loop BB240_21 Depth 2
	v_lshl_or_b32 v10, s21, 10, v9
	s_cmp_eq_u32 s21, 0
	ds_load_b128 v[1:4], v10
	s_cbranch_scc1 .LBB240_22
; %bb.15:                               ;   in Loop: Header=BB240_14 Depth=1
	s_cmp_lt_u32 s21, 4
	s_cbranch_scc1 .LBB240_19
; %bb.16:                               ;   in Loop: Header=BB240_14 Depth=1
	v_mov_b32_e32 v5, v9
	s_and_b32 s44, s21, -4
	s_mov_b32 s45, 0
	s_mov_b64 s[24:25], s[8:9]
.LBB240_17:                             ;   Parent Loop BB240_14 Depth=1
                                        ; =>  This Inner Loop Header: Depth=2
	s_delay_alu instid0(SALU_CYCLE_1)
	s_add_u32 s0, s24, -8
	s_addc_u32 s1, s25, -1
	s_load_b128 s[4:7], s[0:1], 0x0
	ds_load_b128 v[11:14], v5
	ds_load_b128 v[15:18], v5 offset:1024
	s_waitcnt lgkmcnt(0)
	s_xor_b32 s0, s7, 0x80000000
	s_and_b32 s1, s27, exec_lo
	s_cselect_b32 s7, s0, s7
	s_cselect_b32 s6, s6, s6
	v_mul_f64 v[6:7], s[4:5], v[13:14]
	v_mul_f64 v[13:14], s[6:7], v[13:14]
	s_add_u32 s46, s24, s16
	s_addc_u32 s47, s25, s17
	s_add_u32 s0, s46, -8
	s_addc_u32 s1, s47, -1
	s_load_b128 s[0:3], s[0:1], 0x0
	s_waitcnt lgkmcnt(0)
	s_xor_b32 s48, s3, 0x80000000
	s_and_b32 s49, s27, exec_lo
	s_cselect_b32 s3, s48, s3
	s_cselect_b32 s2, s2, s2
	v_mul_f64 v[21:22], s[0:1], v[17:18]
	v_mul_f64 v[23:24], s[2:3], v[17:18]
	s_add_u32 s46, s46, s16
	s_addc_u32 s47, s47, s17
	s_delay_alu instid0(VALU_DEP_4) | instskip(NEXT) | instid1(VALU_DEP_4)
	v_fma_f64 v[6:7], s[6:7], v[11:12], v[6:7]
	v_fma_f64 v[25:26], s[4:5], v[11:12], -v[13:14]
	s_add_u32 s4, s46, -8
	s_addc_u32 s5, s47, -1
	s_load_b128 s[4:7], s[4:5], 0x0
	ds_load_b128 v[11:14], v5 offset:2048
	ds_load_b128 v[17:20], v5 offset:3072
	v_add_nc_u32_e32 v5, 0x1000, v5
	s_waitcnt lgkmcnt(0)
	s_xor_b32 s48, s7, 0x80000000
	s_and_b32 s49, s27, exec_lo
	s_cselect_b32 s7, s48, s7
	s_cselect_b32 s6, s6, s6
	v_mul_f64 v[27:28], s[4:5], v[13:14]
	v_mul_f64 v[13:14], s[6:7], v[13:14]
	v_fma_f64 v[21:22], s[2:3], v[15:16], v[21:22]
	v_fma_f64 v[15:16], s[0:1], v[15:16], -v[23:24]
	s_add_u32 s0, s46, s16
	s_addc_u32 s1, s47, s17
	s_add_u32 s0, s0, -8
	s_addc_u32 s1, s1, -1
	v_add_f64 v[3:4], v[3:4], -v[6:7]
	v_add_f64 v[1:2], v[1:2], -v[25:26]
	s_load_b128 s[0:3], s[0:1], 0x0
	s_waitcnt lgkmcnt(0)
	s_xor_b32 s46, s3, 0x80000000
	s_and_b32 s47, s27, exec_lo
	s_cselect_b32 s3, s46, s3
	s_cselect_b32 s2, s2, s2
	v_mul_f64 v[6:7], s[0:1], v[19:20]
	v_mul_f64 v[19:20], s[2:3], v[19:20]
	s_add_i32 s45, s45, 4
	v_fma_f64 v[23:24], s[6:7], v[11:12], v[27:28]
	v_fma_f64 v[11:12], s[4:5], v[11:12], -v[13:14]
	s_add_u32 s24, s24, s10
	s_addc_u32 s25, s25, s11
	s_cmp_eq_u32 s44, s45
	v_add_f64 v[3:4], v[3:4], -v[21:22]
	v_add_f64 v[1:2], v[1:2], -v[15:16]
	v_fma_f64 v[6:7], s[2:3], v[17:18], v[6:7]
	v_fma_f64 v[13:14], s[0:1], v[17:18], -v[19:20]
	s_delay_alu instid0(VALU_DEP_4) | instskip(NEXT) | instid1(VALU_DEP_4)
	v_add_f64 v[3:4], v[3:4], -v[23:24]
	v_add_f64 v[1:2], v[1:2], -v[11:12]
	s_delay_alu instid0(VALU_DEP_2) | instskip(NEXT) | instid1(VALU_DEP_2)
	v_add_f64 v[3:4], v[3:4], -v[6:7]
	v_add_f64 v[1:2], v[1:2], -v[13:14]
	s_cbranch_scc0 .LBB240_17
; %bb.18:                               ;   in Loop: Header=BB240_14 Depth=1
	s_and_b32 s0, s21, 3
	s_delay_alu instid0(SALU_CYCLE_1)
	s_cmp_eq_u32 s0, 0
	s_cbranch_scc0 .LBB240_20
	s_branch .LBB240_22
.LBB240_19:                             ;   in Loop: Header=BB240_14 Depth=1
	s_mov_b32 s44, 0
	s_and_b32 s0, s21, 3
	s_delay_alu instid0(SALU_CYCLE_1)
	s_cmp_eq_u32 s0, 0
	s_cbranch_scc1 .LBB240_22
.LBB240_20:                             ;   in Loop: Header=BB240_14 Depth=1
	v_lshl_or_b32 v5, s44, 10, v9
	s_mul_i32 s1, s17, s44
	s_mul_hi_u32 s2, s16, s44
	s_and_b32 s0, s31, 3
	s_add_i32 s1, s2, s1
	s_mul_i32 s2, s16, s44
	.p2align	6
.LBB240_21:                             ;   Parent Loop BB240_14 Depth=1
                                        ; =>  This Inner Loop Header: Depth=2
	s_delay_alu instid0(SALU_CYCLE_1)
	s_add_u32 s4, s22, s2
	s_addc_u32 s5, s23, s1
	ds_load_b128 v[11:14], v5
	s_load_b128 s[4:7], s[4:5], 0x0
	v_add_nc_u32_e32 v5, 0x400, v5
	s_waitcnt lgkmcnt(0)
	s_xor_b32 s3, s7, 0x80000000
	s_and_b32 s24, s27, exec_lo
	s_cselect_b32 s7, s3, s7
	s_cselect_b32 s6, s6, s6
	v_mul_f64 v[6:7], s[4:5], v[13:14]
	v_mul_f64 v[13:14], s[6:7], v[13:14]
	s_add_u32 s2, s2, s16
	s_addc_u32 s1, s1, s17
	s_add_i32 s0, s0, -1
	s_delay_alu instid0(SALU_CYCLE_1) | instskip(NEXT) | instid1(VALU_DEP_2)
	s_cmp_lg_u32 s0, 0
	v_fma_f64 v[6:7], s[6:7], v[11:12], v[6:7]
	s_delay_alu instid0(VALU_DEP_2) | instskip(NEXT) | instid1(VALU_DEP_2)
	v_fma_f64 v[11:12], s[4:5], v[11:12], -v[13:14]
	v_add_f64 v[3:4], v[3:4], -v[6:7]
	s_delay_alu instid0(VALU_DEP_2)
	v_add_f64 v[1:2], v[1:2], -v[11:12]
	s_cbranch_scc1 .LBB240_21
.LBB240_22:                             ;   in Loop: Header=BB240_14 Depth=1
	s_and_b32 vcc_lo, exec_lo, s28
	s_waitcnt lgkmcnt(0)
	ds_store_b128 v10, v[1:4]
	s_cbranch_vccz .LBB240_13
; %bb.23:                               ;   in Loop: Header=BB240_14 Depth=1
	s_mul_i32 s1, s30, s21
	s_mul_hi_u32 s2, s29, s21
	s_mul_i32 s0, s29, s21
	s_add_i32 s1, s2, s1
	s_delay_alu instid0(SALU_CYCLE_1) | instskip(NEXT) | instid1(SALU_CYCLE_1)
	s_lshl_b64 s[0:1], s[0:1], 4
	s_add_u32 s0, s42, s0
	s_addc_u32 s1, s43, s1
	s_load_b128 s[0:3], s[0:1], 0x0
	s_waitcnt lgkmcnt(0)
	s_xor_b32 s4, s3, 0x80000000
	s_and_b32 s6, s27, exec_lo
	v_cmp_lt_f64_e64 s5, s[0:1], 0
	s_cselect_b32 s3, s4, s3
	s_cselect_b32 s2, s2, s2
	s_xor_b32 s4, s1, 0x80000000
	v_cmp_lt_f64_e64 s6, s[2:3], 0
	s_delay_alu instid0(VALU_DEP_2) | instskip(SKIP_3) | instid1(VALU_DEP_1)
	s_and_b32 s5, s5, exec_lo
	s_cselect_b32 s5, s4, s1
	s_cselect_b32 s4, s0, s0
	s_xor_b32 s7, s3, 0x80000000
	s_and_b32 s6, s6, exec_lo
	s_cselect_b32 s7, s7, s3
	s_cselect_b32 s6, s2, s2
	s_delay_alu instid0(SALU_CYCLE_1) | instskip(NEXT) | instid1(VALU_DEP_1)
	v_cmp_ngt_f64_e64 s4, s[4:5], s[6:7]
	s_and_b32 vcc_lo, exec_lo, s4
	s_cbranch_vccz .LBB240_25
; %bb.24:                               ;   in Loop: Header=BB240_14 Depth=1
	v_div_scale_f64 v[5:6], null, s[2:3], s[2:3], s[0:1]
	v_div_scale_f64 v[13:14], vcc_lo, s[0:1], s[2:3], s[0:1]
	s_delay_alu instid0(VALU_DEP_2) | instskip(SKIP_2) | instid1(VALU_DEP_1)
	v_rcp_f64_e32 v[7:8], v[5:6]
	s_waitcnt_depctr 0xfff
	v_fma_f64 v[11:12], -v[5:6], v[7:8], 1.0
	v_fma_f64 v[7:8], v[7:8], v[11:12], v[7:8]
	s_delay_alu instid0(VALU_DEP_1) | instskip(NEXT) | instid1(VALU_DEP_1)
	v_fma_f64 v[11:12], -v[5:6], v[7:8], 1.0
	v_fma_f64 v[7:8], v[7:8], v[11:12], v[7:8]
	s_delay_alu instid0(VALU_DEP_1) | instskip(NEXT) | instid1(VALU_DEP_1)
	v_mul_f64 v[11:12], v[13:14], v[7:8]
	v_fma_f64 v[5:6], -v[5:6], v[11:12], v[13:14]
	s_delay_alu instid0(VALU_DEP_1) | instskip(NEXT) | instid1(VALU_DEP_1)
	v_div_fmas_f64 v[5:6], v[5:6], v[7:8], v[11:12]
	v_div_fixup_f64 v[5:6], v[5:6], s[2:3], s[0:1]
	s_delay_alu instid0(VALU_DEP_1) | instskip(NEXT) | instid1(VALU_DEP_1)
	v_fma_f64 v[7:8], s[0:1], v[5:6], s[2:3]
	v_div_scale_f64 v[11:12], null, v[7:8], v[7:8], 1.0
	v_div_scale_f64 v[17:18], vcc_lo, 1.0, v[7:8], 1.0
	s_delay_alu instid0(VALU_DEP_2) | instskip(SKIP_2) | instid1(VALU_DEP_1)
	v_rcp_f64_e32 v[13:14], v[11:12]
	s_waitcnt_depctr 0xfff
	v_fma_f64 v[15:16], -v[11:12], v[13:14], 1.0
	v_fma_f64 v[13:14], v[13:14], v[15:16], v[13:14]
	s_delay_alu instid0(VALU_DEP_1) | instskip(NEXT) | instid1(VALU_DEP_1)
	v_fma_f64 v[15:16], -v[11:12], v[13:14], 1.0
	v_fma_f64 v[13:14], v[13:14], v[15:16], v[13:14]
	s_delay_alu instid0(VALU_DEP_1) | instskip(NEXT) | instid1(VALU_DEP_1)
	v_mul_f64 v[15:16], v[17:18], v[13:14]
	v_fma_f64 v[11:12], -v[11:12], v[15:16], v[17:18]
	s_delay_alu instid0(VALU_DEP_1) | instskip(SKIP_1) | instid1(VALU_DEP_2)
	v_div_fmas_f64 v[11:12], v[11:12], v[13:14], v[15:16]
	v_fma_f64 v[13:14], v[1:2], v[5:6], v[3:4]
	v_div_fixup_f64 v[7:8], v[11:12], v[7:8], 1.0
	v_fma_f64 v[11:12], v[3:4], v[5:6], -v[1:2]
	s_delay_alu instid0(VALU_DEP_2) | instskip(NEXT) | instid1(VALU_DEP_2)
	v_mul_f64 v[5:6], v[13:14], v[7:8]
	v_mul_f64 v[7:8], v[11:12], v[7:8]
	s_cbranch_execnz .LBB240_12
	s_branch .LBB240_26
.LBB240_25:                             ;   in Loop: Header=BB240_14 Depth=1
                                        ; implicit-def: $vgpr7_vgpr8
.LBB240_26:                             ;   in Loop: Header=BB240_14 Depth=1
	v_div_scale_f64 v[5:6], null, s[0:1], s[0:1], s[2:3]
	v_div_scale_f64 v[13:14], vcc_lo, s[2:3], s[0:1], s[2:3]
	s_delay_alu instid0(VALU_DEP_2) | instskip(SKIP_2) | instid1(VALU_DEP_1)
	v_rcp_f64_e32 v[7:8], v[5:6]
	s_waitcnt_depctr 0xfff
	v_fma_f64 v[11:12], -v[5:6], v[7:8], 1.0
	v_fma_f64 v[7:8], v[7:8], v[11:12], v[7:8]
	s_delay_alu instid0(VALU_DEP_1) | instskip(NEXT) | instid1(VALU_DEP_1)
	v_fma_f64 v[11:12], -v[5:6], v[7:8], 1.0
	v_fma_f64 v[7:8], v[7:8], v[11:12], v[7:8]
	s_delay_alu instid0(VALU_DEP_1) | instskip(NEXT) | instid1(VALU_DEP_1)
	v_mul_f64 v[11:12], v[13:14], v[7:8]
	v_fma_f64 v[5:6], -v[5:6], v[11:12], v[13:14]
	s_delay_alu instid0(VALU_DEP_1) | instskip(NEXT) | instid1(VALU_DEP_1)
	v_div_fmas_f64 v[5:6], v[5:6], v[7:8], v[11:12]
	v_div_fixup_f64 v[5:6], v[5:6], s[0:1], s[2:3]
	s_delay_alu instid0(VALU_DEP_1) | instskip(NEXT) | instid1(VALU_DEP_1)
	v_fma_f64 v[7:8], s[2:3], v[5:6], s[0:1]
	v_div_scale_f64 v[11:12], null, v[7:8], v[7:8], 1.0
	v_div_scale_f64 v[17:18], vcc_lo, 1.0, v[7:8], 1.0
	s_delay_alu instid0(VALU_DEP_2) | instskip(SKIP_2) | instid1(VALU_DEP_1)
	v_rcp_f64_e32 v[13:14], v[11:12]
	s_waitcnt_depctr 0xfff
	v_fma_f64 v[15:16], -v[11:12], v[13:14], 1.0
	v_fma_f64 v[13:14], v[13:14], v[15:16], v[13:14]
	s_delay_alu instid0(VALU_DEP_1) | instskip(NEXT) | instid1(VALU_DEP_1)
	v_fma_f64 v[15:16], -v[11:12], v[13:14], 1.0
	v_fma_f64 v[13:14], v[13:14], v[15:16], v[13:14]
	s_delay_alu instid0(VALU_DEP_1) | instskip(NEXT) | instid1(VALU_DEP_1)
	v_mul_f64 v[15:16], v[17:18], v[13:14]
	v_fma_f64 v[11:12], -v[11:12], v[15:16], v[17:18]
	s_delay_alu instid0(VALU_DEP_1) | instskip(SKIP_2) | instid1(VALU_DEP_3)
	v_div_fmas_f64 v[11:12], v[11:12], v[13:14], v[15:16]
	v_fma_f64 v[13:14], v[3:4], v[5:6], v[1:2]
	v_fma_f64 v[1:2], -v[1:2], v[5:6], v[3:4]
	v_div_fixup_f64 v[7:8], v[11:12], v[7:8], 1.0
	s_delay_alu instid0(VALU_DEP_1) | instskip(NEXT) | instid1(VALU_DEP_3)
	v_mul_f64 v[5:6], v[13:14], v[7:8]
	v_mul_f64 v[7:8], v[1:2], v[7:8]
	s_branch .LBB240_12
.LBB240_27:
	s_mov_b32 s0, 0
.LBB240_28:
	s_delay_alu instid0(SALU_CYCLE_1)
	s_and_not1_b32 vcc_lo, exec_lo, s0
	s_cbranch_vccnz .LBB240_46
; %bb.29:
	s_and_not1_b32 vcc_lo, exec_lo, s19
	s_cbranch_vccnz .LBB240_46
; %bb.30:
	v_lshlrev_b32_e32 v9, 4, v0
	s_ashr_i32 s10, s20, 31
	s_cmpk_lg_i32 s18, 0x84
	s_mov_b32 s9, 0
	s_cselect_b32 s11, -1, 0
	v_lshl_or_b32 v1, s35, 10, v9
	v_or_b32_e32 v10, 0xfffff400, v9
	s_add_u32 s16, s20, 1
	s_addc_u32 s17, s10, 0
	s_mov_b32 s21, 0
	v_add_nc_u32_e32 v11, 0xfffffc00, v1
	s_mov_b32 s22, 0
	s_mov_b32 s8, s26
	s_branch .LBB240_33
.LBB240_31:                             ;   in Loop: Header=BB240_33 Depth=1
	ds_store_b128 v12, v[5:8]
.LBB240_32:                             ;   in Loop: Header=BB240_33 Depth=1
	v_add_nc_u16 v1, s21, 1
	s_add_i32 s0, s8, -1
	s_add_i32 s22, s22, 1
	s_cmp_lt_i32 s8, 1
	s_mov_b32 s8, s0
	v_readfirstlane_b32 s21, v1
	s_cbranch_scc1 .LBB240_46
.LBB240_33:                             ; =>This Loop Header: Depth=1
                                        ;     Child Loop BB240_36 Depth 2
                                        ;     Child Loop BB240_40 Depth 2
	v_lshl_or_b32 v12, s8, 10, v9
	s_cmp_le_i32 s26, s8
	ds_load_b128 v[1:4], v12
	s_cbranch_scc1 .LBB240_41
; %bb.34:                               ;   in Loop: Header=BB240_33 Depth=1
	s_lshl_b64 s[0:1], s[8:9], 4
	s_delay_alu instid0(SALU_CYCLE_1) | instskip(SKIP_2) | instid1(SALU_CYCLE_1)
	s_add_u32 s23, s42, s0
	s_addc_u32 s24, s43, s1
	s_and_b32 s0, s22, 3
	s_cmp_eq_u32 s0, 0
	s_cbranch_scc1 .LBB240_38
; %bb.35:                               ;   in Loop: Header=BB240_33 Depth=1
	v_mov_b32_e32 v5, v11
	s_and_b32 s0, s21, 3
	s_mov_b32 s25, s26
	s_set_inst_prefetch_distance 0x1
	.p2align	6
.LBB240_36:                             ;   Parent Loop BB240_33 Depth=1
                                        ; =>  This Inner Loop Header: Depth=2
	s_mul_i32 s1, s25, s10
	s_mul_hi_u32 s3, s25, s20
	s_mul_i32 s2, s25, s20
	s_add_i32 s3, s3, s1
	ds_load_b128 v[13:16], v5
	s_lshl_b64 s[2:3], s[2:3], 4
	v_add_nc_u32_e32 v5, 0xfffffc00, v5
	s_add_u32 s2, s23, s2
	s_addc_u32 s3, s24, s3
	s_load_b128 s[4:7], s[2:3], 0x0
	s_waitcnt lgkmcnt(0)
	s_xor_b32 s1, s7, 0x80000000
	s_and_b32 s2, s27, exec_lo
	s_cselect_b32 s3, s1, s7
	s_cselect_b32 s2, s6, s6
	v_mul_f64 v[6:7], s[4:5], v[15:16]
	v_mul_f64 v[15:16], s[2:3], v[15:16]
	s_add_i32 s0, s0, -1
	s_add_i32 s25, s25, -1
	s_cmp_lg_u32 s0, 0
	s_delay_alu instid0(VALU_DEP_2) | instskip(NEXT) | instid1(VALU_DEP_2)
	v_fma_f64 v[6:7], s[2:3], v[13:14], v[6:7]
	v_fma_f64 v[13:14], s[4:5], v[13:14], -v[15:16]
	s_delay_alu instid0(VALU_DEP_2) | instskip(NEXT) | instid1(VALU_DEP_2)
	v_add_f64 v[3:4], v[3:4], -v[6:7]
	v_add_f64 v[1:2], v[1:2], -v[13:14]
	s_cbranch_scc1 .LBB240_36
; %bb.37:                               ;   in Loop: Header=BB240_33 Depth=1
	s_set_inst_prefetch_distance 0x2
	s_add_i32 s0, s22, -1
	s_delay_alu instid0(SALU_CYCLE_1)
	s_cmp_lt_u32 s0, 3
	s_cbranch_scc0 .LBB240_39
	s_branch .LBB240_41
.LBB240_38:                             ;   in Loop: Header=BB240_33 Depth=1
	s_mov_b32 s25, s26
	s_add_i32 s0, s22, -1
	s_delay_alu instid0(SALU_CYCLE_1)
	s_cmp_lt_u32 s0, 3
	s_cbranch_scc1 .LBB240_41
.LBB240_39:                             ;   in Loop: Header=BB240_33 Depth=1
	v_lshl_add_u32 v5, s25, 10, v10
.LBB240_40:                             ;   Parent Loop BB240_33 Depth=1
                                        ; =>  This Inner Loop Header: Depth=2
	s_mul_i32 s1, s25, s10
	s_mul_hi_u32 s2, s25, s20
	s_mul_i32 s0, s25, s20
	s_add_i32 s1, s2, s1
	s_delay_alu instid0(SALU_CYCLE_1) | instskip(NEXT) | instid1(SALU_CYCLE_1)
	s_lshl_b64 s[0:1], s[0:1], 4
	s_add_u32 s0, s23, s0
	s_addc_u32 s1, s24, s1
	s_load_b128 s[4:7], s[0:1], 0x0
	ds_load_b128 v[13:16], v5 offset:3072
	ds_load_b128 v[17:20], v5 offset:2048
	s_waitcnt lgkmcnt(0)
	s_xor_b32 s0, s7, 0x80000000
	s_and_b32 s1, s27, exec_lo
	s_cselect_b32 s7, s0, s7
	s_cselect_b32 s6, s6, s6
	v_mul_f64 v[6:7], s[4:5], v[15:16]
	v_mul_f64 v[15:16], s[6:7], v[15:16]
	s_add_i32 s0, s25, -1
	s_delay_alu instid0(SALU_CYCLE_1) | instskip(SKIP_3) | instid1(SALU_CYCLE_1)
	s_mul_i32 s1, s0, s10
	s_mul_hi_u32 s2, s0, s20
	s_mul_i32 s0, s0, s20
	s_add_i32 s1, s2, s1
	s_lshl_b64 s[0:1], s[0:1], 4
	s_delay_alu instid0(SALU_CYCLE_1)
	s_add_u32 s0, s23, s0
	s_addc_u32 s1, s24, s1
	s_load_b128 s[0:3], s[0:1], 0x0
	s_waitcnt lgkmcnt(0)
	s_xor_b32 s28, s3, 0x80000000
	s_and_b32 s29, s27, exec_lo
	s_cselect_b32 s3, s28, s3
	s_cselect_b32 s2, s2, s2
	v_mul_f64 v[23:24], s[0:1], v[19:20]
	v_mul_f64 v[25:26], s[2:3], v[19:20]
	s_delay_alu instid0(VALU_DEP_4) | instskip(NEXT) | instid1(VALU_DEP_4)
	v_fma_f64 v[6:7], s[6:7], v[13:14], v[6:7]
	v_fma_f64 v[27:28], s[4:5], v[13:14], -v[15:16]
	s_add_i32 s28, s25, -2
	s_delay_alu instid0(SALU_CYCLE_1) | instskip(SKIP_3) | instid1(SALU_CYCLE_1)
	s_mul_i32 s29, s28, s10
	s_mul_hi_u32 s30, s28, s20
	s_mul_i32 s28, s28, s20
	s_add_i32 s29, s30, s29
	s_lshl_b64 s[4:5], s[28:29], 4
	s_delay_alu instid0(SALU_CYCLE_1)
	s_add_u32 s4, s23, s4
	s_addc_u32 s5, s24, s5
	s_load_b128 s[4:7], s[4:5], 0x0
	ds_load_b128 v[13:16], v5 offset:1024
	ds_load_b128 v[19:22], v5
	v_add_nc_u32_e32 v5, 0xfffff000, v5
	s_waitcnt lgkmcnt(0)
	s_xor_b32 s28, s7, 0x80000000
	s_and_b32 s29, s27, exec_lo
	s_cselect_b32 s7, s28, s7
	s_cselect_b32 s6, s6, s6
	v_mul_f64 v[29:30], s[4:5], v[15:16]
	v_mul_f64 v[15:16], s[6:7], v[15:16]
	v_fma_f64 v[23:24], s[2:3], v[17:18], v[23:24]
	v_fma_f64 v[17:18], s[0:1], v[17:18], -v[25:26]
	v_add_f64 v[3:4], v[3:4], -v[6:7]
	v_add_f64 v[1:2], v[1:2], -v[27:28]
	s_add_i32 s28, s25, -3
	s_delay_alu instid0(SALU_CYCLE_1) | instskip(SKIP_3) | instid1(SALU_CYCLE_1)
	s_mul_i32 s29, s28, s10
	s_mul_hi_u32 s30, s28, s20
	s_mul_i32 s28, s28, s20
	s_add_i32 s29, s30, s29
	s_lshl_b64 s[0:1], s[28:29], 4
	s_delay_alu instid0(SALU_CYCLE_1)
	s_add_u32 s0, s23, s0
	s_addc_u32 s1, s24, s1
	s_load_b128 s[0:3], s[0:1], 0x0
	s_waitcnt lgkmcnt(0)
	s_xor_b32 s28, s3, 0x80000000
	s_and_b32 s29, s27, exec_lo
	s_cselect_b32 s3, s28, s3
	s_cselect_b32 s2, s2, s2
	v_mul_f64 v[6:7], s[0:1], v[21:22]
	v_mul_f64 v[21:22], s[2:3], v[21:22]
	v_fma_f64 v[25:26], s[6:7], v[13:14], v[29:30]
	v_fma_f64 v[13:14], s[4:5], v[13:14], -v[15:16]
	v_add_f64 v[3:4], v[3:4], -v[23:24]
	v_add_f64 v[1:2], v[1:2], -v[17:18]
	s_add_i32 s25, s25, -4
	s_delay_alu instid0(SALU_CYCLE_1) | instskip(SKIP_2) | instid1(VALU_DEP_4)
	s_cmp_le_i32 s25, s8
	v_fma_f64 v[6:7], s[2:3], v[19:20], v[6:7]
	v_fma_f64 v[15:16], s[0:1], v[19:20], -v[21:22]
	v_add_f64 v[3:4], v[3:4], -v[25:26]
	s_delay_alu instid0(VALU_DEP_4) | instskip(NEXT) | instid1(VALU_DEP_2)
	v_add_f64 v[1:2], v[1:2], -v[13:14]
	v_add_f64 v[3:4], v[3:4], -v[6:7]
	s_delay_alu instid0(VALU_DEP_2)
	v_add_f64 v[1:2], v[1:2], -v[15:16]
	s_cbranch_scc0 .LBB240_40
.LBB240_41:                             ;   in Loop: Header=BB240_33 Depth=1
	s_and_b32 vcc_lo, exec_lo, s11
	s_waitcnt lgkmcnt(0)
	ds_store_b128 v12, v[1:4]
	s_cbranch_vccz .LBB240_32
; %bb.42:                               ;   in Loop: Header=BB240_33 Depth=1
	s_mul_i32 s1, s17, s8
	s_mul_hi_u32 s2, s16, s8
	s_mul_i32 s0, s16, s8
	s_add_i32 s1, s2, s1
	s_delay_alu instid0(SALU_CYCLE_1) | instskip(NEXT) | instid1(SALU_CYCLE_1)
	s_lshl_b64 s[0:1], s[0:1], 4
	s_add_u32 s0, s42, s0
	s_addc_u32 s1, s43, s1
	s_load_b128 s[0:3], s[0:1], 0x0
	s_waitcnt lgkmcnt(0)
	s_xor_b32 s4, s3, 0x80000000
	s_and_b32 s6, s27, exec_lo
	v_cmp_lt_f64_e64 s5, s[0:1], 0
	s_cselect_b32 s3, s4, s3
	s_cselect_b32 s2, s2, s2
	s_xor_b32 s4, s1, 0x80000000
	v_cmp_lt_f64_e64 s6, s[2:3], 0
	s_delay_alu instid0(VALU_DEP_2) | instskip(SKIP_3) | instid1(VALU_DEP_1)
	s_and_b32 s5, s5, exec_lo
	s_cselect_b32 s5, s4, s1
	s_cselect_b32 s4, s0, s0
	s_xor_b32 s7, s3, 0x80000000
	s_and_b32 s6, s6, exec_lo
	s_cselect_b32 s7, s7, s3
	s_cselect_b32 s6, s2, s2
	s_delay_alu instid0(SALU_CYCLE_1) | instskip(NEXT) | instid1(VALU_DEP_1)
	v_cmp_ngt_f64_e64 s4, s[4:5], s[6:7]
	s_and_b32 vcc_lo, exec_lo, s4
	s_cbranch_vccz .LBB240_44
; %bb.43:                               ;   in Loop: Header=BB240_33 Depth=1
	v_div_scale_f64 v[5:6], null, s[2:3], s[2:3], s[0:1]
	v_div_scale_f64 v[15:16], vcc_lo, s[0:1], s[2:3], s[0:1]
	s_delay_alu instid0(VALU_DEP_2) | instskip(SKIP_2) | instid1(VALU_DEP_1)
	v_rcp_f64_e32 v[7:8], v[5:6]
	s_waitcnt_depctr 0xfff
	v_fma_f64 v[13:14], -v[5:6], v[7:8], 1.0
	v_fma_f64 v[7:8], v[7:8], v[13:14], v[7:8]
	s_delay_alu instid0(VALU_DEP_1) | instskip(NEXT) | instid1(VALU_DEP_1)
	v_fma_f64 v[13:14], -v[5:6], v[7:8], 1.0
	v_fma_f64 v[7:8], v[7:8], v[13:14], v[7:8]
	s_delay_alu instid0(VALU_DEP_1) | instskip(NEXT) | instid1(VALU_DEP_1)
	v_mul_f64 v[13:14], v[15:16], v[7:8]
	v_fma_f64 v[5:6], -v[5:6], v[13:14], v[15:16]
	s_delay_alu instid0(VALU_DEP_1) | instskip(NEXT) | instid1(VALU_DEP_1)
	v_div_fmas_f64 v[5:6], v[5:6], v[7:8], v[13:14]
	v_div_fixup_f64 v[5:6], v[5:6], s[2:3], s[0:1]
	s_delay_alu instid0(VALU_DEP_1) | instskip(NEXT) | instid1(VALU_DEP_1)
	v_fma_f64 v[7:8], s[0:1], v[5:6], s[2:3]
	v_div_scale_f64 v[13:14], null, v[7:8], v[7:8], 1.0
	v_div_scale_f64 v[19:20], vcc_lo, 1.0, v[7:8], 1.0
	s_delay_alu instid0(VALU_DEP_2) | instskip(SKIP_2) | instid1(VALU_DEP_1)
	v_rcp_f64_e32 v[15:16], v[13:14]
	s_waitcnt_depctr 0xfff
	v_fma_f64 v[17:18], -v[13:14], v[15:16], 1.0
	v_fma_f64 v[15:16], v[15:16], v[17:18], v[15:16]
	s_delay_alu instid0(VALU_DEP_1) | instskip(NEXT) | instid1(VALU_DEP_1)
	v_fma_f64 v[17:18], -v[13:14], v[15:16], 1.0
	v_fma_f64 v[15:16], v[15:16], v[17:18], v[15:16]
	s_delay_alu instid0(VALU_DEP_1) | instskip(NEXT) | instid1(VALU_DEP_1)
	v_mul_f64 v[17:18], v[19:20], v[15:16]
	v_fma_f64 v[13:14], -v[13:14], v[17:18], v[19:20]
	s_delay_alu instid0(VALU_DEP_1) | instskip(SKIP_1) | instid1(VALU_DEP_2)
	v_div_fmas_f64 v[13:14], v[13:14], v[15:16], v[17:18]
	v_fma_f64 v[15:16], v[1:2], v[5:6], v[3:4]
	v_div_fixup_f64 v[7:8], v[13:14], v[7:8], 1.0
	v_fma_f64 v[13:14], v[3:4], v[5:6], -v[1:2]
	s_delay_alu instid0(VALU_DEP_2) | instskip(NEXT) | instid1(VALU_DEP_2)
	v_mul_f64 v[5:6], v[15:16], v[7:8]
	v_mul_f64 v[7:8], v[13:14], v[7:8]
	s_cbranch_execnz .LBB240_31
	s_branch .LBB240_45
.LBB240_44:                             ;   in Loop: Header=BB240_33 Depth=1
                                        ; implicit-def: $vgpr7_vgpr8
.LBB240_45:                             ;   in Loop: Header=BB240_33 Depth=1
	v_div_scale_f64 v[5:6], null, s[0:1], s[0:1], s[2:3]
	v_div_scale_f64 v[15:16], vcc_lo, s[2:3], s[0:1], s[2:3]
	s_delay_alu instid0(VALU_DEP_2) | instskip(SKIP_2) | instid1(VALU_DEP_1)
	v_rcp_f64_e32 v[7:8], v[5:6]
	s_waitcnt_depctr 0xfff
	v_fma_f64 v[13:14], -v[5:6], v[7:8], 1.0
	v_fma_f64 v[7:8], v[7:8], v[13:14], v[7:8]
	s_delay_alu instid0(VALU_DEP_1) | instskip(NEXT) | instid1(VALU_DEP_1)
	v_fma_f64 v[13:14], -v[5:6], v[7:8], 1.0
	v_fma_f64 v[7:8], v[7:8], v[13:14], v[7:8]
	s_delay_alu instid0(VALU_DEP_1) | instskip(NEXT) | instid1(VALU_DEP_1)
	v_mul_f64 v[13:14], v[15:16], v[7:8]
	v_fma_f64 v[5:6], -v[5:6], v[13:14], v[15:16]
	s_delay_alu instid0(VALU_DEP_1) | instskip(NEXT) | instid1(VALU_DEP_1)
	v_div_fmas_f64 v[5:6], v[5:6], v[7:8], v[13:14]
	v_div_fixup_f64 v[5:6], v[5:6], s[0:1], s[2:3]
	s_delay_alu instid0(VALU_DEP_1) | instskip(NEXT) | instid1(VALU_DEP_1)
	v_fma_f64 v[7:8], s[2:3], v[5:6], s[0:1]
	v_div_scale_f64 v[13:14], null, v[7:8], v[7:8], 1.0
	v_div_scale_f64 v[19:20], vcc_lo, 1.0, v[7:8], 1.0
	s_delay_alu instid0(VALU_DEP_2) | instskip(SKIP_2) | instid1(VALU_DEP_1)
	v_rcp_f64_e32 v[15:16], v[13:14]
	s_waitcnt_depctr 0xfff
	v_fma_f64 v[17:18], -v[13:14], v[15:16], 1.0
	v_fma_f64 v[15:16], v[15:16], v[17:18], v[15:16]
	s_delay_alu instid0(VALU_DEP_1) | instskip(NEXT) | instid1(VALU_DEP_1)
	v_fma_f64 v[17:18], -v[13:14], v[15:16], 1.0
	v_fma_f64 v[15:16], v[15:16], v[17:18], v[15:16]
	s_delay_alu instid0(VALU_DEP_1) | instskip(NEXT) | instid1(VALU_DEP_1)
	v_mul_f64 v[17:18], v[19:20], v[15:16]
	v_fma_f64 v[13:14], -v[13:14], v[17:18], v[19:20]
	s_delay_alu instid0(VALU_DEP_1) | instskip(SKIP_2) | instid1(VALU_DEP_3)
	v_div_fmas_f64 v[13:14], v[13:14], v[15:16], v[17:18]
	v_fma_f64 v[15:16], v[3:4], v[5:6], v[1:2]
	v_fma_f64 v[1:2], -v[1:2], v[5:6], v[3:4]
	v_div_fixup_f64 v[7:8], v[13:14], v[7:8], 1.0
	s_delay_alu instid0(VALU_DEP_1) | instskip(NEXT) | instid1(VALU_DEP_3)
	v_mul_f64 v[5:6], v[15:16], v[7:8]
	v_mul_f64 v[7:8], v[1:2], v[7:8]
	s_branch .LBB240_31
.LBB240_46:
	s_mov_b32 s1, 0
.LBB240_47:
	s_delay_alu instid0(SALU_CYCLE_1)
	s_and_not1_b32 vcc_lo, exec_lo, s1
	s_cbranch_vccnz .LBB240_65
; %bb.48:
	s_and_not1_b32 vcc_lo, exec_lo, s19
	s_cbranch_vccnz .LBB240_65
; %bb.49:
	v_lshlrev_b32_e32 v9, 4, v0
	s_ashr_i32 s21, s20, 31
	s_cmpk_lg_i32 s18, 0x84
	s_mov_b32 s17, 0
	s_cselect_b32 s22, -1, 0
	v_lshl_or_b32 v1, s35, 10, v9
	v_or_b32_e32 v10, 0xffffe400, v9
	s_add_u32 s23, s20, 1
	s_addc_u32 s24, s21, 0
	s_mov_b32 s25, 0
	v_add_nc_u32_e32 v11, 0xfffffc00, v1
	s_mov_b32 s27, 0
	s_mov_b32 s28, s26
	s_branch .LBB240_52
.LBB240_50:                             ;   in Loop: Header=BB240_52 Depth=1
	ds_store_b128 v12, v[5:8]
.LBB240_51:                             ;   in Loop: Header=BB240_52 Depth=1
	v_add_nc_u16 v1, s25, 1
	s_add_i32 s0, s28, -1
	s_add_i32 s27, s27, 1
	s_cmp_lt_i32 s28, 1
	s_mov_b32 s28, s0
	v_readfirstlane_b32 s25, v1
	s_cbranch_scc1 .LBB240_65
.LBB240_52:                             ; =>This Loop Header: Depth=1
                                        ;     Child Loop BB240_55 Depth 2
                                        ;     Child Loop BB240_59 Depth 2
	v_lshl_or_b32 v12, s28, 10, v9
	s_cmp_le_i32 s26, s28
	ds_load_b128 v[1:4], v12
	s_cbranch_scc1 .LBB240_60
; %bb.53:                               ;   in Loop: Header=BB240_52 Depth=1
	s_mul_i32 s1, s28, s21
	s_mul_hi_u32 s2, s28, s20
	s_mul_i32 s0, s28, s20
	s_add_i32 s1, s2, s1
	s_delay_alu instid0(SALU_CYCLE_1) | instskip(NEXT) | instid1(SALU_CYCLE_1)
	s_lshl_b64 s[0:1], s[0:1], 4
	s_add_u32 s29, s42, s0
	s_addc_u32 s30, s43, s1
	s_and_b32 s0, s27, 7
	s_delay_alu instid0(SALU_CYCLE_1)
	s_cmp_eq_u32 s0, 0
	s_cbranch_scc1 .LBB240_57
; %bb.54:                               ;   in Loop: Header=BB240_52 Depth=1
	v_mov_b32_e32 v5, v11
	s_and_b32 s0, s25, 7
	s_mov_b32 s16, s26
	.p2align	6
.LBB240_55:                             ;   Parent Loop BB240_52 Depth=1
                                        ; =>  This Inner Loop Header: Depth=2
	s_delay_alu instid0(SALU_CYCLE_1)
	s_lshl_b64 s[2:3], s[16:17], 4
	ds_load_b128 v[13:16], v5
	s_add_u32 s2, s29, s2
	s_addc_u32 s3, s30, s3
	v_add_nc_u32_e32 v5, 0xfffffc00, v5
	s_load_b128 s[4:7], s[2:3], 0x0
	s_add_i32 s0, s0, -1
	s_add_i32 s16, s16, -1
	s_cmp_lg_u32 s0, 0
	s_waitcnt lgkmcnt(0)
	v_mul_f64 v[6:7], s[6:7], v[15:16]
	v_mul_f64 v[15:16], s[4:5], v[15:16]
	s_delay_alu instid0(VALU_DEP_2) | instskip(NEXT) | instid1(VALU_DEP_2)
	v_fma_f64 v[6:7], s[4:5], v[13:14], -v[6:7]
	v_fma_f64 v[13:14], s[6:7], v[13:14], v[15:16]
	s_delay_alu instid0(VALU_DEP_2) | instskip(NEXT) | instid1(VALU_DEP_2)
	v_add_f64 v[1:2], v[1:2], -v[6:7]
	v_add_f64 v[3:4], v[3:4], -v[13:14]
	s_cbranch_scc1 .LBB240_55
; %bb.56:                               ;   in Loop: Header=BB240_52 Depth=1
	s_add_i32 s0, s27, -1
	s_delay_alu instid0(SALU_CYCLE_1)
	s_cmp_lt_u32 s0, 7
	s_cbranch_scc0 .LBB240_58
	s_branch .LBB240_60
.LBB240_57:                             ;   in Loop: Header=BB240_52 Depth=1
	s_mov_b32 s16, s26
	s_add_i32 s0, s27, -1
	s_delay_alu instid0(SALU_CYCLE_1)
	s_cmp_lt_u32 s0, 7
	s_cbranch_scc1 .LBB240_60
.LBB240_58:                             ;   in Loop: Header=BB240_52 Depth=1
	v_lshl_add_u32 v5, s16, 10, v10
.LBB240_59:                             ;   Parent Loop BB240_52 Depth=1
                                        ; =>  This Inner Loop Header: Depth=2
	s_lshl_b64 s[0:1], s[16:17], 4
	ds_load_b128 v[13:16], v5 offset:7168
	ds_load_b128 v[17:20], v5 offset:6144
	s_add_u32 s0, s29, s0
	s_addc_u32 s1, s30, s1
	s_mov_b32 s5, s17
	s_load_b128 s[0:3], s[0:1], 0x0
	s_add_i32 s4, s16, -1
	s_delay_alu instid0(SALU_CYCLE_1) | instskip(NEXT) | instid1(SALU_CYCLE_1)
	s_lshl_b64 s[4:5], s[4:5], 4
	s_add_u32 s4, s29, s4
	s_addc_u32 s5, s30, s5
	s_load_b128 s[4:7], s[4:5], 0x0
	s_waitcnt lgkmcnt(0)
	v_mul_f64 v[6:7], s[2:3], v[15:16]
	v_mul_f64 v[15:16], s[0:1], v[15:16]
	;; [unrolled: 1-line block ×4, first 2 shown]
	ds_load_b128 v[19:22], v5 offset:4096
	v_fma_f64 v[6:7], s[0:1], v[13:14], -v[6:7]
	v_fma_f64 v[27:28], s[2:3], v[13:14], v[15:16]
	s_mov_b32 s1, s17
	s_add_i32 s0, s16, -2
	ds_load_b128 v[13:16], v5 offset:5120
	s_lshl_b64 s[0:1], s[0:1], 4
	s_delay_alu instid0(SALU_CYCLE_1)
	s_add_u32 s0, s29, s0
	s_addc_u32 s1, s30, s1
	v_fma_f64 v[23:24], s[4:5], v[17:18], -v[23:24]
	s_load_b128 s[8:11], s[0:1], 0x0
	v_fma_f64 v[17:18], s[6:7], v[17:18], v[25:26]
	s_mov_b32 s1, s17
	s_add_i32 s0, s16, -3
	s_mov_b32 s5, s17
	s_lshl_b64 s[0:1], s[0:1], 4
	s_delay_alu instid0(SALU_CYCLE_1) | instskip(SKIP_4) | instid1(SALU_CYCLE_1)
	s_add_u32 s0, s29, s0
	s_addc_u32 s1, s30, s1
	s_add_i32 s4, s16, -4
	s_load_b128 s[0:3], s[0:1], 0x0
	s_lshl_b64 s[4:5], s[4:5], 4
	s_add_u32 s4, s29, s4
	s_addc_u32 s5, s30, s5
	s_waitcnt lgkmcnt(0)
	v_mul_f64 v[29:30], s[10:11], v[15:16]
	v_mul_f64 v[15:16], s[8:9], v[15:16]
	v_add_f64 v[1:2], v[1:2], -v[6:7]
	v_add_f64 v[3:4], v[3:4], -v[27:28]
	s_delay_alu instid0(VALU_DEP_4) | instskip(NEXT) | instid1(VALU_DEP_4)
	v_fma_f64 v[25:26], s[8:9], v[13:14], -v[29:30]
	v_fma_f64 v[27:28], s[10:11], v[13:14], v[15:16]
	s_load_b128 s[8:11], s[4:5], 0x0
	v_mul_f64 v[6:7], s[2:3], v[21:22]
	v_mul_f64 v[21:22], s[0:1], v[21:22]
	s_mov_b32 s5, s17
	s_add_i32 s4, s16, -5
	ds_load_b128 v[13:16], v5 offset:2048
	v_add_f64 v[23:24], v[1:2], -v[23:24]
	v_add_f64 v[17:18], v[3:4], -v[17:18]
	ds_load_b128 v[1:4], v5 offset:3072
	s_lshl_b64 s[4:5], s[4:5], 4
	s_delay_alu instid0(SALU_CYCLE_1)
	s_add_u32 s4, s29, s4
	s_addc_u32 s5, s30, s5
	s_load_b128 s[4:7], s[4:5], 0x0
	s_waitcnt lgkmcnt(0)
	v_mul_f64 v[29:30], s[10:11], v[3:4]
	v_mul_f64 v[3:4], s[8:9], v[3:4]
	v_fma_f64 v[6:7], s[0:1], v[19:20], -v[6:7]
	v_fma_f64 v[19:20], s[2:3], v[19:20], v[21:22]
	s_mov_b32 s1, s17
	s_add_i32 s0, s16, -6
	v_add_f64 v[21:22], v[23:24], -v[25:26]
	v_add_f64 v[17:18], v[17:18], -v[27:28]
	s_lshl_b64 s[0:1], s[0:1], 4
	s_delay_alu instid0(SALU_CYCLE_1)
	s_add_u32 s0, s29, s0
	s_addc_u32 s1, s30, s1
	s_load_b128 s[0:3], s[0:1], 0x0
	v_mul_f64 v[23:24], s[6:7], v[15:16]
	v_mul_f64 v[25:26], s[4:5], v[15:16]
	v_fma_f64 v[27:28], s[8:9], v[1:2], -v[29:30]
	v_fma_f64 v[29:30], s[10:11], v[1:2], v[3:4]
	ds_load_b128 v[1:4], v5 offset:1024
	s_mov_b32 s9, s17
	s_add_i32 s8, s16, -7
	s_delay_alu instid0(SALU_CYCLE_1) | instskip(NEXT) | instid1(SALU_CYCLE_1)
	s_lshl_b64 s[8:9], s[8:9], 4
	s_add_u32 s8, s29, s8
	s_addc_u32 s9, s30, s9
	s_add_i32 s16, s16, -8
	s_load_b128 s[8:11], s[8:9], 0x0
	s_cmp_le_i32 s16, s28
	v_add_f64 v[6:7], v[21:22], -v[6:7]
	v_add_f64 v[19:20], v[17:18], -v[19:20]
	ds_load_b128 v[15:18], v5
	v_add_nc_u32_e32 v5, 0xffffe000, v5
	s_waitcnt lgkmcnt(0)
	v_mul_f64 v[21:22], s[2:3], v[3:4]
	v_mul_f64 v[3:4], s[0:1], v[3:4]
	v_fma_f64 v[23:24], s[4:5], v[13:14], -v[23:24]
	v_fma_f64 v[13:14], s[6:7], v[13:14], v[25:26]
	v_mul_f64 v[25:26], s[10:11], v[17:18]
	v_mul_f64 v[17:18], s[8:9], v[17:18]
	v_add_f64 v[6:7], v[6:7], -v[27:28]
	v_add_f64 v[19:20], v[19:20], -v[29:30]
	v_fma_f64 v[21:22], s[0:1], v[1:2], -v[21:22]
	v_fma_f64 v[1:2], s[2:3], v[1:2], v[3:4]
	s_delay_alu instid0(VALU_DEP_4) | instskip(NEXT) | instid1(VALU_DEP_4)
	v_add_f64 v[3:4], v[6:7], -v[23:24]
	v_add_f64 v[6:7], v[19:20], -v[13:14]
	v_fma_f64 v[13:14], s[8:9], v[15:16], -v[25:26]
	v_fma_f64 v[15:16], s[10:11], v[15:16], v[17:18]
	s_delay_alu instid0(VALU_DEP_4) | instskip(NEXT) | instid1(VALU_DEP_4)
	v_add_f64 v[3:4], v[3:4], -v[21:22]
	v_add_f64 v[6:7], v[6:7], -v[1:2]
	s_delay_alu instid0(VALU_DEP_2) | instskip(NEXT) | instid1(VALU_DEP_2)
	v_add_f64 v[1:2], v[3:4], -v[13:14]
	v_add_f64 v[3:4], v[6:7], -v[15:16]
	s_cbranch_scc0 .LBB240_59
.LBB240_60:                             ;   in Loop: Header=BB240_52 Depth=1
	s_and_b32 vcc_lo, exec_lo, s22
	s_waitcnt lgkmcnt(0)
	ds_store_b128 v12, v[1:4]
	s_cbranch_vccz .LBB240_51
; %bb.61:                               ;   in Loop: Header=BB240_52 Depth=1
	s_mul_i32 s1, s24, s28
	s_mul_hi_u32 s2, s23, s28
	s_mul_i32 s0, s23, s28
	s_add_i32 s1, s2, s1
	s_delay_alu instid0(SALU_CYCLE_1) | instskip(NEXT) | instid1(SALU_CYCLE_1)
	s_lshl_b64 s[0:1], s[0:1], 4
	s_add_u32 s0, s42, s0
	s_addc_u32 s1, s43, s1
	s_load_b128 s[0:3], s[0:1], 0x0
	s_waitcnt lgkmcnt(0)
	v_cmp_lt_f64_e64 s4, s[0:1], 0
	v_cmp_lt_f64_e64 s6, s[2:3], 0
	s_xor_b32 s5, s1, 0x80000000
	s_delay_alu instid0(VALU_DEP_2) | instskip(SKIP_3) | instid1(VALU_DEP_1)
	s_and_b32 s4, s4, exec_lo
	s_cselect_b32 s5, s5, s1
	s_cselect_b32 s4, s0, s0
	s_xor_b32 s7, s3, 0x80000000
	s_and_b32 s6, s6, exec_lo
	s_cselect_b32 s7, s7, s3
	s_cselect_b32 s6, s2, s2
	s_delay_alu instid0(SALU_CYCLE_1) | instskip(NEXT) | instid1(VALU_DEP_1)
	v_cmp_ngt_f64_e64 s4, s[4:5], s[6:7]
	s_and_b32 vcc_lo, exec_lo, s4
	s_cbranch_vccz .LBB240_63
; %bb.62:                               ;   in Loop: Header=BB240_52 Depth=1
	v_div_scale_f64 v[5:6], null, s[2:3], s[2:3], s[0:1]
	v_div_scale_f64 v[15:16], vcc_lo, s[0:1], s[2:3], s[0:1]
	s_delay_alu instid0(VALU_DEP_2) | instskip(SKIP_2) | instid1(VALU_DEP_1)
	v_rcp_f64_e32 v[7:8], v[5:6]
	s_waitcnt_depctr 0xfff
	v_fma_f64 v[13:14], -v[5:6], v[7:8], 1.0
	v_fma_f64 v[7:8], v[7:8], v[13:14], v[7:8]
	s_delay_alu instid0(VALU_DEP_1) | instskip(NEXT) | instid1(VALU_DEP_1)
	v_fma_f64 v[13:14], -v[5:6], v[7:8], 1.0
	v_fma_f64 v[7:8], v[7:8], v[13:14], v[7:8]
	s_delay_alu instid0(VALU_DEP_1) | instskip(NEXT) | instid1(VALU_DEP_1)
	v_mul_f64 v[13:14], v[15:16], v[7:8]
	v_fma_f64 v[5:6], -v[5:6], v[13:14], v[15:16]
	s_delay_alu instid0(VALU_DEP_1) | instskip(NEXT) | instid1(VALU_DEP_1)
	v_div_fmas_f64 v[5:6], v[5:6], v[7:8], v[13:14]
	v_div_fixup_f64 v[5:6], v[5:6], s[2:3], s[0:1]
	s_delay_alu instid0(VALU_DEP_1) | instskip(NEXT) | instid1(VALU_DEP_1)
	v_fma_f64 v[7:8], s[0:1], v[5:6], s[2:3]
	v_div_scale_f64 v[13:14], null, v[7:8], v[7:8], 1.0
	v_div_scale_f64 v[19:20], vcc_lo, 1.0, v[7:8], 1.0
	s_delay_alu instid0(VALU_DEP_2) | instskip(SKIP_2) | instid1(VALU_DEP_1)
	v_rcp_f64_e32 v[15:16], v[13:14]
	s_waitcnt_depctr 0xfff
	v_fma_f64 v[17:18], -v[13:14], v[15:16], 1.0
	v_fma_f64 v[15:16], v[15:16], v[17:18], v[15:16]
	s_delay_alu instid0(VALU_DEP_1) | instskip(NEXT) | instid1(VALU_DEP_1)
	v_fma_f64 v[17:18], -v[13:14], v[15:16], 1.0
	v_fma_f64 v[15:16], v[15:16], v[17:18], v[15:16]
	s_delay_alu instid0(VALU_DEP_1) | instskip(NEXT) | instid1(VALU_DEP_1)
	v_mul_f64 v[17:18], v[19:20], v[15:16]
	v_fma_f64 v[13:14], -v[13:14], v[17:18], v[19:20]
	s_delay_alu instid0(VALU_DEP_1) | instskip(SKIP_1) | instid1(VALU_DEP_2)
	v_div_fmas_f64 v[13:14], v[13:14], v[15:16], v[17:18]
	v_fma_f64 v[15:16], v[1:2], v[5:6], v[3:4]
	v_div_fixup_f64 v[7:8], v[13:14], v[7:8], 1.0
	v_fma_f64 v[13:14], v[3:4], v[5:6], -v[1:2]
	s_delay_alu instid0(VALU_DEP_2) | instskip(NEXT) | instid1(VALU_DEP_2)
	v_mul_f64 v[5:6], v[15:16], v[7:8]
	v_mul_f64 v[7:8], v[13:14], v[7:8]
	s_cbranch_execnz .LBB240_50
	s_branch .LBB240_64
.LBB240_63:                             ;   in Loop: Header=BB240_52 Depth=1
                                        ; implicit-def: $vgpr7_vgpr8
.LBB240_64:                             ;   in Loop: Header=BB240_52 Depth=1
	v_div_scale_f64 v[5:6], null, s[0:1], s[0:1], s[2:3]
	v_div_scale_f64 v[15:16], vcc_lo, s[2:3], s[0:1], s[2:3]
	s_delay_alu instid0(VALU_DEP_2) | instskip(SKIP_2) | instid1(VALU_DEP_1)
	v_rcp_f64_e32 v[7:8], v[5:6]
	s_waitcnt_depctr 0xfff
	v_fma_f64 v[13:14], -v[5:6], v[7:8], 1.0
	v_fma_f64 v[7:8], v[7:8], v[13:14], v[7:8]
	s_delay_alu instid0(VALU_DEP_1) | instskip(NEXT) | instid1(VALU_DEP_1)
	v_fma_f64 v[13:14], -v[5:6], v[7:8], 1.0
	v_fma_f64 v[7:8], v[7:8], v[13:14], v[7:8]
	s_delay_alu instid0(VALU_DEP_1) | instskip(NEXT) | instid1(VALU_DEP_1)
	v_mul_f64 v[13:14], v[15:16], v[7:8]
	v_fma_f64 v[5:6], -v[5:6], v[13:14], v[15:16]
	s_delay_alu instid0(VALU_DEP_1) | instskip(NEXT) | instid1(VALU_DEP_1)
	v_div_fmas_f64 v[5:6], v[5:6], v[7:8], v[13:14]
	v_div_fixup_f64 v[5:6], v[5:6], s[0:1], s[2:3]
	s_delay_alu instid0(VALU_DEP_1) | instskip(NEXT) | instid1(VALU_DEP_1)
	v_fma_f64 v[7:8], s[2:3], v[5:6], s[0:1]
	v_div_scale_f64 v[13:14], null, v[7:8], v[7:8], 1.0
	v_div_scale_f64 v[19:20], vcc_lo, 1.0, v[7:8], 1.0
	s_delay_alu instid0(VALU_DEP_2) | instskip(SKIP_2) | instid1(VALU_DEP_1)
	v_rcp_f64_e32 v[15:16], v[13:14]
	s_waitcnt_depctr 0xfff
	v_fma_f64 v[17:18], -v[13:14], v[15:16], 1.0
	v_fma_f64 v[15:16], v[15:16], v[17:18], v[15:16]
	s_delay_alu instid0(VALU_DEP_1) | instskip(NEXT) | instid1(VALU_DEP_1)
	v_fma_f64 v[17:18], -v[13:14], v[15:16], 1.0
	v_fma_f64 v[15:16], v[15:16], v[17:18], v[15:16]
	s_delay_alu instid0(VALU_DEP_1) | instskip(NEXT) | instid1(VALU_DEP_1)
	v_mul_f64 v[17:18], v[19:20], v[15:16]
	v_fma_f64 v[13:14], -v[13:14], v[17:18], v[19:20]
	s_delay_alu instid0(VALU_DEP_1) | instskip(SKIP_2) | instid1(VALU_DEP_3)
	v_div_fmas_f64 v[13:14], v[13:14], v[15:16], v[17:18]
	v_fma_f64 v[15:16], v[3:4], v[5:6], v[1:2]
	v_fma_f64 v[1:2], -v[1:2], v[5:6], v[3:4]
	v_div_fixup_f64 v[7:8], v[13:14], v[7:8], 1.0
	s_delay_alu instid0(VALU_DEP_1) | instskip(NEXT) | instid1(VALU_DEP_3)
	v_mul_f64 v[5:6], v[15:16], v[7:8]
	v_mul_f64 v[7:8], v[1:2], v[7:8]
	s_branch .LBB240_50
.LBB240_65:
	s_mov_b32 s2, 0
.LBB240_66:
	s_delay_alu instid0(SALU_CYCLE_1)
	s_and_not1_b32 vcc_lo, exec_lo, s2
	s_cbranch_vccnz .LBB240_84
; %bb.67:
	s_and_not1_b32 vcc_lo, exec_lo, s19
	s_cbranch_vccnz .LBB240_84
; %bb.68:
	s_ashr_i32 s21, s20, 31
	s_cmpk_lg_i32 s18, 0x84
	v_lshlrev_b32_e32 v9, 4, v0
	s_cselect_b32 s57, -1, 0
	s_add_u32 s58, s20, 1
	s_addc_u32 s59, s21, 0
	s_add_u32 s0, s12, s14
	s_addc_u32 s1, s13, s15
	;; [unrolled: 2-line block ×3, first 2 shown]
	s_lshl_b64 s[46:47], s[20:21], 4
	s_mov_b32 s49, 0
	s_mov_b32 s61, 0
	s_mov_b64 s[50:51], s[42:43]
	s_mov_b32 s60, 0
	s_branch .LBB240_71
.LBB240_69:                             ;   in Loop: Header=BB240_71 Depth=1
	ds_store_b128 v10, v[5:8]
.LBB240_70:                             ;   in Loop: Header=BB240_71 Depth=1
	v_add_nc_u16 v1, s61, 1
	s_add_i32 s60, s60, 1
	s_add_u32 s44, s44, s46
	s_addc_u32 s45, s45, s47
	s_add_u32 s50, s50, s46
	v_readfirstlane_b32 s61, v1
	s_addc_u32 s51, s51, s47
	s_cmp_eq_u32 s60, s35
	s_cbranch_scc1 .LBB240_84
.LBB240_71:                             ; =>This Loop Header: Depth=1
                                        ;     Child Loop BB240_74 Depth 2
                                        ;     Child Loop BB240_78 Depth 2
	v_lshl_or_b32 v10, s60, 10, v9
	s_cmp_eq_u32 s60, 0
	ds_load_b128 v[1:4], v10
	s_cbranch_scc1 .LBB240_79
; %bb.72:                               ;   in Loop: Header=BB240_71 Depth=1
	s_cmp_lt_u32 s60, 8
	s_cbranch_scc1 .LBB240_76
; %bb.73:                               ;   in Loop: Header=BB240_71 Depth=1
	v_mov_b32_e32 v5, v9
	s_and_b32 s48, s60, -8
	s_mov_b32 s62, 0
	s_mov_b64 s[52:53], s[44:45]
.LBB240_74:                             ;   Parent Loop BB240_71 Depth=1
                                        ; =>  This Inner Loop Header: Depth=2
	s_delay_alu instid0(SALU_CYCLE_1)
	s_add_u32 s0, s52, 0xffffff88
	s_addc_u32 s1, s53, -1
	ds_load_b128 v[11:14], v5
	ds_load_b128 v[15:18], v5 offset:1024
	s_load_b512 s[0:15], s[0:1], 0x0
	s_waitcnt lgkmcnt(0)
	v_mul_f64 v[6:7], s[2:3], v[13:14]
	v_mul_f64 v[13:14], s[0:1], v[13:14]
	;; [unrolled: 1-line block ×4, first 2 shown]
	s_delay_alu instid0(VALU_DEP_4) | instskip(NEXT) | instid1(VALU_DEP_4)
	v_fma_f64 v[6:7], s[0:1], v[11:12], -v[6:7]
	v_fma_f64 v[25:26], s[2:3], v[11:12], v[13:14]
	ds_load_b128 v[11:14], v5 offset:2048
	ds_load_b128 v[17:20], v5 offset:3072
	v_fma_f64 v[21:22], s[4:5], v[15:16], -v[21:22]
	v_fma_f64 v[15:16], s[6:7], v[15:16], v[23:24]
	s_add_u32 s0, s52, 0xffffffc8
	s_addc_u32 s1, s53, -1
	s_add_i32 s62, s62, 8
	s_load_b512 s[16:31], s[0:1], 0x0
	s_add_u32 s52, s52, 0x80
	s_addc_u32 s53, s53, 0
	s_cmp_eq_u32 s48, s62
	s_waitcnt lgkmcnt(0)
	v_mul_f64 v[27:28], s[10:11], v[13:14]
	v_mul_f64 v[13:14], s[8:9], v[13:14]
	v_add_f64 v[1:2], v[1:2], -v[6:7]
	v_add_f64 v[3:4], v[3:4], -v[25:26]
	v_mul_f64 v[6:7], s[14:15], v[19:20]
	v_mul_f64 v[19:20], s[12:13], v[19:20]
	v_fma_f64 v[23:24], s[8:9], v[11:12], -v[27:28]
	v_fma_f64 v[25:26], s[10:11], v[11:12], v[13:14]
	ds_load_b128 v[11:14], v5 offset:5120
	v_add_f64 v[21:22], v[1:2], -v[21:22]
	v_add_f64 v[15:16], v[3:4], -v[15:16]
	ds_load_b128 v[1:4], v5 offset:4096
	v_fma_f64 v[6:7], s[12:13], v[17:18], -v[6:7]
	v_fma_f64 v[17:18], s[14:15], v[17:18], v[19:20]
	s_waitcnt lgkmcnt(0)
	v_mul_f64 v[27:28], s[18:19], v[3:4]
	v_mul_f64 v[3:4], s[16:17], v[3:4]
	v_add_f64 v[19:20], v[21:22], -v[23:24]
	v_add_f64 v[15:16], v[15:16], -v[25:26]
	v_mul_f64 v[21:22], s[22:23], v[13:14]
	v_mul_f64 v[23:24], s[20:21], v[13:14]
	v_fma_f64 v[25:26], s[16:17], v[1:2], -v[27:28]
	v_fma_f64 v[27:28], s[18:19], v[1:2], v[3:4]
	v_add_f64 v[6:7], v[19:20], -v[6:7]
	v_add_f64 v[17:18], v[15:16], -v[17:18]
	ds_load_b128 v[1:4], v5 offset:6144
	ds_load_b128 v[13:16], v5 offset:7168
	v_fma_f64 v[21:22], s[20:21], v[11:12], -v[21:22]
	v_fma_f64 v[11:12], s[22:23], v[11:12], v[23:24]
	v_add_nc_u32_e32 v5, 0x2000, v5
	s_waitcnt lgkmcnt(1)
	v_mul_f64 v[19:20], s[26:27], v[3:4]
	v_mul_f64 v[3:4], s[24:25], v[3:4]
	s_waitcnt lgkmcnt(0)
	v_mul_f64 v[23:24], s[30:31], v[15:16]
	v_mul_f64 v[15:16], s[28:29], v[15:16]
	v_add_f64 v[6:7], v[6:7], -v[25:26]
	v_add_f64 v[17:18], v[17:18], -v[27:28]
	v_fma_f64 v[19:20], s[24:25], v[1:2], -v[19:20]
	v_fma_f64 v[1:2], s[26:27], v[1:2], v[3:4]
	s_delay_alu instid0(VALU_DEP_4) | instskip(NEXT) | instid1(VALU_DEP_4)
	v_add_f64 v[3:4], v[6:7], -v[21:22]
	v_add_f64 v[6:7], v[17:18], -v[11:12]
	v_fma_f64 v[11:12], s[28:29], v[13:14], -v[23:24]
	v_fma_f64 v[13:14], s[30:31], v[13:14], v[15:16]
	s_delay_alu instid0(VALU_DEP_4) | instskip(NEXT) | instid1(VALU_DEP_4)
	v_add_f64 v[3:4], v[3:4], -v[19:20]
	v_add_f64 v[6:7], v[6:7], -v[1:2]
	s_delay_alu instid0(VALU_DEP_2) | instskip(NEXT) | instid1(VALU_DEP_2)
	v_add_f64 v[1:2], v[3:4], -v[11:12]
	v_add_f64 v[3:4], v[6:7], -v[13:14]
	s_cbranch_scc0 .LBB240_74
; %bb.75:                               ;   in Loop: Header=BB240_71 Depth=1
	s_and_b32 s0, s60, 7
	s_delay_alu instid0(SALU_CYCLE_1)
	s_cmp_eq_u32 s0, 0
	s_cbranch_scc0 .LBB240_77
	s_branch .LBB240_79
.LBB240_76:                             ;   in Loop: Header=BB240_71 Depth=1
	s_mov_b32 s48, 0
	s_and_b32 s0, s60, 7
	s_delay_alu instid0(SALU_CYCLE_1)
	s_cmp_eq_u32 s0, 0
	s_cbranch_scc1 .LBB240_79
.LBB240_77:                             ;   in Loop: Header=BB240_71 Depth=1
	s_and_b32 s2, s61, 7
	s_lshl_b64 s[0:1], s[48:49], 4
	v_lshl_or_b32 v5, s48, 10, v9
	s_lshl_b32 s2, s2, 4
	s_add_u32 s3, s50, s0
	s_addc_u32 s4, s51, s1
	s_mov_b64 s[0:1], 0
	.p2align	6
.LBB240_78:                             ;   Parent Loop BB240_71 Depth=1
                                        ; =>  This Inner Loop Header: Depth=2
	s_delay_alu instid0(SALU_CYCLE_1)
	s_add_u32 s6, s3, s0
	s_addc_u32 s7, s4, s1
	ds_load_b128 v[11:14], v5
	s_load_b128 s[8:11], s[6:7], 0x0
	v_add_nc_u32_e32 v5, 0x400, v5
	s_add_u32 s0, s0, 16
	s_addc_u32 s1, s1, 0
	s_cmp_lg_u32 s2, s0
	s_waitcnt lgkmcnt(0)
	v_mul_f64 v[6:7], s[10:11], v[13:14]
	v_mul_f64 v[13:14], s[8:9], v[13:14]
	s_delay_alu instid0(VALU_DEP_2) | instskip(NEXT) | instid1(VALU_DEP_2)
	v_fma_f64 v[6:7], s[8:9], v[11:12], -v[6:7]
	v_fma_f64 v[11:12], s[10:11], v[11:12], v[13:14]
	s_delay_alu instid0(VALU_DEP_2) | instskip(NEXT) | instid1(VALU_DEP_2)
	v_add_f64 v[1:2], v[1:2], -v[6:7]
	v_add_f64 v[3:4], v[3:4], -v[11:12]
	s_cbranch_scc1 .LBB240_78
.LBB240_79:                             ;   in Loop: Header=BB240_71 Depth=1
	s_and_b32 vcc_lo, exec_lo, s57
	s_waitcnt lgkmcnt(0)
	ds_store_b128 v10, v[1:4]
	s_cbranch_vccz .LBB240_70
; %bb.80:                               ;   in Loop: Header=BB240_71 Depth=1
	s_mul_i32 s1, s59, s60
	s_mul_hi_u32 s2, s58, s60
	s_mul_i32 s0, s58, s60
	s_add_i32 s1, s2, s1
	s_delay_alu instid0(SALU_CYCLE_1) | instskip(NEXT) | instid1(SALU_CYCLE_1)
	s_lshl_b64 s[0:1], s[0:1], 4
	s_add_u32 s0, s42, s0
	s_addc_u32 s1, s43, s1
	s_load_b128 s[0:3], s[0:1], 0x0
	s_waitcnt lgkmcnt(0)
	v_cmp_lt_f64_e64 s4, s[0:1], 0
	v_cmp_lt_f64_e64 s6, s[2:3], 0
	s_xor_b32 s5, s1, 0x80000000
	s_delay_alu instid0(VALU_DEP_2) | instskip(SKIP_3) | instid1(VALU_DEP_1)
	s_and_b32 s4, s4, exec_lo
	s_cselect_b32 s5, s5, s1
	s_cselect_b32 s4, s0, s0
	s_xor_b32 s7, s3, 0x80000000
	s_and_b32 s6, s6, exec_lo
	s_cselect_b32 s7, s7, s3
	s_cselect_b32 s6, s2, s2
	s_delay_alu instid0(SALU_CYCLE_1) | instskip(NEXT) | instid1(VALU_DEP_1)
	v_cmp_ngt_f64_e64 s4, s[4:5], s[6:7]
	s_and_b32 vcc_lo, exec_lo, s4
	s_cbranch_vccz .LBB240_82
; %bb.81:                               ;   in Loop: Header=BB240_71 Depth=1
	v_div_scale_f64 v[5:6], null, s[2:3], s[2:3], s[0:1]
	v_div_scale_f64 v[13:14], vcc_lo, s[0:1], s[2:3], s[0:1]
	s_delay_alu instid0(VALU_DEP_2) | instskip(SKIP_2) | instid1(VALU_DEP_1)
	v_rcp_f64_e32 v[7:8], v[5:6]
	s_waitcnt_depctr 0xfff
	v_fma_f64 v[11:12], -v[5:6], v[7:8], 1.0
	v_fma_f64 v[7:8], v[7:8], v[11:12], v[7:8]
	s_delay_alu instid0(VALU_DEP_1) | instskip(NEXT) | instid1(VALU_DEP_1)
	v_fma_f64 v[11:12], -v[5:6], v[7:8], 1.0
	v_fma_f64 v[7:8], v[7:8], v[11:12], v[7:8]
	s_delay_alu instid0(VALU_DEP_1) | instskip(NEXT) | instid1(VALU_DEP_1)
	v_mul_f64 v[11:12], v[13:14], v[7:8]
	v_fma_f64 v[5:6], -v[5:6], v[11:12], v[13:14]
	s_delay_alu instid0(VALU_DEP_1) | instskip(NEXT) | instid1(VALU_DEP_1)
	v_div_fmas_f64 v[5:6], v[5:6], v[7:8], v[11:12]
	v_div_fixup_f64 v[5:6], v[5:6], s[2:3], s[0:1]
	s_delay_alu instid0(VALU_DEP_1) | instskip(NEXT) | instid1(VALU_DEP_1)
	v_fma_f64 v[7:8], s[0:1], v[5:6], s[2:3]
	v_div_scale_f64 v[11:12], null, v[7:8], v[7:8], 1.0
	v_div_scale_f64 v[17:18], vcc_lo, 1.0, v[7:8], 1.0
	s_delay_alu instid0(VALU_DEP_2) | instskip(SKIP_2) | instid1(VALU_DEP_1)
	v_rcp_f64_e32 v[13:14], v[11:12]
	s_waitcnt_depctr 0xfff
	v_fma_f64 v[15:16], -v[11:12], v[13:14], 1.0
	v_fma_f64 v[13:14], v[13:14], v[15:16], v[13:14]
	s_delay_alu instid0(VALU_DEP_1) | instskip(NEXT) | instid1(VALU_DEP_1)
	v_fma_f64 v[15:16], -v[11:12], v[13:14], 1.0
	v_fma_f64 v[13:14], v[13:14], v[15:16], v[13:14]
	s_delay_alu instid0(VALU_DEP_1) | instskip(NEXT) | instid1(VALU_DEP_1)
	v_mul_f64 v[15:16], v[17:18], v[13:14]
	v_fma_f64 v[11:12], -v[11:12], v[15:16], v[17:18]
	s_delay_alu instid0(VALU_DEP_1) | instskip(SKIP_1) | instid1(VALU_DEP_2)
	v_div_fmas_f64 v[11:12], v[11:12], v[13:14], v[15:16]
	v_fma_f64 v[13:14], v[1:2], v[5:6], v[3:4]
	v_div_fixup_f64 v[7:8], v[11:12], v[7:8], 1.0
	v_fma_f64 v[11:12], v[3:4], v[5:6], -v[1:2]
	s_delay_alu instid0(VALU_DEP_2) | instskip(NEXT) | instid1(VALU_DEP_2)
	v_mul_f64 v[5:6], v[13:14], v[7:8]
	v_mul_f64 v[7:8], v[11:12], v[7:8]
	s_cbranch_execnz .LBB240_69
	s_branch .LBB240_83
.LBB240_82:                             ;   in Loop: Header=BB240_71 Depth=1
                                        ; implicit-def: $vgpr7_vgpr8
.LBB240_83:                             ;   in Loop: Header=BB240_71 Depth=1
	v_div_scale_f64 v[5:6], null, s[0:1], s[0:1], s[2:3]
	v_div_scale_f64 v[13:14], vcc_lo, s[2:3], s[0:1], s[2:3]
	s_delay_alu instid0(VALU_DEP_2) | instskip(SKIP_2) | instid1(VALU_DEP_1)
	v_rcp_f64_e32 v[7:8], v[5:6]
	s_waitcnt_depctr 0xfff
	v_fma_f64 v[11:12], -v[5:6], v[7:8], 1.0
	v_fma_f64 v[7:8], v[7:8], v[11:12], v[7:8]
	s_delay_alu instid0(VALU_DEP_1) | instskip(NEXT) | instid1(VALU_DEP_1)
	v_fma_f64 v[11:12], -v[5:6], v[7:8], 1.0
	v_fma_f64 v[7:8], v[7:8], v[11:12], v[7:8]
	s_delay_alu instid0(VALU_DEP_1) | instskip(NEXT) | instid1(VALU_DEP_1)
	v_mul_f64 v[11:12], v[13:14], v[7:8]
	v_fma_f64 v[5:6], -v[5:6], v[11:12], v[13:14]
	s_delay_alu instid0(VALU_DEP_1) | instskip(NEXT) | instid1(VALU_DEP_1)
	v_div_fmas_f64 v[5:6], v[5:6], v[7:8], v[11:12]
	v_div_fixup_f64 v[5:6], v[5:6], s[0:1], s[2:3]
	s_delay_alu instid0(VALU_DEP_1) | instskip(NEXT) | instid1(VALU_DEP_1)
	v_fma_f64 v[7:8], s[2:3], v[5:6], s[0:1]
	v_div_scale_f64 v[11:12], null, v[7:8], v[7:8], 1.0
	v_div_scale_f64 v[17:18], vcc_lo, 1.0, v[7:8], 1.0
	s_delay_alu instid0(VALU_DEP_2) | instskip(SKIP_2) | instid1(VALU_DEP_1)
	v_rcp_f64_e32 v[13:14], v[11:12]
	s_waitcnt_depctr 0xfff
	v_fma_f64 v[15:16], -v[11:12], v[13:14], 1.0
	v_fma_f64 v[13:14], v[13:14], v[15:16], v[13:14]
	s_delay_alu instid0(VALU_DEP_1) | instskip(NEXT) | instid1(VALU_DEP_1)
	v_fma_f64 v[15:16], -v[11:12], v[13:14], 1.0
	v_fma_f64 v[13:14], v[13:14], v[15:16], v[13:14]
	s_delay_alu instid0(VALU_DEP_1) | instskip(NEXT) | instid1(VALU_DEP_1)
	v_mul_f64 v[15:16], v[17:18], v[13:14]
	v_fma_f64 v[11:12], -v[11:12], v[15:16], v[17:18]
	s_delay_alu instid0(VALU_DEP_1) | instskip(SKIP_2) | instid1(VALU_DEP_3)
	v_div_fmas_f64 v[11:12], v[11:12], v[13:14], v[15:16]
	v_fma_f64 v[13:14], v[3:4], v[5:6], v[1:2]
	v_fma_f64 v[1:2], -v[1:2], v[5:6], v[3:4]
	v_div_fixup_f64 v[7:8], v[11:12], v[7:8], 1.0
	s_delay_alu instid0(VALU_DEP_1) | instskip(NEXT) | instid1(VALU_DEP_3)
	v_mul_f64 v[5:6], v[13:14], v[7:8]
	v_mul_f64 v[7:8], v[1:2], v[7:8]
	s_branch .LBB240_69
.LBB240_84:
	s_and_saveexec_b32 s0, s56
	s_cbranch_execz .LBB240_91
; %bb.85:
	v_lshlrev_b32_e32 v2, 4, v0
	s_ashr_i32 s35, s34, 31
	s_cmp_lt_u32 s33, 4
	s_mov_b32 s6, 0
	s_cbranch_scc1 .LBB240_88
; %bb.86:
	v_add_co_u32 v0, s0, s54, v2
	s_delay_alu instid0(VALU_DEP_1)
	v_add_co_ci_u32_e64 v1, null, s55, 0, s0
	v_mov_b32_e32 v3, v2
	s_and_b32 s6, s33, 0x7ffffffc
	s_mul_hi_i32 s7, s34, 48
	s_mul_i32 s8, s34, 48
	s_lshl_b64 s[0:1], s[34:35], 6
	s_lshl_b64 s[2:3], s[34:35], 5
	;; [unrolled: 1-line block ×3, first 2 shown]
	s_mov_b32 s9, 0
	s_set_inst_prefetch_distance 0x1
	.p2align	6
.LBB240_87:                             ; =>This Inner Loop Header: Depth=1
	ds_load_2addr_b64 v[4:7], v3 offset1:1
	v_add_nc_u32_e32 v12, 0x800, v3
	v_add_nc_u32_e32 v16, 0xc00, v3
	v_add_co_u32 v20, vcc_lo, v0, s4
	ds_load_2addr_b64 v[8:11], v3 offset0:128 offset1:129
	ds_load_2addr_b64 v[12:15], v12 offset1:1
	ds_load_2addr_b64 v[16:19], v16 offset1:1
	v_add_co_ci_u32_e32 v21, vcc_lo, s5, v1, vcc_lo
	v_add_co_u32 v22, vcc_lo, v0, s2
	v_add_co_ci_u32_e32 v23, vcc_lo, s3, v1, vcc_lo
	v_add_co_u32 v24, vcc_lo, v0, s8
	v_add_co_ci_u32_e32 v25, vcc_lo, s7, v1, vcc_lo
	v_add_nc_u32_e32 v3, 0x1000, v3
	s_add_i32 s9, s9, 4
	s_delay_alu instid0(SALU_CYCLE_1)
	s_cmp_lg_u32 s6, s9
	s_waitcnt lgkmcnt(3)
	global_store_b128 v[0:1], v[4:7], off
	v_add_co_u32 v0, vcc_lo, v0, s0
	v_add_co_ci_u32_e32 v1, vcc_lo, s1, v1, vcc_lo
	s_waitcnt lgkmcnt(2)
	global_store_b128 v[20:21], v[8:11], off
	s_waitcnt lgkmcnt(1)
	global_store_b128 v[22:23], v[12:15], off
	;; [unrolled: 2-line block ×3, first 2 shown]
	s_cbranch_scc1 .LBB240_87
.LBB240_88:
	s_set_inst_prefetch_distance 0x2
	s_and_b32 s2, s33, 3
	s_delay_alu instid0(SALU_CYCLE_1)
	s_cmp_eq_u32 s2, 0
	s_cbranch_scc1 .LBB240_91
; %bb.89:
	s_mul_hi_i32 s1, s34, s6
	s_mul_i32 s0, s34, s6
	s_delay_alu instid0(SALU_CYCLE_1) | instskip(NEXT) | instid1(SALU_CYCLE_1)
	s_lshl_b64 s[0:1], s[0:1], 4
	s_add_u32 s0, s0, s40
	s_addc_u32 s1, s1, s41
	s_add_u32 s0, s0, s38
	s_addc_u32 s1, s1, s39
	;; [unrolled: 2-line block ×3, first 2 shown]
	v_add_co_u32 v0, s0, s0, v2
	s_delay_alu instid0(VALU_DEP_1)
	v_add_co_ci_u32_e64 v1, null, s1, 0, s0
	v_lshl_or_b32 v2, s6, 10, v2
	s_lshl_b64 s[0:1], s[34:35], 4
.LBB240_90:                             ; =>This Inner Loop Header: Depth=1
	ds_load_2addr_b64 v[3:6], v2 offset1:1
	v_add_nc_u32_e32 v2, 0x400, v2
	s_add_i32 s2, s2, -1
	s_delay_alu instid0(SALU_CYCLE_1)
	s_cmp_lg_u32 s2, 0
	s_waitcnt lgkmcnt(0)
	global_store_b128 v[0:1], v[3:6], off
	v_add_co_u32 v0, vcc_lo, v0, s0
	v_add_co_ci_u32_e32 v1, vcc_lo, s1, v1, vcc_lo
	s_cbranch_scc1 .LBB240_90
.LBB240_91:
	s_nop 0
	s_sendmsg sendmsg(MSG_DEALLOC_VGPRS)
	s_endpgm
	.section	.rodata,"a",@progbits
	.p2align	6, 0x0
	.amdhsa_kernel _ZL34rocblas_trsm_small_64_right_deviceI19rocblas_complex_numIdES1_PKPKS1_PKPS1_Li64EEv13rocblas_fill_18rocblas_operation_17rocblas_diagonal_iiT0_T1_lilT2_lili
		.amdhsa_group_segment_fixed_size 65536
		.amdhsa_private_segment_fixed_size 0
		.amdhsa_kernarg_size 368
		.amdhsa_user_sgpr_count 14
		.amdhsa_user_sgpr_dispatch_ptr 0
		.amdhsa_user_sgpr_queue_ptr 0
		.amdhsa_user_sgpr_kernarg_segment_ptr 1
		.amdhsa_user_sgpr_dispatch_id 0
		.amdhsa_user_sgpr_private_segment_size 0
		.amdhsa_wavefront_size32 1
		.amdhsa_uses_dynamic_stack 0
		.amdhsa_enable_private_segment 0
		.amdhsa_system_sgpr_workgroup_id_x 1
		.amdhsa_system_sgpr_workgroup_id_y 0
		.amdhsa_system_sgpr_workgroup_id_z 1
		.amdhsa_system_sgpr_workgroup_info 0
		.amdhsa_system_vgpr_workitem_id 0
		.amdhsa_next_free_vgpr 31
		.amdhsa_next_free_sgpr 63
		.amdhsa_reserve_vcc 1
		.amdhsa_float_round_mode_32 0
		.amdhsa_float_round_mode_16_64 0
		.amdhsa_float_denorm_mode_32 3
		.amdhsa_float_denorm_mode_16_64 3
		.amdhsa_dx10_clamp 1
		.amdhsa_ieee_mode 1
		.amdhsa_fp16_overflow 0
		.amdhsa_workgroup_processor_mode 1
		.amdhsa_memory_ordered 1
		.amdhsa_forward_progress 0
		.amdhsa_shared_vgpr_count 0
		.amdhsa_exception_fp_ieee_invalid_op 0
		.amdhsa_exception_fp_denorm_src 0
		.amdhsa_exception_fp_ieee_div_zero 0
		.amdhsa_exception_fp_ieee_overflow 0
		.amdhsa_exception_fp_ieee_underflow 0
		.amdhsa_exception_fp_ieee_inexact 0
		.amdhsa_exception_int_div_zero 0
	.end_amdhsa_kernel
	.section	.text._ZL34rocblas_trsm_small_64_right_deviceI19rocblas_complex_numIdES1_PKPKS1_PKPS1_Li64EEv13rocblas_fill_18rocblas_operation_17rocblas_diagonal_iiT0_T1_lilT2_lili,"axG",@progbits,_ZL34rocblas_trsm_small_64_right_deviceI19rocblas_complex_numIdES1_PKPKS1_PKPS1_Li64EEv13rocblas_fill_18rocblas_operation_17rocblas_diagonal_iiT0_T1_lilT2_lili,comdat
.Lfunc_end240:
	.size	_ZL34rocblas_trsm_small_64_right_deviceI19rocblas_complex_numIdES1_PKPKS1_PKPS1_Li64EEv13rocblas_fill_18rocblas_operation_17rocblas_diagonal_iiT0_T1_lilT2_lili, .Lfunc_end240-_ZL34rocblas_trsm_small_64_right_deviceI19rocblas_complex_numIdES1_PKPKS1_PKPS1_Li64EEv13rocblas_fill_18rocblas_operation_17rocblas_diagonal_iiT0_T1_lilT2_lili
                                        ; -- End function
	.section	.AMDGPU.csdata,"",@progbits
; Kernel info:
; codeLenInByte = 7828
; NumSgprs: 65
; NumVgprs: 31
; ScratchSize: 0
; MemoryBound: 0
; FloatMode: 240
; IeeeMode: 1
; LDSByteSize: 65536 bytes/workgroup (compile time only)
; SGPRBlocks: 8
; VGPRBlocks: 3
; NumSGPRsForWavesPerEU: 65
; NumVGPRsForWavesPerEU: 31
; Occupancy: 1
; WaveLimiterHint : 1
; COMPUTE_PGM_RSRC2:SCRATCH_EN: 0
; COMPUTE_PGM_RSRC2:USER_SGPR: 14
; COMPUTE_PGM_RSRC2:TRAP_HANDLER: 0
; COMPUTE_PGM_RSRC2:TGID_X_EN: 1
; COMPUTE_PGM_RSRC2:TGID_Y_EN: 0
; COMPUTE_PGM_RSRC2:TGID_Z_EN: 1
; COMPUTE_PGM_RSRC2:TIDIG_COMP_CNT: 0
	.section	.text._ZL39rocblas_trsm_block_forward_substitutionI19rocblas_complex_numIdES1_PKPKS1_PKPS1_Lb0ELb0ELb0EEv18rocblas_operation_llT0_T1_lllT2_lllib,"axG",@progbits,_ZL39rocblas_trsm_block_forward_substitutionI19rocblas_complex_numIdES1_PKPKS1_PKPS1_Lb0ELb0ELb0EEv18rocblas_operation_llT0_T1_lllT2_lllib,comdat
	.globl	_ZL39rocblas_trsm_block_forward_substitutionI19rocblas_complex_numIdES1_PKPKS1_PKPS1_Lb0ELb0ELb0EEv18rocblas_operation_llT0_T1_lllT2_lllib ; -- Begin function _ZL39rocblas_trsm_block_forward_substitutionI19rocblas_complex_numIdES1_PKPKS1_PKPS1_Lb0ELb0ELb0EEv18rocblas_operation_llT0_T1_lllT2_lllib
	.p2align	8
	.type	_ZL39rocblas_trsm_block_forward_substitutionI19rocblas_complex_numIdES1_PKPKS1_PKPS1_Lb0ELb0ELb0EEv18rocblas_operation_llT0_T1_lllT2_lllib,@function
_ZL39rocblas_trsm_block_forward_substitutionI19rocblas_complex_numIdES1_PKPKS1_PKPS1_Lb0ELb0ELb0EEv18rocblas_operation_llT0_T1_lllT2_lllib: ; @_ZL39rocblas_trsm_block_forward_substitutionI19rocblas_complex_numIdES1_PKPKS1_PKPS1_Lb0ELb0ELb0EEv18rocblas_operation_llT0_T1_lllT2_lllib
; %bb.0:
	s_clause 0x3
	s_load_b32 s3, s[0:1], 0x6c
	s_load_b128 s[4:7], s[0:1], 0x28
	s_load_b64 s[12:13], s[0:1], 0x38
	s_load_b32 s24, s[0:1], 0x7c
	s_mov_b32 s2, s15
	s_load_b64 s[20:21], s[0:1], 0x58
	v_and_b32_e32 v8, 0x3ff, v0
	v_bfe_u32 v12, v0, 10, 10
	s_waitcnt lgkmcnt(0)
	s_bitcmp1_b32 s3, 0
	s_mov_b32 s3, 0
	s_cselect_b32 s10, -1, 0
	s_lshl_b64 s[8:9], s[2:3], 3
	s_xor_b32 s15, s10, -1
	s_add_u32 s2, s4, s8
	s_addc_u32 s3, s5, s9
	s_lshl_b64 s[4:5], s[6:7], 4
	s_load_b64 s[2:3], s[2:3], 0x0
	s_load_b128 s[16:19], s[0:1], 0x48
	s_waitcnt lgkmcnt(0)
	s_add_u32 s2, s2, s4
	s_addc_u32 s3, s3, s5
	s_add_u32 s16, s16, s8
	s_addc_u32 s17, s17, s9
	s_load_b256 s[4:11], s[0:1], 0x8
	s_load_b64 s[16:17], s[16:17], 0x0
	s_add_u32 s22, s0, 0x70
	s_addc_u32 s23, s1, 0
	s_and_b32 vcc_lo, exec_lo, s15
	s_lshr_b32 s26, s24, 16
	s_cbranch_vccnz .LBB241_15
; %bb.1:
	s_waitcnt lgkmcnt(0)
	v_cmp_lt_i64_e64 s24, s[4:5], 1
	s_lshl_b32 s25, s26, 4
	s_delay_alu instid0(VALU_DEP_1)
	s_and_b32 vcc_lo, exec_lo, s24
	s_add_i32 s24, s25, 0
	s_cbranch_vccnz .LBB241_14
; %bb.2:
	v_mad_u64_u32 v[0:1], null, v8, s12, 0
	v_mov_b32_e32 v9, 0
	v_mov_b32_e32 v17, v12
	s_delay_alu instid0(VALU_DEP_2) | instskip(NEXT) | instid1(VALU_DEP_4)
	v_cmp_le_u64_e32 vcc_lo, s[4:5], v[8:9]
	v_mad_u64_u32 v[2:3], null, v8, s13, v[1:2]
	v_lshlrev_b32_e32 v3, 4, v8
	s_xor_b32 s25, vcc_lo, -1
	s_delay_alu instid0(VALU_DEP_1) | instskip(NEXT) | instid1(VALU_DEP_3)
	v_add_co_u32 v15, s2, s2, v3
	v_mov_b32_e32 v1, v2
	v_add_co_ci_u32_e64 v16, null, s3, 0, s2
	v_add_nc_u32_e32 v11, s24, v3
	s_delay_alu instid0(VALU_DEP_3) | instskip(NEXT) | instid1(VALU_DEP_1)
	v_lshlrev_b64 v[0:1], 4, v[0:1]
	v_add_co_u32 v9, s2, v15, v0
	s_delay_alu instid0(VALU_DEP_1)
	v_add_co_ci_u32_e64 v10, s2, v16, v1, s2
	s_mov_b32 s2, s26
	s_branch .LBB241_6
.LBB241_3:                              ;   in Loop: Header=BB241_6 Depth=1
	s_or_b32 exec_lo, exec_lo, s28
	s_load_b32 s28, s[22:23], 0xc
	s_waitcnt lgkmcnt(0)
	s_and_b32 s28, s28, 0xffff
	s_delay_alu instid0(SALU_CYCLE_1) | instskip(NEXT) | instid1(VALU_DEP_1)
	v_mul_u32_u24_e32 v0, s28, v8
	v_lshl_add_u32 v0, v0, 4, v11
	ds_store_2addr_b64 v0, v[13:14], v[6:7] offset1:1
.LBB241_4:                              ;   in Loop: Header=BB241_6 Depth=1
	s_or_b32 exec_lo, exec_lo, s27
.LBB241_5:                              ;   in Loop: Header=BB241_6 Depth=1
	s_delay_alu instid0(SALU_CYCLE_1) | instskip(SKIP_4) | instid1(VALU_DEP_1)
	s_or_b32 exec_lo, exec_lo, s3
	s_ashr_i32 s3, s2, 31
	v_add_nc_u32_e32 v17, s26, v17
	v_cmp_ge_i64_e64 s3, s[2:3], s[4:5]
	s_add_i32 s2, s2, s26
	s_and_b32 vcc_lo, exec_lo, s3
	s_cbranch_vccnz .LBB241_14
.LBB241_6:                              ; =>This Inner Loop Header: Depth=1
	v_cmp_gt_i32_e32 vcc_lo, v8, v17
	s_and_b32 s3, s25, vcc_lo
	s_delay_alu instid0(SALU_CYCLE_1) | instskip(NEXT) | instid1(SALU_CYCLE_1)
	s_and_saveexec_b32 s27, s3
	s_xor_b32 s3, exec_lo, s27
	s_cbranch_execz .LBB241_8
; %bb.7:                                ;   in Loop: Header=BB241_6 Depth=1
	v_ashrrev_i32_e32 v2, 31, v17
	v_mul_lo_u32 v3, v17, s13
	v_mad_u64_u32 v[0:1], null, v17, s12, 0
	s_load_b32 s27, s[22:23], 0xc
	s_delay_alu instid0(VALU_DEP_3) | instskip(NEXT) | instid1(VALU_DEP_1)
	v_mul_lo_u32 v2, v2, s12
	v_add3_u32 v1, v1, v3, v2
	s_delay_alu instid0(VALU_DEP_1) | instskip(SKIP_2) | instid1(VALU_DEP_1)
	v_lshlrev_b64 v[0:1], 4, v[0:1]
	s_waitcnt lgkmcnt(0)
	s_and_b32 s27, s27, 0xffff
	v_add_co_u32 v0, vcc_lo, v15, v0
	s_delay_alu instid0(VALU_DEP_2)
	v_add_co_ci_u32_e32 v1, vcc_lo, v16, v1, vcc_lo
	v_mul_lo_u32 v4, v17, s27
	global_load_b128 v[0:3], v[0:1], off
	v_lshl_add_u32 v4, v4, 4, v11
	s_waitcnt vmcnt(0)
	ds_store_2addr_b64 v4, v[0:1], v[2:3] offset1:1
.LBB241_8:                              ;   in Loop: Header=BB241_6 Depth=1
	s_and_not1_saveexec_b32 s3, s3
	s_cbranch_execz .LBB241_5
; %bb.9:                                ;   in Loop: Header=BB241_6 Depth=1
	v_cmp_eq_u32_e32 vcc_lo, v8, v17
	s_and_b32 s28, s25, vcc_lo
	s_delay_alu instid0(SALU_CYCLE_1)
	s_and_saveexec_b32 s27, s28
	s_cbranch_execz .LBB241_4
; %bb.10:                               ;   in Loop: Header=BB241_6 Depth=1
	global_load_b128 v[0:3], v[9:10], off
	s_mov_b32 s28, exec_lo
                                        ; implicit-def: $vgpr13_vgpr14
	s_waitcnt vmcnt(0)
	v_cmp_gt_f64_e32 vcc_lo, 0, v[0:1]
	v_xor_b32_e32 v5, 0x80000000, v1
	v_mov_b32_e32 v4, v0
	v_xor_b32_e32 v6, 0x80000000, v3
	s_delay_alu instid0(VALU_DEP_3) | instskip(SKIP_1) | instid1(VALU_DEP_3)
	v_cndmask_b32_e32 v5, v1, v5, vcc_lo
	v_cmp_gt_f64_e32 vcc_lo, 0, v[2:3]
	v_dual_cndmask_b32 v7, v3, v6 :: v_dual_mov_b32 v6, v2
	s_delay_alu instid0(VALU_DEP_1)
	v_cmpx_ngt_f64_e32 v[4:5], v[6:7]
	s_xor_b32 s28, exec_lo, s28
                                        ; implicit-def: $vgpr4_vgpr5_vgpr6_vgpr7
	s_cbranch_execz .LBB241_12
; %bb.11:                               ;   in Loop: Header=BB241_6 Depth=1
	v_div_scale_f64 v[4:5], null, v[2:3], v[2:3], v[0:1]
	v_div_scale_f64 v[18:19], vcc_lo, v[0:1], v[2:3], v[0:1]
	s_delay_alu instid0(VALU_DEP_2) | instskip(SKIP_2) | instid1(VALU_DEP_1)
	v_rcp_f64_e32 v[6:7], v[4:5]
	s_waitcnt_depctr 0xfff
	v_fma_f64 v[13:14], -v[4:5], v[6:7], 1.0
	v_fma_f64 v[6:7], v[6:7], v[13:14], v[6:7]
	s_delay_alu instid0(VALU_DEP_1) | instskip(NEXT) | instid1(VALU_DEP_1)
	v_fma_f64 v[13:14], -v[4:5], v[6:7], 1.0
	v_fma_f64 v[6:7], v[6:7], v[13:14], v[6:7]
	s_delay_alu instid0(VALU_DEP_1) | instskip(NEXT) | instid1(VALU_DEP_1)
	v_mul_f64 v[13:14], v[18:19], v[6:7]
	v_fma_f64 v[4:5], -v[4:5], v[13:14], v[18:19]
	s_delay_alu instid0(VALU_DEP_1) | instskip(NEXT) | instid1(VALU_DEP_1)
	v_div_fmas_f64 v[4:5], v[4:5], v[6:7], v[13:14]
	v_div_fixup_f64 v[4:5], v[4:5], v[2:3], v[0:1]
	s_delay_alu instid0(VALU_DEP_1) | instskip(NEXT) | instid1(VALU_DEP_1)
	v_fma_f64 v[0:1], v[0:1], v[4:5], v[2:3]
	v_div_scale_f64 v[2:3], null, v[0:1], v[0:1], 1.0
	s_delay_alu instid0(VALU_DEP_1) | instskip(SKIP_2) | instid1(VALU_DEP_1)
	v_rcp_f64_e32 v[6:7], v[2:3]
	s_waitcnt_depctr 0xfff
	v_fma_f64 v[13:14], -v[2:3], v[6:7], 1.0
	v_fma_f64 v[6:7], v[6:7], v[13:14], v[6:7]
	s_delay_alu instid0(VALU_DEP_1) | instskip(NEXT) | instid1(VALU_DEP_1)
	v_fma_f64 v[13:14], -v[2:3], v[6:7], 1.0
	v_fma_f64 v[6:7], v[6:7], v[13:14], v[6:7]
	v_div_scale_f64 v[13:14], vcc_lo, 1.0, v[0:1], 1.0
	s_delay_alu instid0(VALU_DEP_1) | instskip(NEXT) | instid1(VALU_DEP_1)
	v_mul_f64 v[18:19], v[13:14], v[6:7]
	v_fma_f64 v[2:3], -v[2:3], v[18:19], v[13:14]
	s_delay_alu instid0(VALU_DEP_1) | instskip(NEXT) | instid1(VALU_DEP_1)
	v_div_fmas_f64 v[2:3], v[2:3], v[6:7], v[18:19]
	v_div_fixup_f64 v[6:7], v[2:3], v[0:1], 1.0
                                        ; implicit-def: $vgpr0_vgpr1
	s_delay_alu instid0(VALU_DEP_1)
	v_mul_f64 v[13:14], v[4:5], v[6:7]
	v_xor_b32_e32 v7, 0x80000000, v7
.LBB241_12:                             ;   in Loop: Header=BB241_6 Depth=1
	s_and_not1_saveexec_b32 s28, s28
	s_cbranch_execz .LBB241_3
; %bb.13:                               ;   in Loop: Header=BB241_6 Depth=1
	v_div_scale_f64 v[4:5], null, v[0:1], v[0:1], v[2:3]
	v_div_scale_f64 v[18:19], vcc_lo, v[2:3], v[0:1], v[2:3]
	s_delay_alu instid0(VALU_DEP_2) | instskip(SKIP_2) | instid1(VALU_DEP_1)
	v_rcp_f64_e32 v[6:7], v[4:5]
	s_waitcnt_depctr 0xfff
	v_fma_f64 v[13:14], -v[4:5], v[6:7], 1.0
	v_fma_f64 v[6:7], v[6:7], v[13:14], v[6:7]
	s_delay_alu instid0(VALU_DEP_1) | instskip(NEXT) | instid1(VALU_DEP_1)
	v_fma_f64 v[13:14], -v[4:5], v[6:7], 1.0
	v_fma_f64 v[6:7], v[6:7], v[13:14], v[6:7]
	s_delay_alu instid0(VALU_DEP_1) | instskip(NEXT) | instid1(VALU_DEP_1)
	v_mul_f64 v[13:14], v[18:19], v[6:7]
	v_fma_f64 v[4:5], -v[4:5], v[13:14], v[18:19]
	s_delay_alu instid0(VALU_DEP_1) | instskip(NEXT) | instid1(VALU_DEP_1)
	v_div_fmas_f64 v[4:5], v[4:5], v[6:7], v[13:14]
	v_div_fixup_f64 v[4:5], v[4:5], v[0:1], v[2:3]
	s_delay_alu instid0(VALU_DEP_1) | instskip(NEXT) | instid1(VALU_DEP_1)
	v_fma_f64 v[0:1], v[2:3], v[4:5], v[0:1]
	v_div_scale_f64 v[2:3], null, v[0:1], v[0:1], 1.0
	s_delay_alu instid0(VALU_DEP_1) | instskip(SKIP_2) | instid1(VALU_DEP_1)
	v_rcp_f64_e32 v[6:7], v[2:3]
	s_waitcnt_depctr 0xfff
	v_fma_f64 v[13:14], -v[2:3], v[6:7], 1.0
	v_fma_f64 v[6:7], v[6:7], v[13:14], v[6:7]
	s_delay_alu instid0(VALU_DEP_1) | instskip(NEXT) | instid1(VALU_DEP_1)
	v_fma_f64 v[13:14], -v[2:3], v[6:7], 1.0
	v_fma_f64 v[6:7], v[6:7], v[13:14], v[6:7]
	v_div_scale_f64 v[13:14], vcc_lo, 1.0, v[0:1], 1.0
	s_delay_alu instid0(VALU_DEP_1) | instskip(NEXT) | instid1(VALU_DEP_1)
	v_mul_f64 v[18:19], v[13:14], v[6:7]
	v_fma_f64 v[2:3], -v[2:3], v[18:19], v[13:14]
	s_delay_alu instid0(VALU_DEP_1) | instskip(NEXT) | instid1(VALU_DEP_1)
	v_div_fmas_f64 v[2:3], v[2:3], v[6:7], v[18:19]
	v_div_fixup_f64 v[13:14], v[2:3], v[0:1], 1.0
	s_delay_alu instid0(VALU_DEP_1)
	v_mul_f64 v[6:7], v[4:5], -v[13:14]
	s_branch .LBB241_3
.LBB241_14:
	s_load_b32 s12, s[22:23], 0xc
	s_mov_b64 s[2:3], src_shared_base
	s_mov_b32 s13, 0
	s_mov_b32 s25, s3
	s_delay_alu instid0(SALU_CYCLE_1)
	s_mov_b64 s[2:3], s[24:25]
	s_waitcnt lgkmcnt(0)
	s_and_b32 s12, s12, 0xffff
.LBB241_15:
	v_mad_u64_u32 v[0:1], null, s14, s26, v[12:13]
	v_mov_b32_e32 v1, 0
	s_waitcnt lgkmcnt(0)
	s_delay_alu instid0(VALU_DEP_1)
	v_cmp_gt_i64_e32 vcc_lo, s[6:7], v[0:1]
	s_and_saveexec_b32 s6, vcc_lo
	s_cbranch_execz .LBB241_39
; %bb.16:
	v_mov_b32_e32 v9, v1
	s_delay_alu instid0(VALU_DEP_1)
	v_cmp_gt_i64_e32 vcc_lo, s[4:5], v[8:9]
	s_and_b32 exec_lo, exec_lo, vcc_lo
	s_cbranch_execz .LBB241_39
; %bb.17:
	v_mad_u64_u32 v[1:2], null, v0, s20, 0
	s_lshl_b64 s[6:7], s[18:19], 4
	s_delay_alu instid0(SALU_CYCLE_1) | instskip(SKIP_1) | instid1(VALU_DEP_1)
	s_add_u32 s6, s16, s6
	s_addc_u32 s7, s17, s7
	v_mad_u64_u32 v[3:4], null, v0, s21, v[2:3]
	s_delay_alu instid0(VALU_DEP_1) | instskip(NEXT) | instid1(VALU_DEP_1)
	v_mov_b32_e32 v2, v3
	v_lshlrev_b64 v[0:1], 4, v[1:2]
	v_lshlrev_b32_e32 v2, 4, v8
	s_delay_alu instid0(VALU_DEP_2) | instskip(NEXT) | instid1(VALU_DEP_3)
	v_add_co_u32 v0, vcc_lo, s6, v0
	v_add_co_ci_u32_e32 v1, vcc_lo, s7, v1, vcc_lo
	v_cmp_lt_u64_e64 s6, s[4:5], 2
	s_delay_alu instid0(VALU_DEP_3) | instskip(NEXT) | instid1(VALU_DEP_3)
	v_add_co_u32 v6, vcc_lo, v0, v2
	v_add_co_ci_u32_e32 v7, vcc_lo, 0, v1, vcc_lo
	s_add_u32 s4, s4, -1
	s_addc_u32 s5, s5, -1
	s_delay_alu instid0(VALU_DEP_3) | instskip(SKIP_4) | instid1(VALU_DEP_2)
	s_and_b32 vcc_lo, exec_lo, s6
	global_load_b128 v[13:16], v[6:7], off
	s_waitcnt vmcnt(0)
	v_mul_f64 v[0:1], s[10:11], v[15:16]
	v_mul_f64 v[3:4], s[8:9], v[15:16]
	v_fma_f64 v[0:1], s[8:9], v[13:14], -v[0:1]
	s_delay_alu instid0(VALU_DEP_2)
	v_fma_f64 v[10:11], s[10:11], v[13:14], v[3:4]
	s_cbranch_vccnz .LBB241_30
; %bb.18:
	v_mad_u64_u32 v[3:4], null, v8, s12, v[8:9]
	s_load_b32 s0, s[0:1], 0x0
	v_lshl_add_u32 v16, v12, 4, 0
	v_add_co_u32 v12, s1, s2, v2
	s_mov_b64 s[8:9], 0
	s_delay_alu instid0(VALU_DEP_3) | instskip(NEXT) | instid1(VALU_DEP_1)
	v_mad_u64_u32 v[13:14], null, v8, s13, v[4:5]
	v_mov_b32_e32 v4, v13
	v_add_co_ci_u32_e64 v13, null, s3, 0, s1
	s_delay_alu instid0(VALU_DEP_2) | instskip(SKIP_4) | instid1(VALU_DEP_1)
	v_lshlrev_b64 v[3:4], 4, v[3:4]
	s_waitcnt lgkmcnt(0)
	s_cmpk_eq_i32 s0, 0x71
	s_cselect_b32 s0, -1, 0
	s_lshl_b64 s[6:7], s[12:13], 4
	v_add_co_u32 v14, vcc_lo, s2, v3
	v_add_co_ci_u32_e32 v15, vcc_lo, s3, v4, vcc_lo
	s_branch .LBB241_20
.LBB241_19:                             ;   in Loop: Header=BB241_20 Depth=1
	s_or_b32 exec_lo, exec_lo, s1
	v_add_co_u32 v12, vcc_lo, v12, s6
	s_add_u32 s8, s8, 1
	v_add_co_ci_u32_e32 v13, vcc_lo, s7, v13, vcc_lo
	s_addc_u32 s9, s9, 0
	s_delay_alu instid0(SALU_CYCLE_1)
	s_cmp_eq_u64 s[4:5], s[8:9]
	s_cbranch_scc1 .LBB241_30
.LBB241_20:                             ; =>This Inner Loop Header: Depth=1
	s_mov_b32 s10, exec_lo
	s_barrier
	buffer_gl0_inv
	v_cmpx_eq_u64_e64 s[8:9], v[8:9]
	s_cbranch_execz .LBB241_28
; %bb.21:                               ;   in Loop: Header=BB241_20 Depth=1
	flat_load_b128 v[2:5], v[14:15]
	s_and_not1_b32 vcc_lo, exec_lo, s15
	s_cbranch_vccnz .LBB241_27
; %bb.22:                               ;   in Loop: Header=BB241_20 Depth=1
	s_waitcnt vmcnt(0) lgkmcnt(0)
	v_cmp_gt_f64_e32 vcc_lo, 0, v[2:3]
	v_cmp_gt_f64_e64 s1, 0, v[4:5]
	v_xor_b32_e32 v17, 0x80000000, v3
	v_xor_b32_e32 v19, 0x80000000, v5
	s_delay_alu instid0(VALU_DEP_2) | instskip(NEXT) | instid1(VALU_DEP_2)
	v_dual_cndmask_b32 v18, v3, v17 :: v_dual_cndmask_b32 v17, v2, v2
	v_cndmask_b32_e64 v20, v5, v19, s1
	v_cndmask_b32_e64 v19, v4, v4, s1
	s_mov_b32 s1, exec_lo
	s_delay_alu instid0(VALU_DEP_1)
	v_cmpx_ngt_f64_e32 v[17:18], v[19:20]
	s_xor_b32 s1, exec_lo, s1
	s_cbranch_execz .LBB241_24
; %bb.23:                               ;   in Loop: Header=BB241_20 Depth=1
	v_div_scale_f64 v[17:18], null, v[4:5], v[4:5], v[2:3]
	v_div_scale_f64 v[23:24], vcc_lo, v[2:3], v[4:5], v[2:3]
	s_delay_alu instid0(VALU_DEP_2) | instskip(SKIP_2) | instid1(VALU_DEP_1)
	v_rcp_f64_e32 v[19:20], v[17:18]
	s_waitcnt_depctr 0xfff
	v_fma_f64 v[21:22], -v[17:18], v[19:20], 1.0
	v_fma_f64 v[19:20], v[19:20], v[21:22], v[19:20]
	s_delay_alu instid0(VALU_DEP_1) | instskip(NEXT) | instid1(VALU_DEP_1)
	v_fma_f64 v[21:22], -v[17:18], v[19:20], 1.0
	v_fma_f64 v[19:20], v[19:20], v[21:22], v[19:20]
	s_delay_alu instid0(VALU_DEP_1) | instskip(NEXT) | instid1(VALU_DEP_1)
	v_mul_f64 v[21:22], v[23:24], v[19:20]
	v_fma_f64 v[17:18], -v[17:18], v[21:22], v[23:24]
	s_delay_alu instid0(VALU_DEP_1) | instskip(NEXT) | instid1(VALU_DEP_1)
	v_div_fmas_f64 v[17:18], v[17:18], v[19:20], v[21:22]
	v_div_fixup_f64 v[17:18], v[17:18], v[4:5], v[2:3]
	s_delay_alu instid0(VALU_DEP_1) | instskip(NEXT) | instid1(VALU_DEP_1)
	v_fma_f64 v[2:3], v[2:3], v[17:18], v[4:5]
	v_div_scale_f64 v[4:5], null, v[2:3], v[2:3], 1.0
	s_delay_alu instid0(VALU_DEP_1) | instskip(SKIP_2) | instid1(VALU_DEP_1)
	v_rcp_f64_e32 v[19:20], v[4:5]
	s_waitcnt_depctr 0xfff
	v_fma_f64 v[21:22], -v[4:5], v[19:20], 1.0
	v_fma_f64 v[19:20], v[19:20], v[21:22], v[19:20]
	s_delay_alu instid0(VALU_DEP_1) | instskip(NEXT) | instid1(VALU_DEP_1)
	v_fma_f64 v[21:22], -v[4:5], v[19:20], 1.0
	v_fma_f64 v[19:20], v[19:20], v[21:22], v[19:20]
	v_div_scale_f64 v[21:22], vcc_lo, 1.0, v[2:3], 1.0
	s_delay_alu instid0(VALU_DEP_1) | instskip(NEXT) | instid1(VALU_DEP_1)
	v_mul_f64 v[23:24], v[21:22], v[19:20]
	v_fma_f64 v[4:5], -v[4:5], v[23:24], v[21:22]
	s_delay_alu instid0(VALU_DEP_1) | instskip(NEXT) | instid1(VALU_DEP_1)
	v_div_fmas_f64 v[4:5], v[4:5], v[19:20], v[23:24]
	v_div_fixup_f64 v[4:5], v[4:5], v[2:3], 1.0
	s_delay_alu instid0(VALU_DEP_1)
	v_mul_f64 v[2:3], v[17:18], v[4:5]
	v_xor_b32_e32 v5, 0x80000000, v5
.LBB241_24:                             ;   in Loop: Header=BB241_20 Depth=1
	s_and_not1_saveexec_b32 s1, s1
	s_cbranch_execz .LBB241_26
; %bb.25:                               ;   in Loop: Header=BB241_20 Depth=1
	s_delay_alu instid0(VALU_DEP_1) | instskip(SKIP_1) | instid1(VALU_DEP_2)
	v_div_scale_f64 v[17:18], null, v[2:3], v[2:3], v[4:5]
	v_div_scale_f64 v[23:24], vcc_lo, v[4:5], v[2:3], v[4:5]
	v_rcp_f64_e32 v[19:20], v[17:18]
	s_waitcnt_depctr 0xfff
	v_fma_f64 v[21:22], -v[17:18], v[19:20], 1.0
	s_delay_alu instid0(VALU_DEP_1) | instskip(NEXT) | instid1(VALU_DEP_1)
	v_fma_f64 v[19:20], v[19:20], v[21:22], v[19:20]
	v_fma_f64 v[21:22], -v[17:18], v[19:20], 1.0
	s_delay_alu instid0(VALU_DEP_1) | instskip(NEXT) | instid1(VALU_DEP_1)
	v_fma_f64 v[19:20], v[19:20], v[21:22], v[19:20]
	v_mul_f64 v[21:22], v[23:24], v[19:20]
	s_delay_alu instid0(VALU_DEP_1) | instskip(NEXT) | instid1(VALU_DEP_1)
	v_fma_f64 v[17:18], -v[17:18], v[21:22], v[23:24]
	v_div_fmas_f64 v[17:18], v[17:18], v[19:20], v[21:22]
	s_delay_alu instid0(VALU_DEP_1) | instskip(NEXT) | instid1(VALU_DEP_1)
	v_div_fixup_f64 v[17:18], v[17:18], v[2:3], v[4:5]
	v_fma_f64 v[2:3], v[4:5], v[17:18], v[2:3]
	s_delay_alu instid0(VALU_DEP_1) | instskip(NEXT) | instid1(VALU_DEP_1)
	v_div_scale_f64 v[4:5], null, v[2:3], v[2:3], 1.0
	v_rcp_f64_e32 v[19:20], v[4:5]
	s_waitcnt_depctr 0xfff
	v_fma_f64 v[21:22], -v[4:5], v[19:20], 1.0
	s_delay_alu instid0(VALU_DEP_1) | instskip(NEXT) | instid1(VALU_DEP_1)
	v_fma_f64 v[19:20], v[19:20], v[21:22], v[19:20]
	v_fma_f64 v[21:22], -v[4:5], v[19:20], 1.0
	s_delay_alu instid0(VALU_DEP_1) | instskip(SKIP_1) | instid1(VALU_DEP_1)
	v_fma_f64 v[19:20], v[19:20], v[21:22], v[19:20]
	v_div_scale_f64 v[21:22], vcc_lo, 1.0, v[2:3], 1.0
	v_mul_f64 v[23:24], v[21:22], v[19:20]
	s_delay_alu instid0(VALU_DEP_1) | instskip(NEXT) | instid1(VALU_DEP_1)
	v_fma_f64 v[4:5], -v[4:5], v[23:24], v[21:22]
	v_div_fmas_f64 v[4:5], v[4:5], v[19:20], v[23:24]
	s_delay_alu instid0(VALU_DEP_1) | instskip(NEXT) | instid1(VALU_DEP_1)
	v_div_fixup_f64 v[2:3], v[4:5], v[2:3], 1.0
	v_mul_f64 v[4:5], v[17:18], -v[2:3]
.LBB241_26:                             ;   in Loop: Header=BB241_20 Depth=1
	s_or_b32 exec_lo, exec_lo, s1
.LBB241_27:                             ;   in Loop: Header=BB241_20 Depth=1
	s_waitcnt vmcnt(0) lgkmcnt(0)
	s_delay_alu instid0(VALU_DEP_1) | instskip(SKIP_1) | instid1(VALU_DEP_2)
	v_mul_f64 v[17:18], v[10:11], v[4:5]
	v_mul_f64 v[4:5], v[0:1], v[4:5]
	v_fma_f64 v[17:18], v[0:1], v[2:3], -v[17:18]
	s_delay_alu instid0(VALU_DEP_2) | instskip(NEXT) | instid1(VALU_DEP_2)
	v_fma_f64 v[10:11], v[10:11], v[2:3], v[4:5]
	v_dual_mov_b32 v0, v17 :: v_dual_mov_b32 v1, v18
	ds_store_2addr_b64 v16, v[17:18], v[10:11] offset1:1
.LBB241_28:                             ;   in Loop: Header=BB241_20 Depth=1
	s_or_b32 exec_lo, exec_lo, s10
	s_delay_alu instid0(SALU_CYCLE_1)
	s_mov_b32 s1, exec_lo
	s_waitcnt lgkmcnt(0)
	s_barrier
	buffer_gl0_inv
	v_cmpx_lt_u64_e64 s[8:9], v[8:9]
	s_cbranch_execz .LBB241_19
; %bb.29:                               ;   in Loop: Header=BB241_20 Depth=1
	flat_load_b128 v[2:5], v[12:13]
	ds_load_2addr_b64 v[17:20], v16 offset1:1
	s_waitcnt vmcnt(0) lgkmcnt(1)
	v_xor_b32_e32 v21, 0x80000000, v5
	s_delay_alu instid0(VALU_DEP_1) | instskip(SKIP_1) | instid1(VALU_DEP_1)
	v_cndmask_b32_e64 v5, v5, v21, s0
	s_waitcnt lgkmcnt(0)
	v_mul_f64 v[21:22], v[4:5], v[19:20]
	v_mul_f64 v[19:20], v[2:3], v[19:20]
	s_delay_alu instid0(VALU_DEP_2) | instskip(NEXT) | instid1(VALU_DEP_2)
	v_fma_f64 v[2:3], v[2:3], v[17:18], -v[21:22]
	v_fma_f64 v[4:5], v[4:5], v[17:18], v[19:20]
	s_delay_alu instid0(VALU_DEP_2) | instskip(NEXT) | instid1(VALU_DEP_2)
	v_add_f64 v[0:1], v[0:1], -v[2:3]
	v_add_f64 v[10:11], v[10:11], -v[4:5]
	s_branch .LBB241_19
.LBB241_30:
	s_mov_b32 s1, exec_lo
	v_cmpx_eq_u64_e64 s[4:5], v[8:9]
	s_cbranch_execz .LBB241_38
; %bb.31:
	v_mad_u64_u32 v[2:3], null, v8, s12, v[8:9]
	s_delay_alu instid0(VALU_DEP_1) | instskip(NEXT) | instid1(VALU_DEP_1)
	v_mad_u64_u32 v[4:5], null, v8, s13, v[3:4]
	v_mov_b32_e32 v3, v4
	s_delay_alu instid0(VALU_DEP_1) | instskip(NEXT) | instid1(VALU_DEP_1)
	v_lshlrev_b64 v[2:3], 4, v[2:3]
	v_add_co_u32 v2, vcc_lo, s2, v2
	s_delay_alu instid0(VALU_DEP_2)
	v_add_co_ci_u32_e32 v3, vcc_lo, s3, v3, vcc_lo
	s_and_not1_b32 vcc_lo, exec_lo, s15
	flat_load_b128 v[2:5], v[2:3]
	s_cbranch_vccnz .LBB241_37
; %bb.32:
	s_waitcnt vmcnt(0) lgkmcnt(0)
	v_cmp_gt_f64_e32 vcc_lo, 0, v[2:3]
	v_cmp_gt_f64_e64 s0, 0, v[4:5]
	v_xor_b32_e32 v8, 0x80000000, v3
	v_xor_b32_e32 v12, 0x80000000, v5
	s_delay_alu instid0(VALU_DEP_2) | instskip(NEXT) | instid1(VALU_DEP_2)
	v_dual_cndmask_b32 v9, v3, v8 :: v_dual_cndmask_b32 v8, v2, v2
	v_cndmask_b32_e64 v13, v5, v12, s0
	v_cndmask_b32_e64 v12, v4, v4, s0
	s_mov_b32 s0, exec_lo
	s_delay_alu instid0(VALU_DEP_1)
	v_cmpx_ngt_f64_e32 v[8:9], v[12:13]
	s_xor_b32 s0, exec_lo, s0
	s_cbranch_execz .LBB241_34
; %bb.33:
	v_div_scale_f64 v[8:9], null, v[4:5], v[4:5], v[2:3]
	v_div_scale_f64 v[16:17], vcc_lo, v[2:3], v[4:5], v[2:3]
	s_delay_alu instid0(VALU_DEP_2) | instskip(SKIP_2) | instid1(VALU_DEP_1)
	v_rcp_f64_e32 v[12:13], v[8:9]
	s_waitcnt_depctr 0xfff
	v_fma_f64 v[14:15], -v[8:9], v[12:13], 1.0
	v_fma_f64 v[12:13], v[12:13], v[14:15], v[12:13]
	s_delay_alu instid0(VALU_DEP_1) | instskip(NEXT) | instid1(VALU_DEP_1)
	v_fma_f64 v[14:15], -v[8:9], v[12:13], 1.0
	v_fma_f64 v[12:13], v[12:13], v[14:15], v[12:13]
	s_delay_alu instid0(VALU_DEP_1) | instskip(NEXT) | instid1(VALU_DEP_1)
	v_mul_f64 v[14:15], v[16:17], v[12:13]
	v_fma_f64 v[8:9], -v[8:9], v[14:15], v[16:17]
	s_delay_alu instid0(VALU_DEP_1) | instskip(NEXT) | instid1(VALU_DEP_1)
	v_div_fmas_f64 v[8:9], v[8:9], v[12:13], v[14:15]
	v_div_fixup_f64 v[8:9], v[8:9], v[4:5], v[2:3]
	s_delay_alu instid0(VALU_DEP_1) | instskip(NEXT) | instid1(VALU_DEP_1)
	v_fma_f64 v[2:3], v[2:3], v[8:9], v[4:5]
	v_div_scale_f64 v[4:5], null, v[2:3], v[2:3], 1.0
	s_delay_alu instid0(VALU_DEP_1) | instskip(SKIP_2) | instid1(VALU_DEP_1)
	v_rcp_f64_e32 v[12:13], v[4:5]
	s_waitcnt_depctr 0xfff
	v_fma_f64 v[14:15], -v[4:5], v[12:13], 1.0
	v_fma_f64 v[12:13], v[12:13], v[14:15], v[12:13]
	s_delay_alu instid0(VALU_DEP_1) | instskip(NEXT) | instid1(VALU_DEP_1)
	v_fma_f64 v[14:15], -v[4:5], v[12:13], 1.0
	v_fma_f64 v[12:13], v[12:13], v[14:15], v[12:13]
	v_div_scale_f64 v[14:15], vcc_lo, 1.0, v[2:3], 1.0
	s_delay_alu instid0(VALU_DEP_1) | instskip(NEXT) | instid1(VALU_DEP_1)
	v_mul_f64 v[16:17], v[14:15], v[12:13]
	v_fma_f64 v[4:5], -v[4:5], v[16:17], v[14:15]
	s_delay_alu instid0(VALU_DEP_1) | instskip(NEXT) | instid1(VALU_DEP_1)
	v_div_fmas_f64 v[4:5], v[4:5], v[12:13], v[16:17]
	v_div_fixup_f64 v[4:5], v[4:5], v[2:3], 1.0
	s_delay_alu instid0(VALU_DEP_1)
	v_mul_f64 v[2:3], v[8:9], v[4:5]
	v_xor_b32_e32 v5, 0x80000000, v5
.LBB241_34:
	s_and_not1_saveexec_b32 s0, s0
	s_cbranch_execz .LBB241_36
; %bb.35:
	s_delay_alu instid0(VALU_DEP_1) | instskip(SKIP_1) | instid1(VALU_DEP_2)
	v_div_scale_f64 v[8:9], null, v[2:3], v[2:3], v[4:5]
	v_div_scale_f64 v[16:17], vcc_lo, v[4:5], v[2:3], v[4:5]
	v_rcp_f64_e32 v[12:13], v[8:9]
	s_waitcnt_depctr 0xfff
	v_fma_f64 v[14:15], -v[8:9], v[12:13], 1.0
	s_delay_alu instid0(VALU_DEP_1) | instskip(NEXT) | instid1(VALU_DEP_1)
	v_fma_f64 v[12:13], v[12:13], v[14:15], v[12:13]
	v_fma_f64 v[14:15], -v[8:9], v[12:13], 1.0
	s_delay_alu instid0(VALU_DEP_1) | instskip(NEXT) | instid1(VALU_DEP_1)
	v_fma_f64 v[12:13], v[12:13], v[14:15], v[12:13]
	v_mul_f64 v[14:15], v[16:17], v[12:13]
	s_delay_alu instid0(VALU_DEP_1) | instskip(NEXT) | instid1(VALU_DEP_1)
	v_fma_f64 v[8:9], -v[8:9], v[14:15], v[16:17]
	v_div_fmas_f64 v[8:9], v[8:9], v[12:13], v[14:15]
	s_delay_alu instid0(VALU_DEP_1) | instskip(NEXT) | instid1(VALU_DEP_1)
	v_div_fixup_f64 v[8:9], v[8:9], v[2:3], v[4:5]
	v_fma_f64 v[2:3], v[4:5], v[8:9], v[2:3]
	s_delay_alu instid0(VALU_DEP_1) | instskip(NEXT) | instid1(VALU_DEP_1)
	v_div_scale_f64 v[4:5], null, v[2:3], v[2:3], 1.0
	v_rcp_f64_e32 v[12:13], v[4:5]
	s_waitcnt_depctr 0xfff
	v_fma_f64 v[14:15], -v[4:5], v[12:13], 1.0
	s_delay_alu instid0(VALU_DEP_1) | instskip(NEXT) | instid1(VALU_DEP_1)
	v_fma_f64 v[12:13], v[12:13], v[14:15], v[12:13]
	v_fma_f64 v[14:15], -v[4:5], v[12:13], 1.0
	s_delay_alu instid0(VALU_DEP_1) | instskip(SKIP_1) | instid1(VALU_DEP_1)
	v_fma_f64 v[12:13], v[12:13], v[14:15], v[12:13]
	v_div_scale_f64 v[14:15], vcc_lo, 1.0, v[2:3], 1.0
	v_mul_f64 v[16:17], v[14:15], v[12:13]
	s_delay_alu instid0(VALU_DEP_1) | instskip(NEXT) | instid1(VALU_DEP_1)
	v_fma_f64 v[4:5], -v[4:5], v[16:17], v[14:15]
	v_div_fmas_f64 v[4:5], v[4:5], v[12:13], v[16:17]
	s_delay_alu instid0(VALU_DEP_1) | instskip(NEXT) | instid1(VALU_DEP_1)
	v_div_fixup_f64 v[2:3], v[4:5], v[2:3], 1.0
	v_mul_f64 v[4:5], v[8:9], -v[2:3]
.LBB241_36:
	s_or_b32 exec_lo, exec_lo, s0
.LBB241_37:
	s_waitcnt vmcnt(0) lgkmcnt(0)
	s_delay_alu instid0(VALU_DEP_1) | instskip(NEXT) | instid1(VALU_DEP_3)
	v_mul_f64 v[8:9], v[10:11], v[4:5]
	v_mul_f64 v[10:11], v[10:11], v[2:3]
	s_delay_alu instid0(VALU_DEP_2) | instskip(NEXT) | instid1(VALU_DEP_2)
	v_fma_f64 v[2:3], v[0:1], v[2:3], -v[8:9]
	v_fma_f64 v[10:11], v[0:1], v[4:5], v[10:11]
	s_delay_alu instid0(VALU_DEP_2)
	v_dual_mov_b32 v0, v2 :: v_dual_mov_b32 v1, v3
.LBB241_38:
	s_or_b32 exec_lo, exec_lo, s1
	s_delay_alu instid0(VALU_DEP_2)
	v_dual_mov_b32 v2, v10 :: v_dual_mov_b32 v3, v11
	global_store_b128 v[6:7], v[0:3], off
.LBB241_39:
	s_nop 0
	s_sendmsg sendmsg(MSG_DEALLOC_VGPRS)
	s_endpgm
	.section	.rodata,"a",@progbits
	.p2align	6, 0x0
	.amdhsa_kernel _ZL39rocblas_trsm_block_forward_substitutionI19rocblas_complex_numIdES1_PKPKS1_PKPS1_Lb0ELb0ELb0EEv18rocblas_operation_llT0_T1_lllT2_lllib
		.amdhsa_group_segment_fixed_size 0
		.amdhsa_private_segment_fixed_size 0
		.amdhsa_kernarg_size 368
		.amdhsa_user_sgpr_count 13
		.amdhsa_user_sgpr_dispatch_ptr 0
		.amdhsa_user_sgpr_queue_ptr 0
		.amdhsa_user_sgpr_kernarg_segment_ptr 1
		.amdhsa_user_sgpr_dispatch_id 0
		.amdhsa_user_sgpr_private_segment_size 0
		.amdhsa_wavefront_size32 1
		.amdhsa_uses_dynamic_stack 0
		.amdhsa_enable_private_segment 0
		.amdhsa_system_sgpr_workgroup_id_x 1
		.amdhsa_system_sgpr_workgroup_id_y 1
		.amdhsa_system_sgpr_workgroup_id_z 1
		.amdhsa_system_sgpr_workgroup_info 0
		.amdhsa_system_vgpr_workitem_id 1
		.amdhsa_next_free_vgpr 25
		.amdhsa_next_free_sgpr 29
		.amdhsa_reserve_vcc 1
		.amdhsa_float_round_mode_32 0
		.amdhsa_float_round_mode_16_64 0
		.amdhsa_float_denorm_mode_32 3
		.amdhsa_float_denorm_mode_16_64 3
		.amdhsa_dx10_clamp 1
		.amdhsa_ieee_mode 1
		.amdhsa_fp16_overflow 0
		.amdhsa_workgroup_processor_mode 1
		.amdhsa_memory_ordered 1
		.amdhsa_forward_progress 0
		.amdhsa_shared_vgpr_count 0
		.amdhsa_exception_fp_ieee_invalid_op 0
		.amdhsa_exception_fp_denorm_src 0
		.amdhsa_exception_fp_ieee_div_zero 0
		.amdhsa_exception_fp_ieee_overflow 0
		.amdhsa_exception_fp_ieee_underflow 0
		.amdhsa_exception_fp_ieee_inexact 0
		.amdhsa_exception_int_div_zero 0
	.end_amdhsa_kernel
	.section	.text._ZL39rocblas_trsm_block_forward_substitutionI19rocblas_complex_numIdES1_PKPKS1_PKPS1_Lb0ELb0ELb0EEv18rocblas_operation_llT0_T1_lllT2_lllib,"axG",@progbits,_ZL39rocblas_trsm_block_forward_substitutionI19rocblas_complex_numIdES1_PKPKS1_PKPS1_Lb0ELb0ELb0EEv18rocblas_operation_llT0_T1_lllT2_lllib,comdat
.Lfunc_end241:
	.size	_ZL39rocblas_trsm_block_forward_substitutionI19rocblas_complex_numIdES1_PKPKS1_PKPS1_Lb0ELb0ELb0EEv18rocblas_operation_llT0_T1_lllT2_lllib, .Lfunc_end241-_ZL39rocblas_trsm_block_forward_substitutionI19rocblas_complex_numIdES1_PKPKS1_PKPS1_Lb0ELb0ELb0EEv18rocblas_operation_llT0_T1_lllT2_lllib
                                        ; -- End function
	.section	.AMDGPU.csdata,"",@progbits
; Kernel info:
; codeLenInByte = 3084
; NumSgprs: 31
; NumVgprs: 25
; ScratchSize: 0
; MemoryBound: 1
; FloatMode: 240
; IeeeMode: 1
; LDSByteSize: 0 bytes/workgroup (compile time only)
; SGPRBlocks: 3
; VGPRBlocks: 3
; NumSGPRsForWavesPerEU: 31
; NumVGPRsForWavesPerEU: 25
; Occupancy: 16
; WaveLimiterHint : 1
; COMPUTE_PGM_RSRC2:SCRATCH_EN: 0
; COMPUTE_PGM_RSRC2:USER_SGPR: 13
; COMPUTE_PGM_RSRC2:TRAP_HANDLER: 0
; COMPUTE_PGM_RSRC2:TGID_X_EN: 1
; COMPUTE_PGM_RSRC2:TGID_Y_EN: 1
; COMPUTE_PGM_RSRC2:TGID_Z_EN: 1
; COMPUTE_PGM_RSRC2:TIDIG_COMP_CNT: 1
	.section	.text._ZL40rocblas_trsm_block_backward_substitutionI19rocblas_complex_numIdES1_PKPKS1_PKPS1_Lb0ELb0ELb0EEv18rocblas_operation_llT0_T1_lllT2_lllib,"axG",@progbits,_ZL40rocblas_trsm_block_backward_substitutionI19rocblas_complex_numIdES1_PKPKS1_PKPS1_Lb0ELb0ELb0EEv18rocblas_operation_llT0_T1_lllT2_lllib,comdat
	.globl	_ZL40rocblas_trsm_block_backward_substitutionI19rocblas_complex_numIdES1_PKPKS1_PKPS1_Lb0ELb0ELb0EEv18rocblas_operation_llT0_T1_lllT2_lllib ; -- Begin function _ZL40rocblas_trsm_block_backward_substitutionI19rocblas_complex_numIdES1_PKPKS1_PKPS1_Lb0ELb0ELb0EEv18rocblas_operation_llT0_T1_lllT2_lllib
	.p2align	8
	.type	_ZL40rocblas_trsm_block_backward_substitutionI19rocblas_complex_numIdES1_PKPKS1_PKPS1_Lb0ELb0ELb0EEv18rocblas_operation_llT0_T1_lllT2_lllib,@function
_ZL40rocblas_trsm_block_backward_substitutionI19rocblas_complex_numIdES1_PKPKS1_PKPS1_Lb0ELb0ELb0EEv18rocblas_operation_llT0_T1_lllT2_lllib: ; @_ZL40rocblas_trsm_block_backward_substitutionI19rocblas_complex_numIdES1_PKPKS1_PKPS1_Lb0ELb0ELb0EEv18rocblas_operation_llT0_T1_lllT2_lllib
; %bb.0:
	s_clause 0x3
	s_load_b32 s3, s[0:1], 0x6c
	s_load_b128 s[4:7], s[0:1], 0x28
	s_load_b64 s[28:29], s[0:1], 0x38
	s_load_b32 s26, s[0:1], 0x7c
	s_mov_b32 s2, s15
	s_load_b64 s[22:23], s[0:1], 0x58
	v_and_b32_e32 v8, 0x3ff, v0
	v_bfe_u32 v12, v0, 10, 10
	s_waitcnt lgkmcnt(0)
	s_bitcmp1_b32 s3, 0
	s_mov_b32 s3, 0
	s_cselect_b32 s10, -1, 0
	s_lshl_b64 s[8:9], s[2:3], 3
	s_xor_b32 s15, s10, -1
	s_add_u32 s2, s4, s8
	s_addc_u32 s3, s5, s9
	s_lshl_b64 s[4:5], s[6:7], 4
	s_load_b64 s[2:3], s[2:3], 0x0
	s_load_b128 s[16:19], s[0:1], 0x48
	s_waitcnt lgkmcnt(0)
	s_add_u32 s2, s2, s4
	s_addc_u32 s3, s3, s5
	s_add_u32 s12, s16, s8
	s_addc_u32 s13, s17, s9
	s_load_b256 s[4:11], s[0:1], 0x8
	s_load_b64 s[20:21], s[12:13], 0x0
	s_add_u32 s24, s0, 0x70
	s_addc_u32 s25, s1, 0
	s_lshr_b32 s30, s26, 16
	s_and_b32 vcc_lo, exec_lo, s15
	s_mov_b64 s[16:17], 1
	s_cbranch_vccnz .LBB242_15
; %bb.1:
	s_waitcnt lgkmcnt(0)
	v_cmp_lt_i64_e64 s12, s[4:5], 1
	s_lshl_b32 s13, s30, 4
	s_delay_alu instid0(SALU_CYCLE_1) | instskip(NEXT) | instid1(VALU_DEP_1)
	s_add_i32 s26, s13, 0
	s_and_b32 vcc_lo, exec_lo, s12
	s_mov_b64 s[12:13], 1
	s_cbranch_vccnz .LBB242_16
; %bb.2:
	v_mad_u64_u32 v[0:1], null, v8, s28, 0
	v_mov_b32_e32 v9, 0
	v_mov_b32_e32 v13, v12
	s_mov_b32 s16, s30
	s_delay_alu instid0(VALU_DEP_2) | instskip(NEXT) | instid1(VALU_DEP_4)
	v_cmp_le_u64_e64 s27, s[4:5], v[8:9]
	v_mad_u64_u32 v[2:3], null, v8, s29, v[1:2]
	s_delay_alu instid0(VALU_DEP_2) | instskip(NEXT) | instid1(VALU_DEP_1)
	s_xor_b32 s28, s27, -1
	v_dual_mov_b32 v1, v2 :: v_dual_lshlrev_b32 v2, 4, v8
	s_delay_alu instid0(VALU_DEP_1) | instskip(NEXT) | instid1(VALU_DEP_2)
	v_lshlrev_b64 v[0:1], 4, v[0:1]
	v_add_nc_u32_e32 v11, s26, v2
	s_delay_alu instid0(VALU_DEP_2) | instskip(NEXT) | instid1(VALU_DEP_3)
	v_add_co_u32 v16, vcc_lo, s2, v0
	v_add_co_ci_u32_e32 v17, vcc_lo, s3, v1, vcc_lo
	v_cmp_gt_u64_e64 s2, s[4:5], v[8:9]
	s_delay_alu instid0(VALU_DEP_3) | instskip(NEXT) | instid1(VALU_DEP_3)
	v_add_co_u32 v9, vcc_lo, v16, v2
	v_add_co_ci_u32_e32 v10, vcc_lo, 0, v17, vcc_lo
	s_branch .LBB242_5
.LBB242_3:                              ;   in Loop: Header=BB242_5 Depth=1
	s_or_b32 exec_lo, exec_lo, s17
	s_load_b32 s17, s[24:25], 0xc
	s_waitcnt lgkmcnt(0)
	s_and_b32 s17, s17, 0xffff
	s_delay_alu instid0(SALU_CYCLE_1) | instskip(NEXT) | instid1(VALU_DEP_1)
	v_mul_u32_u24_e32 v0, s17, v8
	v_lshl_add_u32 v0, v0, 4, v11
	ds_store_2addr_b64 v0, v[14:15], v[6:7] offset1:1
.LBB242_4:                              ;   in Loop: Header=BB242_5 Depth=1
	s_or_b32 exec_lo, exec_lo, s3
	s_ashr_i32 s17, s16, 31
	v_add_nc_u32_e32 v13, s30, v13
	v_cmp_ge_i64_e64 s3, s[16:17], s[4:5]
	s_add_i32 s16, s16, s30
	s_delay_alu instid0(VALU_DEP_1)
	s_and_b32 vcc_lo, exec_lo, s3
	s_cbranch_vccnz .LBB242_16
.LBB242_5:                              ; =>This Inner Loop Header: Depth=1
	s_mov_b32 s29, s27
	s_delay_alu instid0(VALU_DEP_3)
	s_and_saveexec_b32 s17, s2
	s_cbranch_execz .LBB242_9
; %bb.6:                                ;   in Loop: Header=BB242_5 Depth=1
	v_ashrrev_i32_e32 v14, 31, v13
	v_cmp_lt_i32_e64 s3, v8, v13
	s_mov_b32 s29, -1
	s_delay_alu instid0(VALU_DEP_2) | instskip(NEXT) | instid1(VALU_DEP_2)
	v_cmp_gt_i64_e32 vcc_lo, s[4:5], v[13:14]
	s_and_b32 s31, s3, vcc_lo
	s_delay_alu instid0(SALU_CYCLE_1)
	s_and_saveexec_b32 s3, s31
	s_cbranch_execz .LBB242_8
; %bb.7:                                ;   in Loop: Header=BB242_5 Depth=1
	v_lshlrev_b64 v[0:1], 4, v[13:14]
	s_load_b32 s29, s[24:25], 0xc
	s_delay_alu instid0(VALU_DEP_1) | instskip(NEXT) | instid1(VALU_DEP_2)
	v_add_co_u32 v0, vcc_lo, v16, v0
	v_add_co_ci_u32_e32 v1, vcc_lo, v17, v1, vcc_lo
	global_load_b128 v[0:3], v[0:1], off
	s_waitcnt lgkmcnt(0)
	s_and_b32 s29, s29, 0xffff
	s_delay_alu instid0(SALU_CYCLE_1) | instskip(SKIP_1) | instid1(VALU_DEP_1)
	v_mul_lo_u32 v4, v13, s29
	s_xor_b32 s29, exec_lo, -1
	v_lshl_add_u32 v4, v4, 4, v11
	s_waitcnt vmcnt(0)
	ds_store_2addr_b64 v4, v[0:1], v[2:3] offset1:1
.LBB242_8:                              ;   in Loop: Header=BB242_5 Depth=1
	s_or_b32 exec_lo, exec_lo, s3
	s_delay_alu instid0(SALU_CYCLE_1) | instskip(SKIP_1) | instid1(SALU_CYCLE_1)
	s_and_not1_b32 s3, s27, exec_lo
	s_and_b32 s29, s29, exec_lo
	s_or_b32 s29, s3, s29
.LBB242_9:                              ;   in Loop: Header=BB242_5 Depth=1
	s_or_b32 exec_lo, exec_lo, s17
	s_and_saveexec_b32 s3, s29
	s_cbranch_execz .LBB242_4
; %bb.10:                               ;   in Loop: Header=BB242_5 Depth=1
	v_cmp_eq_u32_e32 vcc_lo, v8, v13
	s_and_b32 s17, s28, vcc_lo
	s_delay_alu instid0(SALU_CYCLE_1)
	s_and_b32 exec_lo, exec_lo, s17
	s_cbranch_execz .LBB242_4
; %bb.11:                               ;   in Loop: Header=BB242_5 Depth=1
	global_load_b128 v[0:3], v[9:10], off
	s_mov_b32 s17, exec_lo
                                        ; implicit-def: $vgpr14_vgpr15
	s_waitcnt vmcnt(0)
	v_cmp_gt_f64_e32 vcc_lo, 0, v[0:1]
	v_xor_b32_e32 v5, 0x80000000, v1
	v_mov_b32_e32 v4, v0
	v_xor_b32_e32 v6, 0x80000000, v3
	s_delay_alu instid0(VALU_DEP_3) | instskip(SKIP_1) | instid1(VALU_DEP_3)
	v_cndmask_b32_e32 v5, v1, v5, vcc_lo
	v_cmp_gt_f64_e32 vcc_lo, 0, v[2:3]
	v_dual_cndmask_b32 v7, v3, v6 :: v_dual_mov_b32 v6, v2
	s_delay_alu instid0(VALU_DEP_1)
	v_cmpx_ngt_f64_e32 v[4:5], v[6:7]
	s_xor_b32 s17, exec_lo, s17
                                        ; implicit-def: $vgpr4_vgpr5_vgpr6_vgpr7
	s_cbranch_execz .LBB242_13
; %bb.12:                               ;   in Loop: Header=BB242_5 Depth=1
	v_div_scale_f64 v[4:5], null, v[2:3], v[2:3], v[0:1]
	v_div_scale_f64 v[18:19], vcc_lo, v[0:1], v[2:3], v[0:1]
	s_delay_alu instid0(VALU_DEP_2) | instskip(SKIP_2) | instid1(VALU_DEP_1)
	v_rcp_f64_e32 v[6:7], v[4:5]
	s_waitcnt_depctr 0xfff
	v_fma_f64 v[14:15], -v[4:5], v[6:7], 1.0
	v_fma_f64 v[6:7], v[6:7], v[14:15], v[6:7]
	s_delay_alu instid0(VALU_DEP_1) | instskip(NEXT) | instid1(VALU_DEP_1)
	v_fma_f64 v[14:15], -v[4:5], v[6:7], 1.0
	v_fma_f64 v[6:7], v[6:7], v[14:15], v[6:7]
	s_delay_alu instid0(VALU_DEP_1) | instskip(NEXT) | instid1(VALU_DEP_1)
	v_mul_f64 v[14:15], v[18:19], v[6:7]
	v_fma_f64 v[4:5], -v[4:5], v[14:15], v[18:19]
	s_delay_alu instid0(VALU_DEP_1) | instskip(NEXT) | instid1(VALU_DEP_1)
	v_div_fmas_f64 v[4:5], v[4:5], v[6:7], v[14:15]
	v_div_fixup_f64 v[4:5], v[4:5], v[2:3], v[0:1]
	s_delay_alu instid0(VALU_DEP_1) | instskip(NEXT) | instid1(VALU_DEP_1)
	v_fma_f64 v[0:1], v[0:1], v[4:5], v[2:3]
	v_div_scale_f64 v[2:3], null, v[0:1], v[0:1], 1.0
	s_delay_alu instid0(VALU_DEP_1) | instskip(SKIP_2) | instid1(VALU_DEP_1)
	v_rcp_f64_e32 v[6:7], v[2:3]
	s_waitcnt_depctr 0xfff
	v_fma_f64 v[14:15], -v[2:3], v[6:7], 1.0
	v_fma_f64 v[6:7], v[6:7], v[14:15], v[6:7]
	s_delay_alu instid0(VALU_DEP_1) | instskip(NEXT) | instid1(VALU_DEP_1)
	v_fma_f64 v[14:15], -v[2:3], v[6:7], 1.0
	v_fma_f64 v[6:7], v[6:7], v[14:15], v[6:7]
	v_div_scale_f64 v[14:15], vcc_lo, 1.0, v[0:1], 1.0
	s_delay_alu instid0(VALU_DEP_1) | instskip(NEXT) | instid1(VALU_DEP_1)
	v_mul_f64 v[18:19], v[14:15], v[6:7]
	v_fma_f64 v[2:3], -v[2:3], v[18:19], v[14:15]
	s_delay_alu instid0(VALU_DEP_1) | instskip(NEXT) | instid1(VALU_DEP_1)
	v_div_fmas_f64 v[2:3], v[2:3], v[6:7], v[18:19]
	v_div_fixup_f64 v[6:7], v[2:3], v[0:1], 1.0
                                        ; implicit-def: $vgpr0_vgpr1
	s_delay_alu instid0(VALU_DEP_1)
	v_mul_f64 v[14:15], v[4:5], v[6:7]
	v_xor_b32_e32 v7, 0x80000000, v7
.LBB242_13:                             ;   in Loop: Header=BB242_5 Depth=1
	s_and_not1_saveexec_b32 s17, s17
	s_cbranch_execz .LBB242_3
; %bb.14:                               ;   in Loop: Header=BB242_5 Depth=1
	v_div_scale_f64 v[4:5], null, v[0:1], v[0:1], v[2:3]
	v_div_scale_f64 v[18:19], vcc_lo, v[2:3], v[0:1], v[2:3]
	s_delay_alu instid0(VALU_DEP_2) | instskip(SKIP_2) | instid1(VALU_DEP_1)
	v_rcp_f64_e32 v[6:7], v[4:5]
	s_waitcnt_depctr 0xfff
	v_fma_f64 v[14:15], -v[4:5], v[6:7], 1.0
	v_fma_f64 v[6:7], v[6:7], v[14:15], v[6:7]
	s_delay_alu instid0(VALU_DEP_1) | instskip(NEXT) | instid1(VALU_DEP_1)
	v_fma_f64 v[14:15], -v[4:5], v[6:7], 1.0
	v_fma_f64 v[6:7], v[6:7], v[14:15], v[6:7]
	s_delay_alu instid0(VALU_DEP_1) | instskip(NEXT) | instid1(VALU_DEP_1)
	v_mul_f64 v[14:15], v[18:19], v[6:7]
	v_fma_f64 v[4:5], -v[4:5], v[14:15], v[18:19]
	s_delay_alu instid0(VALU_DEP_1) | instskip(NEXT) | instid1(VALU_DEP_1)
	v_div_fmas_f64 v[4:5], v[4:5], v[6:7], v[14:15]
	v_div_fixup_f64 v[4:5], v[4:5], v[0:1], v[2:3]
	s_delay_alu instid0(VALU_DEP_1) | instskip(NEXT) | instid1(VALU_DEP_1)
	v_fma_f64 v[0:1], v[2:3], v[4:5], v[0:1]
	v_div_scale_f64 v[2:3], null, v[0:1], v[0:1], 1.0
	s_delay_alu instid0(VALU_DEP_1) | instskip(SKIP_2) | instid1(VALU_DEP_1)
	v_rcp_f64_e32 v[6:7], v[2:3]
	s_waitcnt_depctr 0xfff
	v_fma_f64 v[14:15], -v[2:3], v[6:7], 1.0
	v_fma_f64 v[6:7], v[6:7], v[14:15], v[6:7]
	s_delay_alu instid0(VALU_DEP_1) | instskip(NEXT) | instid1(VALU_DEP_1)
	v_fma_f64 v[14:15], -v[2:3], v[6:7], 1.0
	v_fma_f64 v[6:7], v[6:7], v[14:15], v[6:7]
	v_div_scale_f64 v[14:15], vcc_lo, 1.0, v[0:1], 1.0
	s_delay_alu instid0(VALU_DEP_1) | instskip(NEXT) | instid1(VALU_DEP_1)
	v_mul_f64 v[18:19], v[14:15], v[6:7]
	v_fma_f64 v[2:3], -v[2:3], v[18:19], v[14:15]
	s_delay_alu instid0(VALU_DEP_1) | instskip(NEXT) | instid1(VALU_DEP_1)
	v_div_fmas_f64 v[2:3], v[2:3], v[6:7], v[18:19]
	v_div_fixup_f64 v[14:15], v[2:3], v[0:1], 1.0
	s_delay_alu instid0(VALU_DEP_1)
	v_mul_f64 v[6:7], v[4:5], -v[14:15]
	s_branch .LBB242_3
.LBB242_15:
	s_mov_b64 s[12:13], s[28:29]
	s_branch .LBB242_17
.LBB242_16:
	s_load_b32 s16, s[24:25], 0xc
	s_mov_b64 s[2:3], src_shared_base
	s_mov_b32 s17, 0
	s_mov_b32 s27, s3
	s_delay_alu instid0(SALU_CYCLE_1)
	s_mov_b64 s[2:3], s[26:27]
	s_waitcnt lgkmcnt(0)
	s_and_b32 s16, s16, 0xffff
.LBB242_17:
	v_mad_u64_u32 v[0:1], null, s14, s30, v[12:13]
	v_mov_b32_e32 v1, 0
	s_waitcnt lgkmcnt(0)
	s_delay_alu instid0(VALU_DEP_1)
	v_cmp_gt_i64_e32 vcc_lo, s[6:7], v[0:1]
	s_and_saveexec_b32 s6, vcc_lo
	s_cbranch_execz .LBB242_42
; %bb.18:
	v_mov_b32_e32 v9, v1
	s_delay_alu instid0(VALU_DEP_1)
	v_cmp_gt_i64_e32 vcc_lo, s[4:5], v[8:9]
	s_and_b32 exec_lo, exec_lo, vcc_lo
	s_cbranch_execz .LBB242_42
; %bb.19:
	v_mad_u64_u32 v[2:3], null, v8, s22, 0
	s_lshl_b64 s[6:7], s[18:19], 4
	v_lshlrev_b64 v[0:1], 4, v[0:1]
	s_add_u32 s6, s20, s6
	s_addc_u32 s7, s21, s7
	s_delay_alu instid0(VALU_DEP_2) | instskip(NEXT) | instid1(VALU_DEP_1)
	v_mad_u64_u32 v[4:5], null, v8, s23, v[3:4]
	v_mov_b32_e32 v3, v4
	s_delay_alu instid0(VALU_DEP_1) | instskip(NEXT) | instid1(VALU_DEP_1)
	v_lshlrev_b64 v[2:3], 4, v[2:3]
	v_add_co_u32 v2, vcc_lo, s6, v2
	s_delay_alu instid0(VALU_DEP_2) | instskip(SKIP_1) | instid1(VALU_DEP_3)
	v_add_co_ci_u32_e32 v3, vcc_lo, s7, v3, vcc_lo
	v_cmp_lt_u64_e64 s6, s[4:5], 2
	v_add_co_u32 v6, vcc_lo, v2, v0
	s_delay_alu instid0(VALU_DEP_3) | instskip(NEXT) | instid1(VALU_DEP_3)
	v_add_co_ci_u32_e32 v7, vcc_lo, v3, v1, vcc_lo
	s_and_b32 vcc_lo, exec_lo, s6
	global_load_b128 v[2:5], v[6:7], off
	s_waitcnt vmcnt(0)
	v_mul_f64 v[0:1], s[10:11], v[4:5]
	v_mul_f64 v[4:5], s[8:9], v[4:5]
	s_delay_alu instid0(VALU_DEP_2) | instskip(NEXT) | instid1(VALU_DEP_2)
	v_fma_f64 v[0:1], s[8:9], v[2:3], -v[0:1]
	v_fma_f64 v[10:11], s[10:11], v[2:3], v[4:5]
	s_cbranch_vccnz .LBB242_33
; %bb.20:
	s_load_b32 s0, s[0:1], 0x0
	v_mad_u64_u32 v[2:3], null, s12, v8, 0
	v_lshl_add_u32 v16, v12, 4, 0
	s_waitcnt lgkmcnt(0)
	s_cmpk_eq_i32 s0, 0x71
	s_cselect_b32 s0, -1, 0
	s_add_u32 s1, s16, s12
	s_delay_alu instid0(SALU_CYCLE_1)
	v_mad_u64_u32 v[4:5], null, s1, v8, 0
	s_addc_u32 s1, s17, s13
	s_add_u32 s4, s4, -1
	s_addc_u32 s5, s5, -1
	s_mul_i32 s6, s16, s4
	s_mul_i32 s7, s16, s5
	s_delay_alu instid0(VALU_DEP_1) | instskip(NEXT) | instid1(VALU_DEP_1)
	v_mad_u64_u32 v[13:14], null, s13, v8, v[3:4]
	v_mov_b32_e32 v3, v13
	v_mad_u64_u32 v[13:14], null, s1, v8, v[5:6]
	s_mul_hi_u32 s1, s16, s4
	s_delay_alu instid0(SALU_CYCLE_1) | instskip(NEXT) | instid1(VALU_DEP_2)
	s_add_i32 s7, s1, s7
	v_lshlrev_b64 v[2:3], 4, v[2:3]
	s_lshl_b64 s[6:7], s[6:7], 4
	s_delay_alu instid0(VALU_DEP_2) | instskip(SKIP_2) | instid1(VALU_DEP_2)
	v_mov_b32_e32 v5, v13
	s_add_u32 s1, s2, s6
	s_addc_u32 s6, s3, s7
	v_add_co_u32 v12, vcc_lo, s1, v2
	s_delay_alu instid0(VALU_DEP_2) | instskip(SKIP_2) | instid1(SALU_CYCLE_1)
	v_lshlrev_b64 v[4:5], 4, v[4:5]
	v_add_co_ci_u32_e32 v13, vcc_lo, s6, v3, vcc_lo
	s_lshl_b32 s7, s16, 4
	s_sub_u32 s8, 0, s7
	s_delay_alu instid0(VALU_DEP_2) | instskip(NEXT) | instid1(VALU_DEP_3)
	v_add_co_u32 v14, vcc_lo, s2, v4
	v_add_co_ci_u32_e32 v15, vcc_lo, s3, v5, vcc_lo
	s_subb_u32 s9, 0, 0
.LBB242_21:                             ; =>This Inner Loop Header: Depth=1
	s_mov_b32 s6, exec_lo
	s_barrier
	buffer_gl0_inv
	v_cmpx_eq_u64_e64 s[4:5], v[8:9]
	s_cbranch_execz .LBB242_29
; %bb.22:                               ;   in Loop: Header=BB242_21 Depth=1
	flat_load_b128 v[2:5], v[14:15]
	s_and_not1_b32 vcc_lo, exec_lo, s15
	s_cbranch_vccnz .LBB242_28
; %bb.23:                               ;   in Loop: Header=BB242_21 Depth=1
	s_waitcnt vmcnt(0) lgkmcnt(0)
	v_cmp_gt_f64_e32 vcc_lo, 0, v[2:3]
	v_cmp_gt_f64_e64 s1, 0, v[4:5]
	v_xor_b32_e32 v17, 0x80000000, v3
	v_xor_b32_e32 v19, 0x80000000, v5
	s_delay_alu instid0(VALU_DEP_2) | instskip(NEXT) | instid1(VALU_DEP_2)
	v_dual_cndmask_b32 v18, v3, v17 :: v_dual_cndmask_b32 v17, v2, v2
	v_cndmask_b32_e64 v20, v5, v19, s1
	v_cndmask_b32_e64 v19, v4, v4, s1
	s_mov_b32 s1, exec_lo
	s_delay_alu instid0(VALU_DEP_1)
	v_cmpx_ngt_f64_e32 v[17:18], v[19:20]
	s_xor_b32 s1, exec_lo, s1
	s_cbranch_execz .LBB242_25
; %bb.24:                               ;   in Loop: Header=BB242_21 Depth=1
	v_div_scale_f64 v[17:18], null, v[4:5], v[4:5], v[2:3]
	v_div_scale_f64 v[23:24], vcc_lo, v[2:3], v[4:5], v[2:3]
	s_delay_alu instid0(VALU_DEP_2) | instskip(SKIP_2) | instid1(VALU_DEP_1)
	v_rcp_f64_e32 v[19:20], v[17:18]
	s_waitcnt_depctr 0xfff
	v_fma_f64 v[21:22], -v[17:18], v[19:20], 1.0
	v_fma_f64 v[19:20], v[19:20], v[21:22], v[19:20]
	s_delay_alu instid0(VALU_DEP_1) | instskip(NEXT) | instid1(VALU_DEP_1)
	v_fma_f64 v[21:22], -v[17:18], v[19:20], 1.0
	v_fma_f64 v[19:20], v[19:20], v[21:22], v[19:20]
	s_delay_alu instid0(VALU_DEP_1) | instskip(NEXT) | instid1(VALU_DEP_1)
	v_mul_f64 v[21:22], v[23:24], v[19:20]
	v_fma_f64 v[17:18], -v[17:18], v[21:22], v[23:24]
	s_delay_alu instid0(VALU_DEP_1) | instskip(NEXT) | instid1(VALU_DEP_1)
	v_div_fmas_f64 v[17:18], v[17:18], v[19:20], v[21:22]
	v_div_fixup_f64 v[17:18], v[17:18], v[4:5], v[2:3]
	s_delay_alu instid0(VALU_DEP_1) | instskip(NEXT) | instid1(VALU_DEP_1)
	v_fma_f64 v[2:3], v[2:3], v[17:18], v[4:5]
	v_div_scale_f64 v[4:5], null, v[2:3], v[2:3], 1.0
	s_delay_alu instid0(VALU_DEP_1) | instskip(SKIP_2) | instid1(VALU_DEP_1)
	v_rcp_f64_e32 v[19:20], v[4:5]
	s_waitcnt_depctr 0xfff
	v_fma_f64 v[21:22], -v[4:5], v[19:20], 1.0
	v_fma_f64 v[19:20], v[19:20], v[21:22], v[19:20]
	s_delay_alu instid0(VALU_DEP_1) | instskip(NEXT) | instid1(VALU_DEP_1)
	v_fma_f64 v[21:22], -v[4:5], v[19:20], 1.0
	v_fma_f64 v[19:20], v[19:20], v[21:22], v[19:20]
	v_div_scale_f64 v[21:22], vcc_lo, 1.0, v[2:3], 1.0
	s_delay_alu instid0(VALU_DEP_1) | instskip(NEXT) | instid1(VALU_DEP_1)
	v_mul_f64 v[23:24], v[21:22], v[19:20]
	v_fma_f64 v[4:5], -v[4:5], v[23:24], v[21:22]
	s_delay_alu instid0(VALU_DEP_1) | instskip(NEXT) | instid1(VALU_DEP_1)
	v_div_fmas_f64 v[4:5], v[4:5], v[19:20], v[23:24]
	v_div_fixup_f64 v[4:5], v[4:5], v[2:3], 1.0
	s_delay_alu instid0(VALU_DEP_1)
	v_mul_f64 v[2:3], v[17:18], v[4:5]
	v_xor_b32_e32 v5, 0x80000000, v5
.LBB242_25:                             ;   in Loop: Header=BB242_21 Depth=1
	s_and_not1_saveexec_b32 s1, s1
	s_cbranch_execz .LBB242_27
; %bb.26:                               ;   in Loop: Header=BB242_21 Depth=1
	s_delay_alu instid0(VALU_DEP_1) | instskip(SKIP_1) | instid1(VALU_DEP_2)
	v_div_scale_f64 v[17:18], null, v[2:3], v[2:3], v[4:5]
	v_div_scale_f64 v[23:24], vcc_lo, v[4:5], v[2:3], v[4:5]
	v_rcp_f64_e32 v[19:20], v[17:18]
	s_waitcnt_depctr 0xfff
	v_fma_f64 v[21:22], -v[17:18], v[19:20], 1.0
	s_delay_alu instid0(VALU_DEP_1) | instskip(NEXT) | instid1(VALU_DEP_1)
	v_fma_f64 v[19:20], v[19:20], v[21:22], v[19:20]
	v_fma_f64 v[21:22], -v[17:18], v[19:20], 1.0
	s_delay_alu instid0(VALU_DEP_1) | instskip(NEXT) | instid1(VALU_DEP_1)
	v_fma_f64 v[19:20], v[19:20], v[21:22], v[19:20]
	v_mul_f64 v[21:22], v[23:24], v[19:20]
	s_delay_alu instid0(VALU_DEP_1) | instskip(NEXT) | instid1(VALU_DEP_1)
	v_fma_f64 v[17:18], -v[17:18], v[21:22], v[23:24]
	v_div_fmas_f64 v[17:18], v[17:18], v[19:20], v[21:22]
	s_delay_alu instid0(VALU_DEP_1) | instskip(NEXT) | instid1(VALU_DEP_1)
	v_div_fixup_f64 v[17:18], v[17:18], v[2:3], v[4:5]
	v_fma_f64 v[2:3], v[4:5], v[17:18], v[2:3]
	s_delay_alu instid0(VALU_DEP_1) | instskip(NEXT) | instid1(VALU_DEP_1)
	v_div_scale_f64 v[4:5], null, v[2:3], v[2:3], 1.0
	v_rcp_f64_e32 v[19:20], v[4:5]
	s_waitcnt_depctr 0xfff
	v_fma_f64 v[21:22], -v[4:5], v[19:20], 1.0
	s_delay_alu instid0(VALU_DEP_1) | instskip(NEXT) | instid1(VALU_DEP_1)
	v_fma_f64 v[19:20], v[19:20], v[21:22], v[19:20]
	v_fma_f64 v[21:22], -v[4:5], v[19:20], 1.0
	s_delay_alu instid0(VALU_DEP_1) | instskip(SKIP_1) | instid1(VALU_DEP_1)
	v_fma_f64 v[19:20], v[19:20], v[21:22], v[19:20]
	v_div_scale_f64 v[21:22], vcc_lo, 1.0, v[2:3], 1.0
	v_mul_f64 v[23:24], v[21:22], v[19:20]
	s_delay_alu instid0(VALU_DEP_1) | instskip(NEXT) | instid1(VALU_DEP_1)
	v_fma_f64 v[4:5], -v[4:5], v[23:24], v[21:22]
	v_div_fmas_f64 v[4:5], v[4:5], v[19:20], v[23:24]
	s_delay_alu instid0(VALU_DEP_1) | instskip(NEXT) | instid1(VALU_DEP_1)
	v_div_fixup_f64 v[2:3], v[4:5], v[2:3], 1.0
	v_mul_f64 v[4:5], v[17:18], -v[2:3]
.LBB242_27:                             ;   in Loop: Header=BB242_21 Depth=1
	s_or_b32 exec_lo, exec_lo, s1
.LBB242_28:                             ;   in Loop: Header=BB242_21 Depth=1
	s_waitcnt vmcnt(0) lgkmcnt(0)
	s_delay_alu instid0(VALU_DEP_1) | instskip(SKIP_1) | instid1(VALU_DEP_2)
	v_mul_f64 v[17:18], v[10:11], v[4:5]
	v_mul_f64 v[4:5], v[0:1], v[4:5]
	v_fma_f64 v[17:18], v[0:1], v[2:3], -v[17:18]
	s_delay_alu instid0(VALU_DEP_2) | instskip(NEXT) | instid1(VALU_DEP_2)
	v_fma_f64 v[10:11], v[10:11], v[2:3], v[4:5]
	v_dual_mov_b32 v0, v17 :: v_dual_mov_b32 v1, v18
	ds_store_2addr_b64 v16, v[17:18], v[10:11] offset1:1
.LBB242_29:                             ;   in Loop: Header=BB242_21 Depth=1
	s_or_b32 exec_lo, exec_lo, s6
	s_delay_alu instid0(SALU_CYCLE_1)
	s_mov_b32 s1, exec_lo
	s_waitcnt lgkmcnt(0)
	s_barrier
	buffer_gl0_inv
	v_cmpx_gt_i64_e64 s[4:5], v[8:9]
	s_cbranch_execz .LBB242_31
; %bb.30:                               ;   in Loop: Header=BB242_21 Depth=1
	flat_load_b128 v[2:5], v[12:13]
	ds_load_2addr_b64 v[17:20], v16 offset1:1
	s_waitcnt vmcnt(0) lgkmcnt(1)
	v_xor_b32_e32 v21, 0x80000000, v5
	s_delay_alu instid0(VALU_DEP_1) | instskip(SKIP_1) | instid1(VALU_DEP_1)
	v_cndmask_b32_e64 v5, v5, v21, s0
	s_waitcnt lgkmcnt(0)
	v_mul_f64 v[21:22], v[4:5], v[19:20]
	v_mul_f64 v[19:20], v[2:3], v[19:20]
	s_delay_alu instid0(VALU_DEP_2) | instskip(NEXT) | instid1(VALU_DEP_2)
	v_fma_f64 v[2:3], v[2:3], v[17:18], -v[21:22]
	v_fma_f64 v[4:5], v[4:5], v[17:18], v[19:20]
	s_delay_alu instid0(VALU_DEP_2) | instskip(NEXT) | instid1(VALU_DEP_2)
	v_add_f64 v[0:1], v[0:1], -v[2:3]
	v_add_f64 v[10:11], v[10:11], -v[4:5]
.LBB242_31:                             ;   in Loop: Header=BB242_21 Depth=1
	s_or_b32 exec_lo, exec_lo, s1
	s_add_u32 s6, s4, -1
	s_addc_u32 s7, s5, -1
	s_add_u32 s4, s4, 1
	s_addc_u32 s5, s5, 0
	v_add_co_u32 v12, vcc_lo, v12, s8
	v_cmp_lt_u64_e64 s1, s[4:5], 3
	v_add_co_ci_u32_e32 v13, vcc_lo, s9, v13, vcc_lo
	s_delay_alu instid0(VALU_DEP_2)
	s_and_b32 vcc_lo, exec_lo, s1
	s_cbranch_vccnz .LBB242_33
; %bb.32:                               ;   in Loop: Header=BB242_21 Depth=1
	s_mov_b64 s[4:5], s[6:7]
	s_branch .LBB242_21
.LBB242_33:
	s_mov_b32 s1, exec_lo
	v_cmpx_eq_u32_e32 0, v8
	s_cbranch_execz .LBB242_41
; %bb.34:
	s_add_u32 s0, s16, s12
	s_delay_alu instid0(SALU_CYCLE_1)
	v_mad_u64_u32 v[2:3], null, s0, v8, 0
	s_addc_u32 s0, s17, s13
	s_delay_alu instid0(VALU_DEP_1) | instid1(SALU_CYCLE_1)
	v_mad_u64_u32 v[4:5], null, s0, v8, v[3:4]
	s_delay_alu instid0(VALU_DEP_1) | instskip(NEXT) | instid1(VALU_DEP_1)
	v_mov_b32_e32 v3, v4
	v_lshlrev_b64 v[2:3], 4, v[2:3]
	s_delay_alu instid0(VALU_DEP_1) | instskip(NEXT) | instid1(VALU_DEP_2)
	v_add_co_u32 v2, vcc_lo, s2, v2
	v_add_co_ci_u32_e32 v3, vcc_lo, s3, v3, vcc_lo
	s_and_not1_b32 vcc_lo, exec_lo, s15
	flat_load_b128 v[2:5], v[2:3]
	s_cbranch_vccnz .LBB242_40
; %bb.35:
	s_waitcnt vmcnt(0) lgkmcnt(0)
	v_cmp_gt_f64_e32 vcc_lo, 0, v[2:3]
	v_cmp_gt_f64_e64 s0, 0, v[4:5]
	v_xor_b32_e32 v8, 0x80000000, v3
	v_xor_b32_e32 v12, 0x80000000, v5
	s_delay_alu instid0(VALU_DEP_2) | instskip(NEXT) | instid1(VALU_DEP_2)
	v_dual_cndmask_b32 v9, v3, v8 :: v_dual_cndmask_b32 v8, v2, v2
	v_cndmask_b32_e64 v13, v5, v12, s0
	v_cndmask_b32_e64 v12, v4, v4, s0
	s_mov_b32 s0, exec_lo
	s_delay_alu instid0(VALU_DEP_1)
	v_cmpx_ngt_f64_e32 v[8:9], v[12:13]
	s_xor_b32 s0, exec_lo, s0
	s_cbranch_execz .LBB242_37
; %bb.36:
	v_div_scale_f64 v[8:9], null, v[4:5], v[4:5], v[2:3]
	v_div_scale_f64 v[16:17], vcc_lo, v[2:3], v[4:5], v[2:3]
	s_delay_alu instid0(VALU_DEP_2) | instskip(SKIP_2) | instid1(VALU_DEP_1)
	v_rcp_f64_e32 v[12:13], v[8:9]
	s_waitcnt_depctr 0xfff
	v_fma_f64 v[14:15], -v[8:9], v[12:13], 1.0
	v_fma_f64 v[12:13], v[12:13], v[14:15], v[12:13]
	s_delay_alu instid0(VALU_DEP_1) | instskip(NEXT) | instid1(VALU_DEP_1)
	v_fma_f64 v[14:15], -v[8:9], v[12:13], 1.0
	v_fma_f64 v[12:13], v[12:13], v[14:15], v[12:13]
	s_delay_alu instid0(VALU_DEP_1) | instskip(NEXT) | instid1(VALU_DEP_1)
	v_mul_f64 v[14:15], v[16:17], v[12:13]
	v_fma_f64 v[8:9], -v[8:9], v[14:15], v[16:17]
	s_delay_alu instid0(VALU_DEP_1) | instskip(NEXT) | instid1(VALU_DEP_1)
	v_div_fmas_f64 v[8:9], v[8:9], v[12:13], v[14:15]
	v_div_fixup_f64 v[8:9], v[8:9], v[4:5], v[2:3]
	s_delay_alu instid0(VALU_DEP_1) | instskip(NEXT) | instid1(VALU_DEP_1)
	v_fma_f64 v[2:3], v[2:3], v[8:9], v[4:5]
	v_div_scale_f64 v[4:5], null, v[2:3], v[2:3], 1.0
	s_delay_alu instid0(VALU_DEP_1) | instskip(SKIP_2) | instid1(VALU_DEP_1)
	v_rcp_f64_e32 v[12:13], v[4:5]
	s_waitcnt_depctr 0xfff
	v_fma_f64 v[14:15], -v[4:5], v[12:13], 1.0
	v_fma_f64 v[12:13], v[12:13], v[14:15], v[12:13]
	s_delay_alu instid0(VALU_DEP_1) | instskip(NEXT) | instid1(VALU_DEP_1)
	v_fma_f64 v[14:15], -v[4:5], v[12:13], 1.0
	v_fma_f64 v[12:13], v[12:13], v[14:15], v[12:13]
	v_div_scale_f64 v[14:15], vcc_lo, 1.0, v[2:3], 1.0
	s_delay_alu instid0(VALU_DEP_1) | instskip(NEXT) | instid1(VALU_DEP_1)
	v_mul_f64 v[16:17], v[14:15], v[12:13]
	v_fma_f64 v[4:5], -v[4:5], v[16:17], v[14:15]
	s_delay_alu instid0(VALU_DEP_1) | instskip(NEXT) | instid1(VALU_DEP_1)
	v_div_fmas_f64 v[4:5], v[4:5], v[12:13], v[16:17]
	v_div_fixup_f64 v[4:5], v[4:5], v[2:3], 1.0
	s_delay_alu instid0(VALU_DEP_1)
	v_mul_f64 v[2:3], v[8:9], v[4:5]
	v_xor_b32_e32 v5, 0x80000000, v5
.LBB242_37:
	s_and_not1_saveexec_b32 s0, s0
	s_cbranch_execz .LBB242_39
; %bb.38:
	s_delay_alu instid0(VALU_DEP_1) | instskip(SKIP_1) | instid1(VALU_DEP_2)
	v_div_scale_f64 v[8:9], null, v[2:3], v[2:3], v[4:5]
	v_div_scale_f64 v[16:17], vcc_lo, v[4:5], v[2:3], v[4:5]
	v_rcp_f64_e32 v[12:13], v[8:9]
	s_waitcnt_depctr 0xfff
	v_fma_f64 v[14:15], -v[8:9], v[12:13], 1.0
	s_delay_alu instid0(VALU_DEP_1) | instskip(NEXT) | instid1(VALU_DEP_1)
	v_fma_f64 v[12:13], v[12:13], v[14:15], v[12:13]
	v_fma_f64 v[14:15], -v[8:9], v[12:13], 1.0
	s_delay_alu instid0(VALU_DEP_1) | instskip(NEXT) | instid1(VALU_DEP_1)
	v_fma_f64 v[12:13], v[12:13], v[14:15], v[12:13]
	v_mul_f64 v[14:15], v[16:17], v[12:13]
	s_delay_alu instid0(VALU_DEP_1) | instskip(NEXT) | instid1(VALU_DEP_1)
	v_fma_f64 v[8:9], -v[8:9], v[14:15], v[16:17]
	v_div_fmas_f64 v[8:9], v[8:9], v[12:13], v[14:15]
	s_delay_alu instid0(VALU_DEP_1) | instskip(NEXT) | instid1(VALU_DEP_1)
	v_div_fixup_f64 v[8:9], v[8:9], v[2:3], v[4:5]
	v_fma_f64 v[2:3], v[4:5], v[8:9], v[2:3]
	s_delay_alu instid0(VALU_DEP_1) | instskip(NEXT) | instid1(VALU_DEP_1)
	v_div_scale_f64 v[4:5], null, v[2:3], v[2:3], 1.0
	v_rcp_f64_e32 v[12:13], v[4:5]
	s_waitcnt_depctr 0xfff
	v_fma_f64 v[14:15], -v[4:5], v[12:13], 1.0
	s_delay_alu instid0(VALU_DEP_1) | instskip(NEXT) | instid1(VALU_DEP_1)
	v_fma_f64 v[12:13], v[12:13], v[14:15], v[12:13]
	v_fma_f64 v[14:15], -v[4:5], v[12:13], 1.0
	s_delay_alu instid0(VALU_DEP_1) | instskip(SKIP_1) | instid1(VALU_DEP_1)
	v_fma_f64 v[12:13], v[12:13], v[14:15], v[12:13]
	v_div_scale_f64 v[14:15], vcc_lo, 1.0, v[2:3], 1.0
	v_mul_f64 v[16:17], v[14:15], v[12:13]
	s_delay_alu instid0(VALU_DEP_1) | instskip(NEXT) | instid1(VALU_DEP_1)
	v_fma_f64 v[4:5], -v[4:5], v[16:17], v[14:15]
	v_div_fmas_f64 v[4:5], v[4:5], v[12:13], v[16:17]
	s_delay_alu instid0(VALU_DEP_1) | instskip(NEXT) | instid1(VALU_DEP_1)
	v_div_fixup_f64 v[2:3], v[4:5], v[2:3], 1.0
	v_mul_f64 v[4:5], v[8:9], -v[2:3]
.LBB242_39:
	s_or_b32 exec_lo, exec_lo, s0
.LBB242_40:
	s_waitcnt vmcnt(0) lgkmcnt(0)
	s_delay_alu instid0(VALU_DEP_1) | instskip(NEXT) | instid1(VALU_DEP_3)
	v_mul_f64 v[8:9], v[10:11], v[4:5]
	v_mul_f64 v[10:11], v[10:11], v[2:3]
	s_delay_alu instid0(VALU_DEP_2) | instskip(NEXT) | instid1(VALU_DEP_2)
	v_fma_f64 v[2:3], v[0:1], v[2:3], -v[8:9]
	v_fma_f64 v[10:11], v[0:1], v[4:5], v[10:11]
	s_delay_alu instid0(VALU_DEP_2)
	v_dual_mov_b32 v0, v2 :: v_dual_mov_b32 v1, v3
.LBB242_41:
	s_or_b32 exec_lo, exec_lo, s1
	s_delay_alu instid0(VALU_DEP_2)
	v_dual_mov_b32 v2, v10 :: v_dual_mov_b32 v3, v11
	global_store_b128 v[6:7], v[0:3], off
.LBB242_42:
	s_nop 0
	s_sendmsg sendmsg(MSG_DEALLOC_VGPRS)
	s_endpgm
	.section	.rodata,"a",@progbits
	.p2align	6, 0x0
	.amdhsa_kernel _ZL40rocblas_trsm_block_backward_substitutionI19rocblas_complex_numIdES1_PKPKS1_PKPS1_Lb0ELb0ELb0EEv18rocblas_operation_llT0_T1_lllT2_lllib
		.amdhsa_group_segment_fixed_size 0
		.amdhsa_private_segment_fixed_size 0
		.amdhsa_kernarg_size 368
		.amdhsa_user_sgpr_count 13
		.amdhsa_user_sgpr_dispatch_ptr 0
		.amdhsa_user_sgpr_queue_ptr 0
		.amdhsa_user_sgpr_kernarg_segment_ptr 1
		.amdhsa_user_sgpr_dispatch_id 0
		.amdhsa_user_sgpr_private_segment_size 0
		.amdhsa_wavefront_size32 1
		.amdhsa_uses_dynamic_stack 0
		.amdhsa_enable_private_segment 0
		.amdhsa_system_sgpr_workgroup_id_x 1
		.amdhsa_system_sgpr_workgroup_id_y 1
		.amdhsa_system_sgpr_workgroup_id_z 1
		.amdhsa_system_sgpr_workgroup_info 0
		.amdhsa_system_vgpr_workitem_id 1
		.amdhsa_next_free_vgpr 25
		.amdhsa_next_free_sgpr 32
		.amdhsa_reserve_vcc 1
		.amdhsa_float_round_mode_32 0
		.amdhsa_float_round_mode_16_64 0
		.amdhsa_float_denorm_mode_32 3
		.amdhsa_float_denorm_mode_16_64 3
		.amdhsa_dx10_clamp 1
		.amdhsa_ieee_mode 1
		.amdhsa_fp16_overflow 0
		.amdhsa_workgroup_processor_mode 1
		.amdhsa_memory_ordered 1
		.amdhsa_forward_progress 0
		.amdhsa_shared_vgpr_count 0
		.amdhsa_exception_fp_ieee_invalid_op 0
		.amdhsa_exception_fp_denorm_src 0
		.amdhsa_exception_fp_ieee_div_zero 0
		.amdhsa_exception_fp_ieee_overflow 0
		.amdhsa_exception_fp_ieee_underflow 0
		.amdhsa_exception_fp_ieee_inexact 0
		.amdhsa_exception_int_div_zero 0
	.end_amdhsa_kernel
	.section	.text._ZL40rocblas_trsm_block_backward_substitutionI19rocblas_complex_numIdES1_PKPKS1_PKPS1_Lb0ELb0ELb0EEv18rocblas_operation_llT0_T1_lllT2_lllib,"axG",@progbits,_ZL40rocblas_trsm_block_backward_substitutionI19rocblas_complex_numIdES1_PKPKS1_PKPS1_Lb0ELb0ELb0EEv18rocblas_operation_llT0_T1_lllT2_lllib,comdat
.Lfunc_end242:
	.size	_ZL40rocblas_trsm_block_backward_substitutionI19rocblas_complex_numIdES1_PKPKS1_PKPS1_Lb0ELb0ELb0EEv18rocblas_operation_llT0_T1_lllT2_lllib, .Lfunc_end242-_ZL40rocblas_trsm_block_backward_substitutionI19rocblas_complex_numIdES1_PKPKS1_PKPS1_Lb0ELb0ELb0EEv18rocblas_operation_llT0_T1_lllT2_lllib
                                        ; -- End function
	.section	.AMDGPU.csdata,"",@progbits
; Kernel info:
; codeLenInByte = 3228
; NumSgprs: 34
; NumVgprs: 25
; ScratchSize: 0
; MemoryBound: 1
; FloatMode: 240
; IeeeMode: 1
; LDSByteSize: 0 bytes/workgroup (compile time only)
; SGPRBlocks: 4
; VGPRBlocks: 3
; NumSGPRsForWavesPerEU: 34
; NumVGPRsForWavesPerEU: 25
; Occupancy: 16
; WaveLimiterHint : 1
; COMPUTE_PGM_RSRC2:SCRATCH_EN: 0
; COMPUTE_PGM_RSRC2:USER_SGPR: 13
; COMPUTE_PGM_RSRC2:TRAP_HANDLER: 0
; COMPUTE_PGM_RSRC2:TGID_X_EN: 1
; COMPUTE_PGM_RSRC2:TGID_Y_EN: 1
; COMPUTE_PGM_RSRC2:TGID_Z_EN: 1
; COMPUTE_PGM_RSRC2:TIDIG_COMP_CNT: 1
	.section	.text._ZL39rocblas_trsm_block_forward_substitutionI19rocblas_complex_numIdES1_PKPKS1_PKPS1_Lb0ELb0ELb1EEv18rocblas_operation_llT0_T1_lllT2_lllib,"axG",@progbits,_ZL39rocblas_trsm_block_forward_substitutionI19rocblas_complex_numIdES1_PKPKS1_PKPS1_Lb0ELb0ELb1EEv18rocblas_operation_llT0_T1_lllT2_lllib,comdat
	.globl	_ZL39rocblas_trsm_block_forward_substitutionI19rocblas_complex_numIdES1_PKPKS1_PKPS1_Lb0ELb0ELb1EEv18rocblas_operation_llT0_T1_lllT2_lllib ; -- Begin function _ZL39rocblas_trsm_block_forward_substitutionI19rocblas_complex_numIdES1_PKPKS1_PKPS1_Lb0ELb0ELb1EEv18rocblas_operation_llT0_T1_lllT2_lllib
	.p2align	8
	.type	_ZL39rocblas_trsm_block_forward_substitutionI19rocblas_complex_numIdES1_PKPKS1_PKPS1_Lb0ELb0ELb1EEv18rocblas_operation_llT0_T1_lllT2_lllib,@function
_ZL39rocblas_trsm_block_forward_substitutionI19rocblas_complex_numIdES1_PKPKS1_PKPS1_Lb0ELb0ELb1EEv18rocblas_operation_llT0_T1_lllT2_lllib: ; @_ZL39rocblas_trsm_block_forward_substitutionI19rocblas_complex_numIdES1_PKPKS1_PKPS1_Lb0ELb0ELb1EEv18rocblas_operation_llT0_T1_lllT2_lllib
; %bb.0:
	s_clause 0x1
	s_load_b128 s[4:7], s[0:1], 0x28
	s_load_b64 s[12:13], s[0:1], 0x38
	s_mov_b32 s2, s15
	s_mov_b32 s3, 0
	s_load_b64 s[20:21], s[0:1], 0x58
	s_lshl_b64 s[2:3], s[2:3], 3
	v_and_b32_e32 v4, 0x3ff, v0
	v_bfe_u32 v6, v0, 10, 10
	s_waitcnt lgkmcnt(0)
	s_add_u32 s4, s4, s2
	s_addc_u32 s5, s5, s3
	s_lshl_b64 s[6:7], s[6:7], 4
	s_load_b64 s[4:5], s[4:5], 0x0
	s_clause 0x2
	s_load_b128 s[16:19], s[0:1], 0x48
	s_load_b32 s15, s[0:1], 0x6c
	s_load_b32 s26, s[0:1], 0x7c
	s_waitcnt lgkmcnt(0)
	s_add_u32 s22, s4, s6
	s_addc_u32 s23, s5, s7
	s_add_u32 s2, s16, s2
	s_addc_u32 s3, s17, s3
	s_load_b256 s[4:11], s[0:1], 0x8
	s_load_b64 s[16:17], s[2:3], 0x0
	s_add_u32 s24, s0, 0x70
	s_addc_u32 s25, s1, 0
	s_lshr_b32 s3, s26, 16
	s_bitcmp0_b32 s15, 0
	s_cbranch_scc1 .LBB243_7
; %bb.1:
	s_waitcnt lgkmcnt(0)
	v_cmp_lt_i64_e64 s2, s[4:5], 1
	s_lshl_b32 s15, s3, 4
	s_delay_alu instid0(SALU_CYCLE_1) | instskip(NEXT) | instid1(VALU_DEP_1)
	s_add_i32 s26, s15, 0
	s_and_b32 vcc_lo, exec_lo, s2
	s_cbranch_vccnz .LBB243_6
; %bb.2:
	v_lshlrev_b32_e32 v1, 4, v4
	s_delay_alu instid0(VALU_DEP_1) | instskip(SKIP_1) | instid1(VALU_DEP_2)
	v_dual_mov_b32 v5, 0 :: v_dual_add_nc_u32 v0, s26, v1
	v_add_co_u32 v1, s15, s22, v1
	v_cmp_gt_u64_e64 s2, s[4:5], v[4:5]
	v_add_co_ci_u32_e64 v2, null, s23, 0, s15
	s_mov_b32 s22, 0
	s_set_inst_prefetch_distance 0x1
	s_branch .LBB243_4
	.p2align	6
.LBB243_3:                              ;   in Loop: Header=BB243_4 Depth=1
	s_or_b32 exec_lo, exec_lo, s15
	s_add_i32 s22, s22, s3
	s_delay_alu instid0(SALU_CYCLE_1) | instskip(NEXT) | instid1(SALU_CYCLE_1)
	s_ashr_i32 s23, s22, 31
	v_cmp_ge_i64_e64 s15, s[22:23], s[4:5]
	s_delay_alu instid0(VALU_DEP_1)
	s_and_b32 vcc_lo, exec_lo, s15
	s_cbranch_vccnz .LBB243_6
.LBB243_4:                              ; =>This Inner Loop Header: Depth=1
	v_add_nc_u32_e32 v3, s22, v6
	s_delay_alu instid0(VALU_DEP_1) | instskip(SKIP_1) | instid1(SALU_CYCLE_1)
	v_cmp_gt_i32_e32 vcc_lo, v4, v3
	s_and_b32 s23, s2, vcc_lo
	s_and_saveexec_b32 s15, s23
	s_cbranch_execz .LBB243_3
; %bb.5:                                ;   in Loop: Header=BB243_4 Depth=1
	v_ashrrev_i32_e32 v5, 31, v3
	v_mul_lo_u32 v9, v3, s13
	v_mad_u64_u32 v[7:8], null, v3, s12, 0
	s_load_b32 s23, s[24:25], 0xc
	s_delay_alu instid0(VALU_DEP_3) | instskip(NEXT) | instid1(VALU_DEP_1)
	v_mul_lo_u32 v5, v5, s12
	v_add3_u32 v8, v8, v9, v5
	s_delay_alu instid0(VALU_DEP_1) | instskip(SKIP_2) | instid1(VALU_DEP_1)
	v_lshlrev_b64 v[7:8], 4, v[7:8]
	s_waitcnt lgkmcnt(0)
	s_and_b32 s23, s23, 0xffff
	v_add_co_u32 v7, vcc_lo, v1, v7
	s_delay_alu instid0(VALU_DEP_2)
	v_add_co_ci_u32_e32 v8, vcc_lo, v2, v8, vcc_lo
	v_mul_lo_u32 v3, v3, s23
	global_load_b128 v[7:10], v[7:8], off
	v_lshl_add_u32 v3, v3, 4, v0
	s_waitcnt vmcnt(0)
	ds_store_2addr_b64 v3, v[7:8], v[9:10] offset1:1
	s_branch .LBB243_3
.LBB243_6:
	s_set_inst_prefetch_distance 0x2
	s_load_b32 s2, s[24:25], 0xc
	s_mov_b64 s[22:23], src_shared_base
	s_mov_b32 s13, 0
	s_mov_b32 s27, s23
	s_delay_alu instid0(SALU_CYCLE_1)
	s_mov_b64 s[22:23], s[26:27]
	s_waitcnt lgkmcnt(0)
	s_and_b32 s12, s2, 0xffff
.LBB243_7:
	v_mad_u64_u32 v[0:1], null, s14, s3, v[6:7]
	v_mov_b32_e32 v1, 0
	s_mov_b32 s2, exec_lo
	s_waitcnt lgkmcnt(0)
	s_delay_alu instid0(VALU_DEP_1)
	v_cmpx_gt_i64_e64 s[6:7], v[0:1]
	s_cbranch_execz .LBB243_17
; %bb.8:
	v_mov_b32_e32 v5, v1
	s_delay_alu instid0(VALU_DEP_1)
	v_cmp_gt_i64_e32 vcc_lo, s[4:5], v[4:5]
	s_and_b32 exec_lo, exec_lo, vcc_lo
	s_cbranch_execz .LBB243_17
; %bb.9:
	v_mad_u64_u32 v[1:2], null, v0, s20, 0
	s_lshl_b64 s[2:3], s[18:19], 4
	v_lshlrev_b32_e32 v9, 4, v4
	s_add_u32 s2, s16, s2
	s_addc_u32 s3, s17, s3
	s_delay_alu instid0(VALU_DEP_2) | instskip(NEXT) | instid1(VALU_DEP_1)
	v_mad_u64_u32 v[7:8], null, v0, s21, v[2:3]
	v_mov_b32_e32 v2, v7
	s_delay_alu instid0(VALU_DEP_1) | instskip(NEXT) | instid1(VALU_DEP_1)
	v_lshlrev_b64 v[0:1], 4, v[1:2]
	v_add_co_u32 v0, vcc_lo, s2, v0
	s_delay_alu instid0(VALU_DEP_2) | instskip(SKIP_1) | instid1(VALU_DEP_3)
	v_add_co_ci_u32_e32 v1, vcc_lo, s3, v1, vcc_lo
	v_cmp_lt_u64_e64 s2, s[4:5], 2
	v_add_co_u32 v7, vcc_lo, v0, v9
	s_delay_alu instid0(VALU_DEP_3) | instskip(NEXT) | instid1(VALU_DEP_3)
	v_add_co_ci_u32_e32 v8, vcc_lo, 0, v1, vcc_lo
	s_and_b32 vcc_lo, exec_lo, s2
	global_load_b128 v[10:13], v[7:8], off
	s_waitcnt vmcnt(0)
	v_mul_f64 v[0:1], s[10:11], v[12:13]
	v_mul_f64 v[2:3], s[8:9], v[12:13]
	s_delay_alu instid0(VALU_DEP_2) | instskip(NEXT) | instid1(VALU_DEP_2)
	v_fma_f64 v[0:1], s[8:9], v[10:11], -v[0:1]
	v_fma_f64 v[2:3], s[10:11], v[10:11], v[2:3]
	s_cbranch_vccnz .LBB243_16
; %bb.10:
	s_load_b32 s0, s[0:1], 0x0
	v_lshl_add_u32 v6, v6, 4, 0
	s_mov_b64 s[6:7], 0
	s_waitcnt lgkmcnt(0)
	s_cmpk_eq_i32 s0, 0x71
	v_add_co_u32 v9, s0, s22, v9
	s_delay_alu instid0(VALU_DEP_1)
	v_add_co_ci_u32_e64 v10, null, s23, 0, s0
	s_cselect_b32 vcc_lo, -1, 0
	s_add_u32 s2, s4, -1
	s_addc_u32 s3, s5, -1
	s_lshl_b64 s[4:5], s[12:13], 4
	s_set_inst_prefetch_distance 0x1
	s_branch .LBB243_12
	.p2align	6
.LBB243_11:                             ;   in Loop: Header=BB243_12 Depth=1
	s_or_b32 exec_lo, exec_lo, s1
	v_add_co_u32 v9, s0, v9, s4
	s_add_u32 s6, s6, 1
	v_add_co_ci_u32_e64 v10, s0, s5, v10, s0
	s_addc_u32 s7, s7, 0
	s_delay_alu instid0(SALU_CYCLE_1)
	s_cmp_eq_u64 s[2:3], s[6:7]
	s_cbranch_scc1 .LBB243_16
.LBB243_12:                             ; =>This Inner Loop Header: Depth=1
	s_mov_b32 s1, exec_lo
	s_barrier
	buffer_gl0_inv
	v_cmpx_eq_u64_e64 s[6:7], v[4:5]
	s_cbranch_execz .LBB243_14
; %bb.13:                               ;   in Loop: Header=BB243_12 Depth=1
	ds_store_2addr_b64 v6, v[0:1], v[2:3] offset1:1
.LBB243_14:                             ;   in Loop: Header=BB243_12 Depth=1
	s_or_b32 exec_lo, exec_lo, s1
	s_delay_alu instid0(SALU_CYCLE_1)
	s_mov_b32 s1, exec_lo
	s_waitcnt lgkmcnt(0)
	s_barrier
	buffer_gl0_inv
	v_cmpx_lt_u64_e64 s[6:7], v[4:5]
	s_cbranch_execz .LBB243_11
; %bb.15:                               ;   in Loop: Header=BB243_12 Depth=1
	flat_load_b128 v[11:14], v[9:10]
	ds_load_2addr_b64 v[15:18], v6 offset1:1
	s_waitcnt vmcnt(0) lgkmcnt(1)
	v_xor_b32_e32 v19, 0x80000000, v14
	s_delay_alu instid0(VALU_DEP_1) | instskip(SKIP_1) | instid1(VALU_DEP_1)
	v_cndmask_b32_e32 v14, v14, v19, vcc_lo
	s_waitcnt lgkmcnt(0)
	v_mul_f64 v[19:20], v[13:14], v[17:18]
	v_mul_f64 v[17:18], v[11:12], v[17:18]
	s_delay_alu instid0(VALU_DEP_2) | instskip(NEXT) | instid1(VALU_DEP_2)
	v_fma_f64 v[11:12], v[11:12], v[15:16], -v[19:20]
	v_fma_f64 v[13:14], v[13:14], v[15:16], v[17:18]
	s_delay_alu instid0(VALU_DEP_2) | instskip(NEXT) | instid1(VALU_DEP_2)
	v_add_f64 v[0:1], v[0:1], -v[11:12]
	v_add_f64 v[2:3], v[2:3], -v[13:14]
	s_branch .LBB243_11
.LBB243_16:
	s_set_inst_prefetch_distance 0x2
	global_store_b128 v[7:8], v[0:3], off
.LBB243_17:
	s_nop 0
	s_sendmsg sendmsg(MSG_DEALLOC_VGPRS)
	s_endpgm
	.section	.rodata,"a",@progbits
	.p2align	6, 0x0
	.amdhsa_kernel _ZL39rocblas_trsm_block_forward_substitutionI19rocblas_complex_numIdES1_PKPKS1_PKPS1_Lb0ELb0ELb1EEv18rocblas_operation_llT0_T1_lllT2_lllib
		.amdhsa_group_segment_fixed_size 0
		.amdhsa_private_segment_fixed_size 0
		.amdhsa_kernarg_size 368
		.amdhsa_user_sgpr_count 13
		.amdhsa_user_sgpr_dispatch_ptr 0
		.amdhsa_user_sgpr_queue_ptr 0
		.amdhsa_user_sgpr_kernarg_segment_ptr 1
		.amdhsa_user_sgpr_dispatch_id 0
		.amdhsa_user_sgpr_private_segment_size 0
		.amdhsa_wavefront_size32 1
		.amdhsa_uses_dynamic_stack 0
		.amdhsa_enable_private_segment 0
		.amdhsa_system_sgpr_workgroup_id_x 1
		.amdhsa_system_sgpr_workgroup_id_y 1
		.amdhsa_system_sgpr_workgroup_id_z 1
		.amdhsa_system_sgpr_workgroup_info 0
		.amdhsa_system_vgpr_workitem_id 1
		.amdhsa_next_free_vgpr 21
		.amdhsa_next_free_sgpr 28
		.amdhsa_reserve_vcc 1
		.amdhsa_float_round_mode_32 0
		.amdhsa_float_round_mode_16_64 0
		.amdhsa_float_denorm_mode_32 3
		.amdhsa_float_denorm_mode_16_64 3
		.amdhsa_dx10_clamp 1
		.amdhsa_ieee_mode 1
		.amdhsa_fp16_overflow 0
		.amdhsa_workgroup_processor_mode 1
		.amdhsa_memory_ordered 1
		.amdhsa_forward_progress 0
		.amdhsa_shared_vgpr_count 0
		.amdhsa_exception_fp_ieee_invalid_op 0
		.amdhsa_exception_fp_denorm_src 0
		.amdhsa_exception_fp_ieee_div_zero 0
		.amdhsa_exception_fp_ieee_overflow 0
		.amdhsa_exception_fp_ieee_underflow 0
		.amdhsa_exception_fp_ieee_inexact 0
		.amdhsa_exception_int_div_zero 0
	.end_amdhsa_kernel
	.section	.text._ZL39rocblas_trsm_block_forward_substitutionI19rocblas_complex_numIdES1_PKPKS1_PKPS1_Lb0ELb0ELb1EEv18rocblas_operation_llT0_T1_lllT2_lllib,"axG",@progbits,_ZL39rocblas_trsm_block_forward_substitutionI19rocblas_complex_numIdES1_PKPKS1_PKPS1_Lb0ELb0ELb1EEv18rocblas_operation_llT0_T1_lllT2_lllib,comdat
.Lfunc_end243:
	.size	_ZL39rocblas_trsm_block_forward_substitutionI19rocblas_complex_numIdES1_PKPKS1_PKPS1_Lb0ELb0ELb1EEv18rocblas_operation_llT0_T1_lllT2_lllib, .Lfunc_end243-_ZL39rocblas_trsm_block_forward_substitutionI19rocblas_complex_numIdES1_PKPKS1_PKPS1_Lb0ELb0ELb1EEv18rocblas_operation_llT0_T1_lllT2_lllib
                                        ; -- End function
	.section	.AMDGPU.csdata,"",@progbits
; Kernel info:
; codeLenInByte = 1000
; NumSgprs: 30
; NumVgprs: 21
; ScratchSize: 0
; MemoryBound: 0
; FloatMode: 240
; IeeeMode: 1
; LDSByteSize: 0 bytes/workgroup (compile time only)
; SGPRBlocks: 3
; VGPRBlocks: 2
; NumSGPRsForWavesPerEU: 30
; NumVGPRsForWavesPerEU: 21
; Occupancy: 16
; WaveLimiterHint : 1
; COMPUTE_PGM_RSRC2:SCRATCH_EN: 0
; COMPUTE_PGM_RSRC2:USER_SGPR: 13
; COMPUTE_PGM_RSRC2:TRAP_HANDLER: 0
; COMPUTE_PGM_RSRC2:TGID_X_EN: 1
; COMPUTE_PGM_RSRC2:TGID_Y_EN: 1
; COMPUTE_PGM_RSRC2:TGID_Z_EN: 1
; COMPUTE_PGM_RSRC2:TIDIG_COMP_CNT: 1
	.section	.text._ZL40rocblas_trsm_block_backward_substitutionI19rocblas_complex_numIdES1_PKPKS1_PKPS1_Lb0ELb0ELb1EEv18rocblas_operation_llT0_T1_lllT2_lllib,"axG",@progbits,_ZL40rocblas_trsm_block_backward_substitutionI19rocblas_complex_numIdES1_PKPKS1_PKPS1_Lb0ELb0ELb1EEv18rocblas_operation_llT0_T1_lllT2_lllib,comdat
	.globl	_ZL40rocblas_trsm_block_backward_substitutionI19rocblas_complex_numIdES1_PKPKS1_PKPS1_Lb0ELb0ELb1EEv18rocblas_operation_llT0_T1_lllT2_lllib ; -- Begin function _ZL40rocblas_trsm_block_backward_substitutionI19rocblas_complex_numIdES1_PKPKS1_PKPS1_Lb0ELb0ELb1EEv18rocblas_operation_llT0_T1_lllT2_lllib
	.p2align	8
	.type	_ZL40rocblas_trsm_block_backward_substitutionI19rocblas_complex_numIdES1_PKPKS1_PKPS1_Lb0ELb0ELb1EEv18rocblas_operation_llT0_T1_lllT2_lllib,@function
_ZL40rocblas_trsm_block_backward_substitutionI19rocblas_complex_numIdES1_PKPKS1_PKPS1_Lb0ELb0ELb1EEv18rocblas_operation_llT0_T1_lllT2_lllib: ; @_ZL40rocblas_trsm_block_backward_substitutionI19rocblas_complex_numIdES1_PKPKS1_PKPS1_Lb0ELb0ELb1EEv18rocblas_operation_llT0_T1_lllT2_lllib
; %bb.0:
	s_clause 0x1
	s_load_b128 s[4:7], s[0:1], 0x28
	s_load_b64 s[28:29], s[0:1], 0x38
	s_mov_b32 s2, s15
	s_mov_b32 s3, 0
	s_load_b64 s[20:21], s[0:1], 0x58
	s_lshl_b64 s[2:3], s[2:3], 3
	v_and_b32_e32 v4, 0x3ff, v0
	v_bfe_u32 v6, v0, 10, 10
	s_waitcnt lgkmcnt(0)
	s_add_u32 s4, s4, s2
	s_addc_u32 s5, s5, s3
	s_lshl_b64 s[6:7], s[6:7], 4
	s_load_b64 s[4:5], s[4:5], 0x0
	s_clause 0x2
	s_load_b128 s[16:19], s[0:1], 0x48
	s_load_b32 s26, s[0:1], 0x6c
	s_load_b32 s15, s[0:1], 0x7c
	s_waitcnt lgkmcnt(0)
	s_add_u32 s12, s4, s6
	s_addc_u32 s13, s5, s7
	s_add_u32 s2, s16, s2
	s_addc_u32 s3, s17, s3
	s_load_b256 s[4:11], s[0:1], 0x8
	s_load_b64 s[22:23], s[2:3], 0x0
	s_add_u32 s24, s0, 0x70
	s_addc_u32 s25, s1, 0
	s_lshr_b32 s15, s15, 16
	s_bitcmp0_b32 s26, 0
	s_mov_b64 s[2:3], 1
	s_cbranch_scc1 .LBB244_6
; %bb.1:
	s_waitcnt lgkmcnt(0)
	v_cmp_lt_i64_e64 s2, s[4:5], 1
	s_lshl_b32 s3, s15, 4
	s_mov_b64 s[16:17], 1
	s_add_i32 s26, s3, 0
	s_delay_alu instid0(VALU_DEP_1)
	s_and_b32 vcc_lo, exec_lo, s2
	s_cbranch_vccnz .LBB244_7
; %bb.2:
	v_mad_u64_u32 v[0:1], null, v4, s28, 0
	v_mov_b32_e32 v5, 0
	s_delay_alu instid0(VALU_DEP_1) | instskip(NEXT) | instid1(VALU_DEP_3)
	v_cmp_gt_u64_e64 s2, s[4:5], v[4:5]
	v_mad_u64_u32 v[2:3], null, v4, s29, v[1:2]
	s_delay_alu instid0(VALU_DEP_1) | instskip(SKIP_1) | instid1(VALU_DEP_2)
	v_mov_b32_e32 v1, v2
	v_lshl_add_u32 v2, v4, 4, s26
	v_lshlrev_b64 v[0:1], 4, v[0:1]
	s_delay_alu instid0(VALU_DEP_1) | instskip(NEXT) | instid1(VALU_DEP_2)
	v_add_co_u32 v3, vcc_lo, s12, v0
	v_add_co_ci_u32_e32 v5, vcc_lo, s13, v1, vcc_lo
	s_mov_b32 s12, 0
	s_set_inst_prefetch_distance 0x1
	s_branch .LBB244_4
	.p2align	6
.LBB244_3:                              ;   in Loop: Header=BB244_4 Depth=1
	s_or_b32 exec_lo, exec_lo, s3
	s_add_i32 s12, s12, s15
	s_delay_alu instid0(SALU_CYCLE_1) | instskip(NEXT) | instid1(SALU_CYCLE_1)
	s_ashr_i32 s13, s12, 31
	v_cmp_ge_i64_e64 s3, s[12:13], s[4:5]
	s_delay_alu instid0(VALU_DEP_1)
	s_and_b32 vcc_lo, exec_lo, s3
	s_cbranch_vccnz .LBB244_7
.LBB244_4:                              ; =>This Inner Loop Header: Depth=1
	v_add_nc_u32_e32 v0, s12, v6
	s_delay_alu instid0(VALU_DEP_1) | instskip(SKIP_1) | instid1(VALU_DEP_2)
	v_ashrrev_i32_e32 v1, 31, v0
	v_cmp_lt_i32_e64 s3, v4, v0
	v_cmp_gt_i64_e32 vcc_lo, s[4:5], v[0:1]
	s_delay_alu instid0(VALU_DEP_2) | instskip(NEXT) | instid1(SALU_CYCLE_1)
	s_and_b32 s3, s3, vcc_lo
	s_and_b32 s13, s2, s3
	s_delay_alu instid0(SALU_CYCLE_1)
	s_and_saveexec_b32 s3, s13
	s_cbranch_execz .LBB244_3
; %bb.5:                                ;   in Loop: Header=BB244_4 Depth=1
	v_lshlrev_b64 v[7:8], 4, v[0:1]
	s_load_b32 s13, s[24:25], 0xc
	s_delay_alu instid0(VALU_DEP_1) | instskip(NEXT) | instid1(VALU_DEP_2)
	v_add_co_u32 v7, vcc_lo, v3, v7
	v_add_co_ci_u32_e32 v8, vcc_lo, v5, v8, vcc_lo
	global_load_b128 v[7:10], v[7:8], off
	s_waitcnt lgkmcnt(0)
	s_and_b32 s13, s13, 0xffff
	s_delay_alu instid0(SALU_CYCLE_1) | instskip(NEXT) | instid1(VALU_DEP_1)
	v_mul_lo_u32 v0, v0, s13
	v_lshl_add_u32 v0, v0, 4, v2
	s_waitcnt vmcnt(0)
	ds_store_2addr_b64 v0, v[7:8], v[9:10] offset1:1
	s_branch .LBB244_3
.LBB244_6:
	s_mov_b64 s[16:17], s[28:29]
	s_branch .LBB244_8
.LBB244_7:
	s_set_inst_prefetch_distance 0x2
	s_load_b32 s12, s[24:25], 0xc
	s_mov_b64 s[2:3], src_shared_base
	s_delay_alu instid0(SALU_CYCLE_1)
	s_mov_b32 s27, s3
	s_waitcnt lgkmcnt(0)
	s_and_b32 s2, s12, 0xffff
	s_mov_b64 s[12:13], s[26:27]
.LBB244_8:
	v_mad_u64_u32 v[0:1], null, s14, s15, v[6:7]
	v_mov_b32_e32 v1, 0
	s_mov_b32 s3, exec_lo
	s_waitcnt lgkmcnt(0)
	s_delay_alu instid0(VALU_DEP_1)
	v_cmpx_gt_i64_e64 s[6:7], v[0:1]
	s_cbranch_execz .LBB244_19
; %bb.9:
	v_mov_b32_e32 v5, v1
	s_delay_alu instid0(VALU_DEP_1)
	v_cmp_gt_i64_e32 vcc_lo, s[4:5], v[4:5]
	s_and_b32 exec_lo, exec_lo, vcc_lo
	s_cbranch_execz .LBB244_19
; %bb.10:
	v_mad_u64_u32 v[2:3], null, v4, s20, 0
	s_lshl_b64 s[6:7], s[18:19], 4
	v_lshlrev_b64 v[0:1], 4, v[0:1]
	s_add_u32 s3, s22, s6
	s_addc_u32 s6, s23, s7
	s_delay_alu instid0(VALU_DEP_2) | instskip(NEXT) | instid1(VALU_DEP_1)
	v_mad_u64_u32 v[7:8], null, v4, s21, v[3:4]
	v_mov_b32_e32 v3, v7
	s_delay_alu instid0(VALU_DEP_1) | instskip(NEXT) | instid1(VALU_DEP_1)
	v_lshlrev_b64 v[2:3], 4, v[2:3]
	v_add_co_u32 v2, vcc_lo, s3, v2
	s_delay_alu instid0(VALU_DEP_2) | instskip(SKIP_1) | instid1(VALU_DEP_3)
	v_add_co_ci_u32_e32 v3, vcc_lo, s6, v3, vcc_lo
	v_cmp_lt_u64_e64 s3, s[4:5], 2
	v_add_co_u32 v7, vcc_lo, v2, v0
	s_delay_alu instid0(VALU_DEP_3) | instskip(NEXT) | instid1(VALU_DEP_3)
	v_add_co_ci_u32_e32 v8, vcc_lo, v3, v1, vcc_lo
	s_and_b32 vcc_lo, exec_lo, s3
	global_load_b128 v[9:12], v[7:8], off
	s_waitcnt vmcnt(0)
	v_mul_f64 v[0:1], s[10:11], v[11:12]
	v_mul_f64 v[2:3], s[8:9], v[11:12]
	s_delay_alu instid0(VALU_DEP_2) | instskip(NEXT) | instid1(VALU_DEP_2)
	v_fma_f64 v[0:1], s[8:9], v[9:10], -v[0:1]
	v_fma_f64 v[2:3], s[10:11], v[9:10], v[2:3]
	s_cbranch_vccnz .LBB244_18
; %bb.11:
	s_load_b32 s0, s[0:1], 0x0
	v_mad_u64_u32 v[9:10], null, s16, v4, 0
	v_lshl_add_u32 v6, v6, 4, 0
	s_delay_alu instid0(VALU_DEP_2) | instskip(NEXT) | instid1(VALU_DEP_1)
	v_mad_u64_u32 v[11:12], null, s17, v4, v[10:11]
	v_mov_b32_e32 v10, v11
	s_waitcnt lgkmcnt(0)
	s_cmpk_eq_i32 s0, 0x71
	s_delay_alu instid0(VALU_DEP_1)
	v_lshlrev_b64 v[9:10], 4, v[9:10]
	s_cselect_b32 s0, -1, 0
	s_add_u32 s4, s4, -1
	s_addc_u32 s5, s5, -1
	s_mul_hi_u32 s1, s2, s4
	s_mul_i32 s3, s2, s5
	s_mul_i32 s6, s2, s4
	s_add_i32 s7, s1, s3
	s_delay_alu instid0(SALU_CYCLE_1) | instskip(NEXT) | instid1(SALU_CYCLE_1)
	s_lshl_b64 s[6:7], s[6:7], 4
	s_add_u32 s1, s12, s6
	s_addc_u32 s3, s13, s7
	v_add_co_u32 v9, vcc_lo, s1, v9
	v_add_co_ci_u32_e32 v10, vcc_lo, s3, v10, vcc_lo
	s_lshl_b32 s1, s2, 4
	s_delay_alu instid0(SALU_CYCLE_1)
	s_sub_u32 s1, 0, s1
	s_subb_u32 s6, 0, 0
	s_set_inst_prefetch_distance 0x1
	.p2align	6
.LBB244_12:                             ; =>This Inner Loop Header: Depth=1
	s_mov_b32 s2, exec_lo
	s_barrier
	buffer_gl0_inv
	v_cmpx_eq_u64_e64 s[4:5], v[4:5]
	s_cbranch_execz .LBB244_14
; %bb.13:                               ;   in Loop: Header=BB244_12 Depth=1
	ds_store_2addr_b64 v6, v[0:1], v[2:3] offset1:1
.LBB244_14:                             ;   in Loop: Header=BB244_12 Depth=1
	s_or_b32 exec_lo, exec_lo, s2
	s_delay_alu instid0(SALU_CYCLE_1)
	s_mov_b32 s2, exec_lo
	s_waitcnt lgkmcnt(0)
	s_barrier
	buffer_gl0_inv
	v_cmpx_gt_i64_e64 s[4:5], v[4:5]
	s_cbranch_execz .LBB244_16
; %bb.15:                               ;   in Loop: Header=BB244_12 Depth=1
	flat_load_b128 v[11:14], v[9:10]
	ds_load_2addr_b64 v[15:18], v6 offset1:1
	s_waitcnt vmcnt(0) lgkmcnt(1)
	v_xor_b32_e32 v19, 0x80000000, v14
	s_delay_alu instid0(VALU_DEP_1) | instskip(SKIP_1) | instid1(VALU_DEP_1)
	v_cndmask_b32_e64 v14, v14, v19, s0
	s_waitcnt lgkmcnt(0)
	v_mul_f64 v[19:20], v[13:14], v[17:18]
	v_mul_f64 v[17:18], v[11:12], v[17:18]
	s_delay_alu instid0(VALU_DEP_2) | instskip(NEXT) | instid1(VALU_DEP_2)
	v_fma_f64 v[11:12], v[11:12], v[15:16], -v[19:20]
	v_fma_f64 v[13:14], v[13:14], v[15:16], v[17:18]
	s_delay_alu instid0(VALU_DEP_2) | instskip(NEXT) | instid1(VALU_DEP_2)
	v_add_f64 v[0:1], v[0:1], -v[11:12]
	v_add_f64 v[2:3], v[2:3], -v[13:14]
.LBB244_16:                             ;   in Loop: Header=BB244_12 Depth=1
	s_or_b32 exec_lo, exec_lo, s2
	s_add_u32 s2, s4, -1
	s_addc_u32 s3, s5, -1
	s_add_u32 s4, s4, 1
	s_addc_u32 s5, s5, 0
	v_add_co_u32 v9, vcc_lo, v9, s1
	v_cmp_lt_u64_e64 s4, s[4:5], 3
	v_add_co_ci_u32_e32 v10, vcc_lo, s6, v10, vcc_lo
	s_delay_alu instid0(VALU_DEP_2)
	s_and_b32 vcc_lo, exec_lo, s4
	s_cbranch_vccnz .LBB244_18
; %bb.17:                               ;   in Loop: Header=BB244_12 Depth=1
	s_mov_b64 s[4:5], s[2:3]
	s_branch .LBB244_12
.LBB244_18:
	s_set_inst_prefetch_distance 0x2
	global_store_b128 v[7:8], v[0:3], off
.LBB244_19:
	s_nop 0
	s_sendmsg sendmsg(MSG_DEALLOC_VGPRS)
	s_endpgm
	.section	.rodata,"a",@progbits
	.p2align	6, 0x0
	.amdhsa_kernel _ZL40rocblas_trsm_block_backward_substitutionI19rocblas_complex_numIdES1_PKPKS1_PKPS1_Lb0ELb0ELb1EEv18rocblas_operation_llT0_T1_lllT2_lllib
		.amdhsa_group_segment_fixed_size 0
		.amdhsa_private_segment_fixed_size 0
		.amdhsa_kernarg_size 368
		.amdhsa_user_sgpr_count 13
		.amdhsa_user_sgpr_dispatch_ptr 0
		.amdhsa_user_sgpr_queue_ptr 0
		.amdhsa_user_sgpr_kernarg_segment_ptr 1
		.amdhsa_user_sgpr_dispatch_id 0
		.amdhsa_user_sgpr_private_segment_size 0
		.amdhsa_wavefront_size32 1
		.amdhsa_uses_dynamic_stack 0
		.amdhsa_enable_private_segment 0
		.amdhsa_system_sgpr_workgroup_id_x 1
		.amdhsa_system_sgpr_workgroup_id_y 1
		.amdhsa_system_sgpr_workgroup_id_z 1
		.amdhsa_system_sgpr_workgroup_info 0
		.amdhsa_system_vgpr_workitem_id 1
		.amdhsa_next_free_vgpr 21
		.amdhsa_next_free_sgpr 30
		.amdhsa_reserve_vcc 1
		.amdhsa_float_round_mode_32 0
		.amdhsa_float_round_mode_16_64 0
		.amdhsa_float_denorm_mode_32 3
		.amdhsa_float_denorm_mode_16_64 3
		.amdhsa_dx10_clamp 1
		.amdhsa_ieee_mode 1
		.amdhsa_fp16_overflow 0
		.amdhsa_workgroup_processor_mode 1
		.amdhsa_memory_ordered 1
		.amdhsa_forward_progress 0
		.amdhsa_shared_vgpr_count 0
		.amdhsa_exception_fp_ieee_invalid_op 0
		.amdhsa_exception_fp_denorm_src 0
		.amdhsa_exception_fp_ieee_div_zero 0
		.amdhsa_exception_fp_ieee_overflow 0
		.amdhsa_exception_fp_ieee_underflow 0
		.amdhsa_exception_fp_ieee_inexact 0
		.amdhsa_exception_int_div_zero 0
	.end_amdhsa_kernel
	.section	.text._ZL40rocblas_trsm_block_backward_substitutionI19rocblas_complex_numIdES1_PKPKS1_PKPS1_Lb0ELb0ELb1EEv18rocblas_operation_llT0_T1_lllT2_lllib,"axG",@progbits,_ZL40rocblas_trsm_block_backward_substitutionI19rocblas_complex_numIdES1_PKPKS1_PKPS1_Lb0ELb0ELb1EEv18rocblas_operation_llT0_T1_lllT2_lllib,comdat
.Lfunc_end244:
	.size	_ZL40rocblas_trsm_block_backward_substitutionI19rocblas_complex_numIdES1_PKPKS1_PKPS1_Lb0ELb0ELb1EEv18rocblas_operation_llT0_T1_lllT2_lllib, .Lfunc_end244-_ZL40rocblas_trsm_block_backward_substitutionI19rocblas_complex_numIdES1_PKPKS1_PKPS1_Lb0ELb0ELb1EEv18rocblas_operation_llT0_T1_lllT2_lllib
                                        ; -- End function
	.section	.AMDGPU.csdata,"",@progbits
; Kernel info:
; codeLenInByte = 1116
; NumSgprs: 32
; NumVgprs: 21
; ScratchSize: 0
; MemoryBound: 0
; FloatMode: 240
; IeeeMode: 1
; LDSByteSize: 0 bytes/workgroup (compile time only)
; SGPRBlocks: 3
; VGPRBlocks: 2
; NumSGPRsForWavesPerEU: 32
; NumVGPRsForWavesPerEU: 21
; Occupancy: 16
; WaveLimiterHint : 1
; COMPUTE_PGM_RSRC2:SCRATCH_EN: 0
; COMPUTE_PGM_RSRC2:USER_SGPR: 13
; COMPUTE_PGM_RSRC2:TRAP_HANDLER: 0
; COMPUTE_PGM_RSRC2:TGID_X_EN: 1
; COMPUTE_PGM_RSRC2:TGID_Y_EN: 1
; COMPUTE_PGM_RSRC2:TGID_Z_EN: 1
; COMPUTE_PGM_RSRC2:TIDIG_COMP_CNT: 1
	.section	.text._ZL39rocblas_trsm_block_forward_substitutionI19rocblas_complex_numIdES1_PKPKS1_PKPS1_Lb0ELb1ELb0EEv18rocblas_operation_llT0_T1_lllT2_lllib,"axG",@progbits,_ZL39rocblas_trsm_block_forward_substitutionI19rocblas_complex_numIdES1_PKPKS1_PKPS1_Lb0ELb1ELb0EEv18rocblas_operation_llT0_T1_lllT2_lllib,comdat
	.globl	_ZL39rocblas_trsm_block_forward_substitutionI19rocblas_complex_numIdES1_PKPKS1_PKPS1_Lb0ELb1ELb0EEv18rocblas_operation_llT0_T1_lllT2_lllib ; -- Begin function _ZL39rocblas_trsm_block_forward_substitutionI19rocblas_complex_numIdES1_PKPKS1_PKPS1_Lb0ELb1ELb0EEv18rocblas_operation_llT0_T1_lllT2_lllib
	.p2align	8
	.type	_ZL39rocblas_trsm_block_forward_substitutionI19rocblas_complex_numIdES1_PKPKS1_PKPS1_Lb0ELb1ELb0EEv18rocblas_operation_llT0_T1_lllT2_lllib,@function
_ZL39rocblas_trsm_block_forward_substitutionI19rocblas_complex_numIdES1_PKPKS1_PKPS1_Lb0ELb1ELb0EEv18rocblas_operation_llT0_T1_lllT2_lllib: ; @_ZL39rocblas_trsm_block_forward_substitutionI19rocblas_complex_numIdES1_PKPKS1_PKPS1_Lb0ELb1ELb0EEv18rocblas_operation_llT0_T1_lllT2_lllib
; %bb.0:
	s_clause 0x3
	s_load_b32 s3, s[0:1], 0x6c
	s_load_b128 s[4:7], s[0:1], 0x28
	s_load_b64 s[12:13], s[0:1], 0x38
	s_load_b32 s24, s[0:1], 0x7c
	s_mov_b32 s2, s15
	s_load_b64 s[20:21], s[0:1], 0x58
	v_and_b32_e32 v8, 0x3ff, v0
	v_bfe_u32 v12, v0, 10, 10
	s_waitcnt lgkmcnt(0)
	s_bitcmp1_b32 s3, 0
	s_mov_b32 s3, 0
	s_cselect_b32 s10, -1, 0
	s_lshl_b64 s[8:9], s[2:3], 3
	s_xor_b32 s15, s10, -1
	s_add_u32 s2, s4, s8
	s_addc_u32 s3, s5, s9
	s_lshl_b64 s[4:5], s[6:7], 4
	s_load_b64 s[2:3], s[2:3], 0x0
	s_load_b128 s[16:19], s[0:1], 0x48
	s_waitcnt lgkmcnt(0)
	s_add_u32 s2, s2, s4
	s_addc_u32 s3, s3, s5
	s_add_u32 s16, s16, s8
	s_addc_u32 s17, s17, s9
	s_load_b256 s[4:11], s[0:1], 0x8
	s_load_b64 s[16:17], s[16:17], 0x0
	s_add_u32 s22, s0, 0x70
	s_addc_u32 s23, s1, 0
	s_and_b32 vcc_lo, exec_lo, s15
	s_lshr_b32 s26, s24, 16
	s_cbranch_vccnz .LBB245_15
; %bb.1:
	s_waitcnt lgkmcnt(0)
	v_cmp_lt_i64_e64 s24, s[4:5], 1
	s_lshl_b32 s25, s26, 4
	s_delay_alu instid0(VALU_DEP_1)
	s_and_b32 vcc_lo, exec_lo, s24
	s_add_i32 s24, s25, 0
	s_cbranch_vccnz .LBB245_14
; %bb.2:
	v_mad_u64_u32 v[0:1], null, v8, s12, 0
	v_mov_b32_e32 v9, 0
	v_mov_b32_e32 v17, v12
	s_delay_alu instid0(VALU_DEP_2) | instskip(NEXT) | instid1(VALU_DEP_4)
	v_cmp_le_u64_e32 vcc_lo, s[4:5], v[8:9]
	v_mad_u64_u32 v[2:3], null, v8, s13, v[1:2]
	v_lshlrev_b32_e32 v3, 4, v8
	s_xor_b32 s25, vcc_lo, -1
	s_delay_alu instid0(VALU_DEP_1) | instskip(NEXT) | instid1(VALU_DEP_3)
	v_add_co_u32 v15, s2, s2, v3
	v_mov_b32_e32 v1, v2
	v_add_co_ci_u32_e64 v16, null, s3, 0, s2
	v_add_nc_u32_e32 v11, s24, v3
	s_delay_alu instid0(VALU_DEP_3) | instskip(NEXT) | instid1(VALU_DEP_1)
	v_lshlrev_b64 v[0:1], 4, v[0:1]
	v_add_co_u32 v9, s2, v15, v0
	s_delay_alu instid0(VALU_DEP_1)
	v_add_co_ci_u32_e64 v10, s2, v16, v1, s2
	s_mov_b32 s2, s26
	s_branch .LBB245_6
.LBB245_3:                              ;   in Loop: Header=BB245_6 Depth=1
	s_or_b32 exec_lo, exec_lo, s28
	s_load_b32 s28, s[22:23], 0xc
	s_waitcnt lgkmcnt(0)
	s_and_b32 s28, s28, 0xffff
	s_delay_alu instid0(SALU_CYCLE_1) | instskip(NEXT) | instid1(VALU_DEP_1)
	v_mul_u32_u24_e32 v0, s28, v8
	v_lshl_add_u32 v0, v0, 4, v11
	ds_store_2addr_b64 v0, v[13:14], v[6:7] offset1:1
.LBB245_4:                              ;   in Loop: Header=BB245_6 Depth=1
	s_or_b32 exec_lo, exec_lo, s27
.LBB245_5:                              ;   in Loop: Header=BB245_6 Depth=1
	s_delay_alu instid0(SALU_CYCLE_1) | instskip(SKIP_4) | instid1(VALU_DEP_1)
	s_or_b32 exec_lo, exec_lo, s3
	s_ashr_i32 s3, s2, 31
	v_add_nc_u32_e32 v17, s26, v17
	v_cmp_ge_i64_e64 s3, s[2:3], s[4:5]
	s_add_i32 s2, s2, s26
	s_and_b32 vcc_lo, exec_lo, s3
	s_cbranch_vccnz .LBB245_14
.LBB245_6:                              ; =>This Inner Loop Header: Depth=1
	v_cmp_gt_i32_e32 vcc_lo, v8, v17
	s_and_b32 s3, s25, vcc_lo
	s_delay_alu instid0(SALU_CYCLE_1) | instskip(NEXT) | instid1(SALU_CYCLE_1)
	s_and_saveexec_b32 s27, s3
	s_xor_b32 s3, exec_lo, s27
	s_cbranch_execz .LBB245_8
; %bb.7:                                ;   in Loop: Header=BB245_6 Depth=1
	v_ashrrev_i32_e32 v2, 31, v17
	v_mul_lo_u32 v3, v17, s13
	v_mad_u64_u32 v[0:1], null, v17, s12, 0
	s_load_b32 s27, s[22:23], 0xc
	s_delay_alu instid0(VALU_DEP_3) | instskip(NEXT) | instid1(VALU_DEP_1)
	v_mul_lo_u32 v2, v2, s12
	v_add3_u32 v1, v1, v3, v2
	s_delay_alu instid0(VALU_DEP_1) | instskip(SKIP_2) | instid1(VALU_DEP_1)
	v_lshlrev_b64 v[0:1], 4, v[0:1]
	s_waitcnt lgkmcnt(0)
	s_and_b32 s27, s27, 0xffff
	v_add_co_u32 v0, vcc_lo, v15, v0
	s_delay_alu instid0(VALU_DEP_2)
	v_add_co_ci_u32_e32 v1, vcc_lo, v16, v1, vcc_lo
	v_mul_lo_u32 v4, v17, s27
	global_load_b128 v[0:3], v[0:1], off
	v_lshl_add_u32 v4, v4, 4, v11
	s_waitcnt vmcnt(0)
	ds_store_2addr_b64 v4, v[0:1], v[2:3] offset1:1
.LBB245_8:                              ;   in Loop: Header=BB245_6 Depth=1
	s_and_not1_saveexec_b32 s3, s3
	s_cbranch_execz .LBB245_5
; %bb.9:                                ;   in Loop: Header=BB245_6 Depth=1
	v_cmp_eq_u32_e32 vcc_lo, v8, v17
	s_and_b32 s28, s25, vcc_lo
	s_delay_alu instid0(SALU_CYCLE_1)
	s_and_saveexec_b32 s27, s28
	s_cbranch_execz .LBB245_4
; %bb.10:                               ;   in Loop: Header=BB245_6 Depth=1
	global_load_b128 v[0:3], v[9:10], off
	s_mov_b32 s28, exec_lo
                                        ; implicit-def: $vgpr13_vgpr14
	s_waitcnt vmcnt(0)
	v_cmp_gt_f64_e32 vcc_lo, 0, v[0:1]
	v_xor_b32_e32 v5, 0x80000000, v1
	v_mov_b32_e32 v4, v0
	v_xor_b32_e32 v6, 0x80000000, v3
	s_delay_alu instid0(VALU_DEP_3) | instskip(SKIP_1) | instid1(VALU_DEP_3)
	v_cndmask_b32_e32 v5, v1, v5, vcc_lo
	v_cmp_gt_f64_e32 vcc_lo, 0, v[2:3]
	v_dual_cndmask_b32 v7, v3, v6 :: v_dual_mov_b32 v6, v2
	s_delay_alu instid0(VALU_DEP_1)
	v_cmpx_ngt_f64_e32 v[4:5], v[6:7]
	s_xor_b32 s28, exec_lo, s28
                                        ; implicit-def: $vgpr4_vgpr5_vgpr6_vgpr7
	s_cbranch_execz .LBB245_12
; %bb.11:                               ;   in Loop: Header=BB245_6 Depth=1
	v_div_scale_f64 v[4:5], null, v[2:3], v[2:3], v[0:1]
	v_div_scale_f64 v[18:19], vcc_lo, v[0:1], v[2:3], v[0:1]
	s_delay_alu instid0(VALU_DEP_2) | instskip(SKIP_2) | instid1(VALU_DEP_1)
	v_rcp_f64_e32 v[6:7], v[4:5]
	s_waitcnt_depctr 0xfff
	v_fma_f64 v[13:14], -v[4:5], v[6:7], 1.0
	v_fma_f64 v[6:7], v[6:7], v[13:14], v[6:7]
	s_delay_alu instid0(VALU_DEP_1) | instskip(NEXT) | instid1(VALU_DEP_1)
	v_fma_f64 v[13:14], -v[4:5], v[6:7], 1.0
	v_fma_f64 v[6:7], v[6:7], v[13:14], v[6:7]
	s_delay_alu instid0(VALU_DEP_1) | instskip(NEXT) | instid1(VALU_DEP_1)
	v_mul_f64 v[13:14], v[18:19], v[6:7]
	v_fma_f64 v[4:5], -v[4:5], v[13:14], v[18:19]
	s_delay_alu instid0(VALU_DEP_1) | instskip(NEXT) | instid1(VALU_DEP_1)
	v_div_fmas_f64 v[4:5], v[4:5], v[6:7], v[13:14]
	v_div_fixup_f64 v[4:5], v[4:5], v[2:3], v[0:1]
	s_delay_alu instid0(VALU_DEP_1) | instskip(NEXT) | instid1(VALU_DEP_1)
	v_fma_f64 v[0:1], v[0:1], v[4:5], v[2:3]
	v_div_scale_f64 v[2:3], null, v[0:1], v[0:1], 1.0
	s_delay_alu instid0(VALU_DEP_1) | instskip(SKIP_2) | instid1(VALU_DEP_1)
	v_rcp_f64_e32 v[6:7], v[2:3]
	s_waitcnt_depctr 0xfff
	v_fma_f64 v[13:14], -v[2:3], v[6:7], 1.0
	v_fma_f64 v[6:7], v[6:7], v[13:14], v[6:7]
	s_delay_alu instid0(VALU_DEP_1) | instskip(NEXT) | instid1(VALU_DEP_1)
	v_fma_f64 v[13:14], -v[2:3], v[6:7], 1.0
	v_fma_f64 v[6:7], v[6:7], v[13:14], v[6:7]
	v_div_scale_f64 v[13:14], vcc_lo, 1.0, v[0:1], 1.0
	s_delay_alu instid0(VALU_DEP_1) | instskip(NEXT) | instid1(VALU_DEP_1)
	v_mul_f64 v[18:19], v[13:14], v[6:7]
	v_fma_f64 v[2:3], -v[2:3], v[18:19], v[13:14]
	s_delay_alu instid0(VALU_DEP_1) | instskip(NEXT) | instid1(VALU_DEP_1)
	v_div_fmas_f64 v[2:3], v[2:3], v[6:7], v[18:19]
	v_div_fixup_f64 v[6:7], v[2:3], v[0:1], 1.0
                                        ; implicit-def: $vgpr0_vgpr1
	s_delay_alu instid0(VALU_DEP_1)
	v_mul_f64 v[13:14], v[4:5], v[6:7]
	v_xor_b32_e32 v7, 0x80000000, v7
.LBB245_12:                             ;   in Loop: Header=BB245_6 Depth=1
	s_and_not1_saveexec_b32 s28, s28
	s_cbranch_execz .LBB245_3
; %bb.13:                               ;   in Loop: Header=BB245_6 Depth=1
	v_div_scale_f64 v[4:5], null, v[0:1], v[0:1], v[2:3]
	v_div_scale_f64 v[18:19], vcc_lo, v[2:3], v[0:1], v[2:3]
	s_delay_alu instid0(VALU_DEP_2) | instskip(SKIP_2) | instid1(VALU_DEP_1)
	v_rcp_f64_e32 v[6:7], v[4:5]
	s_waitcnt_depctr 0xfff
	v_fma_f64 v[13:14], -v[4:5], v[6:7], 1.0
	v_fma_f64 v[6:7], v[6:7], v[13:14], v[6:7]
	s_delay_alu instid0(VALU_DEP_1) | instskip(NEXT) | instid1(VALU_DEP_1)
	v_fma_f64 v[13:14], -v[4:5], v[6:7], 1.0
	v_fma_f64 v[6:7], v[6:7], v[13:14], v[6:7]
	s_delay_alu instid0(VALU_DEP_1) | instskip(NEXT) | instid1(VALU_DEP_1)
	v_mul_f64 v[13:14], v[18:19], v[6:7]
	v_fma_f64 v[4:5], -v[4:5], v[13:14], v[18:19]
	s_delay_alu instid0(VALU_DEP_1) | instskip(NEXT) | instid1(VALU_DEP_1)
	v_div_fmas_f64 v[4:5], v[4:5], v[6:7], v[13:14]
	v_div_fixup_f64 v[4:5], v[4:5], v[0:1], v[2:3]
	s_delay_alu instid0(VALU_DEP_1) | instskip(NEXT) | instid1(VALU_DEP_1)
	v_fma_f64 v[0:1], v[2:3], v[4:5], v[0:1]
	v_div_scale_f64 v[2:3], null, v[0:1], v[0:1], 1.0
	s_delay_alu instid0(VALU_DEP_1) | instskip(SKIP_2) | instid1(VALU_DEP_1)
	v_rcp_f64_e32 v[6:7], v[2:3]
	s_waitcnt_depctr 0xfff
	v_fma_f64 v[13:14], -v[2:3], v[6:7], 1.0
	v_fma_f64 v[6:7], v[6:7], v[13:14], v[6:7]
	s_delay_alu instid0(VALU_DEP_1) | instskip(NEXT) | instid1(VALU_DEP_1)
	v_fma_f64 v[13:14], -v[2:3], v[6:7], 1.0
	v_fma_f64 v[6:7], v[6:7], v[13:14], v[6:7]
	v_div_scale_f64 v[13:14], vcc_lo, 1.0, v[0:1], 1.0
	s_delay_alu instid0(VALU_DEP_1) | instskip(NEXT) | instid1(VALU_DEP_1)
	v_mul_f64 v[18:19], v[13:14], v[6:7]
	v_fma_f64 v[2:3], -v[2:3], v[18:19], v[13:14]
	s_delay_alu instid0(VALU_DEP_1) | instskip(NEXT) | instid1(VALU_DEP_1)
	v_div_fmas_f64 v[2:3], v[2:3], v[6:7], v[18:19]
	v_div_fixup_f64 v[13:14], v[2:3], v[0:1], 1.0
	s_delay_alu instid0(VALU_DEP_1)
	v_mul_f64 v[6:7], v[4:5], -v[13:14]
	s_branch .LBB245_3
.LBB245_14:
	s_load_b32 s12, s[22:23], 0xc
	s_mov_b64 s[2:3], src_shared_base
	s_mov_b32 s13, 0
	s_mov_b32 s25, s3
	s_delay_alu instid0(SALU_CYCLE_1)
	s_mov_b64 s[2:3], s[24:25]
	s_waitcnt lgkmcnt(0)
	s_and_b32 s12, s12, 0xffff
.LBB245_15:
	v_mad_u64_u32 v[0:1], null, s14, s26, v[12:13]
	v_mov_b32_e32 v1, 0
	s_waitcnt lgkmcnt(0)
	s_delay_alu instid0(VALU_DEP_1)
	v_cmp_gt_i64_e32 vcc_lo, s[6:7], v[0:1]
	s_and_saveexec_b32 s6, vcc_lo
	s_cbranch_execz .LBB245_39
; %bb.16:
	v_mov_b32_e32 v9, v1
	s_delay_alu instid0(VALU_DEP_1)
	v_cmp_gt_i64_e32 vcc_lo, s[4:5], v[8:9]
	s_and_b32 exec_lo, exec_lo, vcc_lo
	s_cbranch_execz .LBB245_39
; %bb.17:
	v_mad_u64_u32 v[2:3], null, v8, s20, 0
	s_lshl_b64 s[6:7], s[18:19], 4
	v_lshlrev_b64 v[0:1], 4, v[0:1]
	s_add_u32 s6, s16, s6
	s_addc_u32 s7, s17, s7
	s_delay_alu instid0(VALU_DEP_2) | instskip(NEXT) | instid1(VALU_DEP_1)
	v_mad_u64_u32 v[4:5], null, v8, s21, v[3:4]
	v_mov_b32_e32 v3, v4
	s_delay_alu instid0(VALU_DEP_1) | instskip(NEXT) | instid1(VALU_DEP_1)
	v_lshlrev_b64 v[2:3], 4, v[2:3]
	v_add_co_u32 v2, vcc_lo, s6, v2
	s_delay_alu instid0(VALU_DEP_2) | instskip(SKIP_1) | instid1(VALU_DEP_3)
	v_add_co_ci_u32_e32 v3, vcc_lo, s7, v3, vcc_lo
	v_cmp_lt_u64_e64 s6, s[4:5], 2
	v_add_co_u32 v6, vcc_lo, v2, v0
	s_delay_alu instid0(VALU_DEP_3) | instskip(SKIP_2) | instid1(VALU_DEP_3)
	v_add_co_ci_u32_e32 v7, vcc_lo, v3, v1, vcc_lo
	s_add_u32 s4, s4, -1
	s_addc_u32 s5, s5, -1
	s_and_b32 vcc_lo, exec_lo, s6
	global_load_b128 v[2:5], v[6:7], off
	s_waitcnt vmcnt(0)
	v_mul_f64 v[0:1], s[10:11], v[4:5]
	v_mul_f64 v[4:5], s[8:9], v[4:5]
	s_delay_alu instid0(VALU_DEP_2) | instskip(NEXT) | instid1(VALU_DEP_2)
	v_fma_f64 v[0:1], s[8:9], v[2:3], -v[0:1]
	v_fma_f64 v[10:11], s[10:11], v[2:3], v[4:5]
	s_cbranch_vccnz .LBB245_30
; %bb.18:
	v_mad_u64_u32 v[2:3], null, v8, s12, v[8:9]
	s_load_b32 s0, s[0:1], 0x0
	v_lshl_add_u32 v16, v12, 4, 0
	s_mov_b64 s[8:9], 0
	s_delay_alu instid0(VALU_DEP_2) | instskip(NEXT) | instid1(VALU_DEP_1)
	v_mad_u64_u32 v[4:5], null, v8, s13, v[3:4]
	v_dual_mov_b32 v3, v4 :: v_dual_lshlrev_b32 v4, 4, v8
	s_delay_alu instid0(VALU_DEP_1) | instskip(NEXT) | instid1(VALU_DEP_2)
	v_lshlrev_b64 v[2:3], 4, v[2:3]
	v_add_co_u32 v12, s1, s2, v4
	s_delay_alu instid0(VALU_DEP_1) | instskip(SKIP_2) | instid1(VALU_DEP_3)
	v_add_co_ci_u32_e64 v13, null, s3, 0, s1
	s_waitcnt lgkmcnt(0)
	s_cmpk_eq_i32 s0, 0x71
	v_add_co_u32 v14, vcc_lo, s2, v2
	v_add_co_ci_u32_e32 v15, vcc_lo, s3, v3, vcc_lo
	s_cselect_b32 s0, -1, 0
	s_lshl_b64 s[6:7], s[12:13], 4
	s_branch .LBB245_20
.LBB245_19:                             ;   in Loop: Header=BB245_20 Depth=1
	s_or_b32 exec_lo, exec_lo, s1
	v_add_co_u32 v12, vcc_lo, v12, s6
	s_add_u32 s8, s8, 1
	v_add_co_ci_u32_e32 v13, vcc_lo, s7, v13, vcc_lo
	s_addc_u32 s9, s9, 0
	s_delay_alu instid0(SALU_CYCLE_1)
	s_cmp_eq_u64 s[4:5], s[8:9]
	s_cbranch_scc1 .LBB245_30
.LBB245_20:                             ; =>This Inner Loop Header: Depth=1
	s_mov_b32 s10, exec_lo
	s_barrier
	buffer_gl0_inv
	v_cmpx_eq_u64_e64 s[8:9], v[8:9]
	s_cbranch_execz .LBB245_28
; %bb.21:                               ;   in Loop: Header=BB245_20 Depth=1
	flat_load_b128 v[2:5], v[14:15]
	s_and_not1_b32 vcc_lo, exec_lo, s15
	s_cbranch_vccnz .LBB245_27
; %bb.22:                               ;   in Loop: Header=BB245_20 Depth=1
	s_waitcnt vmcnt(0) lgkmcnt(0)
	v_cmp_gt_f64_e32 vcc_lo, 0, v[2:3]
	v_cmp_gt_f64_e64 s1, 0, v[4:5]
	v_xor_b32_e32 v17, 0x80000000, v3
	v_xor_b32_e32 v19, 0x80000000, v5
	s_delay_alu instid0(VALU_DEP_2) | instskip(NEXT) | instid1(VALU_DEP_2)
	v_dual_cndmask_b32 v18, v3, v17 :: v_dual_cndmask_b32 v17, v2, v2
	v_cndmask_b32_e64 v20, v5, v19, s1
	v_cndmask_b32_e64 v19, v4, v4, s1
	s_mov_b32 s1, exec_lo
	s_delay_alu instid0(VALU_DEP_1)
	v_cmpx_ngt_f64_e32 v[17:18], v[19:20]
	s_xor_b32 s1, exec_lo, s1
	s_cbranch_execz .LBB245_24
; %bb.23:                               ;   in Loop: Header=BB245_20 Depth=1
	v_div_scale_f64 v[17:18], null, v[4:5], v[4:5], v[2:3]
	v_div_scale_f64 v[23:24], vcc_lo, v[2:3], v[4:5], v[2:3]
	s_delay_alu instid0(VALU_DEP_2) | instskip(SKIP_2) | instid1(VALU_DEP_1)
	v_rcp_f64_e32 v[19:20], v[17:18]
	s_waitcnt_depctr 0xfff
	v_fma_f64 v[21:22], -v[17:18], v[19:20], 1.0
	v_fma_f64 v[19:20], v[19:20], v[21:22], v[19:20]
	s_delay_alu instid0(VALU_DEP_1) | instskip(NEXT) | instid1(VALU_DEP_1)
	v_fma_f64 v[21:22], -v[17:18], v[19:20], 1.0
	v_fma_f64 v[19:20], v[19:20], v[21:22], v[19:20]
	s_delay_alu instid0(VALU_DEP_1) | instskip(NEXT) | instid1(VALU_DEP_1)
	v_mul_f64 v[21:22], v[23:24], v[19:20]
	v_fma_f64 v[17:18], -v[17:18], v[21:22], v[23:24]
	s_delay_alu instid0(VALU_DEP_1) | instskip(NEXT) | instid1(VALU_DEP_1)
	v_div_fmas_f64 v[17:18], v[17:18], v[19:20], v[21:22]
	v_div_fixup_f64 v[17:18], v[17:18], v[4:5], v[2:3]
	s_delay_alu instid0(VALU_DEP_1) | instskip(NEXT) | instid1(VALU_DEP_1)
	v_fma_f64 v[2:3], v[2:3], v[17:18], v[4:5]
	v_div_scale_f64 v[4:5], null, v[2:3], v[2:3], 1.0
	s_delay_alu instid0(VALU_DEP_1) | instskip(SKIP_2) | instid1(VALU_DEP_1)
	v_rcp_f64_e32 v[19:20], v[4:5]
	s_waitcnt_depctr 0xfff
	v_fma_f64 v[21:22], -v[4:5], v[19:20], 1.0
	v_fma_f64 v[19:20], v[19:20], v[21:22], v[19:20]
	s_delay_alu instid0(VALU_DEP_1) | instskip(NEXT) | instid1(VALU_DEP_1)
	v_fma_f64 v[21:22], -v[4:5], v[19:20], 1.0
	v_fma_f64 v[19:20], v[19:20], v[21:22], v[19:20]
	v_div_scale_f64 v[21:22], vcc_lo, 1.0, v[2:3], 1.0
	s_delay_alu instid0(VALU_DEP_1) | instskip(NEXT) | instid1(VALU_DEP_1)
	v_mul_f64 v[23:24], v[21:22], v[19:20]
	v_fma_f64 v[4:5], -v[4:5], v[23:24], v[21:22]
	s_delay_alu instid0(VALU_DEP_1) | instskip(NEXT) | instid1(VALU_DEP_1)
	v_div_fmas_f64 v[4:5], v[4:5], v[19:20], v[23:24]
	v_div_fixup_f64 v[4:5], v[4:5], v[2:3], 1.0
	s_delay_alu instid0(VALU_DEP_1)
	v_mul_f64 v[2:3], v[17:18], v[4:5]
	v_xor_b32_e32 v5, 0x80000000, v5
.LBB245_24:                             ;   in Loop: Header=BB245_20 Depth=1
	s_and_not1_saveexec_b32 s1, s1
	s_cbranch_execz .LBB245_26
; %bb.25:                               ;   in Loop: Header=BB245_20 Depth=1
	s_delay_alu instid0(VALU_DEP_1) | instskip(SKIP_1) | instid1(VALU_DEP_2)
	v_div_scale_f64 v[17:18], null, v[2:3], v[2:3], v[4:5]
	v_div_scale_f64 v[23:24], vcc_lo, v[4:5], v[2:3], v[4:5]
	v_rcp_f64_e32 v[19:20], v[17:18]
	s_waitcnt_depctr 0xfff
	v_fma_f64 v[21:22], -v[17:18], v[19:20], 1.0
	s_delay_alu instid0(VALU_DEP_1) | instskip(NEXT) | instid1(VALU_DEP_1)
	v_fma_f64 v[19:20], v[19:20], v[21:22], v[19:20]
	v_fma_f64 v[21:22], -v[17:18], v[19:20], 1.0
	s_delay_alu instid0(VALU_DEP_1) | instskip(NEXT) | instid1(VALU_DEP_1)
	v_fma_f64 v[19:20], v[19:20], v[21:22], v[19:20]
	v_mul_f64 v[21:22], v[23:24], v[19:20]
	s_delay_alu instid0(VALU_DEP_1) | instskip(NEXT) | instid1(VALU_DEP_1)
	v_fma_f64 v[17:18], -v[17:18], v[21:22], v[23:24]
	v_div_fmas_f64 v[17:18], v[17:18], v[19:20], v[21:22]
	s_delay_alu instid0(VALU_DEP_1) | instskip(NEXT) | instid1(VALU_DEP_1)
	v_div_fixup_f64 v[17:18], v[17:18], v[2:3], v[4:5]
	v_fma_f64 v[2:3], v[4:5], v[17:18], v[2:3]
	s_delay_alu instid0(VALU_DEP_1) | instskip(NEXT) | instid1(VALU_DEP_1)
	v_div_scale_f64 v[4:5], null, v[2:3], v[2:3], 1.0
	v_rcp_f64_e32 v[19:20], v[4:5]
	s_waitcnt_depctr 0xfff
	v_fma_f64 v[21:22], -v[4:5], v[19:20], 1.0
	s_delay_alu instid0(VALU_DEP_1) | instskip(NEXT) | instid1(VALU_DEP_1)
	v_fma_f64 v[19:20], v[19:20], v[21:22], v[19:20]
	v_fma_f64 v[21:22], -v[4:5], v[19:20], 1.0
	s_delay_alu instid0(VALU_DEP_1) | instskip(SKIP_1) | instid1(VALU_DEP_1)
	v_fma_f64 v[19:20], v[19:20], v[21:22], v[19:20]
	v_div_scale_f64 v[21:22], vcc_lo, 1.0, v[2:3], 1.0
	v_mul_f64 v[23:24], v[21:22], v[19:20]
	s_delay_alu instid0(VALU_DEP_1) | instskip(NEXT) | instid1(VALU_DEP_1)
	v_fma_f64 v[4:5], -v[4:5], v[23:24], v[21:22]
	v_div_fmas_f64 v[4:5], v[4:5], v[19:20], v[23:24]
	s_delay_alu instid0(VALU_DEP_1) | instskip(NEXT) | instid1(VALU_DEP_1)
	v_div_fixup_f64 v[2:3], v[4:5], v[2:3], 1.0
	v_mul_f64 v[4:5], v[17:18], -v[2:3]
.LBB245_26:                             ;   in Loop: Header=BB245_20 Depth=1
	s_or_b32 exec_lo, exec_lo, s1
.LBB245_27:                             ;   in Loop: Header=BB245_20 Depth=1
	s_waitcnt vmcnt(0) lgkmcnt(0)
	s_delay_alu instid0(VALU_DEP_1) | instskip(SKIP_1) | instid1(VALU_DEP_2)
	v_mul_f64 v[17:18], v[10:11], v[4:5]
	v_mul_f64 v[4:5], v[0:1], v[4:5]
	v_fma_f64 v[17:18], v[0:1], v[2:3], -v[17:18]
	s_delay_alu instid0(VALU_DEP_2) | instskip(NEXT) | instid1(VALU_DEP_2)
	v_fma_f64 v[10:11], v[10:11], v[2:3], v[4:5]
	v_dual_mov_b32 v0, v17 :: v_dual_mov_b32 v1, v18
	ds_store_2addr_b64 v16, v[17:18], v[10:11] offset1:1
.LBB245_28:                             ;   in Loop: Header=BB245_20 Depth=1
	s_or_b32 exec_lo, exec_lo, s10
	s_delay_alu instid0(SALU_CYCLE_1)
	s_mov_b32 s1, exec_lo
	s_waitcnt lgkmcnt(0)
	s_barrier
	buffer_gl0_inv
	v_cmpx_lt_u64_e64 s[8:9], v[8:9]
	s_cbranch_execz .LBB245_19
; %bb.29:                               ;   in Loop: Header=BB245_20 Depth=1
	flat_load_b128 v[2:5], v[12:13]
	ds_load_2addr_b64 v[17:20], v16 offset1:1
	s_waitcnt vmcnt(0) lgkmcnt(1)
	v_xor_b32_e32 v21, 0x80000000, v5
	s_delay_alu instid0(VALU_DEP_1) | instskip(SKIP_1) | instid1(VALU_DEP_1)
	v_cndmask_b32_e64 v5, v5, v21, s0
	s_waitcnt lgkmcnt(0)
	v_mul_f64 v[21:22], v[4:5], v[19:20]
	v_mul_f64 v[19:20], v[2:3], v[19:20]
	s_delay_alu instid0(VALU_DEP_2) | instskip(NEXT) | instid1(VALU_DEP_2)
	v_fma_f64 v[2:3], v[2:3], v[17:18], -v[21:22]
	v_fma_f64 v[4:5], v[4:5], v[17:18], v[19:20]
	s_delay_alu instid0(VALU_DEP_2) | instskip(NEXT) | instid1(VALU_DEP_2)
	v_add_f64 v[0:1], v[0:1], -v[2:3]
	v_add_f64 v[10:11], v[10:11], -v[4:5]
	s_branch .LBB245_19
.LBB245_30:
	s_mov_b32 s1, exec_lo
	v_cmpx_eq_u64_e64 s[4:5], v[8:9]
	s_cbranch_execz .LBB245_38
; %bb.31:
	v_mad_u64_u32 v[2:3], null, v8, s12, v[8:9]
	s_delay_alu instid0(VALU_DEP_1) | instskip(NEXT) | instid1(VALU_DEP_1)
	v_mad_u64_u32 v[4:5], null, v8, s13, v[3:4]
	v_mov_b32_e32 v3, v4
	s_delay_alu instid0(VALU_DEP_1) | instskip(NEXT) | instid1(VALU_DEP_1)
	v_lshlrev_b64 v[2:3], 4, v[2:3]
	v_add_co_u32 v2, vcc_lo, s2, v2
	s_delay_alu instid0(VALU_DEP_2)
	v_add_co_ci_u32_e32 v3, vcc_lo, s3, v3, vcc_lo
	s_and_not1_b32 vcc_lo, exec_lo, s15
	flat_load_b128 v[2:5], v[2:3]
	s_cbranch_vccnz .LBB245_37
; %bb.32:
	s_waitcnt vmcnt(0) lgkmcnt(0)
	v_cmp_gt_f64_e32 vcc_lo, 0, v[2:3]
	v_cmp_gt_f64_e64 s0, 0, v[4:5]
	v_xor_b32_e32 v8, 0x80000000, v3
	v_xor_b32_e32 v12, 0x80000000, v5
	s_delay_alu instid0(VALU_DEP_2) | instskip(NEXT) | instid1(VALU_DEP_2)
	v_dual_cndmask_b32 v9, v3, v8 :: v_dual_cndmask_b32 v8, v2, v2
	v_cndmask_b32_e64 v13, v5, v12, s0
	v_cndmask_b32_e64 v12, v4, v4, s0
	s_mov_b32 s0, exec_lo
	s_delay_alu instid0(VALU_DEP_1)
	v_cmpx_ngt_f64_e32 v[8:9], v[12:13]
	s_xor_b32 s0, exec_lo, s0
	s_cbranch_execz .LBB245_34
; %bb.33:
	v_div_scale_f64 v[8:9], null, v[4:5], v[4:5], v[2:3]
	v_div_scale_f64 v[16:17], vcc_lo, v[2:3], v[4:5], v[2:3]
	s_delay_alu instid0(VALU_DEP_2) | instskip(SKIP_2) | instid1(VALU_DEP_1)
	v_rcp_f64_e32 v[12:13], v[8:9]
	s_waitcnt_depctr 0xfff
	v_fma_f64 v[14:15], -v[8:9], v[12:13], 1.0
	v_fma_f64 v[12:13], v[12:13], v[14:15], v[12:13]
	s_delay_alu instid0(VALU_DEP_1) | instskip(NEXT) | instid1(VALU_DEP_1)
	v_fma_f64 v[14:15], -v[8:9], v[12:13], 1.0
	v_fma_f64 v[12:13], v[12:13], v[14:15], v[12:13]
	s_delay_alu instid0(VALU_DEP_1) | instskip(NEXT) | instid1(VALU_DEP_1)
	v_mul_f64 v[14:15], v[16:17], v[12:13]
	v_fma_f64 v[8:9], -v[8:9], v[14:15], v[16:17]
	s_delay_alu instid0(VALU_DEP_1) | instskip(NEXT) | instid1(VALU_DEP_1)
	v_div_fmas_f64 v[8:9], v[8:9], v[12:13], v[14:15]
	v_div_fixup_f64 v[8:9], v[8:9], v[4:5], v[2:3]
	s_delay_alu instid0(VALU_DEP_1) | instskip(NEXT) | instid1(VALU_DEP_1)
	v_fma_f64 v[2:3], v[2:3], v[8:9], v[4:5]
	v_div_scale_f64 v[4:5], null, v[2:3], v[2:3], 1.0
	s_delay_alu instid0(VALU_DEP_1) | instskip(SKIP_2) | instid1(VALU_DEP_1)
	v_rcp_f64_e32 v[12:13], v[4:5]
	s_waitcnt_depctr 0xfff
	v_fma_f64 v[14:15], -v[4:5], v[12:13], 1.0
	v_fma_f64 v[12:13], v[12:13], v[14:15], v[12:13]
	s_delay_alu instid0(VALU_DEP_1) | instskip(NEXT) | instid1(VALU_DEP_1)
	v_fma_f64 v[14:15], -v[4:5], v[12:13], 1.0
	v_fma_f64 v[12:13], v[12:13], v[14:15], v[12:13]
	v_div_scale_f64 v[14:15], vcc_lo, 1.0, v[2:3], 1.0
	s_delay_alu instid0(VALU_DEP_1) | instskip(NEXT) | instid1(VALU_DEP_1)
	v_mul_f64 v[16:17], v[14:15], v[12:13]
	v_fma_f64 v[4:5], -v[4:5], v[16:17], v[14:15]
	s_delay_alu instid0(VALU_DEP_1) | instskip(NEXT) | instid1(VALU_DEP_1)
	v_div_fmas_f64 v[4:5], v[4:5], v[12:13], v[16:17]
	v_div_fixup_f64 v[4:5], v[4:5], v[2:3], 1.0
	s_delay_alu instid0(VALU_DEP_1)
	v_mul_f64 v[2:3], v[8:9], v[4:5]
	v_xor_b32_e32 v5, 0x80000000, v5
.LBB245_34:
	s_and_not1_saveexec_b32 s0, s0
	s_cbranch_execz .LBB245_36
; %bb.35:
	s_delay_alu instid0(VALU_DEP_1) | instskip(SKIP_1) | instid1(VALU_DEP_2)
	v_div_scale_f64 v[8:9], null, v[2:3], v[2:3], v[4:5]
	v_div_scale_f64 v[16:17], vcc_lo, v[4:5], v[2:3], v[4:5]
	v_rcp_f64_e32 v[12:13], v[8:9]
	s_waitcnt_depctr 0xfff
	v_fma_f64 v[14:15], -v[8:9], v[12:13], 1.0
	s_delay_alu instid0(VALU_DEP_1) | instskip(NEXT) | instid1(VALU_DEP_1)
	v_fma_f64 v[12:13], v[12:13], v[14:15], v[12:13]
	v_fma_f64 v[14:15], -v[8:9], v[12:13], 1.0
	s_delay_alu instid0(VALU_DEP_1) | instskip(NEXT) | instid1(VALU_DEP_1)
	v_fma_f64 v[12:13], v[12:13], v[14:15], v[12:13]
	v_mul_f64 v[14:15], v[16:17], v[12:13]
	s_delay_alu instid0(VALU_DEP_1) | instskip(NEXT) | instid1(VALU_DEP_1)
	v_fma_f64 v[8:9], -v[8:9], v[14:15], v[16:17]
	v_div_fmas_f64 v[8:9], v[8:9], v[12:13], v[14:15]
	s_delay_alu instid0(VALU_DEP_1) | instskip(NEXT) | instid1(VALU_DEP_1)
	v_div_fixup_f64 v[8:9], v[8:9], v[2:3], v[4:5]
	v_fma_f64 v[2:3], v[4:5], v[8:9], v[2:3]
	s_delay_alu instid0(VALU_DEP_1) | instskip(NEXT) | instid1(VALU_DEP_1)
	v_div_scale_f64 v[4:5], null, v[2:3], v[2:3], 1.0
	v_rcp_f64_e32 v[12:13], v[4:5]
	s_waitcnt_depctr 0xfff
	v_fma_f64 v[14:15], -v[4:5], v[12:13], 1.0
	s_delay_alu instid0(VALU_DEP_1) | instskip(NEXT) | instid1(VALU_DEP_1)
	v_fma_f64 v[12:13], v[12:13], v[14:15], v[12:13]
	v_fma_f64 v[14:15], -v[4:5], v[12:13], 1.0
	s_delay_alu instid0(VALU_DEP_1) | instskip(SKIP_1) | instid1(VALU_DEP_1)
	v_fma_f64 v[12:13], v[12:13], v[14:15], v[12:13]
	v_div_scale_f64 v[14:15], vcc_lo, 1.0, v[2:3], 1.0
	v_mul_f64 v[16:17], v[14:15], v[12:13]
	s_delay_alu instid0(VALU_DEP_1) | instskip(NEXT) | instid1(VALU_DEP_1)
	v_fma_f64 v[4:5], -v[4:5], v[16:17], v[14:15]
	v_div_fmas_f64 v[4:5], v[4:5], v[12:13], v[16:17]
	s_delay_alu instid0(VALU_DEP_1) | instskip(NEXT) | instid1(VALU_DEP_1)
	v_div_fixup_f64 v[2:3], v[4:5], v[2:3], 1.0
	v_mul_f64 v[4:5], v[8:9], -v[2:3]
.LBB245_36:
	s_or_b32 exec_lo, exec_lo, s0
.LBB245_37:
	s_waitcnt vmcnt(0) lgkmcnt(0)
	s_delay_alu instid0(VALU_DEP_1) | instskip(NEXT) | instid1(VALU_DEP_3)
	v_mul_f64 v[8:9], v[10:11], v[4:5]
	v_mul_f64 v[10:11], v[10:11], v[2:3]
	s_delay_alu instid0(VALU_DEP_2) | instskip(NEXT) | instid1(VALU_DEP_2)
	v_fma_f64 v[2:3], v[0:1], v[2:3], -v[8:9]
	v_fma_f64 v[10:11], v[0:1], v[4:5], v[10:11]
	s_delay_alu instid0(VALU_DEP_2)
	v_dual_mov_b32 v0, v2 :: v_dual_mov_b32 v1, v3
.LBB245_38:
	s_or_b32 exec_lo, exec_lo, s1
	s_delay_alu instid0(VALU_DEP_2)
	v_dual_mov_b32 v2, v10 :: v_dual_mov_b32 v3, v11
	global_store_b128 v[6:7], v[0:3], off
.LBB245_39:
	s_nop 0
	s_sendmsg sendmsg(MSG_DEALLOC_VGPRS)
	s_endpgm
	.section	.rodata,"a",@progbits
	.p2align	6, 0x0
	.amdhsa_kernel _ZL39rocblas_trsm_block_forward_substitutionI19rocblas_complex_numIdES1_PKPKS1_PKPS1_Lb0ELb1ELb0EEv18rocblas_operation_llT0_T1_lllT2_lllib
		.amdhsa_group_segment_fixed_size 0
		.amdhsa_private_segment_fixed_size 0
		.amdhsa_kernarg_size 368
		.amdhsa_user_sgpr_count 13
		.amdhsa_user_sgpr_dispatch_ptr 0
		.amdhsa_user_sgpr_queue_ptr 0
		.amdhsa_user_sgpr_kernarg_segment_ptr 1
		.amdhsa_user_sgpr_dispatch_id 0
		.amdhsa_user_sgpr_private_segment_size 0
		.amdhsa_wavefront_size32 1
		.amdhsa_uses_dynamic_stack 0
		.amdhsa_enable_private_segment 0
		.amdhsa_system_sgpr_workgroup_id_x 1
		.amdhsa_system_sgpr_workgroup_id_y 1
		.amdhsa_system_sgpr_workgroup_id_z 1
		.amdhsa_system_sgpr_workgroup_info 0
		.amdhsa_system_vgpr_workitem_id 1
		.amdhsa_next_free_vgpr 25
		.amdhsa_next_free_sgpr 29
		.amdhsa_reserve_vcc 1
		.amdhsa_float_round_mode_32 0
		.amdhsa_float_round_mode_16_64 0
		.amdhsa_float_denorm_mode_32 3
		.amdhsa_float_denorm_mode_16_64 3
		.amdhsa_dx10_clamp 1
		.amdhsa_ieee_mode 1
		.amdhsa_fp16_overflow 0
		.amdhsa_workgroup_processor_mode 1
		.amdhsa_memory_ordered 1
		.amdhsa_forward_progress 0
		.amdhsa_shared_vgpr_count 0
		.amdhsa_exception_fp_ieee_invalid_op 0
		.amdhsa_exception_fp_denorm_src 0
		.amdhsa_exception_fp_ieee_div_zero 0
		.amdhsa_exception_fp_ieee_overflow 0
		.amdhsa_exception_fp_ieee_underflow 0
		.amdhsa_exception_fp_ieee_inexact 0
		.amdhsa_exception_int_div_zero 0
	.end_amdhsa_kernel
	.section	.text._ZL39rocblas_trsm_block_forward_substitutionI19rocblas_complex_numIdES1_PKPKS1_PKPS1_Lb0ELb1ELb0EEv18rocblas_operation_llT0_T1_lllT2_lllib,"axG",@progbits,_ZL39rocblas_trsm_block_forward_substitutionI19rocblas_complex_numIdES1_PKPKS1_PKPS1_Lb0ELb1ELb0EEv18rocblas_operation_llT0_T1_lllT2_lllib,comdat
.Lfunc_end245:
	.size	_ZL39rocblas_trsm_block_forward_substitutionI19rocblas_complex_numIdES1_PKPKS1_PKPS1_Lb0ELb1ELb0EEv18rocblas_operation_llT0_T1_lllT2_lllib, .Lfunc_end245-_ZL39rocblas_trsm_block_forward_substitutionI19rocblas_complex_numIdES1_PKPKS1_PKPS1_Lb0ELb1ELb0EEv18rocblas_operation_llT0_T1_lllT2_lllib
                                        ; -- End function
	.section	.AMDGPU.csdata,"",@progbits
; Kernel info:
; codeLenInByte = 3092
; NumSgprs: 31
; NumVgprs: 25
; ScratchSize: 0
; MemoryBound: 1
; FloatMode: 240
; IeeeMode: 1
; LDSByteSize: 0 bytes/workgroup (compile time only)
; SGPRBlocks: 3
; VGPRBlocks: 3
; NumSGPRsForWavesPerEU: 31
; NumVGPRsForWavesPerEU: 25
; Occupancy: 16
; WaveLimiterHint : 1
; COMPUTE_PGM_RSRC2:SCRATCH_EN: 0
; COMPUTE_PGM_RSRC2:USER_SGPR: 13
; COMPUTE_PGM_RSRC2:TRAP_HANDLER: 0
; COMPUTE_PGM_RSRC2:TGID_X_EN: 1
; COMPUTE_PGM_RSRC2:TGID_Y_EN: 1
; COMPUTE_PGM_RSRC2:TGID_Z_EN: 1
; COMPUTE_PGM_RSRC2:TIDIG_COMP_CNT: 1
	.section	.text._ZL40rocblas_trsm_block_backward_substitutionI19rocblas_complex_numIdES1_PKPKS1_PKPS1_Lb0ELb1ELb0EEv18rocblas_operation_llT0_T1_lllT2_lllib,"axG",@progbits,_ZL40rocblas_trsm_block_backward_substitutionI19rocblas_complex_numIdES1_PKPKS1_PKPS1_Lb0ELb1ELb0EEv18rocblas_operation_llT0_T1_lllT2_lllib,comdat
	.globl	_ZL40rocblas_trsm_block_backward_substitutionI19rocblas_complex_numIdES1_PKPKS1_PKPS1_Lb0ELb1ELb0EEv18rocblas_operation_llT0_T1_lllT2_lllib ; -- Begin function _ZL40rocblas_trsm_block_backward_substitutionI19rocblas_complex_numIdES1_PKPKS1_PKPS1_Lb0ELb1ELb0EEv18rocblas_operation_llT0_T1_lllT2_lllib
	.p2align	8
	.type	_ZL40rocblas_trsm_block_backward_substitutionI19rocblas_complex_numIdES1_PKPKS1_PKPS1_Lb0ELb1ELb0EEv18rocblas_operation_llT0_T1_lllT2_lllib,@function
_ZL40rocblas_trsm_block_backward_substitutionI19rocblas_complex_numIdES1_PKPKS1_PKPS1_Lb0ELb1ELb0EEv18rocblas_operation_llT0_T1_lllT2_lllib: ; @_ZL40rocblas_trsm_block_backward_substitutionI19rocblas_complex_numIdES1_PKPKS1_PKPS1_Lb0ELb1ELb0EEv18rocblas_operation_llT0_T1_lllT2_lllib
; %bb.0:
	s_clause 0x3
	s_load_b32 s3, s[0:1], 0x6c
	s_load_b128 s[4:7], s[0:1], 0x28
	s_load_b64 s[28:29], s[0:1], 0x38
	s_load_b32 s26, s[0:1], 0x7c
	s_mov_b32 s2, s15
	s_load_b64 s[22:23], s[0:1], 0x58
	v_and_b32_e32 v8, 0x3ff, v0
	v_bfe_u32 v12, v0, 10, 10
	s_waitcnt lgkmcnt(0)
	s_bitcmp1_b32 s3, 0
	s_mov_b32 s3, 0
	s_cselect_b32 s10, -1, 0
	s_lshl_b64 s[8:9], s[2:3], 3
	s_xor_b32 s15, s10, -1
	s_add_u32 s2, s4, s8
	s_addc_u32 s3, s5, s9
	s_lshl_b64 s[4:5], s[6:7], 4
	s_load_b64 s[2:3], s[2:3], 0x0
	s_load_b128 s[16:19], s[0:1], 0x48
	s_waitcnt lgkmcnt(0)
	s_add_u32 s2, s2, s4
	s_addc_u32 s3, s3, s5
	s_add_u32 s12, s16, s8
	s_addc_u32 s13, s17, s9
	s_load_b256 s[4:11], s[0:1], 0x8
	s_load_b64 s[20:21], s[12:13], 0x0
	s_add_u32 s24, s0, 0x70
	s_addc_u32 s25, s1, 0
	s_lshr_b32 s30, s26, 16
	s_and_b32 vcc_lo, exec_lo, s15
	s_mov_b64 s[16:17], 1
	s_cbranch_vccnz .LBB246_15
; %bb.1:
	s_waitcnt lgkmcnt(0)
	v_cmp_lt_i64_e64 s12, s[4:5], 1
	s_lshl_b32 s13, s30, 4
	s_delay_alu instid0(SALU_CYCLE_1) | instskip(NEXT) | instid1(VALU_DEP_1)
	s_add_i32 s26, s13, 0
	s_and_b32 vcc_lo, exec_lo, s12
	s_mov_b64 s[12:13], 1
	s_cbranch_vccnz .LBB246_16
; %bb.2:
	v_mad_u64_u32 v[0:1], null, v8, s28, 0
	v_mov_b32_e32 v9, 0
	v_mov_b32_e32 v13, v12
	s_mov_b32 s16, s30
	s_delay_alu instid0(VALU_DEP_2) | instskip(NEXT) | instid1(VALU_DEP_4)
	v_cmp_le_u64_e64 s27, s[4:5], v[8:9]
	v_mad_u64_u32 v[2:3], null, v8, s29, v[1:2]
	s_delay_alu instid0(VALU_DEP_2) | instskip(NEXT) | instid1(VALU_DEP_1)
	s_xor_b32 s28, s27, -1
	v_dual_mov_b32 v1, v2 :: v_dual_lshlrev_b32 v2, 4, v8
	s_delay_alu instid0(VALU_DEP_1) | instskip(NEXT) | instid1(VALU_DEP_2)
	v_lshlrev_b64 v[0:1], 4, v[0:1]
	v_add_nc_u32_e32 v11, s26, v2
	s_delay_alu instid0(VALU_DEP_2) | instskip(NEXT) | instid1(VALU_DEP_3)
	v_add_co_u32 v16, vcc_lo, s2, v0
	v_add_co_ci_u32_e32 v17, vcc_lo, s3, v1, vcc_lo
	v_cmp_gt_u64_e64 s2, s[4:5], v[8:9]
	s_delay_alu instid0(VALU_DEP_3) | instskip(NEXT) | instid1(VALU_DEP_3)
	v_add_co_u32 v9, vcc_lo, v16, v2
	v_add_co_ci_u32_e32 v10, vcc_lo, 0, v17, vcc_lo
	s_branch .LBB246_5
.LBB246_3:                              ;   in Loop: Header=BB246_5 Depth=1
	s_or_b32 exec_lo, exec_lo, s17
	s_load_b32 s17, s[24:25], 0xc
	s_waitcnt lgkmcnt(0)
	s_and_b32 s17, s17, 0xffff
	s_delay_alu instid0(SALU_CYCLE_1) | instskip(NEXT) | instid1(VALU_DEP_1)
	v_mul_u32_u24_e32 v0, s17, v8
	v_lshl_add_u32 v0, v0, 4, v11
	ds_store_2addr_b64 v0, v[14:15], v[6:7] offset1:1
.LBB246_4:                              ;   in Loop: Header=BB246_5 Depth=1
	s_or_b32 exec_lo, exec_lo, s3
	s_ashr_i32 s17, s16, 31
	v_add_nc_u32_e32 v13, s30, v13
	v_cmp_ge_i64_e64 s3, s[16:17], s[4:5]
	s_add_i32 s16, s16, s30
	s_delay_alu instid0(VALU_DEP_1)
	s_and_b32 vcc_lo, exec_lo, s3
	s_cbranch_vccnz .LBB246_16
.LBB246_5:                              ; =>This Inner Loop Header: Depth=1
	s_mov_b32 s29, s27
	s_delay_alu instid0(VALU_DEP_3)
	s_and_saveexec_b32 s17, s2
	s_cbranch_execz .LBB246_9
; %bb.6:                                ;   in Loop: Header=BB246_5 Depth=1
	v_ashrrev_i32_e32 v14, 31, v13
	v_cmp_lt_i32_e64 s3, v8, v13
	s_mov_b32 s29, -1
	s_delay_alu instid0(VALU_DEP_2) | instskip(NEXT) | instid1(VALU_DEP_2)
	v_cmp_gt_i64_e32 vcc_lo, s[4:5], v[13:14]
	s_and_b32 s31, s3, vcc_lo
	s_delay_alu instid0(SALU_CYCLE_1)
	s_and_saveexec_b32 s3, s31
	s_cbranch_execz .LBB246_8
; %bb.7:                                ;   in Loop: Header=BB246_5 Depth=1
	v_lshlrev_b64 v[0:1], 4, v[13:14]
	s_load_b32 s29, s[24:25], 0xc
	s_delay_alu instid0(VALU_DEP_1) | instskip(NEXT) | instid1(VALU_DEP_2)
	v_add_co_u32 v0, vcc_lo, v16, v0
	v_add_co_ci_u32_e32 v1, vcc_lo, v17, v1, vcc_lo
	global_load_b128 v[0:3], v[0:1], off
	s_waitcnt lgkmcnt(0)
	s_and_b32 s29, s29, 0xffff
	s_delay_alu instid0(SALU_CYCLE_1) | instskip(SKIP_1) | instid1(VALU_DEP_1)
	v_mul_lo_u32 v4, v13, s29
	s_xor_b32 s29, exec_lo, -1
	v_lshl_add_u32 v4, v4, 4, v11
	s_waitcnt vmcnt(0)
	ds_store_2addr_b64 v4, v[0:1], v[2:3] offset1:1
.LBB246_8:                              ;   in Loop: Header=BB246_5 Depth=1
	s_or_b32 exec_lo, exec_lo, s3
	s_delay_alu instid0(SALU_CYCLE_1) | instskip(SKIP_1) | instid1(SALU_CYCLE_1)
	s_and_not1_b32 s3, s27, exec_lo
	s_and_b32 s29, s29, exec_lo
	s_or_b32 s29, s3, s29
.LBB246_9:                              ;   in Loop: Header=BB246_5 Depth=1
	s_or_b32 exec_lo, exec_lo, s17
	s_and_saveexec_b32 s3, s29
	s_cbranch_execz .LBB246_4
; %bb.10:                               ;   in Loop: Header=BB246_5 Depth=1
	v_cmp_eq_u32_e32 vcc_lo, v8, v13
	s_and_b32 s17, s28, vcc_lo
	s_delay_alu instid0(SALU_CYCLE_1)
	s_and_b32 exec_lo, exec_lo, s17
	s_cbranch_execz .LBB246_4
; %bb.11:                               ;   in Loop: Header=BB246_5 Depth=1
	global_load_b128 v[0:3], v[9:10], off
	s_mov_b32 s17, exec_lo
                                        ; implicit-def: $vgpr14_vgpr15
	s_waitcnt vmcnt(0)
	v_cmp_gt_f64_e32 vcc_lo, 0, v[0:1]
	v_xor_b32_e32 v5, 0x80000000, v1
	v_mov_b32_e32 v4, v0
	v_xor_b32_e32 v6, 0x80000000, v3
	s_delay_alu instid0(VALU_DEP_3) | instskip(SKIP_1) | instid1(VALU_DEP_3)
	v_cndmask_b32_e32 v5, v1, v5, vcc_lo
	v_cmp_gt_f64_e32 vcc_lo, 0, v[2:3]
	v_dual_cndmask_b32 v7, v3, v6 :: v_dual_mov_b32 v6, v2
	s_delay_alu instid0(VALU_DEP_1)
	v_cmpx_ngt_f64_e32 v[4:5], v[6:7]
	s_xor_b32 s17, exec_lo, s17
                                        ; implicit-def: $vgpr4_vgpr5_vgpr6_vgpr7
	s_cbranch_execz .LBB246_13
; %bb.12:                               ;   in Loop: Header=BB246_5 Depth=1
	v_div_scale_f64 v[4:5], null, v[2:3], v[2:3], v[0:1]
	v_div_scale_f64 v[18:19], vcc_lo, v[0:1], v[2:3], v[0:1]
	s_delay_alu instid0(VALU_DEP_2) | instskip(SKIP_2) | instid1(VALU_DEP_1)
	v_rcp_f64_e32 v[6:7], v[4:5]
	s_waitcnt_depctr 0xfff
	v_fma_f64 v[14:15], -v[4:5], v[6:7], 1.0
	v_fma_f64 v[6:7], v[6:7], v[14:15], v[6:7]
	s_delay_alu instid0(VALU_DEP_1) | instskip(NEXT) | instid1(VALU_DEP_1)
	v_fma_f64 v[14:15], -v[4:5], v[6:7], 1.0
	v_fma_f64 v[6:7], v[6:7], v[14:15], v[6:7]
	s_delay_alu instid0(VALU_DEP_1) | instskip(NEXT) | instid1(VALU_DEP_1)
	v_mul_f64 v[14:15], v[18:19], v[6:7]
	v_fma_f64 v[4:5], -v[4:5], v[14:15], v[18:19]
	s_delay_alu instid0(VALU_DEP_1) | instskip(NEXT) | instid1(VALU_DEP_1)
	v_div_fmas_f64 v[4:5], v[4:5], v[6:7], v[14:15]
	v_div_fixup_f64 v[4:5], v[4:5], v[2:3], v[0:1]
	s_delay_alu instid0(VALU_DEP_1) | instskip(NEXT) | instid1(VALU_DEP_1)
	v_fma_f64 v[0:1], v[0:1], v[4:5], v[2:3]
	v_div_scale_f64 v[2:3], null, v[0:1], v[0:1], 1.0
	s_delay_alu instid0(VALU_DEP_1) | instskip(SKIP_2) | instid1(VALU_DEP_1)
	v_rcp_f64_e32 v[6:7], v[2:3]
	s_waitcnt_depctr 0xfff
	v_fma_f64 v[14:15], -v[2:3], v[6:7], 1.0
	v_fma_f64 v[6:7], v[6:7], v[14:15], v[6:7]
	s_delay_alu instid0(VALU_DEP_1) | instskip(NEXT) | instid1(VALU_DEP_1)
	v_fma_f64 v[14:15], -v[2:3], v[6:7], 1.0
	v_fma_f64 v[6:7], v[6:7], v[14:15], v[6:7]
	v_div_scale_f64 v[14:15], vcc_lo, 1.0, v[0:1], 1.0
	s_delay_alu instid0(VALU_DEP_1) | instskip(NEXT) | instid1(VALU_DEP_1)
	v_mul_f64 v[18:19], v[14:15], v[6:7]
	v_fma_f64 v[2:3], -v[2:3], v[18:19], v[14:15]
	s_delay_alu instid0(VALU_DEP_1) | instskip(NEXT) | instid1(VALU_DEP_1)
	v_div_fmas_f64 v[2:3], v[2:3], v[6:7], v[18:19]
	v_div_fixup_f64 v[6:7], v[2:3], v[0:1], 1.0
                                        ; implicit-def: $vgpr0_vgpr1
	s_delay_alu instid0(VALU_DEP_1)
	v_mul_f64 v[14:15], v[4:5], v[6:7]
	v_xor_b32_e32 v7, 0x80000000, v7
.LBB246_13:                             ;   in Loop: Header=BB246_5 Depth=1
	s_and_not1_saveexec_b32 s17, s17
	s_cbranch_execz .LBB246_3
; %bb.14:                               ;   in Loop: Header=BB246_5 Depth=1
	v_div_scale_f64 v[4:5], null, v[0:1], v[0:1], v[2:3]
	v_div_scale_f64 v[18:19], vcc_lo, v[2:3], v[0:1], v[2:3]
	s_delay_alu instid0(VALU_DEP_2) | instskip(SKIP_2) | instid1(VALU_DEP_1)
	v_rcp_f64_e32 v[6:7], v[4:5]
	s_waitcnt_depctr 0xfff
	v_fma_f64 v[14:15], -v[4:5], v[6:7], 1.0
	v_fma_f64 v[6:7], v[6:7], v[14:15], v[6:7]
	s_delay_alu instid0(VALU_DEP_1) | instskip(NEXT) | instid1(VALU_DEP_1)
	v_fma_f64 v[14:15], -v[4:5], v[6:7], 1.0
	v_fma_f64 v[6:7], v[6:7], v[14:15], v[6:7]
	s_delay_alu instid0(VALU_DEP_1) | instskip(NEXT) | instid1(VALU_DEP_1)
	v_mul_f64 v[14:15], v[18:19], v[6:7]
	v_fma_f64 v[4:5], -v[4:5], v[14:15], v[18:19]
	s_delay_alu instid0(VALU_DEP_1) | instskip(NEXT) | instid1(VALU_DEP_1)
	v_div_fmas_f64 v[4:5], v[4:5], v[6:7], v[14:15]
	v_div_fixup_f64 v[4:5], v[4:5], v[0:1], v[2:3]
	s_delay_alu instid0(VALU_DEP_1) | instskip(NEXT) | instid1(VALU_DEP_1)
	v_fma_f64 v[0:1], v[2:3], v[4:5], v[0:1]
	v_div_scale_f64 v[2:3], null, v[0:1], v[0:1], 1.0
	s_delay_alu instid0(VALU_DEP_1) | instskip(SKIP_2) | instid1(VALU_DEP_1)
	v_rcp_f64_e32 v[6:7], v[2:3]
	s_waitcnt_depctr 0xfff
	v_fma_f64 v[14:15], -v[2:3], v[6:7], 1.0
	v_fma_f64 v[6:7], v[6:7], v[14:15], v[6:7]
	s_delay_alu instid0(VALU_DEP_1) | instskip(NEXT) | instid1(VALU_DEP_1)
	v_fma_f64 v[14:15], -v[2:3], v[6:7], 1.0
	v_fma_f64 v[6:7], v[6:7], v[14:15], v[6:7]
	v_div_scale_f64 v[14:15], vcc_lo, 1.0, v[0:1], 1.0
	s_delay_alu instid0(VALU_DEP_1) | instskip(NEXT) | instid1(VALU_DEP_1)
	v_mul_f64 v[18:19], v[14:15], v[6:7]
	v_fma_f64 v[2:3], -v[2:3], v[18:19], v[14:15]
	s_delay_alu instid0(VALU_DEP_1) | instskip(NEXT) | instid1(VALU_DEP_1)
	v_div_fmas_f64 v[2:3], v[2:3], v[6:7], v[18:19]
	v_div_fixup_f64 v[14:15], v[2:3], v[0:1], 1.0
	s_delay_alu instid0(VALU_DEP_1)
	v_mul_f64 v[6:7], v[4:5], -v[14:15]
	s_branch .LBB246_3
.LBB246_15:
	s_mov_b64 s[12:13], s[28:29]
	s_branch .LBB246_17
.LBB246_16:
	s_load_b32 s16, s[24:25], 0xc
	s_mov_b64 s[2:3], src_shared_base
	s_mov_b32 s17, 0
	s_mov_b32 s27, s3
	s_delay_alu instid0(SALU_CYCLE_1)
	s_mov_b64 s[2:3], s[26:27]
	s_waitcnt lgkmcnt(0)
	s_and_b32 s16, s16, 0xffff
.LBB246_17:
	v_mad_u64_u32 v[0:1], null, s14, s30, v[12:13]
	v_mov_b32_e32 v1, 0
	s_waitcnt lgkmcnt(0)
	s_delay_alu instid0(VALU_DEP_1)
	v_cmp_gt_i64_e32 vcc_lo, s[6:7], v[0:1]
	s_and_saveexec_b32 s6, vcc_lo
	s_cbranch_execz .LBB246_42
; %bb.18:
	v_mov_b32_e32 v9, v1
	s_delay_alu instid0(VALU_DEP_1)
	v_cmp_gt_i64_e32 vcc_lo, s[4:5], v[8:9]
	s_and_b32 exec_lo, exec_lo, vcc_lo
	s_cbranch_execz .LBB246_42
; %bb.19:
	v_mad_u64_u32 v[1:2], null, v0, s22, 0
	s_lshl_b64 s[6:7], s[18:19], 4
	s_delay_alu instid0(SALU_CYCLE_1) | instskip(SKIP_1) | instid1(VALU_DEP_1)
	s_add_u32 s6, s20, s6
	s_addc_u32 s7, s21, s7
	v_mad_u64_u32 v[3:4], null, v0, s23, v[2:3]
	s_delay_alu instid0(VALU_DEP_1) | instskip(NEXT) | instid1(VALU_DEP_1)
	v_mov_b32_e32 v2, v3
	v_lshlrev_b64 v[0:1], 4, v[1:2]
	v_lshlrev_b32_e32 v2, 4, v8
	s_delay_alu instid0(VALU_DEP_2) | instskip(NEXT) | instid1(VALU_DEP_3)
	v_add_co_u32 v0, vcc_lo, s6, v0
	v_add_co_ci_u32_e32 v1, vcc_lo, s7, v1, vcc_lo
	v_cmp_lt_u64_e64 s6, s[4:5], 2
	s_delay_alu instid0(VALU_DEP_3) | instskip(NEXT) | instid1(VALU_DEP_3)
	v_add_co_u32 v6, vcc_lo, v0, v2
	v_add_co_ci_u32_e32 v7, vcc_lo, 0, v1, vcc_lo
	s_delay_alu instid0(VALU_DEP_3) | instskip(SKIP_4) | instid1(VALU_DEP_2)
	s_and_b32 vcc_lo, exec_lo, s6
	global_load_b128 v[2:5], v[6:7], off
	s_waitcnt vmcnt(0)
	v_mul_f64 v[0:1], s[10:11], v[4:5]
	v_mul_f64 v[4:5], s[8:9], v[4:5]
	v_fma_f64 v[0:1], s[8:9], v[2:3], -v[0:1]
	s_delay_alu instid0(VALU_DEP_2)
	v_fma_f64 v[10:11], s[10:11], v[2:3], v[4:5]
	s_cbranch_vccnz .LBB246_33
; %bb.20:
	s_load_b32 s0, s[0:1], 0x0
	v_mad_u64_u32 v[2:3], null, s12, v8, 0
	v_lshl_add_u32 v16, v12, 4, 0
	s_waitcnt lgkmcnt(0)
	s_cmpk_eq_i32 s0, 0x71
	s_cselect_b32 s0, -1, 0
	s_add_u32 s1, s16, s12
	s_delay_alu instid0(SALU_CYCLE_1)
	v_mad_u64_u32 v[4:5], null, s1, v8, 0
	s_addc_u32 s1, s17, s13
	s_add_u32 s4, s4, -1
	s_addc_u32 s5, s5, -1
	s_mul_i32 s6, s16, s4
	s_mul_i32 s7, s16, s5
	s_delay_alu instid0(VALU_DEP_1) | instskip(NEXT) | instid1(VALU_DEP_1)
	v_mad_u64_u32 v[13:14], null, s13, v8, v[3:4]
	v_mov_b32_e32 v3, v13
	v_mad_u64_u32 v[13:14], null, s1, v8, v[5:6]
	s_mul_hi_u32 s1, s16, s4
	s_delay_alu instid0(SALU_CYCLE_1) | instskip(NEXT) | instid1(VALU_DEP_2)
	s_add_i32 s7, s1, s7
	v_lshlrev_b64 v[2:3], 4, v[2:3]
	s_lshl_b64 s[6:7], s[6:7], 4
	s_delay_alu instid0(VALU_DEP_2) | instskip(SKIP_2) | instid1(VALU_DEP_2)
	v_mov_b32_e32 v5, v13
	s_add_u32 s1, s2, s6
	s_addc_u32 s6, s3, s7
	v_add_co_u32 v12, vcc_lo, s1, v2
	s_delay_alu instid0(VALU_DEP_2) | instskip(SKIP_2) | instid1(SALU_CYCLE_1)
	v_lshlrev_b64 v[4:5], 4, v[4:5]
	v_add_co_ci_u32_e32 v13, vcc_lo, s6, v3, vcc_lo
	s_lshl_b32 s7, s16, 4
	s_sub_u32 s8, 0, s7
	s_delay_alu instid0(VALU_DEP_2) | instskip(NEXT) | instid1(VALU_DEP_3)
	v_add_co_u32 v14, vcc_lo, s2, v4
	v_add_co_ci_u32_e32 v15, vcc_lo, s3, v5, vcc_lo
	s_subb_u32 s9, 0, 0
.LBB246_21:                             ; =>This Inner Loop Header: Depth=1
	s_mov_b32 s6, exec_lo
	s_barrier
	buffer_gl0_inv
	v_cmpx_eq_u64_e64 s[4:5], v[8:9]
	s_cbranch_execz .LBB246_29
; %bb.22:                               ;   in Loop: Header=BB246_21 Depth=1
	flat_load_b128 v[2:5], v[14:15]
	s_and_not1_b32 vcc_lo, exec_lo, s15
	s_cbranch_vccnz .LBB246_28
; %bb.23:                               ;   in Loop: Header=BB246_21 Depth=1
	s_waitcnt vmcnt(0) lgkmcnt(0)
	v_cmp_gt_f64_e32 vcc_lo, 0, v[2:3]
	v_cmp_gt_f64_e64 s1, 0, v[4:5]
	v_xor_b32_e32 v17, 0x80000000, v3
	v_xor_b32_e32 v19, 0x80000000, v5
	s_delay_alu instid0(VALU_DEP_2) | instskip(NEXT) | instid1(VALU_DEP_2)
	v_dual_cndmask_b32 v18, v3, v17 :: v_dual_cndmask_b32 v17, v2, v2
	v_cndmask_b32_e64 v20, v5, v19, s1
	v_cndmask_b32_e64 v19, v4, v4, s1
	s_mov_b32 s1, exec_lo
	s_delay_alu instid0(VALU_DEP_1)
	v_cmpx_ngt_f64_e32 v[17:18], v[19:20]
	s_xor_b32 s1, exec_lo, s1
	s_cbranch_execz .LBB246_25
; %bb.24:                               ;   in Loop: Header=BB246_21 Depth=1
	v_div_scale_f64 v[17:18], null, v[4:5], v[4:5], v[2:3]
	v_div_scale_f64 v[23:24], vcc_lo, v[2:3], v[4:5], v[2:3]
	s_delay_alu instid0(VALU_DEP_2) | instskip(SKIP_2) | instid1(VALU_DEP_1)
	v_rcp_f64_e32 v[19:20], v[17:18]
	s_waitcnt_depctr 0xfff
	v_fma_f64 v[21:22], -v[17:18], v[19:20], 1.0
	v_fma_f64 v[19:20], v[19:20], v[21:22], v[19:20]
	s_delay_alu instid0(VALU_DEP_1) | instskip(NEXT) | instid1(VALU_DEP_1)
	v_fma_f64 v[21:22], -v[17:18], v[19:20], 1.0
	v_fma_f64 v[19:20], v[19:20], v[21:22], v[19:20]
	s_delay_alu instid0(VALU_DEP_1) | instskip(NEXT) | instid1(VALU_DEP_1)
	v_mul_f64 v[21:22], v[23:24], v[19:20]
	v_fma_f64 v[17:18], -v[17:18], v[21:22], v[23:24]
	s_delay_alu instid0(VALU_DEP_1) | instskip(NEXT) | instid1(VALU_DEP_1)
	v_div_fmas_f64 v[17:18], v[17:18], v[19:20], v[21:22]
	v_div_fixup_f64 v[17:18], v[17:18], v[4:5], v[2:3]
	s_delay_alu instid0(VALU_DEP_1) | instskip(NEXT) | instid1(VALU_DEP_1)
	v_fma_f64 v[2:3], v[2:3], v[17:18], v[4:5]
	v_div_scale_f64 v[4:5], null, v[2:3], v[2:3], 1.0
	s_delay_alu instid0(VALU_DEP_1) | instskip(SKIP_2) | instid1(VALU_DEP_1)
	v_rcp_f64_e32 v[19:20], v[4:5]
	s_waitcnt_depctr 0xfff
	v_fma_f64 v[21:22], -v[4:5], v[19:20], 1.0
	v_fma_f64 v[19:20], v[19:20], v[21:22], v[19:20]
	s_delay_alu instid0(VALU_DEP_1) | instskip(NEXT) | instid1(VALU_DEP_1)
	v_fma_f64 v[21:22], -v[4:5], v[19:20], 1.0
	v_fma_f64 v[19:20], v[19:20], v[21:22], v[19:20]
	v_div_scale_f64 v[21:22], vcc_lo, 1.0, v[2:3], 1.0
	s_delay_alu instid0(VALU_DEP_1) | instskip(NEXT) | instid1(VALU_DEP_1)
	v_mul_f64 v[23:24], v[21:22], v[19:20]
	v_fma_f64 v[4:5], -v[4:5], v[23:24], v[21:22]
	s_delay_alu instid0(VALU_DEP_1) | instskip(NEXT) | instid1(VALU_DEP_1)
	v_div_fmas_f64 v[4:5], v[4:5], v[19:20], v[23:24]
	v_div_fixup_f64 v[4:5], v[4:5], v[2:3], 1.0
	s_delay_alu instid0(VALU_DEP_1)
	v_mul_f64 v[2:3], v[17:18], v[4:5]
	v_xor_b32_e32 v5, 0x80000000, v5
.LBB246_25:                             ;   in Loop: Header=BB246_21 Depth=1
	s_and_not1_saveexec_b32 s1, s1
	s_cbranch_execz .LBB246_27
; %bb.26:                               ;   in Loop: Header=BB246_21 Depth=1
	s_delay_alu instid0(VALU_DEP_1) | instskip(SKIP_1) | instid1(VALU_DEP_2)
	v_div_scale_f64 v[17:18], null, v[2:3], v[2:3], v[4:5]
	v_div_scale_f64 v[23:24], vcc_lo, v[4:5], v[2:3], v[4:5]
	v_rcp_f64_e32 v[19:20], v[17:18]
	s_waitcnt_depctr 0xfff
	v_fma_f64 v[21:22], -v[17:18], v[19:20], 1.0
	s_delay_alu instid0(VALU_DEP_1) | instskip(NEXT) | instid1(VALU_DEP_1)
	v_fma_f64 v[19:20], v[19:20], v[21:22], v[19:20]
	v_fma_f64 v[21:22], -v[17:18], v[19:20], 1.0
	s_delay_alu instid0(VALU_DEP_1) | instskip(NEXT) | instid1(VALU_DEP_1)
	v_fma_f64 v[19:20], v[19:20], v[21:22], v[19:20]
	v_mul_f64 v[21:22], v[23:24], v[19:20]
	s_delay_alu instid0(VALU_DEP_1) | instskip(NEXT) | instid1(VALU_DEP_1)
	v_fma_f64 v[17:18], -v[17:18], v[21:22], v[23:24]
	v_div_fmas_f64 v[17:18], v[17:18], v[19:20], v[21:22]
	s_delay_alu instid0(VALU_DEP_1) | instskip(NEXT) | instid1(VALU_DEP_1)
	v_div_fixup_f64 v[17:18], v[17:18], v[2:3], v[4:5]
	v_fma_f64 v[2:3], v[4:5], v[17:18], v[2:3]
	s_delay_alu instid0(VALU_DEP_1) | instskip(NEXT) | instid1(VALU_DEP_1)
	v_div_scale_f64 v[4:5], null, v[2:3], v[2:3], 1.0
	v_rcp_f64_e32 v[19:20], v[4:5]
	s_waitcnt_depctr 0xfff
	v_fma_f64 v[21:22], -v[4:5], v[19:20], 1.0
	s_delay_alu instid0(VALU_DEP_1) | instskip(NEXT) | instid1(VALU_DEP_1)
	v_fma_f64 v[19:20], v[19:20], v[21:22], v[19:20]
	v_fma_f64 v[21:22], -v[4:5], v[19:20], 1.0
	s_delay_alu instid0(VALU_DEP_1) | instskip(SKIP_1) | instid1(VALU_DEP_1)
	v_fma_f64 v[19:20], v[19:20], v[21:22], v[19:20]
	v_div_scale_f64 v[21:22], vcc_lo, 1.0, v[2:3], 1.0
	v_mul_f64 v[23:24], v[21:22], v[19:20]
	s_delay_alu instid0(VALU_DEP_1) | instskip(NEXT) | instid1(VALU_DEP_1)
	v_fma_f64 v[4:5], -v[4:5], v[23:24], v[21:22]
	v_div_fmas_f64 v[4:5], v[4:5], v[19:20], v[23:24]
	s_delay_alu instid0(VALU_DEP_1) | instskip(NEXT) | instid1(VALU_DEP_1)
	v_div_fixup_f64 v[2:3], v[4:5], v[2:3], 1.0
	v_mul_f64 v[4:5], v[17:18], -v[2:3]
.LBB246_27:                             ;   in Loop: Header=BB246_21 Depth=1
	s_or_b32 exec_lo, exec_lo, s1
.LBB246_28:                             ;   in Loop: Header=BB246_21 Depth=1
	s_waitcnt vmcnt(0) lgkmcnt(0)
	s_delay_alu instid0(VALU_DEP_1) | instskip(SKIP_1) | instid1(VALU_DEP_2)
	v_mul_f64 v[17:18], v[10:11], v[4:5]
	v_mul_f64 v[4:5], v[0:1], v[4:5]
	v_fma_f64 v[17:18], v[0:1], v[2:3], -v[17:18]
	s_delay_alu instid0(VALU_DEP_2) | instskip(NEXT) | instid1(VALU_DEP_2)
	v_fma_f64 v[10:11], v[10:11], v[2:3], v[4:5]
	v_dual_mov_b32 v0, v17 :: v_dual_mov_b32 v1, v18
	ds_store_2addr_b64 v16, v[17:18], v[10:11] offset1:1
.LBB246_29:                             ;   in Loop: Header=BB246_21 Depth=1
	s_or_b32 exec_lo, exec_lo, s6
	s_delay_alu instid0(SALU_CYCLE_1)
	s_mov_b32 s1, exec_lo
	s_waitcnt lgkmcnt(0)
	s_barrier
	buffer_gl0_inv
	v_cmpx_gt_i64_e64 s[4:5], v[8:9]
	s_cbranch_execz .LBB246_31
; %bb.30:                               ;   in Loop: Header=BB246_21 Depth=1
	flat_load_b128 v[2:5], v[12:13]
	ds_load_2addr_b64 v[17:20], v16 offset1:1
	s_waitcnt vmcnt(0) lgkmcnt(1)
	v_xor_b32_e32 v21, 0x80000000, v5
	s_delay_alu instid0(VALU_DEP_1) | instskip(SKIP_1) | instid1(VALU_DEP_1)
	v_cndmask_b32_e64 v5, v5, v21, s0
	s_waitcnt lgkmcnt(0)
	v_mul_f64 v[21:22], v[4:5], v[19:20]
	v_mul_f64 v[19:20], v[2:3], v[19:20]
	s_delay_alu instid0(VALU_DEP_2) | instskip(NEXT) | instid1(VALU_DEP_2)
	v_fma_f64 v[2:3], v[2:3], v[17:18], -v[21:22]
	v_fma_f64 v[4:5], v[4:5], v[17:18], v[19:20]
	s_delay_alu instid0(VALU_DEP_2) | instskip(NEXT) | instid1(VALU_DEP_2)
	v_add_f64 v[0:1], v[0:1], -v[2:3]
	v_add_f64 v[10:11], v[10:11], -v[4:5]
.LBB246_31:                             ;   in Loop: Header=BB246_21 Depth=1
	s_or_b32 exec_lo, exec_lo, s1
	s_add_u32 s6, s4, -1
	s_addc_u32 s7, s5, -1
	s_add_u32 s4, s4, 1
	s_addc_u32 s5, s5, 0
	v_add_co_u32 v12, vcc_lo, v12, s8
	v_cmp_lt_u64_e64 s1, s[4:5], 3
	v_add_co_ci_u32_e32 v13, vcc_lo, s9, v13, vcc_lo
	s_delay_alu instid0(VALU_DEP_2)
	s_and_b32 vcc_lo, exec_lo, s1
	s_cbranch_vccnz .LBB246_33
; %bb.32:                               ;   in Loop: Header=BB246_21 Depth=1
	s_mov_b64 s[4:5], s[6:7]
	s_branch .LBB246_21
.LBB246_33:
	s_mov_b32 s1, exec_lo
	v_cmpx_eq_u32_e32 0, v8
	s_cbranch_execz .LBB246_41
; %bb.34:
	s_add_u32 s0, s16, s12
	s_delay_alu instid0(SALU_CYCLE_1)
	v_mad_u64_u32 v[2:3], null, s0, v8, 0
	s_addc_u32 s0, s17, s13
	s_delay_alu instid0(VALU_DEP_1) | instid1(SALU_CYCLE_1)
	v_mad_u64_u32 v[4:5], null, s0, v8, v[3:4]
	s_delay_alu instid0(VALU_DEP_1) | instskip(NEXT) | instid1(VALU_DEP_1)
	v_mov_b32_e32 v3, v4
	v_lshlrev_b64 v[2:3], 4, v[2:3]
	s_delay_alu instid0(VALU_DEP_1) | instskip(NEXT) | instid1(VALU_DEP_2)
	v_add_co_u32 v2, vcc_lo, s2, v2
	v_add_co_ci_u32_e32 v3, vcc_lo, s3, v3, vcc_lo
	s_and_not1_b32 vcc_lo, exec_lo, s15
	flat_load_b128 v[2:5], v[2:3]
	s_cbranch_vccnz .LBB246_40
; %bb.35:
	s_waitcnt vmcnt(0) lgkmcnt(0)
	v_cmp_gt_f64_e32 vcc_lo, 0, v[2:3]
	v_cmp_gt_f64_e64 s0, 0, v[4:5]
	v_xor_b32_e32 v8, 0x80000000, v3
	v_xor_b32_e32 v12, 0x80000000, v5
	s_delay_alu instid0(VALU_DEP_2) | instskip(NEXT) | instid1(VALU_DEP_2)
	v_dual_cndmask_b32 v9, v3, v8 :: v_dual_cndmask_b32 v8, v2, v2
	v_cndmask_b32_e64 v13, v5, v12, s0
	v_cndmask_b32_e64 v12, v4, v4, s0
	s_mov_b32 s0, exec_lo
	s_delay_alu instid0(VALU_DEP_1)
	v_cmpx_ngt_f64_e32 v[8:9], v[12:13]
	s_xor_b32 s0, exec_lo, s0
	s_cbranch_execz .LBB246_37
; %bb.36:
	v_div_scale_f64 v[8:9], null, v[4:5], v[4:5], v[2:3]
	v_div_scale_f64 v[16:17], vcc_lo, v[2:3], v[4:5], v[2:3]
	s_delay_alu instid0(VALU_DEP_2) | instskip(SKIP_2) | instid1(VALU_DEP_1)
	v_rcp_f64_e32 v[12:13], v[8:9]
	s_waitcnt_depctr 0xfff
	v_fma_f64 v[14:15], -v[8:9], v[12:13], 1.0
	v_fma_f64 v[12:13], v[12:13], v[14:15], v[12:13]
	s_delay_alu instid0(VALU_DEP_1) | instskip(NEXT) | instid1(VALU_DEP_1)
	v_fma_f64 v[14:15], -v[8:9], v[12:13], 1.0
	v_fma_f64 v[12:13], v[12:13], v[14:15], v[12:13]
	s_delay_alu instid0(VALU_DEP_1) | instskip(NEXT) | instid1(VALU_DEP_1)
	v_mul_f64 v[14:15], v[16:17], v[12:13]
	v_fma_f64 v[8:9], -v[8:9], v[14:15], v[16:17]
	s_delay_alu instid0(VALU_DEP_1) | instskip(NEXT) | instid1(VALU_DEP_1)
	v_div_fmas_f64 v[8:9], v[8:9], v[12:13], v[14:15]
	v_div_fixup_f64 v[8:9], v[8:9], v[4:5], v[2:3]
	s_delay_alu instid0(VALU_DEP_1) | instskip(NEXT) | instid1(VALU_DEP_1)
	v_fma_f64 v[2:3], v[2:3], v[8:9], v[4:5]
	v_div_scale_f64 v[4:5], null, v[2:3], v[2:3], 1.0
	s_delay_alu instid0(VALU_DEP_1) | instskip(SKIP_2) | instid1(VALU_DEP_1)
	v_rcp_f64_e32 v[12:13], v[4:5]
	s_waitcnt_depctr 0xfff
	v_fma_f64 v[14:15], -v[4:5], v[12:13], 1.0
	v_fma_f64 v[12:13], v[12:13], v[14:15], v[12:13]
	s_delay_alu instid0(VALU_DEP_1) | instskip(NEXT) | instid1(VALU_DEP_1)
	v_fma_f64 v[14:15], -v[4:5], v[12:13], 1.0
	v_fma_f64 v[12:13], v[12:13], v[14:15], v[12:13]
	v_div_scale_f64 v[14:15], vcc_lo, 1.0, v[2:3], 1.0
	s_delay_alu instid0(VALU_DEP_1) | instskip(NEXT) | instid1(VALU_DEP_1)
	v_mul_f64 v[16:17], v[14:15], v[12:13]
	v_fma_f64 v[4:5], -v[4:5], v[16:17], v[14:15]
	s_delay_alu instid0(VALU_DEP_1) | instskip(NEXT) | instid1(VALU_DEP_1)
	v_div_fmas_f64 v[4:5], v[4:5], v[12:13], v[16:17]
	v_div_fixup_f64 v[4:5], v[4:5], v[2:3], 1.0
	s_delay_alu instid0(VALU_DEP_1)
	v_mul_f64 v[2:3], v[8:9], v[4:5]
	v_xor_b32_e32 v5, 0x80000000, v5
.LBB246_37:
	s_and_not1_saveexec_b32 s0, s0
	s_cbranch_execz .LBB246_39
; %bb.38:
	s_delay_alu instid0(VALU_DEP_1) | instskip(SKIP_1) | instid1(VALU_DEP_2)
	v_div_scale_f64 v[8:9], null, v[2:3], v[2:3], v[4:5]
	v_div_scale_f64 v[16:17], vcc_lo, v[4:5], v[2:3], v[4:5]
	v_rcp_f64_e32 v[12:13], v[8:9]
	s_waitcnt_depctr 0xfff
	v_fma_f64 v[14:15], -v[8:9], v[12:13], 1.0
	s_delay_alu instid0(VALU_DEP_1) | instskip(NEXT) | instid1(VALU_DEP_1)
	v_fma_f64 v[12:13], v[12:13], v[14:15], v[12:13]
	v_fma_f64 v[14:15], -v[8:9], v[12:13], 1.0
	s_delay_alu instid0(VALU_DEP_1) | instskip(NEXT) | instid1(VALU_DEP_1)
	v_fma_f64 v[12:13], v[12:13], v[14:15], v[12:13]
	v_mul_f64 v[14:15], v[16:17], v[12:13]
	s_delay_alu instid0(VALU_DEP_1) | instskip(NEXT) | instid1(VALU_DEP_1)
	v_fma_f64 v[8:9], -v[8:9], v[14:15], v[16:17]
	v_div_fmas_f64 v[8:9], v[8:9], v[12:13], v[14:15]
	s_delay_alu instid0(VALU_DEP_1) | instskip(NEXT) | instid1(VALU_DEP_1)
	v_div_fixup_f64 v[8:9], v[8:9], v[2:3], v[4:5]
	v_fma_f64 v[2:3], v[4:5], v[8:9], v[2:3]
	s_delay_alu instid0(VALU_DEP_1) | instskip(NEXT) | instid1(VALU_DEP_1)
	v_div_scale_f64 v[4:5], null, v[2:3], v[2:3], 1.0
	v_rcp_f64_e32 v[12:13], v[4:5]
	s_waitcnt_depctr 0xfff
	v_fma_f64 v[14:15], -v[4:5], v[12:13], 1.0
	s_delay_alu instid0(VALU_DEP_1) | instskip(NEXT) | instid1(VALU_DEP_1)
	v_fma_f64 v[12:13], v[12:13], v[14:15], v[12:13]
	v_fma_f64 v[14:15], -v[4:5], v[12:13], 1.0
	s_delay_alu instid0(VALU_DEP_1) | instskip(SKIP_1) | instid1(VALU_DEP_1)
	v_fma_f64 v[12:13], v[12:13], v[14:15], v[12:13]
	v_div_scale_f64 v[14:15], vcc_lo, 1.0, v[2:3], 1.0
	v_mul_f64 v[16:17], v[14:15], v[12:13]
	s_delay_alu instid0(VALU_DEP_1) | instskip(NEXT) | instid1(VALU_DEP_1)
	v_fma_f64 v[4:5], -v[4:5], v[16:17], v[14:15]
	v_div_fmas_f64 v[4:5], v[4:5], v[12:13], v[16:17]
	s_delay_alu instid0(VALU_DEP_1) | instskip(NEXT) | instid1(VALU_DEP_1)
	v_div_fixup_f64 v[2:3], v[4:5], v[2:3], 1.0
	v_mul_f64 v[4:5], v[8:9], -v[2:3]
.LBB246_39:
	s_or_b32 exec_lo, exec_lo, s0
.LBB246_40:
	s_waitcnt vmcnt(0) lgkmcnt(0)
	s_delay_alu instid0(VALU_DEP_1) | instskip(NEXT) | instid1(VALU_DEP_3)
	v_mul_f64 v[8:9], v[10:11], v[4:5]
	v_mul_f64 v[10:11], v[10:11], v[2:3]
	s_delay_alu instid0(VALU_DEP_2) | instskip(NEXT) | instid1(VALU_DEP_2)
	v_fma_f64 v[2:3], v[0:1], v[2:3], -v[8:9]
	v_fma_f64 v[10:11], v[0:1], v[4:5], v[10:11]
	s_delay_alu instid0(VALU_DEP_2)
	v_dual_mov_b32 v0, v2 :: v_dual_mov_b32 v1, v3
.LBB246_41:
	s_or_b32 exec_lo, exec_lo, s1
	s_delay_alu instid0(VALU_DEP_2)
	v_dual_mov_b32 v2, v10 :: v_dual_mov_b32 v3, v11
	global_store_b128 v[6:7], v[0:3], off
.LBB246_42:
	s_nop 0
	s_sendmsg sendmsg(MSG_DEALLOC_VGPRS)
	s_endpgm
	.section	.rodata,"a",@progbits
	.p2align	6, 0x0
	.amdhsa_kernel _ZL40rocblas_trsm_block_backward_substitutionI19rocblas_complex_numIdES1_PKPKS1_PKPS1_Lb0ELb1ELb0EEv18rocblas_operation_llT0_T1_lllT2_lllib
		.amdhsa_group_segment_fixed_size 0
		.amdhsa_private_segment_fixed_size 0
		.amdhsa_kernarg_size 368
		.amdhsa_user_sgpr_count 13
		.amdhsa_user_sgpr_dispatch_ptr 0
		.amdhsa_user_sgpr_queue_ptr 0
		.amdhsa_user_sgpr_kernarg_segment_ptr 1
		.amdhsa_user_sgpr_dispatch_id 0
		.amdhsa_user_sgpr_private_segment_size 0
		.amdhsa_wavefront_size32 1
		.amdhsa_uses_dynamic_stack 0
		.amdhsa_enable_private_segment 0
		.amdhsa_system_sgpr_workgroup_id_x 1
		.amdhsa_system_sgpr_workgroup_id_y 1
		.amdhsa_system_sgpr_workgroup_id_z 1
		.amdhsa_system_sgpr_workgroup_info 0
		.amdhsa_system_vgpr_workitem_id 1
		.amdhsa_next_free_vgpr 25
		.amdhsa_next_free_sgpr 32
		.amdhsa_reserve_vcc 1
		.amdhsa_float_round_mode_32 0
		.amdhsa_float_round_mode_16_64 0
		.amdhsa_float_denorm_mode_32 3
		.amdhsa_float_denorm_mode_16_64 3
		.amdhsa_dx10_clamp 1
		.amdhsa_ieee_mode 1
		.amdhsa_fp16_overflow 0
		.amdhsa_workgroup_processor_mode 1
		.amdhsa_memory_ordered 1
		.amdhsa_forward_progress 0
		.amdhsa_shared_vgpr_count 0
		.amdhsa_exception_fp_ieee_invalid_op 0
		.amdhsa_exception_fp_denorm_src 0
		.amdhsa_exception_fp_ieee_div_zero 0
		.amdhsa_exception_fp_ieee_overflow 0
		.amdhsa_exception_fp_ieee_underflow 0
		.amdhsa_exception_fp_ieee_inexact 0
		.amdhsa_exception_int_div_zero 0
	.end_amdhsa_kernel
	.section	.text._ZL40rocblas_trsm_block_backward_substitutionI19rocblas_complex_numIdES1_PKPKS1_PKPS1_Lb0ELb1ELb0EEv18rocblas_operation_llT0_T1_lllT2_lllib,"axG",@progbits,_ZL40rocblas_trsm_block_backward_substitutionI19rocblas_complex_numIdES1_PKPKS1_PKPS1_Lb0ELb1ELb0EEv18rocblas_operation_llT0_T1_lllT2_lllib,comdat
.Lfunc_end246:
	.size	_ZL40rocblas_trsm_block_backward_substitutionI19rocblas_complex_numIdES1_PKPKS1_PKPS1_Lb0ELb1ELb0EEv18rocblas_operation_llT0_T1_lllT2_lllib, .Lfunc_end246-_ZL40rocblas_trsm_block_backward_substitutionI19rocblas_complex_numIdES1_PKPKS1_PKPS1_Lb0ELb1ELb0EEv18rocblas_operation_llT0_T1_lllT2_lllib
                                        ; -- End function
	.section	.AMDGPU.csdata,"",@progbits
; Kernel info:
; codeLenInByte = 3228
; NumSgprs: 34
; NumVgprs: 25
; ScratchSize: 0
; MemoryBound: 1
; FloatMode: 240
; IeeeMode: 1
; LDSByteSize: 0 bytes/workgroup (compile time only)
; SGPRBlocks: 4
; VGPRBlocks: 3
; NumSGPRsForWavesPerEU: 34
; NumVGPRsForWavesPerEU: 25
; Occupancy: 16
; WaveLimiterHint : 1
; COMPUTE_PGM_RSRC2:SCRATCH_EN: 0
; COMPUTE_PGM_RSRC2:USER_SGPR: 13
; COMPUTE_PGM_RSRC2:TRAP_HANDLER: 0
; COMPUTE_PGM_RSRC2:TGID_X_EN: 1
; COMPUTE_PGM_RSRC2:TGID_Y_EN: 1
; COMPUTE_PGM_RSRC2:TGID_Z_EN: 1
; COMPUTE_PGM_RSRC2:TIDIG_COMP_CNT: 1
	.section	.text._ZL39rocblas_trsm_block_forward_substitutionI19rocblas_complex_numIdES1_PKPKS1_PKPS1_Lb0ELb1ELb1EEv18rocblas_operation_llT0_T1_lllT2_lllib,"axG",@progbits,_ZL39rocblas_trsm_block_forward_substitutionI19rocblas_complex_numIdES1_PKPKS1_PKPS1_Lb0ELb1ELb1EEv18rocblas_operation_llT0_T1_lllT2_lllib,comdat
	.globl	_ZL39rocblas_trsm_block_forward_substitutionI19rocblas_complex_numIdES1_PKPKS1_PKPS1_Lb0ELb1ELb1EEv18rocblas_operation_llT0_T1_lllT2_lllib ; -- Begin function _ZL39rocblas_trsm_block_forward_substitutionI19rocblas_complex_numIdES1_PKPKS1_PKPS1_Lb0ELb1ELb1EEv18rocblas_operation_llT0_T1_lllT2_lllib
	.p2align	8
	.type	_ZL39rocblas_trsm_block_forward_substitutionI19rocblas_complex_numIdES1_PKPKS1_PKPS1_Lb0ELb1ELb1EEv18rocblas_operation_llT0_T1_lllT2_lllib,@function
_ZL39rocblas_trsm_block_forward_substitutionI19rocblas_complex_numIdES1_PKPKS1_PKPS1_Lb0ELb1ELb1EEv18rocblas_operation_llT0_T1_lllT2_lllib: ; @_ZL39rocblas_trsm_block_forward_substitutionI19rocblas_complex_numIdES1_PKPKS1_PKPS1_Lb0ELb1ELb1EEv18rocblas_operation_llT0_T1_lllT2_lllib
; %bb.0:
	s_clause 0x1
	s_load_b128 s[4:7], s[0:1], 0x28
	s_load_b64 s[12:13], s[0:1], 0x38
	s_mov_b32 s2, s15
	s_mov_b32 s3, 0
	s_load_b64 s[20:21], s[0:1], 0x58
	s_lshl_b64 s[2:3], s[2:3], 3
	v_and_b32_e32 v4, 0x3ff, v0
	v_bfe_u32 v6, v0, 10, 10
	s_waitcnt lgkmcnt(0)
	s_add_u32 s4, s4, s2
	s_addc_u32 s5, s5, s3
	s_lshl_b64 s[6:7], s[6:7], 4
	s_load_b64 s[4:5], s[4:5], 0x0
	s_clause 0x2
	s_load_b128 s[16:19], s[0:1], 0x48
	s_load_b32 s15, s[0:1], 0x6c
	s_load_b32 s26, s[0:1], 0x7c
	s_waitcnt lgkmcnt(0)
	s_add_u32 s22, s4, s6
	s_addc_u32 s23, s5, s7
	s_add_u32 s2, s16, s2
	s_addc_u32 s3, s17, s3
	s_load_b256 s[4:11], s[0:1], 0x8
	s_load_b64 s[16:17], s[2:3], 0x0
	s_add_u32 s24, s0, 0x70
	s_addc_u32 s25, s1, 0
	s_lshr_b32 s3, s26, 16
	s_bitcmp0_b32 s15, 0
	s_cbranch_scc1 .LBB247_7
; %bb.1:
	s_waitcnt lgkmcnt(0)
	v_cmp_lt_i64_e64 s2, s[4:5], 1
	s_lshl_b32 s15, s3, 4
	s_delay_alu instid0(SALU_CYCLE_1) | instskip(NEXT) | instid1(VALU_DEP_1)
	s_add_i32 s26, s15, 0
	s_and_b32 vcc_lo, exec_lo, s2
	s_cbranch_vccnz .LBB247_6
; %bb.2:
	v_lshlrev_b32_e32 v1, 4, v4
	s_delay_alu instid0(VALU_DEP_1) | instskip(SKIP_1) | instid1(VALU_DEP_2)
	v_dual_mov_b32 v5, 0 :: v_dual_add_nc_u32 v0, s26, v1
	v_add_co_u32 v1, s15, s22, v1
	v_cmp_gt_u64_e64 s2, s[4:5], v[4:5]
	v_add_co_ci_u32_e64 v2, null, s23, 0, s15
	s_mov_b32 s22, 0
	s_set_inst_prefetch_distance 0x1
	s_branch .LBB247_4
	.p2align	6
.LBB247_3:                              ;   in Loop: Header=BB247_4 Depth=1
	s_or_b32 exec_lo, exec_lo, s15
	s_add_i32 s22, s22, s3
	s_delay_alu instid0(SALU_CYCLE_1) | instskip(NEXT) | instid1(SALU_CYCLE_1)
	s_ashr_i32 s23, s22, 31
	v_cmp_ge_i64_e64 s15, s[22:23], s[4:5]
	s_delay_alu instid0(VALU_DEP_1)
	s_and_b32 vcc_lo, exec_lo, s15
	s_cbranch_vccnz .LBB247_6
.LBB247_4:                              ; =>This Inner Loop Header: Depth=1
	v_add_nc_u32_e32 v3, s22, v6
	s_delay_alu instid0(VALU_DEP_1) | instskip(SKIP_1) | instid1(SALU_CYCLE_1)
	v_cmp_gt_i32_e32 vcc_lo, v4, v3
	s_and_b32 s23, s2, vcc_lo
	s_and_saveexec_b32 s15, s23
	s_cbranch_execz .LBB247_3
; %bb.5:                                ;   in Loop: Header=BB247_4 Depth=1
	v_ashrrev_i32_e32 v5, 31, v3
	v_mul_lo_u32 v9, v3, s13
	v_mad_u64_u32 v[7:8], null, v3, s12, 0
	s_load_b32 s23, s[24:25], 0xc
	s_delay_alu instid0(VALU_DEP_3) | instskip(NEXT) | instid1(VALU_DEP_1)
	v_mul_lo_u32 v5, v5, s12
	v_add3_u32 v8, v8, v9, v5
	s_delay_alu instid0(VALU_DEP_1) | instskip(SKIP_2) | instid1(VALU_DEP_1)
	v_lshlrev_b64 v[7:8], 4, v[7:8]
	s_waitcnt lgkmcnt(0)
	s_and_b32 s23, s23, 0xffff
	v_add_co_u32 v7, vcc_lo, v1, v7
	s_delay_alu instid0(VALU_DEP_2)
	v_add_co_ci_u32_e32 v8, vcc_lo, v2, v8, vcc_lo
	v_mul_lo_u32 v3, v3, s23
	global_load_b128 v[7:10], v[7:8], off
	v_lshl_add_u32 v3, v3, 4, v0
	s_waitcnt vmcnt(0)
	ds_store_2addr_b64 v3, v[7:8], v[9:10] offset1:1
	s_branch .LBB247_3
.LBB247_6:
	s_set_inst_prefetch_distance 0x2
	s_load_b32 s2, s[24:25], 0xc
	s_mov_b64 s[22:23], src_shared_base
	s_mov_b32 s13, 0
	s_mov_b32 s27, s23
	s_delay_alu instid0(SALU_CYCLE_1)
	s_mov_b64 s[22:23], s[26:27]
	s_waitcnt lgkmcnt(0)
	s_and_b32 s12, s2, 0xffff
.LBB247_7:
	v_mad_u64_u32 v[0:1], null, s14, s3, v[6:7]
	v_mov_b32_e32 v1, 0
	s_mov_b32 s2, exec_lo
	s_waitcnt lgkmcnt(0)
	s_delay_alu instid0(VALU_DEP_1)
	v_cmpx_gt_i64_e64 s[6:7], v[0:1]
	s_cbranch_execz .LBB247_17
; %bb.8:
	v_mov_b32_e32 v5, v1
	s_delay_alu instid0(VALU_DEP_1)
	v_cmp_gt_i64_e32 vcc_lo, s[4:5], v[4:5]
	s_and_b32 exec_lo, exec_lo, vcc_lo
	s_cbranch_execz .LBB247_17
; %bb.9:
	v_mad_u64_u32 v[2:3], null, v4, s20, 0
	s_lshl_b64 s[2:3], s[18:19], 4
	v_lshlrev_b64 v[0:1], 4, v[0:1]
	s_add_u32 s2, s16, s2
	s_addc_u32 s3, s17, s3
	s_delay_alu instid0(VALU_DEP_2) | instskip(NEXT) | instid1(VALU_DEP_1)
	v_mad_u64_u32 v[7:8], null, v4, s21, v[3:4]
	v_mov_b32_e32 v3, v7
	s_delay_alu instid0(VALU_DEP_1) | instskip(NEXT) | instid1(VALU_DEP_1)
	v_lshlrev_b64 v[2:3], 4, v[2:3]
	v_add_co_u32 v2, vcc_lo, s2, v2
	s_delay_alu instid0(VALU_DEP_2) | instskip(SKIP_1) | instid1(VALU_DEP_3)
	v_add_co_ci_u32_e32 v3, vcc_lo, s3, v3, vcc_lo
	v_cmp_lt_u64_e64 s2, s[4:5], 2
	v_add_co_u32 v7, vcc_lo, v2, v0
	s_delay_alu instid0(VALU_DEP_3) | instskip(NEXT) | instid1(VALU_DEP_3)
	v_add_co_ci_u32_e32 v8, vcc_lo, v3, v1, vcc_lo
	s_and_b32 vcc_lo, exec_lo, s2
	global_load_b128 v[9:12], v[7:8], off
	s_waitcnt vmcnt(0)
	v_mul_f64 v[0:1], s[10:11], v[11:12]
	v_mul_f64 v[2:3], s[8:9], v[11:12]
	s_delay_alu instid0(VALU_DEP_2) | instskip(NEXT) | instid1(VALU_DEP_2)
	v_fma_f64 v[0:1], s[8:9], v[9:10], -v[0:1]
	v_fma_f64 v[2:3], s[10:11], v[9:10], v[2:3]
	s_cbranch_vccnz .LBB247_16
; %bb.10:
	s_load_b32 s0, s[0:1], 0x0
	v_lshlrev_b32_e32 v9, 4, v4
	v_lshl_add_u32 v6, v6, 4, 0
	s_mov_b64 s[6:7], 0
	s_waitcnt lgkmcnt(0)
	s_cmpk_eq_i32 s0, 0x71
	v_add_co_u32 v9, s0, s22, v9
	s_delay_alu instid0(VALU_DEP_1)
	v_add_co_ci_u32_e64 v10, null, s23, 0, s0
	s_cselect_b32 vcc_lo, -1, 0
	s_add_u32 s2, s4, -1
	s_addc_u32 s3, s5, -1
	s_lshl_b64 s[4:5], s[12:13], 4
	s_set_inst_prefetch_distance 0x1
	s_branch .LBB247_12
	.p2align	6
.LBB247_11:                             ;   in Loop: Header=BB247_12 Depth=1
	s_or_b32 exec_lo, exec_lo, s1
	v_add_co_u32 v9, s0, v9, s4
	s_add_u32 s6, s6, 1
	v_add_co_ci_u32_e64 v10, s0, s5, v10, s0
	s_addc_u32 s7, s7, 0
	s_delay_alu instid0(SALU_CYCLE_1)
	s_cmp_eq_u64 s[2:3], s[6:7]
	s_cbranch_scc1 .LBB247_16
.LBB247_12:                             ; =>This Inner Loop Header: Depth=1
	s_mov_b32 s1, exec_lo
	s_barrier
	buffer_gl0_inv
	v_cmpx_eq_u64_e64 s[6:7], v[4:5]
	s_cbranch_execz .LBB247_14
; %bb.13:                               ;   in Loop: Header=BB247_12 Depth=1
	ds_store_2addr_b64 v6, v[0:1], v[2:3] offset1:1
.LBB247_14:                             ;   in Loop: Header=BB247_12 Depth=1
	s_or_b32 exec_lo, exec_lo, s1
	s_delay_alu instid0(SALU_CYCLE_1)
	s_mov_b32 s1, exec_lo
	s_waitcnt lgkmcnt(0)
	s_barrier
	buffer_gl0_inv
	v_cmpx_lt_u64_e64 s[6:7], v[4:5]
	s_cbranch_execz .LBB247_11
; %bb.15:                               ;   in Loop: Header=BB247_12 Depth=1
	flat_load_b128 v[11:14], v[9:10]
	ds_load_2addr_b64 v[15:18], v6 offset1:1
	s_waitcnt vmcnt(0) lgkmcnt(1)
	v_xor_b32_e32 v19, 0x80000000, v14
	s_delay_alu instid0(VALU_DEP_1) | instskip(SKIP_1) | instid1(VALU_DEP_1)
	v_cndmask_b32_e32 v14, v14, v19, vcc_lo
	s_waitcnt lgkmcnt(0)
	v_mul_f64 v[19:20], v[13:14], v[17:18]
	v_mul_f64 v[17:18], v[11:12], v[17:18]
	s_delay_alu instid0(VALU_DEP_2) | instskip(NEXT) | instid1(VALU_DEP_2)
	v_fma_f64 v[11:12], v[11:12], v[15:16], -v[19:20]
	v_fma_f64 v[13:14], v[13:14], v[15:16], v[17:18]
	s_delay_alu instid0(VALU_DEP_2) | instskip(NEXT) | instid1(VALU_DEP_2)
	v_add_f64 v[0:1], v[0:1], -v[11:12]
	v_add_f64 v[2:3], v[2:3], -v[13:14]
	s_branch .LBB247_11
.LBB247_16:
	s_set_inst_prefetch_distance 0x2
	global_store_b128 v[7:8], v[0:3], off
.LBB247_17:
	s_nop 0
	s_sendmsg sendmsg(MSG_DEALLOC_VGPRS)
	s_endpgm
	.section	.rodata,"a",@progbits
	.p2align	6, 0x0
	.amdhsa_kernel _ZL39rocblas_trsm_block_forward_substitutionI19rocblas_complex_numIdES1_PKPKS1_PKPS1_Lb0ELb1ELb1EEv18rocblas_operation_llT0_T1_lllT2_lllib
		.amdhsa_group_segment_fixed_size 0
		.amdhsa_private_segment_fixed_size 0
		.amdhsa_kernarg_size 368
		.amdhsa_user_sgpr_count 13
		.amdhsa_user_sgpr_dispatch_ptr 0
		.amdhsa_user_sgpr_queue_ptr 0
		.amdhsa_user_sgpr_kernarg_segment_ptr 1
		.amdhsa_user_sgpr_dispatch_id 0
		.amdhsa_user_sgpr_private_segment_size 0
		.amdhsa_wavefront_size32 1
		.amdhsa_uses_dynamic_stack 0
		.amdhsa_enable_private_segment 0
		.amdhsa_system_sgpr_workgroup_id_x 1
		.amdhsa_system_sgpr_workgroup_id_y 1
		.amdhsa_system_sgpr_workgroup_id_z 1
		.amdhsa_system_sgpr_workgroup_info 0
		.amdhsa_system_vgpr_workitem_id 1
		.amdhsa_next_free_vgpr 21
		.amdhsa_next_free_sgpr 28
		.amdhsa_reserve_vcc 1
		.amdhsa_float_round_mode_32 0
		.amdhsa_float_round_mode_16_64 0
		.amdhsa_float_denorm_mode_32 3
		.amdhsa_float_denorm_mode_16_64 3
		.amdhsa_dx10_clamp 1
		.amdhsa_ieee_mode 1
		.amdhsa_fp16_overflow 0
		.amdhsa_workgroup_processor_mode 1
		.amdhsa_memory_ordered 1
		.amdhsa_forward_progress 0
		.amdhsa_shared_vgpr_count 0
		.amdhsa_exception_fp_ieee_invalid_op 0
		.amdhsa_exception_fp_denorm_src 0
		.amdhsa_exception_fp_ieee_div_zero 0
		.amdhsa_exception_fp_ieee_overflow 0
		.amdhsa_exception_fp_ieee_underflow 0
		.amdhsa_exception_fp_ieee_inexact 0
		.amdhsa_exception_int_div_zero 0
	.end_amdhsa_kernel
	.section	.text._ZL39rocblas_trsm_block_forward_substitutionI19rocblas_complex_numIdES1_PKPKS1_PKPS1_Lb0ELb1ELb1EEv18rocblas_operation_llT0_T1_lllT2_lllib,"axG",@progbits,_ZL39rocblas_trsm_block_forward_substitutionI19rocblas_complex_numIdES1_PKPKS1_PKPS1_Lb0ELb1ELb1EEv18rocblas_operation_llT0_T1_lllT2_lllib,comdat
.Lfunc_end247:
	.size	_ZL39rocblas_trsm_block_forward_substitutionI19rocblas_complex_numIdES1_PKPKS1_PKPS1_Lb0ELb1ELb1EEv18rocblas_operation_llT0_T1_lllT2_lllib, .Lfunc_end247-_ZL39rocblas_trsm_block_forward_substitutionI19rocblas_complex_numIdES1_PKPKS1_PKPS1_Lb0ELb1ELb1EEv18rocblas_operation_llT0_T1_lllT2_lllib
                                        ; -- End function
	.section	.AMDGPU.csdata,"",@progbits
; Kernel info:
; codeLenInByte = 1008
; NumSgprs: 30
; NumVgprs: 21
; ScratchSize: 0
; MemoryBound: 0
; FloatMode: 240
; IeeeMode: 1
; LDSByteSize: 0 bytes/workgroup (compile time only)
; SGPRBlocks: 3
; VGPRBlocks: 2
; NumSGPRsForWavesPerEU: 30
; NumVGPRsForWavesPerEU: 21
; Occupancy: 16
; WaveLimiterHint : 1
; COMPUTE_PGM_RSRC2:SCRATCH_EN: 0
; COMPUTE_PGM_RSRC2:USER_SGPR: 13
; COMPUTE_PGM_RSRC2:TRAP_HANDLER: 0
; COMPUTE_PGM_RSRC2:TGID_X_EN: 1
; COMPUTE_PGM_RSRC2:TGID_Y_EN: 1
; COMPUTE_PGM_RSRC2:TGID_Z_EN: 1
; COMPUTE_PGM_RSRC2:TIDIG_COMP_CNT: 1
	.section	.text._ZL40rocblas_trsm_block_backward_substitutionI19rocblas_complex_numIdES1_PKPKS1_PKPS1_Lb0ELb1ELb1EEv18rocblas_operation_llT0_T1_lllT2_lllib,"axG",@progbits,_ZL40rocblas_trsm_block_backward_substitutionI19rocblas_complex_numIdES1_PKPKS1_PKPS1_Lb0ELb1ELb1EEv18rocblas_operation_llT0_T1_lllT2_lllib,comdat
	.globl	_ZL40rocblas_trsm_block_backward_substitutionI19rocblas_complex_numIdES1_PKPKS1_PKPS1_Lb0ELb1ELb1EEv18rocblas_operation_llT0_T1_lllT2_lllib ; -- Begin function _ZL40rocblas_trsm_block_backward_substitutionI19rocblas_complex_numIdES1_PKPKS1_PKPS1_Lb0ELb1ELb1EEv18rocblas_operation_llT0_T1_lllT2_lllib
	.p2align	8
	.type	_ZL40rocblas_trsm_block_backward_substitutionI19rocblas_complex_numIdES1_PKPKS1_PKPS1_Lb0ELb1ELb1EEv18rocblas_operation_llT0_T1_lllT2_lllib,@function
_ZL40rocblas_trsm_block_backward_substitutionI19rocblas_complex_numIdES1_PKPKS1_PKPS1_Lb0ELb1ELb1EEv18rocblas_operation_llT0_T1_lllT2_lllib: ; @_ZL40rocblas_trsm_block_backward_substitutionI19rocblas_complex_numIdES1_PKPKS1_PKPS1_Lb0ELb1ELb1EEv18rocblas_operation_llT0_T1_lllT2_lllib
; %bb.0:
	s_clause 0x1
	s_load_b128 s[4:7], s[0:1], 0x28
	s_load_b64 s[28:29], s[0:1], 0x38
	s_mov_b32 s2, s15
	s_mov_b32 s3, 0
	s_load_b64 s[20:21], s[0:1], 0x58
	s_lshl_b64 s[2:3], s[2:3], 3
	v_and_b32_e32 v4, 0x3ff, v0
	v_bfe_u32 v6, v0, 10, 10
	s_waitcnt lgkmcnt(0)
	s_add_u32 s4, s4, s2
	s_addc_u32 s5, s5, s3
	s_lshl_b64 s[6:7], s[6:7], 4
	s_load_b64 s[4:5], s[4:5], 0x0
	s_clause 0x2
	s_load_b128 s[16:19], s[0:1], 0x48
	s_load_b32 s26, s[0:1], 0x6c
	s_load_b32 s15, s[0:1], 0x7c
	s_waitcnt lgkmcnt(0)
	s_add_u32 s12, s4, s6
	s_addc_u32 s13, s5, s7
	s_add_u32 s2, s16, s2
	s_addc_u32 s3, s17, s3
	s_load_b256 s[4:11], s[0:1], 0x8
	s_load_b64 s[22:23], s[2:3], 0x0
	s_add_u32 s24, s0, 0x70
	s_addc_u32 s25, s1, 0
	s_lshr_b32 s15, s15, 16
	s_bitcmp0_b32 s26, 0
	s_mov_b64 s[2:3], 1
	s_cbranch_scc1 .LBB248_6
; %bb.1:
	s_waitcnt lgkmcnt(0)
	v_cmp_lt_i64_e64 s2, s[4:5], 1
	s_lshl_b32 s3, s15, 4
	s_mov_b64 s[16:17], 1
	s_add_i32 s26, s3, 0
	s_delay_alu instid0(VALU_DEP_1)
	s_and_b32 vcc_lo, exec_lo, s2
	s_cbranch_vccnz .LBB248_7
; %bb.2:
	v_mad_u64_u32 v[0:1], null, v4, s28, 0
	v_mov_b32_e32 v5, 0
	s_delay_alu instid0(VALU_DEP_1) | instskip(NEXT) | instid1(VALU_DEP_3)
	v_cmp_gt_u64_e64 s2, s[4:5], v[4:5]
	v_mad_u64_u32 v[2:3], null, v4, s29, v[1:2]
	s_delay_alu instid0(VALU_DEP_1) | instskip(SKIP_1) | instid1(VALU_DEP_2)
	v_mov_b32_e32 v1, v2
	v_lshl_add_u32 v2, v4, 4, s26
	v_lshlrev_b64 v[0:1], 4, v[0:1]
	s_delay_alu instid0(VALU_DEP_1) | instskip(NEXT) | instid1(VALU_DEP_2)
	v_add_co_u32 v3, vcc_lo, s12, v0
	v_add_co_ci_u32_e32 v5, vcc_lo, s13, v1, vcc_lo
	s_mov_b32 s12, 0
	s_set_inst_prefetch_distance 0x1
	s_branch .LBB248_4
	.p2align	6
.LBB248_3:                              ;   in Loop: Header=BB248_4 Depth=1
	s_or_b32 exec_lo, exec_lo, s3
	s_add_i32 s12, s12, s15
	s_delay_alu instid0(SALU_CYCLE_1) | instskip(NEXT) | instid1(SALU_CYCLE_1)
	s_ashr_i32 s13, s12, 31
	v_cmp_ge_i64_e64 s3, s[12:13], s[4:5]
	s_delay_alu instid0(VALU_DEP_1)
	s_and_b32 vcc_lo, exec_lo, s3
	s_cbranch_vccnz .LBB248_7
.LBB248_4:                              ; =>This Inner Loop Header: Depth=1
	v_add_nc_u32_e32 v0, s12, v6
	s_delay_alu instid0(VALU_DEP_1) | instskip(SKIP_1) | instid1(VALU_DEP_2)
	v_ashrrev_i32_e32 v1, 31, v0
	v_cmp_lt_i32_e64 s3, v4, v0
	v_cmp_gt_i64_e32 vcc_lo, s[4:5], v[0:1]
	s_delay_alu instid0(VALU_DEP_2) | instskip(NEXT) | instid1(SALU_CYCLE_1)
	s_and_b32 s3, s3, vcc_lo
	s_and_b32 s13, s2, s3
	s_delay_alu instid0(SALU_CYCLE_1)
	s_and_saveexec_b32 s3, s13
	s_cbranch_execz .LBB248_3
; %bb.5:                                ;   in Loop: Header=BB248_4 Depth=1
	v_lshlrev_b64 v[7:8], 4, v[0:1]
	s_load_b32 s13, s[24:25], 0xc
	s_delay_alu instid0(VALU_DEP_1) | instskip(NEXT) | instid1(VALU_DEP_2)
	v_add_co_u32 v7, vcc_lo, v3, v7
	v_add_co_ci_u32_e32 v8, vcc_lo, v5, v8, vcc_lo
	global_load_b128 v[7:10], v[7:8], off
	s_waitcnt lgkmcnt(0)
	s_and_b32 s13, s13, 0xffff
	s_delay_alu instid0(SALU_CYCLE_1) | instskip(NEXT) | instid1(VALU_DEP_1)
	v_mul_lo_u32 v0, v0, s13
	v_lshl_add_u32 v0, v0, 4, v2
	s_waitcnt vmcnt(0)
	ds_store_2addr_b64 v0, v[7:8], v[9:10] offset1:1
	s_branch .LBB248_3
.LBB248_6:
	s_mov_b64 s[16:17], s[28:29]
	s_branch .LBB248_8
.LBB248_7:
	s_set_inst_prefetch_distance 0x2
	s_load_b32 s12, s[24:25], 0xc
	s_mov_b64 s[2:3], src_shared_base
	s_delay_alu instid0(SALU_CYCLE_1)
	s_mov_b32 s27, s3
	s_waitcnt lgkmcnt(0)
	s_and_b32 s2, s12, 0xffff
	s_mov_b64 s[12:13], s[26:27]
.LBB248_8:
	v_mad_u64_u32 v[0:1], null, s14, s15, v[6:7]
	v_mov_b32_e32 v1, 0
	s_mov_b32 s3, exec_lo
	s_waitcnt lgkmcnt(0)
	s_delay_alu instid0(VALU_DEP_1)
	v_cmpx_gt_i64_e64 s[6:7], v[0:1]
	s_cbranch_execz .LBB248_19
; %bb.9:
	v_mov_b32_e32 v5, v1
	s_delay_alu instid0(VALU_DEP_1)
	v_cmp_gt_i64_e32 vcc_lo, s[4:5], v[4:5]
	s_and_b32 exec_lo, exec_lo, vcc_lo
	s_cbranch_execz .LBB248_19
; %bb.10:
	v_mad_u64_u32 v[1:2], null, v0, s20, 0
	s_lshl_b64 s[6:7], s[18:19], 4
	s_delay_alu instid0(SALU_CYCLE_1) | instskip(SKIP_1) | instid1(VALU_DEP_1)
	s_add_u32 s3, s22, s6
	s_addc_u32 s6, s23, s7
	v_mad_u64_u32 v[7:8], null, v0, s21, v[2:3]
	s_delay_alu instid0(VALU_DEP_1) | instskip(NEXT) | instid1(VALU_DEP_1)
	v_mov_b32_e32 v2, v7
	v_lshlrev_b64 v[0:1], 4, v[1:2]
	v_lshlrev_b32_e32 v2, 4, v4
	s_delay_alu instid0(VALU_DEP_2) | instskip(NEXT) | instid1(VALU_DEP_3)
	v_add_co_u32 v0, vcc_lo, s3, v0
	v_add_co_ci_u32_e32 v1, vcc_lo, s6, v1, vcc_lo
	v_cmp_lt_u64_e64 s3, s[4:5], 2
	s_delay_alu instid0(VALU_DEP_3) | instskip(NEXT) | instid1(VALU_DEP_3)
	v_add_co_u32 v7, vcc_lo, v0, v2
	v_add_co_ci_u32_e32 v8, vcc_lo, 0, v1, vcc_lo
	s_delay_alu instid0(VALU_DEP_3) | instskip(SKIP_4) | instid1(VALU_DEP_2)
	s_and_b32 vcc_lo, exec_lo, s3
	global_load_b128 v[9:12], v[7:8], off
	s_waitcnt vmcnt(0)
	v_mul_f64 v[0:1], s[10:11], v[11:12]
	v_mul_f64 v[2:3], s[8:9], v[11:12]
	v_fma_f64 v[0:1], s[8:9], v[9:10], -v[0:1]
	s_delay_alu instid0(VALU_DEP_2)
	v_fma_f64 v[2:3], s[10:11], v[9:10], v[2:3]
	s_cbranch_vccnz .LBB248_18
; %bb.11:
	s_load_b32 s0, s[0:1], 0x0
	v_mad_u64_u32 v[9:10], null, s16, v4, 0
	v_lshl_add_u32 v6, v6, 4, 0
	s_delay_alu instid0(VALU_DEP_2) | instskip(NEXT) | instid1(VALU_DEP_1)
	v_mad_u64_u32 v[11:12], null, s17, v4, v[10:11]
	v_mov_b32_e32 v10, v11
	s_waitcnt lgkmcnt(0)
	s_cmpk_eq_i32 s0, 0x71
	s_delay_alu instid0(VALU_DEP_1)
	v_lshlrev_b64 v[9:10], 4, v[9:10]
	s_cselect_b32 s0, -1, 0
	s_add_u32 s4, s4, -1
	s_addc_u32 s5, s5, -1
	s_mul_hi_u32 s1, s2, s4
	s_mul_i32 s3, s2, s5
	s_mul_i32 s6, s2, s4
	s_add_i32 s7, s1, s3
	s_delay_alu instid0(SALU_CYCLE_1) | instskip(NEXT) | instid1(SALU_CYCLE_1)
	s_lshl_b64 s[6:7], s[6:7], 4
	s_add_u32 s1, s12, s6
	s_addc_u32 s3, s13, s7
	v_add_co_u32 v9, vcc_lo, s1, v9
	v_add_co_ci_u32_e32 v10, vcc_lo, s3, v10, vcc_lo
	s_lshl_b32 s1, s2, 4
	s_delay_alu instid0(SALU_CYCLE_1)
	s_sub_u32 s1, 0, s1
	s_subb_u32 s6, 0, 0
	s_set_inst_prefetch_distance 0x1
	.p2align	6
.LBB248_12:                             ; =>This Inner Loop Header: Depth=1
	s_mov_b32 s2, exec_lo
	s_barrier
	buffer_gl0_inv
	v_cmpx_eq_u64_e64 s[4:5], v[4:5]
	s_cbranch_execz .LBB248_14
; %bb.13:                               ;   in Loop: Header=BB248_12 Depth=1
	ds_store_2addr_b64 v6, v[0:1], v[2:3] offset1:1
.LBB248_14:                             ;   in Loop: Header=BB248_12 Depth=1
	s_or_b32 exec_lo, exec_lo, s2
	s_delay_alu instid0(SALU_CYCLE_1)
	s_mov_b32 s2, exec_lo
	s_waitcnt lgkmcnt(0)
	s_barrier
	buffer_gl0_inv
	v_cmpx_gt_i64_e64 s[4:5], v[4:5]
	s_cbranch_execz .LBB248_16
; %bb.15:                               ;   in Loop: Header=BB248_12 Depth=1
	flat_load_b128 v[11:14], v[9:10]
	ds_load_2addr_b64 v[15:18], v6 offset1:1
	s_waitcnt vmcnt(0) lgkmcnt(1)
	v_xor_b32_e32 v19, 0x80000000, v14
	s_delay_alu instid0(VALU_DEP_1) | instskip(SKIP_1) | instid1(VALU_DEP_1)
	v_cndmask_b32_e64 v14, v14, v19, s0
	s_waitcnt lgkmcnt(0)
	v_mul_f64 v[19:20], v[13:14], v[17:18]
	v_mul_f64 v[17:18], v[11:12], v[17:18]
	s_delay_alu instid0(VALU_DEP_2) | instskip(NEXT) | instid1(VALU_DEP_2)
	v_fma_f64 v[11:12], v[11:12], v[15:16], -v[19:20]
	v_fma_f64 v[13:14], v[13:14], v[15:16], v[17:18]
	s_delay_alu instid0(VALU_DEP_2) | instskip(NEXT) | instid1(VALU_DEP_2)
	v_add_f64 v[0:1], v[0:1], -v[11:12]
	v_add_f64 v[2:3], v[2:3], -v[13:14]
.LBB248_16:                             ;   in Loop: Header=BB248_12 Depth=1
	s_or_b32 exec_lo, exec_lo, s2
	s_add_u32 s2, s4, -1
	s_addc_u32 s3, s5, -1
	s_add_u32 s4, s4, 1
	s_addc_u32 s5, s5, 0
	v_add_co_u32 v9, vcc_lo, v9, s1
	v_cmp_lt_u64_e64 s4, s[4:5], 3
	v_add_co_ci_u32_e32 v10, vcc_lo, s6, v10, vcc_lo
	s_delay_alu instid0(VALU_DEP_2)
	s_and_b32 vcc_lo, exec_lo, s4
	s_cbranch_vccnz .LBB248_18
; %bb.17:                               ;   in Loop: Header=BB248_12 Depth=1
	s_mov_b64 s[4:5], s[2:3]
	s_branch .LBB248_12
.LBB248_18:
	s_set_inst_prefetch_distance 0x2
	global_store_b128 v[7:8], v[0:3], off
.LBB248_19:
	s_nop 0
	s_sendmsg sendmsg(MSG_DEALLOC_VGPRS)
	s_endpgm
	.section	.rodata,"a",@progbits
	.p2align	6, 0x0
	.amdhsa_kernel _ZL40rocblas_trsm_block_backward_substitutionI19rocblas_complex_numIdES1_PKPKS1_PKPS1_Lb0ELb1ELb1EEv18rocblas_operation_llT0_T1_lllT2_lllib
		.amdhsa_group_segment_fixed_size 0
		.amdhsa_private_segment_fixed_size 0
		.amdhsa_kernarg_size 368
		.amdhsa_user_sgpr_count 13
		.amdhsa_user_sgpr_dispatch_ptr 0
		.amdhsa_user_sgpr_queue_ptr 0
		.amdhsa_user_sgpr_kernarg_segment_ptr 1
		.amdhsa_user_sgpr_dispatch_id 0
		.amdhsa_user_sgpr_private_segment_size 0
		.amdhsa_wavefront_size32 1
		.amdhsa_uses_dynamic_stack 0
		.amdhsa_enable_private_segment 0
		.amdhsa_system_sgpr_workgroup_id_x 1
		.amdhsa_system_sgpr_workgroup_id_y 1
		.amdhsa_system_sgpr_workgroup_id_z 1
		.amdhsa_system_sgpr_workgroup_info 0
		.amdhsa_system_vgpr_workitem_id 1
		.amdhsa_next_free_vgpr 21
		.amdhsa_next_free_sgpr 30
		.amdhsa_reserve_vcc 1
		.amdhsa_float_round_mode_32 0
		.amdhsa_float_round_mode_16_64 0
		.amdhsa_float_denorm_mode_32 3
		.amdhsa_float_denorm_mode_16_64 3
		.amdhsa_dx10_clamp 1
		.amdhsa_ieee_mode 1
		.amdhsa_fp16_overflow 0
		.amdhsa_workgroup_processor_mode 1
		.amdhsa_memory_ordered 1
		.amdhsa_forward_progress 0
		.amdhsa_shared_vgpr_count 0
		.amdhsa_exception_fp_ieee_invalid_op 0
		.amdhsa_exception_fp_denorm_src 0
		.amdhsa_exception_fp_ieee_div_zero 0
		.amdhsa_exception_fp_ieee_overflow 0
		.amdhsa_exception_fp_ieee_underflow 0
		.amdhsa_exception_fp_ieee_inexact 0
		.amdhsa_exception_int_div_zero 0
	.end_amdhsa_kernel
	.section	.text._ZL40rocblas_trsm_block_backward_substitutionI19rocblas_complex_numIdES1_PKPKS1_PKPS1_Lb0ELb1ELb1EEv18rocblas_operation_llT0_T1_lllT2_lllib,"axG",@progbits,_ZL40rocblas_trsm_block_backward_substitutionI19rocblas_complex_numIdES1_PKPKS1_PKPS1_Lb0ELb1ELb1EEv18rocblas_operation_llT0_T1_lllT2_lllib,comdat
.Lfunc_end248:
	.size	_ZL40rocblas_trsm_block_backward_substitutionI19rocblas_complex_numIdES1_PKPKS1_PKPS1_Lb0ELb1ELb1EEv18rocblas_operation_llT0_T1_lllT2_lllib, .Lfunc_end248-_ZL40rocblas_trsm_block_backward_substitutionI19rocblas_complex_numIdES1_PKPKS1_PKPS1_Lb0ELb1ELb1EEv18rocblas_operation_llT0_T1_lllT2_lllib
                                        ; -- End function
	.section	.AMDGPU.csdata,"",@progbits
; Kernel info:
; codeLenInByte = 1116
; NumSgprs: 32
; NumVgprs: 21
; ScratchSize: 0
; MemoryBound: 0
; FloatMode: 240
; IeeeMode: 1
; LDSByteSize: 0 bytes/workgroup (compile time only)
; SGPRBlocks: 3
; VGPRBlocks: 2
; NumSGPRsForWavesPerEU: 32
; NumVGPRsForWavesPerEU: 21
; Occupancy: 16
; WaveLimiterHint : 1
; COMPUTE_PGM_RSRC2:SCRATCH_EN: 0
; COMPUTE_PGM_RSRC2:USER_SGPR: 13
; COMPUTE_PGM_RSRC2:TRAP_HANDLER: 0
; COMPUTE_PGM_RSRC2:TGID_X_EN: 1
; COMPUTE_PGM_RSRC2:TGID_Y_EN: 1
; COMPUTE_PGM_RSRC2:TGID_Z_EN: 1
; COMPUTE_PGM_RSRC2:TIDIG_COMP_CNT: 1
	.section	.text._ZL39rocblas_trsm_block_forward_substitutionI19rocblas_complex_numIdES1_PKPKS1_PKPS1_Lb1ELb1ELb0EEv18rocblas_operation_llT0_T1_lllT2_lllib,"axG",@progbits,_ZL39rocblas_trsm_block_forward_substitutionI19rocblas_complex_numIdES1_PKPKS1_PKPS1_Lb1ELb1ELb0EEv18rocblas_operation_llT0_T1_lllT2_lllib,comdat
	.globl	_ZL39rocblas_trsm_block_forward_substitutionI19rocblas_complex_numIdES1_PKPKS1_PKPS1_Lb1ELb1ELb0EEv18rocblas_operation_llT0_T1_lllT2_lllib ; -- Begin function _ZL39rocblas_trsm_block_forward_substitutionI19rocblas_complex_numIdES1_PKPKS1_PKPS1_Lb1ELb1ELb0EEv18rocblas_operation_llT0_T1_lllT2_lllib
	.p2align	8
	.type	_ZL39rocblas_trsm_block_forward_substitutionI19rocblas_complex_numIdES1_PKPKS1_PKPS1_Lb1ELb1ELb0EEv18rocblas_operation_llT0_T1_lllT2_lllib,@function
_ZL39rocblas_trsm_block_forward_substitutionI19rocblas_complex_numIdES1_PKPKS1_PKPS1_Lb1ELb1ELb0EEv18rocblas_operation_llT0_T1_lllT2_lllib: ; @_ZL39rocblas_trsm_block_forward_substitutionI19rocblas_complex_numIdES1_PKPKS1_PKPS1_Lb1ELb1ELb0EEv18rocblas_operation_llT0_T1_lllT2_lllib
; %bb.0:
	s_clause 0x3
	s_load_b32 s3, s[0:1], 0x6c
	s_load_b128 s[4:7], s[0:1], 0x28
	s_load_b64 s[28:29], s[0:1], 0x38
	s_load_b32 s26, s[0:1], 0x7c
	s_mov_b32 s2, s15
	s_load_b64 s[22:23], s[0:1], 0x58
	v_and_b32_e32 v8, 0x3ff, v0
	v_bfe_u32 v12, v0, 10, 10
	s_waitcnt lgkmcnt(0)
	s_bitcmp1_b32 s3, 0
	s_mov_b32 s3, 0
	s_cselect_b32 s10, -1, 0
	s_lshl_b64 s[8:9], s[2:3], 3
	s_xor_b32 s15, s10, -1
	s_add_u32 s2, s4, s8
	s_addc_u32 s3, s5, s9
	s_lshl_b64 s[4:5], s[6:7], 4
	s_load_b64 s[2:3], s[2:3], 0x0
	s_load_b128 s[16:19], s[0:1], 0x48
	s_waitcnt lgkmcnt(0)
	s_add_u32 s2, s2, s4
	s_addc_u32 s3, s3, s5
	s_add_u32 s12, s16, s8
	s_addc_u32 s13, s17, s9
	s_load_b256 s[4:11], s[0:1], 0x8
	s_load_b64 s[20:21], s[12:13], 0x0
	s_add_u32 s24, s0, 0x70
	s_addc_u32 s25, s1, 0
	s_lshr_b32 s30, s26, 16
	s_and_b32 vcc_lo, exec_lo, s15
	s_mov_b64 s[16:17], 1
	s_cbranch_vccnz .LBB249_14
; %bb.1:
	s_waitcnt lgkmcnt(0)
	v_cmp_lt_i64_e64 s12, s[4:5], 1
	s_lshl_b32 s13, s30, 4
	s_delay_alu instid0(SALU_CYCLE_1) | instskip(NEXT) | instid1(VALU_DEP_1)
	s_add_i32 s26, s13, 0
	s_and_b32 vcc_lo, exec_lo, s12
	s_mov_b64 s[12:13], 1
	s_cbranch_vccnz .LBB249_15
; %bb.2:
	v_mad_u64_u32 v[0:1], null, v8, s28, 0
	v_mov_b32_e32 v9, 0
	v_mov_b32_e32 v13, v12
	s_delay_alu instid0(VALU_DEP_3) | instskip(NEXT) | instid1(VALU_DEP_1)
	v_mad_u64_u32 v[2:3], null, v8, s29, v[1:2]
	v_dual_mov_b32 v1, v2 :: v_dual_lshlrev_b32 v2, 4, v8
	s_delay_alu instid0(VALU_DEP_1) | instskip(NEXT) | instid1(VALU_DEP_2)
	v_lshlrev_b64 v[0:1], 4, v[0:1]
	v_add_nc_u32_e32 v11, s26, v2
	s_delay_alu instid0(VALU_DEP_2) | instskip(NEXT) | instid1(VALU_DEP_3)
	v_add_co_u32 v16, vcc_lo, s2, v0
	v_add_co_ci_u32_e32 v17, vcc_lo, s3, v1, vcc_lo
	v_cmp_le_u64_e32 vcc_lo, s[4:5], v[8:9]
	s_delay_alu instid0(VALU_DEP_3) | instskip(NEXT) | instid1(VALU_DEP_1)
	v_add_co_u32 v9, s2, v16, v2
	v_add_co_ci_u32_e64 v10, s2, 0, v17, s2
	s_mov_b32 s2, s30
	s_xor_b32 s16, vcc_lo, -1
	s_branch .LBB249_6
.LBB249_3:                              ;   in Loop: Header=BB249_6 Depth=1
	s_or_b32 exec_lo, exec_lo, s27
	s_load_b32 s27, s[24:25], 0xc
	s_waitcnt lgkmcnt(0)
	s_and_b32 s27, s27, 0xffff
	s_delay_alu instid0(SALU_CYCLE_1) | instskip(NEXT) | instid1(VALU_DEP_1)
	v_mul_u32_u24_e32 v0, s27, v8
	v_lshl_add_u32 v0, v0, 4, v11
	ds_store_2addr_b64 v0, v[14:15], v[6:7] offset1:1
.LBB249_4:                              ;   in Loop: Header=BB249_6 Depth=1
	s_or_b32 exec_lo, exec_lo, s17
.LBB249_5:                              ;   in Loop: Header=BB249_6 Depth=1
	s_delay_alu instid0(SALU_CYCLE_1) | instskip(SKIP_4) | instid1(VALU_DEP_1)
	s_or_b32 exec_lo, exec_lo, s3
	s_ashr_i32 s3, s2, 31
	v_add_nc_u32_e32 v13, s30, v13
	v_cmp_ge_i64_e64 s3, s[2:3], s[4:5]
	s_add_i32 s2, s2, s30
	s_and_b32 vcc_lo, exec_lo, s3
	s_cbranch_vccnz .LBB249_15
.LBB249_6:                              ; =>This Inner Loop Header: Depth=1
	v_cmp_gt_i32_e32 vcc_lo, v8, v13
	s_and_b32 s3, s16, vcc_lo
	s_delay_alu instid0(SALU_CYCLE_1) | instskip(NEXT) | instid1(SALU_CYCLE_1)
	s_and_saveexec_b32 s17, s3
	s_xor_b32 s3, exec_lo, s17
	s_cbranch_execz .LBB249_8
; %bb.7:                                ;   in Loop: Header=BB249_6 Depth=1
	v_ashrrev_i32_e32 v14, 31, v13
	s_load_b32 s17, s[24:25], 0xc
	s_delay_alu instid0(VALU_DEP_1) | instskip(NEXT) | instid1(VALU_DEP_1)
	v_lshlrev_b64 v[0:1], 4, v[13:14]
	v_add_co_u32 v0, vcc_lo, v16, v0
	s_delay_alu instid0(VALU_DEP_2) | instskip(SKIP_3) | instid1(SALU_CYCLE_1)
	v_add_co_ci_u32_e32 v1, vcc_lo, v17, v1, vcc_lo
	global_load_b128 v[0:3], v[0:1], off
	s_waitcnt lgkmcnt(0)
	s_and_b32 s17, s17, 0xffff
	v_mul_lo_u32 v4, v13, s17
	s_delay_alu instid0(VALU_DEP_1)
	v_lshl_add_u32 v4, v4, 4, v11
	s_waitcnt vmcnt(0)
	ds_store_2addr_b64 v4, v[0:1], v[2:3] offset1:1
.LBB249_8:                              ;   in Loop: Header=BB249_6 Depth=1
	s_and_not1_saveexec_b32 s3, s3
	s_cbranch_execz .LBB249_5
; %bb.9:                                ;   in Loop: Header=BB249_6 Depth=1
	v_cmp_eq_u32_e32 vcc_lo, v8, v13
	s_and_b32 s27, s16, vcc_lo
	s_delay_alu instid0(SALU_CYCLE_1)
	s_and_saveexec_b32 s17, s27
	s_cbranch_execz .LBB249_4
; %bb.10:                               ;   in Loop: Header=BB249_6 Depth=1
	global_load_b128 v[0:3], v[9:10], off
	s_mov_b32 s27, exec_lo
                                        ; implicit-def: $vgpr14_vgpr15
	s_waitcnt vmcnt(0)
	v_cmp_gt_f64_e32 vcc_lo, 0, v[0:1]
	v_xor_b32_e32 v5, 0x80000000, v1
	v_mov_b32_e32 v4, v0
	v_xor_b32_e32 v6, 0x80000000, v3
	s_delay_alu instid0(VALU_DEP_3) | instskip(SKIP_1) | instid1(VALU_DEP_3)
	v_cndmask_b32_e32 v5, v1, v5, vcc_lo
	v_cmp_gt_f64_e32 vcc_lo, 0, v[2:3]
	v_dual_cndmask_b32 v7, v3, v6 :: v_dual_mov_b32 v6, v2
	s_delay_alu instid0(VALU_DEP_1)
	v_cmpx_ngt_f64_e32 v[4:5], v[6:7]
	s_xor_b32 s27, exec_lo, s27
                                        ; implicit-def: $vgpr4_vgpr5_vgpr6_vgpr7
	s_cbranch_execz .LBB249_12
; %bb.11:                               ;   in Loop: Header=BB249_6 Depth=1
	v_div_scale_f64 v[4:5], null, v[2:3], v[2:3], v[0:1]
	v_div_scale_f64 v[18:19], vcc_lo, v[0:1], v[2:3], v[0:1]
	s_delay_alu instid0(VALU_DEP_2) | instskip(SKIP_2) | instid1(VALU_DEP_1)
	v_rcp_f64_e32 v[6:7], v[4:5]
	s_waitcnt_depctr 0xfff
	v_fma_f64 v[14:15], -v[4:5], v[6:7], 1.0
	v_fma_f64 v[6:7], v[6:7], v[14:15], v[6:7]
	s_delay_alu instid0(VALU_DEP_1) | instskip(NEXT) | instid1(VALU_DEP_1)
	v_fma_f64 v[14:15], -v[4:5], v[6:7], 1.0
	v_fma_f64 v[6:7], v[6:7], v[14:15], v[6:7]
	s_delay_alu instid0(VALU_DEP_1) | instskip(NEXT) | instid1(VALU_DEP_1)
	v_mul_f64 v[14:15], v[18:19], v[6:7]
	v_fma_f64 v[4:5], -v[4:5], v[14:15], v[18:19]
	s_delay_alu instid0(VALU_DEP_1) | instskip(NEXT) | instid1(VALU_DEP_1)
	v_div_fmas_f64 v[4:5], v[4:5], v[6:7], v[14:15]
	v_div_fixup_f64 v[4:5], v[4:5], v[2:3], v[0:1]
	s_delay_alu instid0(VALU_DEP_1) | instskip(NEXT) | instid1(VALU_DEP_1)
	v_fma_f64 v[0:1], v[0:1], v[4:5], v[2:3]
	v_div_scale_f64 v[2:3], null, v[0:1], v[0:1], 1.0
	s_delay_alu instid0(VALU_DEP_1) | instskip(SKIP_2) | instid1(VALU_DEP_1)
	v_rcp_f64_e32 v[6:7], v[2:3]
	s_waitcnt_depctr 0xfff
	v_fma_f64 v[14:15], -v[2:3], v[6:7], 1.0
	v_fma_f64 v[6:7], v[6:7], v[14:15], v[6:7]
	s_delay_alu instid0(VALU_DEP_1) | instskip(NEXT) | instid1(VALU_DEP_1)
	v_fma_f64 v[14:15], -v[2:3], v[6:7], 1.0
	v_fma_f64 v[6:7], v[6:7], v[14:15], v[6:7]
	v_div_scale_f64 v[14:15], vcc_lo, 1.0, v[0:1], 1.0
	s_delay_alu instid0(VALU_DEP_1) | instskip(NEXT) | instid1(VALU_DEP_1)
	v_mul_f64 v[18:19], v[14:15], v[6:7]
	v_fma_f64 v[2:3], -v[2:3], v[18:19], v[14:15]
	s_delay_alu instid0(VALU_DEP_1) | instskip(NEXT) | instid1(VALU_DEP_1)
	v_div_fmas_f64 v[2:3], v[2:3], v[6:7], v[18:19]
	v_div_fixup_f64 v[6:7], v[2:3], v[0:1], 1.0
                                        ; implicit-def: $vgpr0_vgpr1
	s_delay_alu instid0(VALU_DEP_1)
	v_mul_f64 v[14:15], v[4:5], v[6:7]
	v_xor_b32_e32 v7, 0x80000000, v7
.LBB249_12:                             ;   in Loop: Header=BB249_6 Depth=1
	s_and_not1_saveexec_b32 s27, s27
	s_cbranch_execz .LBB249_3
; %bb.13:                               ;   in Loop: Header=BB249_6 Depth=1
	v_div_scale_f64 v[4:5], null, v[0:1], v[0:1], v[2:3]
	v_div_scale_f64 v[18:19], vcc_lo, v[2:3], v[0:1], v[2:3]
	s_delay_alu instid0(VALU_DEP_2) | instskip(SKIP_2) | instid1(VALU_DEP_1)
	v_rcp_f64_e32 v[6:7], v[4:5]
	s_waitcnt_depctr 0xfff
	v_fma_f64 v[14:15], -v[4:5], v[6:7], 1.0
	v_fma_f64 v[6:7], v[6:7], v[14:15], v[6:7]
	s_delay_alu instid0(VALU_DEP_1) | instskip(NEXT) | instid1(VALU_DEP_1)
	v_fma_f64 v[14:15], -v[4:5], v[6:7], 1.0
	v_fma_f64 v[6:7], v[6:7], v[14:15], v[6:7]
	s_delay_alu instid0(VALU_DEP_1) | instskip(NEXT) | instid1(VALU_DEP_1)
	v_mul_f64 v[14:15], v[18:19], v[6:7]
	v_fma_f64 v[4:5], -v[4:5], v[14:15], v[18:19]
	s_delay_alu instid0(VALU_DEP_1) | instskip(NEXT) | instid1(VALU_DEP_1)
	v_div_fmas_f64 v[4:5], v[4:5], v[6:7], v[14:15]
	v_div_fixup_f64 v[4:5], v[4:5], v[0:1], v[2:3]
	s_delay_alu instid0(VALU_DEP_1) | instskip(NEXT) | instid1(VALU_DEP_1)
	v_fma_f64 v[0:1], v[2:3], v[4:5], v[0:1]
	v_div_scale_f64 v[2:3], null, v[0:1], v[0:1], 1.0
	s_delay_alu instid0(VALU_DEP_1) | instskip(SKIP_2) | instid1(VALU_DEP_1)
	v_rcp_f64_e32 v[6:7], v[2:3]
	s_waitcnt_depctr 0xfff
	v_fma_f64 v[14:15], -v[2:3], v[6:7], 1.0
	v_fma_f64 v[6:7], v[6:7], v[14:15], v[6:7]
	s_delay_alu instid0(VALU_DEP_1) | instskip(NEXT) | instid1(VALU_DEP_1)
	v_fma_f64 v[14:15], -v[2:3], v[6:7], 1.0
	v_fma_f64 v[6:7], v[6:7], v[14:15], v[6:7]
	v_div_scale_f64 v[14:15], vcc_lo, 1.0, v[0:1], 1.0
	s_delay_alu instid0(VALU_DEP_1) | instskip(NEXT) | instid1(VALU_DEP_1)
	v_mul_f64 v[18:19], v[14:15], v[6:7]
	v_fma_f64 v[2:3], -v[2:3], v[18:19], v[14:15]
	s_delay_alu instid0(VALU_DEP_1) | instskip(NEXT) | instid1(VALU_DEP_1)
	v_div_fmas_f64 v[2:3], v[2:3], v[6:7], v[18:19]
	v_div_fixup_f64 v[14:15], v[2:3], v[0:1], 1.0
	s_delay_alu instid0(VALU_DEP_1)
	v_mul_f64 v[6:7], v[4:5], -v[14:15]
	s_branch .LBB249_3
.LBB249_14:
	s_mov_b64 s[12:13], s[28:29]
	s_branch .LBB249_16
.LBB249_15:
	s_load_b32 s16, s[24:25], 0xc
	s_mov_b64 s[2:3], src_shared_base
	s_mov_b32 s17, 0
	s_mov_b32 s27, s3
	s_delay_alu instid0(SALU_CYCLE_1)
	s_mov_b64 s[2:3], s[26:27]
	s_waitcnt lgkmcnt(0)
	s_and_b32 s16, s16, 0xffff
.LBB249_16:
	v_mad_u64_u32 v[0:1], null, s14, s30, v[12:13]
	v_mov_b32_e32 v1, 0
	s_waitcnt lgkmcnt(0)
	s_delay_alu instid0(VALU_DEP_1)
	v_cmp_gt_i64_e32 vcc_lo, s[6:7], v[0:1]
	s_and_saveexec_b32 s6, vcc_lo
	s_cbranch_execz .LBB249_40
; %bb.17:
	v_mov_b32_e32 v9, v1
	s_delay_alu instid0(VALU_DEP_1)
	v_cmp_gt_i64_e32 vcc_lo, s[4:5], v[8:9]
	s_and_b32 exec_lo, exec_lo, vcc_lo
	s_cbranch_execz .LBB249_40
; %bb.18:
	v_mad_u64_u32 v[2:3], null, v8, s22, 0
	s_lshl_b64 s[6:7], s[18:19], 4
	v_lshlrev_b64 v[0:1], 4, v[0:1]
	s_add_u32 s6, s20, s6
	s_addc_u32 s7, s21, s7
	s_delay_alu instid0(VALU_DEP_2) | instskip(NEXT) | instid1(VALU_DEP_1)
	v_mad_u64_u32 v[4:5], null, v8, s23, v[3:4]
	v_mov_b32_e32 v3, v4
	s_delay_alu instid0(VALU_DEP_1) | instskip(NEXT) | instid1(VALU_DEP_1)
	v_lshlrev_b64 v[2:3], 4, v[2:3]
	v_add_co_u32 v2, vcc_lo, s6, v2
	s_delay_alu instid0(VALU_DEP_2) | instskip(SKIP_1) | instid1(VALU_DEP_3)
	v_add_co_ci_u32_e32 v3, vcc_lo, s7, v3, vcc_lo
	v_cmp_lt_u64_e64 s6, s[4:5], 2
	v_add_co_u32 v6, vcc_lo, v2, v0
	s_delay_alu instid0(VALU_DEP_3) | instskip(SKIP_2) | instid1(VALU_DEP_3)
	v_add_co_ci_u32_e32 v7, vcc_lo, v3, v1, vcc_lo
	s_add_u32 s4, s4, -1
	s_addc_u32 s5, s5, -1
	s_and_b32 vcc_lo, exec_lo, s6
	global_load_b128 v[2:5], v[6:7], off
	s_waitcnt vmcnt(0)
	v_mul_f64 v[0:1], s[10:11], v[4:5]
	v_mul_f64 v[4:5], s[8:9], v[4:5]
	s_delay_alu instid0(VALU_DEP_2) | instskip(NEXT) | instid1(VALU_DEP_2)
	v_fma_f64 v[0:1], s[8:9], v[2:3], -v[0:1]
	v_fma_f64 v[10:11], s[10:11], v[2:3], v[4:5]
	s_cbranch_vccnz .LBB249_31
; %bb.19:
	s_load_b32 s0, s[0:1], 0x0
	v_mad_u64_u32 v[2:3], null, s12, v8, 0
	v_lshl_add_u32 v16, v12, 4, 0
	s_mov_b64 s[6:7], 0
	s_waitcnt lgkmcnt(0)
	s_cmpk_eq_i32 s0, 0x71
	s_cselect_b32 s0, -1, 0
	s_add_u32 s1, s16, s12
	s_delay_alu instid0(SALU_CYCLE_1) | instskip(SKIP_2) | instid1(VALU_DEP_1)
	v_mad_u64_u32 v[4:5], null, s1, v8, 0
	s_addc_u32 s1, s17, s13
	s_lshl_b32 s8, s16, 4
	v_mad_u64_u32 v[13:14], null, s13, v8, v[3:4]
	s_delay_alu instid0(VALU_DEP_2) | instskip(NEXT) | instid1(VALU_DEP_2)
	v_mad_u64_u32 v[14:15], null, s1, v8, v[5:6]
	v_mov_b32_e32 v3, v13
	s_delay_alu instid0(VALU_DEP_2) | instskip(NEXT) | instid1(VALU_DEP_2)
	v_mov_b32_e32 v5, v14
	v_lshlrev_b64 v[2:3], 4, v[2:3]
	s_delay_alu instid0(VALU_DEP_2) | instskip(NEXT) | instid1(VALU_DEP_2)
	v_lshlrev_b64 v[4:5], 4, v[4:5]
	v_add_co_u32 v12, vcc_lo, s2, v2
	s_delay_alu instid0(VALU_DEP_3) | instskip(NEXT) | instid1(VALU_DEP_3)
	v_add_co_ci_u32_e32 v13, vcc_lo, s3, v3, vcc_lo
	v_add_co_u32 v14, vcc_lo, s2, v4
	s_delay_alu instid0(VALU_DEP_4)
	v_add_co_ci_u32_e32 v15, vcc_lo, s3, v5, vcc_lo
	s_branch .LBB249_21
.LBB249_20:                             ;   in Loop: Header=BB249_21 Depth=1
	s_or_b32 exec_lo, exec_lo, s1
	v_add_co_u32 v12, vcc_lo, v12, s8
	s_add_u32 s6, s6, 1
	v_add_co_ci_u32_e32 v13, vcc_lo, 0, v13, vcc_lo
	s_addc_u32 s7, s7, 0
	s_delay_alu instid0(SALU_CYCLE_1)
	s_cmp_eq_u64 s[4:5], s[6:7]
	s_cbranch_scc1 .LBB249_31
.LBB249_21:                             ; =>This Inner Loop Header: Depth=1
	s_mov_b32 s9, exec_lo
	s_barrier
	buffer_gl0_inv
	v_cmpx_eq_u64_e64 s[6:7], v[8:9]
	s_cbranch_execz .LBB249_29
; %bb.22:                               ;   in Loop: Header=BB249_21 Depth=1
	flat_load_b128 v[2:5], v[14:15]
	s_and_not1_b32 vcc_lo, exec_lo, s15
	s_cbranch_vccnz .LBB249_28
; %bb.23:                               ;   in Loop: Header=BB249_21 Depth=1
	s_waitcnt vmcnt(0) lgkmcnt(0)
	v_cmp_gt_f64_e32 vcc_lo, 0, v[2:3]
	v_cmp_gt_f64_e64 s1, 0, v[4:5]
	v_xor_b32_e32 v17, 0x80000000, v3
	v_xor_b32_e32 v19, 0x80000000, v5
	s_delay_alu instid0(VALU_DEP_2) | instskip(NEXT) | instid1(VALU_DEP_2)
	v_dual_cndmask_b32 v18, v3, v17 :: v_dual_cndmask_b32 v17, v2, v2
	v_cndmask_b32_e64 v20, v5, v19, s1
	v_cndmask_b32_e64 v19, v4, v4, s1
	s_mov_b32 s1, exec_lo
	s_delay_alu instid0(VALU_DEP_1)
	v_cmpx_ngt_f64_e32 v[17:18], v[19:20]
	s_xor_b32 s1, exec_lo, s1
	s_cbranch_execz .LBB249_25
; %bb.24:                               ;   in Loop: Header=BB249_21 Depth=1
	v_div_scale_f64 v[17:18], null, v[4:5], v[4:5], v[2:3]
	v_div_scale_f64 v[23:24], vcc_lo, v[2:3], v[4:5], v[2:3]
	s_delay_alu instid0(VALU_DEP_2) | instskip(SKIP_2) | instid1(VALU_DEP_1)
	v_rcp_f64_e32 v[19:20], v[17:18]
	s_waitcnt_depctr 0xfff
	v_fma_f64 v[21:22], -v[17:18], v[19:20], 1.0
	v_fma_f64 v[19:20], v[19:20], v[21:22], v[19:20]
	s_delay_alu instid0(VALU_DEP_1) | instskip(NEXT) | instid1(VALU_DEP_1)
	v_fma_f64 v[21:22], -v[17:18], v[19:20], 1.0
	v_fma_f64 v[19:20], v[19:20], v[21:22], v[19:20]
	s_delay_alu instid0(VALU_DEP_1) | instskip(NEXT) | instid1(VALU_DEP_1)
	v_mul_f64 v[21:22], v[23:24], v[19:20]
	v_fma_f64 v[17:18], -v[17:18], v[21:22], v[23:24]
	s_delay_alu instid0(VALU_DEP_1) | instskip(NEXT) | instid1(VALU_DEP_1)
	v_div_fmas_f64 v[17:18], v[17:18], v[19:20], v[21:22]
	v_div_fixup_f64 v[17:18], v[17:18], v[4:5], v[2:3]
	s_delay_alu instid0(VALU_DEP_1) | instskip(NEXT) | instid1(VALU_DEP_1)
	v_fma_f64 v[2:3], v[2:3], v[17:18], v[4:5]
	v_div_scale_f64 v[4:5], null, v[2:3], v[2:3], 1.0
	s_delay_alu instid0(VALU_DEP_1) | instskip(SKIP_2) | instid1(VALU_DEP_1)
	v_rcp_f64_e32 v[19:20], v[4:5]
	s_waitcnt_depctr 0xfff
	v_fma_f64 v[21:22], -v[4:5], v[19:20], 1.0
	v_fma_f64 v[19:20], v[19:20], v[21:22], v[19:20]
	s_delay_alu instid0(VALU_DEP_1) | instskip(NEXT) | instid1(VALU_DEP_1)
	v_fma_f64 v[21:22], -v[4:5], v[19:20], 1.0
	v_fma_f64 v[19:20], v[19:20], v[21:22], v[19:20]
	v_div_scale_f64 v[21:22], vcc_lo, 1.0, v[2:3], 1.0
	s_delay_alu instid0(VALU_DEP_1) | instskip(NEXT) | instid1(VALU_DEP_1)
	v_mul_f64 v[23:24], v[21:22], v[19:20]
	v_fma_f64 v[4:5], -v[4:5], v[23:24], v[21:22]
	s_delay_alu instid0(VALU_DEP_1) | instskip(NEXT) | instid1(VALU_DEP_1)
	v_div_fmas_f64 v[4:5], v[4:5], v[19:20], v[23:24]
	v_div_fixup_f64 v[4:5], v[4:5], v[2:3], 1.0
	s_delay_alu instid0(VALU_DEP_1)
	v_mul_f64 v[2:3], v[17:18], v[4:5]
	v_xor_b32_e32 v5, 0x80000000, v5
.LBB249_25:                             ;   in Loop: Header=BB249_21 Depth=1
	s_and_not1_saveexec_b32 s1, s1
	s_cbranch_execz .LBB249_27
; %bb.26:                               ;   in Loop: Header=BB249_21 Depth=1
	s_delay_alu instid0(VALU_DEP_1) | instskip(SKIP_1) | instid1(VALU_DEP_2)
	v_div_scale_f64 v[17:18], null, v[2:3], v[2:3], v[4:5]
	v_div_scale_f64 v[23:24], vcc_lo, v[4:5], v[2:3], v[4:5]
	v_rcp_f64_e32 v[19:20], v[17:18]
	s_waitcnt_depctr 0xfff
	v_fma_f64 v[21:22], -v[17:18], v[19:20], 1.0
	s_delay_alu instid0(VALU_DEP_1) | instskip(NEXT) | instid1(VALU_DEP_1)
	v_fma_f64 v[19:20], v[19:20], v[21:22], v[19:20]
	v_fma_f64 v[21:22], -v[17:18], v[19:20], 1.0
	s_delay_alu instid0(VALU_DEP_1) | instskip(NEXT) | instid1(VALU_DEP_1)
	v_fma_f64 v[19:20], v[19:20], v[21:22], v[19:20]
	v_mul_f64 v[21:22], v[23:24], v[19:20]
	s_delay_alu instid0(VALU_DEP_1) | instskip(NEXT) | instid1(VALU_DEP_1)
	v_fma_f64 v[17:18], -v[17:18], v[21:22], v[23:24]
	v_div_fmas_f64 v[17:18], v[17:18], v[19:20], v[21:22]
	s_delay_alu instid0(VALU_DEP_1) | instskip(NEXT) | instid1(VALU_DEP_1)
	v_div_fixup_f64 v[17:18], v[17:18], v[2:3], v[4:5]
	v_fma_f64 v[2:3], v[4:5], v[17:18], v[2:3]
	s_delay_alu instid0(VALU_DEP_1) | instskip(NEXT) | instid1(VALU_DEP_1)
	v_div_scale_f64 v[4:5], null, v[2:3], v[2:3], 1.0
	v_rcp_f64_e32 v[19:20], v[4:5]
	s_waitcnt_depctr 0xfff
	v_fma_f64 v[21:22], -v[4:5], v[19:20], 1.0
	s_delay_alu instid0(VALU_DEP_1) | instskip(NEXT) | instid1(VALU_DEP_1)
	v_fma_f64 v[19:20], v[19:20], v[21:22], v[19:20]
	v_fma_f64 v[21:22], -v[4:5], v[19:20], 1.0
	s_delay_alu instid0(VALU_DEP_1) | instskip(SKIP_1) | instid1(VALU_DEP_1)
	v_fma_f64 v[19:20], v[19:20], v[21:22], v[19:20]
	v_div_scale_f64 v[21:22], vcc_lo, 1.0, v[2:3], 1.0
	v_mul_f64 v[23:24], v[21:22], v[19:20]
	s_delay_alu instid0(VALU_DEP_1) | instskip(NEXT) | instid1(VALU_DEP_1)
	v_fma_f64 v[4:5], -v[4:5], v[23:24], v[21:22]
	v_div_fmas_f64 v[4:5], v[4:5], v[19:20], v[23:24]
	s_delay_alu instid0(VALU_DEP_1) | instskip(NEXT) | instid1(VALU_DEP_1)
	v_div_fixup_f64 v[2:3], v[4:5], v[2:3], 1.0
	v_mul_f64 v[4:5], v[17:18], -v[2:3]
.LBB249_27:                             ;   in Loop: Header=BB249_21 Depth=1
	s_or_b32 exec_lo, exec_lo, s1
.LBB249_28:                             ;   in Loop: Header=BB249_21 Depth=1
	s_waitcnt vmcnt(0) lgkmcnt(0)
	s_delay_alu instid0(VALU_DEP_1) | instskip(SKIP_1) | instid1(VALU_DEP_2)
	v_mul_f64 v[17:18], v[10:11], v[4:5]
	v_mul_f64 v[4:5], v[0:1], v[4:5]
	v_fma_f64 v[17:18], v[0:1], v[2:3], -v[17:18]
	s_delay_alu instid0(VALU_DEP_2) | instskip(NEXT) | instid1(VALU_DEP_2)
	v_fma_f64 v[10:11], v[10:11], v[2:3], v[4:5]
	v_dual_mov_b32 v0, v17 :: v_dual_mov_b32 v1, v18
	ds_store_2addr_b64 v16, v[17:18], v[10:11] offset1:1
.LBB249_29:                             ;   in Loop: Header=BB249_21 Depth=1
	s_or_b32 exec_lo, exec_lo, s9
	s_delay_alu instid0(SALU_CYCLE_1)
	s_mov_b32 s1, exec_lo
	s_waitcnt lgkmcnt(0)
	s_barrier
	buffer_gl0_inv
	v_cmpx_lt_u64_e64 s[6:7], v[8:9]
	s_cbranch_execz .LBB249_20
; %bb.30:                               ;   in Loop: Header=BB249_21 Depth=1
	flat_load_b128 v[2:5], v[12:13]
	ds_load_2addr_b64 v[17:20], v16 offset1:1
	s_waitcnt vmcnt(0) lgkmcnt(1)
	v_xor_b32_e32 v21, 0x80000000, v5
	s_delay_alu instid0(VALU_DEP_1) | instskip(SKIP_1) | instid1(VALU_DEP_1)
	v_cndmask_b32_e64 v5, v5, v21, s0
	s_waitcnt lgkmcnt(0)
	v_mul_f64 v[21:22], v[4:5], v[19:20]
	v_mul_f64 v[19:20], v[2:3], v[19:20]
	s_delay_alu instid0(VALU_DEP_2) | instskip(NEXT) | instid1(VALU_DEP_2)
	v_fma_f64 v[2:3], v[2:3], v[17:18], -v[21:22]
	v_fma_f64 v[4:5], v[4:5], v[17:18], v[19:20]
	s_delay_alu instid0(VALU_DEP_2) | instskip(NEXT) | instid1(VALU_DEP_2)
	v_add_f64 v[0:1], v[0:1], -v[2:3]
	v_add_f64 v[10:11], v[10:11], -v[4:5]
	s_branch .LBB249_20
.LBB249_31:
	s_mov_b32 s1, exec_lo
	v_cmpx_eq_u64_e64 s[4:5], v[8:9]
	s_cbranch_execz .LBB249_39
; %bb.32:
	s_add_u32 s0, s16, s12
	s_delay_alu instid0(SALU_CYCLE_1)
	v_mad_u64_u32 v[2:3], null, s0, v8, 0
	s_addc_u32 s0, s17, s13
	s_delay_alu instid0(VALU_DEP_1) | instid1(SALU_CYCLE_1)
	v_mad_u64_u32 v[4:5], null, s0, v8, v[3:4]
	s_delay_alu instid0(VALU_DEP_1) | instskip(NEXT) | instid1(VALU_DEP_1)
	v_mov_b32_e32 v3, v4
	v_lshlrev_b64 v[2:3], 4, v[2:3]
	s_delay_alu instid0(VALU_DEP_1) | instskip(NEXT) | instid1(VALU_DEP_2)
	v_add_co_u32 v2, vcc_lo, s2, v2
	v_add_co_ci_u32_e32 v3, vcc_lo, s3, v3, vcc_lo
	s_and_not1_b32 vcc_lo, exec_lo, s15
	flat_load_b128 v[2:5], v[2:3]
	s_cbranch_vccnz .LBB249_38
; %bb.33:
	s_waitcnt vmcnt(0) lgkmcnt(0)
	v_cmp_gt_f64_e32 vcc_lo, 0, v[2:3]
	v_cmp_gt_f64_e64 s0, 0, v[4:5]
	v_xor_b32_e32 v8, 0x80000000, v3
	v_xor_b32_e32 v12, 0x80000000, v5
	s_delay_alu instid0(VALU_DEP_2) | instskip(NEXT) | instid1(VALU_DEP_2)
	v_dual_cndmask_b32 v9, v3, v8 :: v_dual_cndmask_b32 v8, v2, v2
	v_cndmask_b32_e64 v13, v5, v12, s0
	v_cndmask_b32_e64 v12, v4, v4, s0
	s_mov_b32 s0, exec_lo
	s_delay_alu instid0(VALU_DEP_1)
	v_cmpx_ngt_f64_e32 v[8:9], v[12:13]
	s_xor_b32 s0, exec_lo, s0
	s_cbranch_execz .LBB249_35
; %bb.34:
	v_div_scale_f64 v[8:9], null, v[4:5], v[4:5], v[2:3]
	v_div_scale_f64 v[16:17], vcc_lo, v[2:3], v[4:5], v[2:3]
	s_delay_alu instid0(VALU_DEP_2) | instskip(SKIP_2) | instid1(VALU_DEP_1)
	v_rcp_f64_e32 v[12:13], v[8:9]
	s_waitcnt_depctr 0xfff
	v_fma_f64 v[14:15], -v[8:9], v[12:13], 1.0
	v_fma_f64 v[12:13], v[12:13], v[14:15], v[12:13]
	s_delay_alu instid0(VALU_DEP_1) | instskip(NEXT) | instid1(VALU_DEP_1)
	v_fma_f64 v[14:15], -v[8:9], v[12:13], 1.0
	v_fma_f64 v[12:13], v[12:13], v[14:15], v[12:13]
	s_delay_alu instid0(VALU_DEP_1) | instskip(NEXT) | instid1(VALU_DEP_1)
	v_mul_f64 v[14:15], v[16:17], v[12:13]
	v_fma_f64 v[8:9], -v[8:9], v[14:15], v[16:17]
	s_delay_alu instid0(VALU_DEP_1) | instskip(NEXT) | instid1(VALU_DEP_1)
	v_div_fmas_f64 v[8:9], v[8:9], v[12:13], v[14:15]
	v_div_fixup_f64 v[8:9], v[8:9], v[4:5], v[2:3]
	s_delay_alu instid0(VALU_DEP_1) | instskip(NEXT) | instid1(VALU_DEP_1)
	v_fma_f64 v[2:3], v[2:3], v[8:9], v[4:5]
	v_div_scale_f64 v[4:5], null, v[2:3], v[2:3], 1.0
	s_delay_alu instid0(VALU_DEP_1) | instskip(SKIP_2) | instid1(VALU_DEP_1)
	v_rcp_f64_e32 v[12:13], v[4:5]
	s_waitcnt_depctr 0xfff
	v_fma_f64 v[14:15], -v[4:5], v[12:13], 1.0
	v_fma_f64 v[12:13], v[12:13], v[14:15], v[12:13]
	s_delay_alu instid0(VALU_DEP_1) | instskip(NEXT) | instid1(VALU_DEP_1)
	v_fma_f64 v[14:15], -v[4:5], v[12:13], 1.0
	v_fma_f64 v[12:13], v[12:13], v[14:15], v[12:13]
	v_div_scale_f64 v[14:15], vcc_lo, 1.0, v[2:3], 1.0
	s_delay_alu instid0(VALU_DEP_1) | instskip(NEXT) | instid1(VALU_DEP_1)
	v_mul_f64 v[16:17], v[14:15], v[12:13]
	v_fma_f64 v[4:5], -v[4:5], v[16:17], v[14:15]
	s_delay_alu instid0(VALU_DEP_1) | instskip(NEXT) | instid1(VALU_DEP_1)
	v_div_fmas_f64 v[4:5], v[4:5], v[12:13], v[16:17]
	v_div_fixup_f64 v[4:5], v[4:5], v[2:3], 1.0
	s_delay_alu instid0(VALU_DEP_1)
	v_mul_f64 v[2:3], v[8:9], v[4:5]
	v_xor_b32_e32 v5, 0x80000000, v5
.LBB249_35:
	s_and_not1_saveexec_b32 s0, s0
	s_cbranch_execz .LBB249_37
; %bb.36:
	s_delay_alu instid0(VALU_DEP_1) | instskip(SKIP_1) | instid1(VALU_DEP_2)
	v_div_scale_f64 v[8:9], null, v[2:3], v[2:3], v[4:5]
	v_div_scale_f64 v[16:17], vcc_lo, v[4:5], v[2:3], v[4:5]
	v_rcp_f64_e32 v[12:13], v[8:9]
	s_waitcnt_depctr 0xfff
	v_fma_f64 v[14:15], -v[8:9], v[12:13], 1.0
	s_delay_alu instid0(VALU_DEP_1) | instskip(NEXT) | instid1(VALU_DEP_1)
	v_fma_f64 v[12:13], v[12:13], v[14:15], v[12:13]
	v_fma_f64 v[14:15], -v[8:9], v[12:13], 1.0
	s_delay_alu instid0(VALU_DEP_1) | instskip(NEXT) | instid1(VALU_DEP_1)
	v_fma_f64 v[12:13], v[12:13], v[14:15], v[12:13]
	v_mul_f64 v[14:15], v[16:17], v[12:13]
	s_delay_alu instid0(VALU_DEP_1) | instskip(NEXT) | instid1(VALU_DEP_1)
	v_fma_f64 v[8:9], -v[8:9], v[14:15], v[16:17]
	v_div_fmas_f64 v[8:9], v[8:9], v[12:13], v[14:15]
	s_delay_alu instid0(VALU_DEP_1) | instskip(NEXT) | instid1(VALU_DEP_1)
	v_div_fixup_f64 v[8:9], v[8:9], v[2:3], v[4:5]
	v_fma_f64 v[2:3], v[4:5], v[8:9], v[2:3]
	s_delay_alu instid0(VALU_DEP_1) | instskip(NEXT) | instid1(VALU_DEP_1)
	v_div_scale_f64 v[4:5], null, v[2:3], v[2:3], 1.0
	v_rcp_f64_e32 v[12:13], v[4:5]
	s_waitcnt_depctr 0xfff
	v_fma_f64 v[14:15], -v[4:5], v[12:13], 1.0
	s_delay_alu instid0(VALU_DEP_1) | instskip(NEXT) | instid1(VALU_DEP_1)
	v_fma_f64 v[12:13], v[12:13], v[14:15], v[12:13]
	v_fma_f64 v[14:15], -v[4:5], v[12:13], 1.0
	s_delay_alu instid0(VALU_DEP_1) | instskip(SKIP_1) | instid1(VALU_DEP_1)
	v_fma_f64 v[12:13], v[12:13], v[14:15], v[12:13]
	v_div_scale_f64 v[14:15], vcc_lo, 1.0, v[2:3], 1.0
	v_mul_f64 v[16:17], v[14:15], v[12:13]
	s_delay_alu instid0(VALU_DEP_1) | instskip(NEXT) | instid1(VALU_DEP_1)
	v_fma_f64 v[4:5], -v[4:5], v[16:17], v[14:15]
	v_div_fmas_f64 v[4:5], v[4:5], v[12:13], v[16:17]
	s_delay_alu instid0(VALU_DEP_1) | instskip(NEXT) | instid1(VALU_DEP_1)
	v_div_fixup_f64 v[2:3], v[4:5], v[2:3], 1.0
	v_mul_f64 v[4:5], v[8:9], -v[2:3]
.LBB249_37:
	s_or_b32 exec_lo, exec_lo, s0
.LBB249_38:
	s_waitcnt vmcnt(0) lgkmcnt(0)
	s_delay_alu instid0(VALU_DEP_1) | instskip(NEXT) | instid1(VALU_DEP_3)
	v_mul_f64 v[8:9], v[10:11], v[4:5]
	v_mul_f64 v[10:11], v[10:11], v[2:3]
	s_delay_alu instid0(VALU_DEP_2) | instskip(NEXT) | instid1(VALU_DEP_2)
	v_fma_f64 v[2:3], v[0:1], v[2:3], -v[8:9]
	v_fma_f64 v[10:11], v[0:1], v[4:5], v[10:11]
	s_delay_alu instid0(VALU_DEP_2)
	v_dual_mov_b32 v0, v2 :: v_dual_mov_b32 v1, v3
.LBB249_39:
	s_or_b32 exec_lo, exec_lo, s1
	s_delay_alu instid0(VALU_DEP_2)
	v_dual_mov_b32 v2, v10 :: v_dual_mov_b32 v3, v11
	global_store_b128 v[6:7], v[0:3], off
.LBB249_40:
	s_nop 0
	s_sendmsg sendmsg(MSG_DEALLOC_VGPRS)
	s_endpgm
	.section	.rodata,"a",@progbits
	.p2align	6, 0x0
	.amdhsa_kernel _ZL39rocblas_trsm_block_forward_substitutionI19rocblas_complex_numIdES1_PKPKS1_PKPS1_Lb1ELb1ELb0EEv18rocblas_operation_llT0_T1_lllT2_lllib
		.amdhsa_group_segment_fixed_size 0
		.amdhsa_private_segment_fixed_size 0
		.amdhsa_kernarg_size 368
		.amdhsa_user_sgpr_count 13
		.amdhsa_user_sgpr_dispatch_ptr 0
		.amdhsa_user_sgpr_queue_ptr 0
		.amdhsa_user_sgpr_kernarg_segment_ptr 1
		.amdhsa_user_sgpr_dispatch_id 0
		.amdhsa_user_sgpr_private_segment_size 0
		.amdhsa_wavefront_size32 1
		.amdhsa_uses_dynamic_stack 0
		.amdhsa_enable_private_segment 0
		.amdhsa_system_sgpr_workgroup_id_x 1
		.amdhsa_system_sgpr_workgroup_id_y 1
		.amdhsa_system_sgpr_workgroup_id_z 1
		.amdhsa_system_sgpr_workgroup_info 0
		.amdhsa_system_vgpr_workitem_id 1
		.amdhsa_next_free_vgpr 25
		.amdhsa_next_free_sgpr 31
		.amdhsa_reserve_vcc 1
		.amdhsa_float_round_mode_32 0
		.amdhsa_float_round_mode_16_64 0
		.amdhsa_float_denorm_mode_32 3
		.amdhsa_float_denorm_mode_16_64 3
		.amdhsa_dx10_clamp 1
		.amdhsa_ieee_mode 1
		.amdhsa_fp16_overflow 0
		.amdhsa_workgroup_processor_mode 1
		.amdhsa_memory_ordered 1
		.amdhsa_forward_progress 0
		.amdhsa_shared_vgpr_count 0
		.amdhsa_exception_fp_ieee_invalid_op 0
		.amdhsa_exception_fp_denorm_src 0
		.amdhsa_exception_fp_ieee_div_zero 0
		.amdhsa_exception_fp_ieee_overflow 0
		.amdhsa_exception_fp_ieee_underflow 0
		.amdhsa_exception_fp_ieee_inexact 0
		.amdhsa_exception_int_div_zero 0
	.end_amdhsa_kernel
	.section	.text._ZL39rocblas_trsm_block_forward_substitutionI19rocblas_complex_numIdES1_PKPKS1_PKPS1_Lb1ELb1ELb0EEv18rocblas_operation_llT0_T1_lllT2_lllib,"axG",@progbits,_ZL39rocblas_trsm_block_forward_substitutionI19rocblas_complex_numIdES1_PKPKS1_PKPS1_Lb1ELb1ELb0EEv18rocblas_operation_llT0_T1_lllT2_lllib,comdat
.Lfunc_end249:
	.size	_ZL39rocblas_trsm_block_forward_substitutionI19rocblas_complex_numIdES1_PKPKS1_PKPS1_Lb1ELb1ELb0EEv18rocblas_operation_llT0_T1_lllT2_lllib, .Lfunc_end249-_ZL39rocblas_trsm_block_forward_substitutionI19rocblas_complex_numIdES1_PKPKS1_PKPS1_Lb1ELb1ELb0EEv18rocblas_operation_llT0_T1_lllT2_lllib
                                        ; -- End function
	.section	.AMDGPU.csdata,"",@progbits
; Kernel info:
; codeLenInByte = 3124
; NumSgprs: 33
; NumVgprs: 25
; ScratchSize: 0
; MemoryBound: 1
; FloatMode: 240
; IeeeMode: 1
; LDSByteSize: 0 bytes/workgroup (compile time only)
; SGPRBlocks: 4
; VGPRBlocks: 3
; NumSGPRsForWavesPerEU: 33
; NumVGPRsForWavesPerEU: 25
; Occupancy: 16
; WaveLimiterHint : 1
; COMPUTE_PGM_RSRC2:SCRATCH_EN: 0
; COMPUTE_PGM_RSRC2:USER_SGPR: 13
; COMPUTE_PGM_RSRC2:TRAP_HANDLER: 0
; COMPUTE_PGM_RSRC2:TGID_X_EN: 1
; COMPUTE_PGM_RSRC2:TGID_Y_EN: 1
; COMPUTE_PGM_RSRC2:TGID_Z_EN: 1
; COMPUTE_PGM_RSRC2:TIDIG_COMP_CNT: 1
	.section	.text._ZL40rocblas_trsm_block_backward_substitutionI19rocblas_complex_numIdES1_PKPKS1_PKPS1_Lb1ELb1ELb0EEv18rocblas_operation_llT0_T1_lllT2_lllib,"axG",@progbits,_ZL40rocblas_trsm_block_backward_substitutionI19rocblas_complex_numIdES1_PKPKS1_PKPS1_Lb1ELb1ELb0EEv18rocblas_operation_llT0_T1_lllT2_lllib,comdat
	.globl	_ZL40rocblas_trsm_block_backward_substitutionI19rocblas_complex_numIdES1_PKPKS1_PKPS1_Lb1ELb1ELb0EEv18rocblas_operation_llT0_T1_lllT2_lllib ; -- Begin function _ZL40rocblas_trsm_block_backward_substitutionI19rocblas_complex_numIdES1_PKPKS1_PKPS1_Lb1ELb1ELb0EEv18rocblas_operation_llT0_T1_lllT2_lllib
	.p2align	8
	.type	_ZL40rocblas_trsm_block_backward_substitutionI19rocblas_complex_numIdES1_PKPKS1_PKPS1_Lb1ELb1ELb0EEv18rocblas_operation_llT0_T1_lllT2_lllib,@function
_ZL40rocblas_trsm_block_backward_substitutionI19rocblas_complex_numIdES1_PKPKS1_PKPS1_Lb1ELb1ELb0EEv18rocblas_operation_llT0_T1_lllT2_lllib: ; @_ZL40rocblas_trsm_block_backward_substitutionI19rocblas_complex_numIdES1_PKPKS1_PKPS1_Lb1ELb1ELb0EEv18rocblas_operation_llT0_T1_lllT2_lllib
; %bb.0:
	s_clause 0x3
	s_load_b32 s3, s[0:1], 0x6c
	s_load_b128 s[4:7], s[0:1], 0x28
	s_load_b64 s[12:13], s[0:1], 0x38
	s_load_b32 s24, s[0:1], 0x7c
	s_mov_b32 s2, s15
	s_load_b64 s[20:21], s[0:1], 0x58
	v_and_b32_e32 v8, 0x3ff, v0
	v_bfe_u32 v12, v0, 10, 10
	s_waitcnt lgkmcnt(0)
	s_bitcmp1_b32 s3, 0
	s_mov_b32 s3, 0
	s_cselect_b32 s10, -1, 0
	s_lshl_b64 s[8:9], s[2:3], 3
	s_xor_b32 s15, s10, -1
	s_add_u32 s2, s4, s8
	s_addc_u32 s3, s5, s9
	s_lshl_b64 s[4:5], s[6:7], 4
	s_load_b64 s[2:3], s[2:3], 0x0
	s_load_b128 s[16:19], s[0:1], 0x48
	s_waitcnt lgkmcnt(0)
	s_add_u32 s2, s2, s4
	s_addc_u32 s3, s3, s5
	s_add_u32 s16, s16, s8
	s_addc_u32 s17, s17, s9
	s_load_b256 s[4:11], s[0:1], 0x8
	s_load_b64 s[16:17], s[16:17], 0x0
	s_add_u32 s22, s0, 0x70
	s_addc_u32 s23, s1, 0
	s_and_b32 vcc_lo, exec_lo, s15
	s_lshr_b32 s28, s24, 16
	s_cbranch_vccnz .LBB250_16
; %bb.1:
	s_waitcnt lgkmcnt(0)
	v_cmp_lt_i64_e64 s24, s[4:5], 1
	s_lshl_b32 s25, s28, 4
	s_delay_alu instid0(VALU_DEP_1)
	s_and_b32 vcc_lo, exec_lo, s24
	s_add_i32 s24, s25, 0
	s_cbranch_vccnz .LBB250_15
; %bb.2:
	v_mad_u64_u32 v[0:1], null, v8, s12, 0
	v_mov_b32_e32 v9, 0
	v_mov_b32_e32 v13, v12
	s_mov_b32 s26, s28
	s_delay_alu instid0(VALU_DEP_2) | instskip(NEXT) | instid1(VALU_DEP_4)
	v_cmp_le_u64_e64 s25, s[4:5], v[8:9]
	v_mad_u64_u32 v[2:3], null, v8, s13, v[1:2]
	v_lshlrev_b32_e32 v3, 4, v8
	s_delay_alu instid0(VALU_DEP_3) | instskip(NEXT) | instid1(VALU_DEP_1)
	s_xor_b32 s29, s25, -1
	v_add_co_u32 v16, s2, s2, v3
	s_delay_alu instid0(VALU_DEP_3) | instskip(SKIP_3) | instid1(VALU_DEP_4)
	v_mov_b32_e32 v1, v2
	v_add_co_ci_u32_e64 v17, null, s3, 0, s2
	v_cmp_gt_u64_e64 s2, s[4:5], v[8:9]
	v_add_nc_u32_e32 v11, s24, v3
	v_lshlrev_b64 v[0:1], 4, v[0:1]
	s_delay_alu instid0(VALU_DEP_1) | instskip(NEXT) | instid1(VALU_DEP_2)
	v_add_co_u32 v9, vcc_lo, v16, v0
	v_add_co_ci_u32_e32 v10, vcc_lo, v17, v1, vcc_lo
	s_branch .LBB250_5
.LBB250_3:                              ;   in Loop: Header=BB250_5 Depth=1
	s_or_b32 exec_lo, exec_lo, s27
	s_load_b32 s27, s[22:23], 0xc
	s_waitcnt lgkmcnt(0)
	s_and_b32 s27, s27, 0xffff
	s_delay_alu instid0(SALU_CYCLE_1) | instskip(NEXT) | instid1(VALU_DEP_1)
	v_mul_u32_u24_e32 v0, s27, v8
	v_lshl_add_u32 v0, v0, 4, v11
	ds_store_2addr_b64 v0, v[14:15], v[6:7] offset1:1
.LBB250_4:                              ;   in Loop: Header=BB250_5 Depth=1
	s_or_b32 exec_lo, exec_lo, s3
	s_ashr_i32 s27, s26, 31
	v_add_nc_u32_e32 v13, s28, v13
	v_cmp_ge_i64_e64 s3, s[26:27], s[4:5]
	s_add_i32 s26, s26, s28
	s_delay_alu instid0(VALU_DEP_1)
	s_and_b32 vcc_lo, exec_lo, s3
	s_cbranch_vccnz .LBB250_15
.LBB250_5:                              ; =>This Inner Loop Header: Depth=1
	s_mov_b32 s30, s25
	s_and_saveexec_b32 s27, s2
	s_cbranch_execz .LBB250_9
; %bb.6:                                ;   in Loop: Header=BB250_5 Depth=1
	v_ashrrev_i32_e32 v14, 31, v13
	v_cmp_lt_i32_e64 s3, v8, v13
	s_mov_b32 s30, -1
	s_delay_alu instid0(VALU_DEP_2) | instskip(NEXT) | instid1(VALU_DEP_2)
	v_cmp_gt_i64_e32 vcc_lo, s[4:5], v[13:14]
	s_and_b32 s31, s3, vcc_lo
	s_delay_alu instid0(SALU_CYCLE_1)
	s_and_saveexec_b32 s3, s31
	s_cbranch_execz .LBB250_8
; %bb.7:                                ;   in Loop: Header=BB250_5 Depth=1
	v_mul_lo_u32 v2, v14, s12
	v_mul_lo_u32 v3, v13, s13
	v_mad_u64_u32 v[0:1], null, v13, s12, 0
	s_load_b32 s30, s[22:23], 0xc
	s_delay_alu instid0(VALU_DEP_1) | instskip(NEXT) | instid1(VALU_DEP_1)
	v_add3_u32 v1, v1, v3, v2
	v_lshlrev_b64 v[0:1], 4, v[0:1]
	s_delay_alu instid0(VALU_DEP_1) | instskip(NEXT) | instid1(VALU_DEP_2)
	v_add_co_u32 v0, vcc_lo, v16, v0
	v_add_co_ci_u32_e32 v1, vcc_lo, v17, v1, vcc_lo
	s_waitcnt lgkmcnt(0)
	s_and_b32 s30, s30, 0xffff
	s_delay_alu instid0(SALU_CYCLE_1)
	v_mul_lo_u32 v4, v13, s30
	global_load_b128 v[0:3], v[0:1], off
	s_xor_b32 s30, exec_lo, -1
	v_lshl_add_u32 v4, v4, 4, v11
	s_waitcnt vmcnt(0)
	ds_store_2addr_b64 v4, v[0:1], v[2:3] offset1:1
.LBB250_8:                              ;   in Loop: Header=BB250_5 Depth=1
	s_or_b32 exec_lo, exec_lo, s3
	s_delay_alu instid0(SALU_CYCLE_1) | instskip(SKIP_1) | instid1(SALU_CYCLE_1)
	s_and_not1_b32 s3, s25, exec_lo
	s_and_b32 s30, s30, exec_lo
	s_or_b32 s30, s3, s30
.LBB250_9:                              ;   in Loop: Header=BB250_5 Depth=1
	s_or_b32 exec_lo, exec_lo, s27
	s_and_saveexec_b32 s3, s30
	s_cbranch_execz .LBB250_4
; %bb.10:                               ;   in Loop: Header=BB250_5 Depth=1
	v_cmp_eq_u32_e32 vcc_lo, v8, v13
	s_and_b32 s27, s29, vcc_lo
	s_delay_alu instid0(SALU_CYCLE_1)
	s_and_b32 exec_lo, exec_lo, s27
	s_cbranch_execz .LBB250_4
; %bb.11:                               ;   in Loop: Header=BB250_5 Depth=1
	global_load_b128 v[0:3], v[9:10], off
	s_mov_b32 s27, exec_lo
                                        ; implicit-def: $vgpr14_vgpr15
	s_waitcnt vmcnt(0)
	v_cmp_gt_f64_e32 vcc_lo, 0, v[0:1]
	v_xor_b32_e32 v5, 0x80000000, v1
	v_mov_b32_e32 v4, v0
	v_xor_b32_e32 v6, 0x80000000, v3
	s_delay_alu instid0(VALU_DEP_3) | instskip(SKIP_1) | instid1(VALU_DEP_3)
	v_cndmask_b32_e32 v5, v1, v5, vcc_lo
	v_cmp_gt_f64_e32 vcc_lo, 0, v[2:3]
	v_dual_cndmask_b32 v7, v3, v6 :: v_dual_mov_b32 v6, v2
	s_delay_alu instid0(VALU_DEP_1)
	v_cmpx_ngt_f64_e32 v[4:5], v[6:7]
	s_xor_b32 s27, exec_lo, s27
                                        ; implicit-def: $vgpr4_vgpr5_vgpr6_vgpr7
	s_cbranch_execz .LBB250_13
; %bb.12:                               ;   in Loop: Header=BB250_5 Depth=1
	v_div_scale_f64 v[4:5], null, v[2:3], v[2:3], v[0:1]
	v_div_scale_f64 v[18:19], vcc_lo, v[0:1], v[2:3], v[0:1]
	s_delay_alu instid0(VALU_DEP_2) | instskip(SKIP_2) | instid1(VALU_DEP_1)
	v_rcp_f64_e32 v[6:7], v[4:5]
	s_waitcnt_depctr 0xfff
	v_fma_f64 v[14:15], -v[4:5], v[6:7], 1.0
	v_fma_f64 v[6:7], v[6:7], v[14:15], v[6:7]
	s_delay_alu instid0(VALU_DEP_1) | instskip(NEXT) | instid1(VALU_DEP_1)
	v_fma_f64 v[14:15], -v[4:5], v[6:7], 1.0
	v_fma_f64 v[6:7], v[6:7], v[14:15], v[6:7]
	s_delay_alu instid0(VALU_DEP_1) | instskip(NEXT) | instid1(VALU_DEP_1)
	v_mul_f64 v[14:15], v[18:19], v[6:7]
	v_fma_f64 v[4:5], -v[4:5], v[14:15], v[18:19]
	s_delay_alu instid0(VALU_DEP_1) | instskip(NEXT) | instid1(VALU_DEP_1)
	v_div_fmas_f64 v[4:5], v[4:5], v[6:7], v[14:15]
	v_div_fixup_f64 v[4:5], v[4:5], v[2:3], v[0:1]
	s_delay_alu instid0(VALU_DEP_1) | instskip(NEXT) | instid1(VALU_DEP_1)
	v_fma_f64 v[0:1], v[0:1], v[4:5], v[2:3]
	v_div_scale_f64 v[2:3], null, v[0:1], v[0:1], 1.0
	s_delay_alu instid0(VALU_DEP_1) | instskip(SKIP_2) | instid1(VALU_DEP_1)
	v_rcp_f64_e32 v[6:7], v[2:3]
	s_waitcnt_depctr 0xfff
	v_fma_f64 v[14:15], -v[2:3], v[6:7], 1.0
	v_fma_f64 v[6:7], v[6:7], v[14:15], v[6:7]
	s_delay_alu instid0(VALU_DEP_1) | instskip(NEXT) | instid1(VALU_DEP_1)
	v_fma_f64 v[14:15], -v[2:3], v[6:7], 1.0
	v_fma_f64 v[6:7], v[6:7], v[14:15], v[6:7]
	v_div_scale_f64 v[14:15], vcc_lo, 1.0, v[0:1], 1.0
	s_delay_alu instid0(VALU_DEP_1) | instskip(NEXT) | instid1(VALU_DEP_1)
	v_mul_f64 v[18:19], v[14:15], v[6:7]
	v_fma_f64 v[2:3], -v[2:3], v[18:19], v[14:15]
	s_delay_alu instid0(VALU_DEP_1) | instskip(NEXT) | instid1(VALU_DEP_1)
	v_div_fmas_f64 v[2:3], v[2:3], v[6:7], v[18:19]
	v_div_fixup_f64 v[6:7], v[2:3], v[0:1], 1.0
                                        ; implicit-def: $vgpr0_vgpr1
	s_delay_alu instid0(VALU_DEP_1)
	v_mul_f64 v[14:15], v[4:5], v[6:7]
	v_xor_b32_e32 v7, 0x80000000, v7
.LBB250_13:                             ;   in Loop: Header=BB250_5 Depth=1
	s_and_not1_saveexec_b32 s27, s27
	s_cbranch_execz .LBB250_3
; %bb.14:                               ;   in Loop: Header=BB250_5 Depth=1
	v_div_scale_f64 v[4:5], null, v[0:1], v[0:1], v[2:3]
	v_div_scale_f64 v[18:19], vcc_lo, v[2:3], v[0:1], v[2:3]
	s_delay_alu instid0(VALU_DEP_2) | instskip(SKIP_2) | instid1(VALU_DEP_1)
	v_rcp_f64_e32 v[6:7], v[4:5]
	s_waitcnt_depctr 0xfff
	v_fma_f64 v[14:15], -v[4:5], v[6:7], 1.0
	v_fma_f64 v[6:7], v[6:7], v[14:15], v[6:7]
	s_delay_alu instid0(VALU_DEP_1) | instskip(NEXT) | instid1(VALU_DEP_1)
	v_fma_f64 v[14:15], -v[4:5], v[6:7], 1.0
	v_fma_f64 v[6:7], v[6:7], v[14:15], v[6:7]
	s_delay_alu instid0(VALU_DEP_1) | instskip(NEXT) | instid1(VALU_DEP_1)
	v_mul_f64 v[14:15], v[18:19], v[6:7]
	v_fma_f64 v[4:5], -v[4:5], v[14:15], v[18:19]
	s_delay_alu instid0(VALU_DEP_1) | instskip(NEXT) | instid1(VALU_DEP_1)
	v_div_fmas_f64 v[4:5], v[4:5], v[6:7], v[14:15]
	v_div_fixup_f64 v[4:5], v[4:5], v[0:1], v[2:3]
	s_delay_alu instid0(VALU_DEP_1) | instskip(NEXT) | instid1(VALU_DEP_1)
	v_fma_f64 v[0:1], v[2:3], v[4:5], v[0:1]
	v_div_scale_f64 v[2:3], null, v[0:1], v[0:1], 1.0
	s_delay_alu instid0(VALU_DEP_1) | instskip(SKIP_2) | instid1(VALU_DEP_1)
	v_rcp_f64_e32 v[6:7], v[2:3]
	s_waitcnt_depctr 0xfff
	v_fma_f64 v[14:15], -v[2:3], v[6:7], 1.0
	v_fma_f64 v[6:7], v[6:7], v[14:15], v[6:7]
	s_delay_alu instid0(VALU_DEP_1) | instskip(NEXT) | instid1(VALU_DEP_1)
	v_fma_f64 v[14:15], -v[2:3], v[6:7], 1.0
	v_fma_f64 v[6:7], v[6:7], v[14:15], v[6:7]
	v_div_scale_f64 v[14:15], vcc_lo, 1.0, v[0:1], 1.0
	s_delay_alu instid0(VALU_DEP_1) | instskip(NEXT) | instid1(VALU_DEP_1)
	v_mul_f64 v[18:19], v[14:15], v[6:7]
	v_fma_f64 v[2:3], -v[2:3], v[18:19], v[14:15]
	s_delay_alu instid0(VALU_DEP_1) | instskip(NEXT) | instid1(VALU_DEP_1)
	v_div_fmas_f64 v[2:3], v[2:3], v[6:7], v[18:19]
	v_div_fixup_f64 v[14:15], v[2:3], v[0:1], 1.0
	s_delay_alu instid0(VALU_DEP_1)
	v_mul_f64 v[6:7], v[4:5], -v[14:15]
	s_branch .LBB250_3
.LBB250_15:
	s_load_b32 s12, s[22:23], 0xc
	s_mov_b64 s[2:3], src_shared_base
	s_mov_b32 s13, 0
	s_mov_b32 s25, s3
	s_delay_alu instid0(SALU_CYCLE_1)
	s_mov_b64 s[2:3], s[24:25]
	s_waitcnt lgkmcnt(0)
	s_and_b32 s12, s12, 0xffff
.LBB250_16:
	v_mad_u64_u32 v[0:1], null, s14, s28, v[12:13]
	v_mov_b32_e32 v1, 0
	s_waitcnt lgkmcnt(0)
	s_delay_alu instid0(VALU_DEP_1)
	v_cmp_gt_i64_e32 vcc_lo, s[6:7], v[0:1]
	s_and_saveexec_b32 s6, vcc_lo
	s_cbranch_execz .LBB250_41
; %bb.17:
	v_mov_b32_e32 v9, v1
	s_delay_alu instid0(VALU_DEP_1)
	v_cmp_gt_i64_e32 vcc_lo, s[4:5], v[8:9]
	s_and_b32 exec_lo, exec_lo, vcc_lo
	s_cbranch_execz .LBB250_41
; %bb.18:
	v_mad_u64_u32 v[1:2], null, v0, s20, 0
	s_lshl_b64 s[6:7], s[18:19], 4
	s_delay_alu instid0(SALU_CYCLE_1) | instskip(SKIP_1) | instid1(VALU_DEP_1)
	s_add_u32 s6, s16, s6
	s_addc_u32 s7, s17, s7
	v_mad_u64_u32 v[3:4], null, v0, s21, v[2:3]
	s_delay_alu instid0(VALU_DEP_1) | instskip(NEXT) | instid1(VALU_DEP_1)
	v_mov_b32_e32 v2, v3
	v_lshlrev_b64 v[0:1], 4, v[1:2]
	v_lshlrev_b32_e32 v2, 4, v8
	s_delay_alu instid0(VALU_DEP_2) | instskip(NEXT) | instid1(VALU_DEP_3)
	v_add_co_u32 v0, vcc_lo, s6, v0
	v_add_co_ci_u32_e32 v1, vcc_lo, s7, v1, vcc_lo
	v_cmp_lt_u64_e64 s6, s[4:5], 2
	s_delay_alu instid0(VALU_DEP_3) | instskip(NEXT) | instid1(VALU_DEP_3)
	v_add_co_u32 v6, vcc_lo, v0, v2
	v_add_co_ci_u32_e32 v7, vcc_lo, 0, v1, vcc_lo
	s_delay_alu instid0(VALU_DEP_3) | instskip(SKIP_4) | instid1(VALU_DEP_2)
	s_and_b32 vcc_lo, exec_lo, s6
	global_load_b128 v[13:16], v[6:7], off
	s_waitcnt vmcnt(0)
	v_mul_f64 v[0:1], s[10:11], v[15:16]
	v_mul_f64 v[3:4], s[8:9], v[15:16]
	v_fma_f64 v[0:1], s[8:9], v[13:14], -v[0:1]
	s_delay_alu instid0(VALU_DEP_2)
	v_fma_f64 v[10:11], s[10:11], v[13:14], v[3:4]
	s_cbranch_vccnz .LBB250_32
; %bb.19:
	s_load_b32 s0, s[0:1], 0x0
	v_mad_u64_u32 v[3:4], null, v8, s12, v[8:9]
	v_lshl_add_u32 v16, v12, 4, 0
	s_delay_alu instid0(VALU_DEP_2) | instskip(NEXT) | instid1(VALU_DEP_1)
	v_mad_u64_u32 v[13:14], null, v8, s13, v[4:5]
	v_mov_b32_e32 v4, v13
	s_waitcnt lgkmcnt(0)
	s_cmpk_eq_i32 s0, 0x71
	s_delay_alu instid0(VALU_DEP_1)
	v_lshlrev_b64 v[3:4], 4, v[3:4]
	s_cselect_b32 s0, -1, 0
	s_add_u32 s4, s4, -1
	s_addc_u32 s5, s5, -1
	s_mul_hi_u32 s1, s12, s4
	s_mul_i32 s6, s12, s5
	s_mul_i32 s7, s13, s4
	s_add_i32 s1, s1, s6
	s_mul_i32 s6, s12, s4
	s_add_i32 s7, s1, s7
	v_add_co_u32 v12, vcc_lo, s2, v3
	s_lshl_b64 s[6:7], s[6:7], 4
	v_add_co_ci_u32_e32 v13, vcc_lo, s3, v4, vcc_lo
	s_add_u32 s1, s2, s6
	s_addc_u32 s8, s3, s7
	v_add_co_u32 v14, s1, s1, v2
	s_lshl_b64 s[6:7], s[12:13], 4
	v_add_co_ci_u32_e64 v15, null, s8, 0, s1
	s_sub_u32 s8, 0, s6
	s_subb_u32 s9, 0, s7
.LBB250_20:                             ; =>This Inner Loop Header: Depth=1
	s_mov_b32 s6, exec_lo
	s_barrier
	buffer_gl0_inv
	v_cmpx_eq_u64_e64 s[4:5], v[8:9]
	s_cbranch_execz .LBB250_28
; %bb.21:                               ;   in Loop: Header=BB250_20 Depth=1
	flat_load_b128 v[2:5], v[12:13]
	s_and_not1_b32 vcc_lo, exec_lo, s15
	s_cbranch_vccnz .LBB250_27
; %bb.22:                               ;   in Loop: Header=BB250_20 Depth=1
	s_waitcnt vmcnt(0) lgkmcnt(0)
	v_cmp_gt_f64_e32 vcc_lo, 0, v[2:3]
	v_cmp_gt_f64_e64 s1, 0, v[4:5]
	v_xor_b32_e32 v17, 0x80000000, v3
	v_xor_b32_e32 v19, 0x80000000, v5
	s_delay_alu instid0(VALU_DEP_2) | instskip(NEXT) | instid1(VALU_DEP_2)
	v_dual_cndmask_b32 v18, v3, v17 :: v_dual_cndmask_b32 v17, v2, v2
	v_cndmask_b32_e64 v20, v5, v19, s1
	v_cndmask_b32_e64 v19, v4, v4, s1
	s_mov_b32 s1, exec_lo
	s_delay_alu instid0(VALU_DEP_1)
	v_cmpx_ngt_f64_e32 v[17:18], v[19:20]
	s_xor_b32 s1, exec_lo, s1
	s_cbranch_execz .LBB250_24
; %bb.23:                               ;   in Loop: Header=BB250_20 Depth=1
	v_div_scale_f64 v[17:18], null, v[4:5], v[4:5], v[2:3]
	v_div_scale_f64 v[23:24], vcc_lo, v[2:3], v[4:5], v[2:3]
	s_delay_alu instid0(VALU_DEP_2) | instskip(SKIP_2) | instid1(VALU_DEP_1)
	v_rcp_f64_e32 v[19:20], v[17:18]
	s_waitcnt_depctr 0xfff
	v_fma_f64 v[21:22], -v[17:18], v[19:20], 1.0
	v_fma_f64 v[19:20], v[19:20], v[21:22], v[19:20]
	s_delay_alu instid0(VALU_DEP_1) | instskip(NEXT) | instid1(VALU_DEP_1)
	v_fma_f64 v[21:22], -v[17:18], v[19:20], 1.0
	v_fma_f64 v[19:20], v[19:20], v[21:22], v[19:20]
	s_delay_alu instid0(VALU_DEP_1) | instskip(NEXT) | instid1(VALU_DEP_1)
	v_mul_f64 v[21:22], v[23:24], v[19:20]
	v_fma_f64 v[17:18], -v[17:18], v[21:22], v[23:24]
	s_delay_alu instid0(VALU_DEP_1) | instskip(NEXT) | instid1(VALU_DEP_1)
	v_div_fmas_f64 v[17:18], v[17:18], v[19:20], v[21:22]
	v_div_fixup_f64 v[17:18], v[17:18], v[4:5], v[2:3]
	s_delay_alu instid0(VALU_DEP_1) | instskip(NEXT) | instid1(VALU_DEP_1)
	v_fma_f64 v[2:3], v[2:3], v[17:18], v[4:5]
	v_div_scale_f64 v[4:5], null, v[2:3], v[2:3], 1.0
	s_delay_alu instid0(VALU_DEP_1) | instskip(SKIP_2) | instid1(VALU_DEP_1)
	v_rcp_f64_e32 v[19:20], v[4:5]
	s_waitcnt_depctr 0xfff
	v_fma_f64 v[21:22], -v[4:5], v[19:20], 1.0
	v_fma_f64 v[19:20], v[19:20], v[21:22], v[19:20]
	s_delay_alu instid0(VALU_DEP_1) | instskip(NEXT) | instid1(VALU_DEP_1)
	v_fma_f64 v[21:22], -v[4:5], v[19:20], 1.0
	v_fma_f64 v[19:20], v[19:20], v[21:22], v[19:20]
	v_div_scale_f64 v[21:22], vcc_lo, 1.0, v[2:3], 1.0
	s_delay_alu instid0(VALU_DEP_1) | instskip(NEXT) | instid1(VALU_DEP_1)
	v_mul_f64 v[23:24], v[21:22], v[19:20]
	v_fma_f64 v[4:5], -v[4:5], v[23:24], v[21:22]
	s_delay_alu instid0(VALU_DEP_1) | instskip(NEXT) | instid1(VALU_DEP_1)
	v_div_fmas_f64 v[4:5], v[4:5], v[19:20], v[23:24]
	v_div_fixup_f64 v[4:5], v[4:5], v[2:3], 1.0
	s_delay_alu instid0(VALU_DEP_1)
	v_mul_f64 v[2:3], v[17:18], v[4:5]
	v_xor_b32_e32 v5, 0x80000000, v5
.LBB250_24:                             ;   in Loop: Header=BB250_20 Depth=1
	s_and_not1_saveexec_b32 s1, s1
	s_cbranch_execz .LBB250_26
; %bb.25:                               ;   in Loop: Header=BB250_20 Depth=1
	s_delay_alu instid0(VALU_DEP_1) | instskip(SKIP_1) | instid1(VALU_DEP_2)
	v_div_scale_f64 v[17:18], null, v[2:3], v[2:3], v[4:5]
	v_div_scale_f64 v[23:24], vcc_lo, v[4:5], v[2:3], v[4:5]
	v_rcp_f64_e32 v[19:20], v[17:18]
	s_waitcnt_depctr 0xfff
	v_fma_f64 v[21:22], -v[17:18], v[19:20], 1.0
	s_delay_alu instid0(VALU_DEP_1) | instskip(NEXT) | instid1(VALU_DEP_1)
	v_fma_f64 v[19:20], v[19:20], v[21:22], v[19:20]
	v_fma_f64 v[21:22], -v[17:18], v[19:20], 1.0
	s_delay_alu instid0(VALU_DEP_1) | instskip(NEXT) | instid1(VALU_DEP_1)
	v_fma_f64 v[19:20], v[19:20], v[21:22], v[19:20]
	v_mul_f64 v[21:22], v[23:24], v[19:20]
	s_delay_alu instid0(VALU_DEP_1) | instskip(NEXT) | instid1(VALU_DEP_1)
	v_fma_f64 v[17:18], -v[17:18], v[21:22], v[23:24]
	v_div_fmas_f64 v[17:18], v[17:18], v[19:20], v[21:22]
	s_delay_alu instid0(VALU_DEP_1) | instskip(NEXT) | instid1(VALU_DEP_1)
	v_div_fixup_f64 v[17:18], v[17:18], v[2:3], v[4:5]
	v_fma_f64 v[2:3], v[4:5], v[17:18], v[2:3]
	s_delay_alu instid0(VALU_DEP_1) | instskip(NEXT) | instid1(VALU_DEP_1)
	v_div_scale_f64 v[4:5], null, v[2:3], v[2:3], 1.0
	v_rcp_f64_e32 v[19:20], v[4:5]
	s_waitcnt_depctr 0xfff
	v_fma_f64 v[21:22], -v[4:5], v[19:20], 1.0
	s_delay_alu instid0(VALU_DEP_1) | instskip(NEXT) | instid1(VALU_DEP_1)
	v_fma_f64 v[19:20], v[19:20], v[21:22], v[19:20]
	v_fma_f64 v[21:22], -v[4:5], v[19:20], 1.0
	s_delay_alu instid0(VALU_DEP_1) | instskip(SKIP_1) | instid1(VALU_DEP_1)
	v_fma_f64 v[19:20], v[19:20], v[21:22], v[19:20]
	v_div_scale_f64 v[21:22], vcc_lo, 1.0, v[2:3], 1.0
	v_mul_f64 v[23:24], v[21:22], v[19:20]
	s_delay_alu instid0(VALU_DEP_1) | instskip(NEXT) | instid1(VALU_DEP_1)
	v_fma_f64 v[4:5], -v[4:5], v[23:24], v[21:22]
	v_div_fmas_f64 v[4:5], v[4:5], v[19:20], v[23:24]
	s_delay_alu instid0(VALU_DEP_1) | instskip(NEXT) | instid1(VALU_DEP_1)
	v_div_fixup_f64 v[2:3], v[4:5], v[2:3], 1.0
	v_mul_f64 v[4:5], v[17:18], -v[2:3]
.LBB250_26:                             ;   in Loop: Header=BB250_20 Depth=1
	s_or_b32 exec_lo, exec_lo, s1
.LBB250_27:                             ;   in Loop: Header=BB250_20 Depth=1
	s_waitcnt vmcnt(0) lgkmcnt(0)
	s_delay_alu instid0(VALU_DEP_1) | instskip(SKIP_1) | instid1(VALU_DEP_2)
	v_mul_f64 v[17:18], v[10:11], v[4:5]
	v_mul_f64 v[4:5], v[0:1], v[4:5]
	v_fma_f64 v[17:18], v[0:1], v[2:3], -v[17:18]
	s_delay_alu instid0(VALU_DEP_2) | instskip(NEXT) | instid1(VALU_DEP_2)
	v_fma_f64 v[10:11], v[10:11], v[2:3], v[4:5]
	v_dual_mov_b32 v0, v17 :: v_dual_mov_b32 v1, v18
	ds_store_2addr_b64 v16, v[17:18], v[10:11] offset1:1
.LBB250_28:                             ;   in Loop: Header=BB250_20 Depth=1
	s_or_b32 exec_lo, exec_lo, s6
	s_delay_alu instid0(SALU_CYCLE_1)
	s_mov_b32 s1, exec_lo
	s_waitcnt lgkmcnt(0)
	s_barrier
	buffer_gl0_inv
	v_cmpx_gt_i64_e64 s[4:5], v[8:9]
	s_cbranch_execz .LBB250_30
; %bb.29:                               ;   in Loop: Header=BB250_20 Depth=1
	flat_load_b128 v[2:5], v[14:15]
	ds_load_2addr_b64 v[17:20], v16 offset1:1
	s_waitcnt vmcnt(0) lgkmcnt(1)
	v_xor_b32_e32 v21, 0x80000000, v5
	s_delay_alu instid0(VALU_DEP_1) | instskip(SKIP_1) | instid1(VALU_DEP_1)
	v_cndmask_b32_e64 v5, v5, v21, s0
	s_waitcnt lgkmcnt(0)
	v_mul_f64 v[21:22], v[4:5], v[19:20]
	v_mul_f64 v[19:20], v[2:3], v[19:20]
	s_delay_alu instid0(VALU_DEP_2) | instskip(NEXT) | instid1(VALU_DEP_2)
	v_fma_f64 v[2:3], v[2:3], v[17:18], -v[21:22]
	v_fma_f64 v[4:5], v[4:5], v[17:18], v[19:20]
	s_delay_alu instid0(VALU_DEP_2) | instskip(NEXT) | instid1(VALU_DEP_2)
	v_add_f64 v[0:1], v[0:1], -v[2:3]
	v_add_f64 v[10:11], v[10:11], -v[4:5]
.LBB250_30:                             ;   in Loop: Header=BB250_20 Depth=1
	s_or_b32 exec_lo, exec_lo, s1
	s_add_u32 s6, s4, -1
	s_addc_u32 s7, s5, -1
	s_add_u32 s4, s4, 1
	s_addc_u32 s5, s5, 0
	v_add_co_u32 v14, vcc_lo, v14, s8
	v_cmp_lt_u64_e64 s1, s[4:5], 3
	v_add_co_ci_u32_e32 v15, vcc_lo, s9, v15, vcc_lo
	s_delay_alu instid0(VALU_DEP_2)
	s_and_b32 vcc_lo, exec_lo, s1
	s_cbranch_vccnz .LBB250_32
; %bb.31:                               ;   in Loop: Header=BB250_20 Depth=1
	s_mov_b64 s[4:5], s[6:7]
	s_branch .LBB250_20
.LBB250_32:
	s_mov_b32 s1, exec_lo
	v_cmpx_eq_u32_e32 0, v8
	s_cbranch_execz .LBB250_40
; %bb.33:
	v_mad_u64_u32 v[2:3], null, v8, s12, v[8:9]
	s_delay_alu instid0(VALU_DEP_1) | instskip(NEXT) | instid1(VALU_DEP_1)
	v_mad_u64_u32 v[4:5], null, v8, s13, v[3:4]
	v_mov_b32_e32 v3, v4
	s_delay_alu instid0(VALU_DEP_1) | instskip(NEXT) | instid1(VALU_DEP_1)
	v_lshlrev_b64 v[2:3], 4, v[2:3]
	v_add_co_u32 v2, vcc_lo, s2, v2
	s_delay_alu instid0(VALU_DEP_2)
	v_add_co_ci_u32_e32 v3, vcc_lo, s3, v3, vcc_lo
	s_and_not1_b32 vcc_lo, exec_lo, s15
	flat_load_b128 v[2:5], v[2:3]
	s_cbranch_vccnz .LBB250_39
; %bb.34:
	s_waitcnt vmcnt(0) lgkmcnt(0)
	v_cmp_gt_f64_e32 vcc_lo, 0, v[2:3]
	v_cmp_gt_f64_e64 s0, 0, v[4:5]
	v_xor_b32_e32 v8, 0x80000000, v3
	v_xor_b32_e32 v12, 0x80000000, v5
	s_delay_alu instid0(VALU_DEP_2) | instskip(NEXT) | instid1(VALU_DEP_2)
	v_dual_cndmask_b32 v9, v3, v8 :: v_dual_cndmask_b32 v8, v2, v2
	v_cndmask_b32_e64 v13, v5, v12, s0
	v_cndmask_b32_e64 v12, v4, v4, s0
	s_mov_b32 s0, exec_lo
	s_delay_alu instid0(VALU_DEP_1)
	v_cmpx_ngt_f64_e32 v[8:9], v[12:13]
	s_xor_b32 s0, exec_lo, s0
	s_cbranch_execz .LBB250_36
; %bb.35:
	v_div_scale_f64 v[8:9], null, v[4:5], v[4:5], v[2:3]
	v_div_scale_f64 v[16:17], vcc_lo, v[2:3], v[4:5], v[2:3]
	s_delay_alu instid0(VALU_DEP_2) | instskip(SKIP_2) | instid1(VALU_DEP_1)
	v_rcp_f64_e32 v[12:13], v[8:9]
	s_waitcnt_depctr 0xfff
	v_fma_f64 v[14:15], -v[8:9], v[12:13], 1.0
	v_fma_f64 v[12:13], v[12:13], v[14:15], v[12:13]
	s_delay_alu instid0(VALU_DEP_1) | instskip(NEXT) | instid1(VALU_DEP_1)
	v_fma_f64 v[14:15], -v[8:9], v[12:13], 1.0
	v_fma_f64 v[12:13], v[12:13], v[14:15], v[12:13]
	s_delay_alu instid0(VALU_DEP_1) | instskip(NEXT) | instid1(VALU_DEP_1)
	v_mul_f64 v[14:15], v[16:17], v[12:13]
	v_fma_f64 v[8:9], -v[8:9], v[14:15], v[16:17]
	s_delay_alu instid0(VALU_DEP_1) | instskip(NEXT) | instid1(VALU_DEP_1)
	v_div_fmas_f64 v[8:9], v[8:9], v[12:13], v[14:15]
	v_div_fixup_f64 v[8:9], v[8:9], v[4:5], v[2:3]
	s_delay_alu instid0(VALU_DEP_1) | instskip(NEXT) | instid1(VALU_DEP_1)
	v_fma_f64 v[2:3], v[2:3], v[8:9], v[4:5]
	v_div_scale_f64 v[4:5], null, v[2:3], v[2:3], 1.0
	s_delay_alu instid0(VALU_DEP_1) | instskip(SKIP_2) | instid1(VALU_DEP_1)
	v_rcp_f64_e32 v[12:13], v[4:5]
	s_waitcnt_depctr 0xfff
	v_fma_f64 v[14:15], -v[4:5], v[12:13], 1.0
	v_fma_f64 v[12:13], v[12:13], v[14:15], v[12:13]
	s_delay_alu instid0(VALU_DEP_1) | instskip(NEXT) | instid1(VALU_DEP_1)
	v_fma_f64 v[14:15], -v[4:5], v[12:13], 1.0
	v_fma_f64 v[12:13], v[12:13], v[14:15], v[12:13]
	v_div_scale_f64 v[14:15], vcc_lo, 1.0, v[2:3], 1.0
	s_delay_alu instid0(VALU_DEP_1) | instskip(NEXT) | instid1(VALU_DEP_1)
	v_mul_f64 v[16:17], v[14:15], v[12:13]
	v_fma_f64 v[4:5], -v[4:5], v[16:17], v[14:15]
	s_delay_alu instid0(VALU_DEP_1) | instskip(NEXT) | instid1(VALU_DEP_1)
	v_div_fmas_f64 v[4:5], v[4:5], v[12:13], v[16:17]
	v_div_fixup_f64 v[4:5], v[4:5], v[2:3], 1.0
	s_delay_alu instid0(VALU_DEP_1)
	v_mul_f64 v[2:3], v[8:9], v[4:5]
	v_xor_b32_e32 v5, 0x80000000, v5
.LBB250_36:
	s_and_not1_saveexec_b32 s0, s0
	s_cbranch_execz .LBB250_38
; %bb.37:
	s_delay_alu instid0(VALU_DEP_1) | instskip(SKIP_1) | instid1(VALU_DEP_2)
	v_div_scale_f64 v[8:9], null, v[2:3], v[2:3], v[4:5]
	v_div_scale_f64 v[16:17], vcc_lo, v[4:5], v[2:3], v[4:5]
	v_rcp_f64_e32 v[12:13], v[8:9]
	s_waitcnt_depctr 0xfff
	v_fma_f64 v[14:15], -v[8:9], v[12:13], 1.0
	s_delay_alu instid0(VALU_DEP_1) | instskip(NEXT) | instid1(VALU_DEP_1)
	v_fma_f64 v[12:13], v[12:13], v[14:15], v[12:13]
	v_fma_f64 v[14:15], -v[8:9], v[12:13], 1.0
	s_delay_alu instid0(VALU_DEP_1) | instskip(NEXT) | instid1(VALU_DEP_1)
	v_fma_f64 v[12:13], v[12:13], v[14:15], v[12:13]
	v_mul_f64 v[14:15], v[16:17], v[12:13]
	s_delay_alu instid0(VALU_DEP_1) | instskip(NEXT) | instid1(VALU_DEP_1)
	v_fma_f64 v[8:9], -v[8:9], v[14:15], v[16:17]
	v_div_fmas_f64 v[8:9], v[8:9], v[12:13], v[14:15]
	s_delay_alu instid0(VALU_DEP_1) | instskip(NEXT) | instid1(VALU_DEP_1)
	v_div_fixup_f64 v[8:9], v[8:9], v[2:3], v[4:5]
	v_fma_f64 v[2:3], v[4:5], v[8:9], v[2:3]
	s_delay_alu instid0(VALU_DEP_1) | instskip(NEXT) | instid1(VALU_DEP_1)
	v_div_scale_f64 v[4:5], null, v[2:3], v[2:3], 1.0
	v_rcp_f64_e32 v[12:13], v[4:5]
	s_waitcnt_depctr 0xfff
	v_fma_f64 v[14:15], -v[4:5], v[12:13], 1.0
	s_delay_alu instid0(VALU_DEP_1) | instskip(NEXT) | instid1(VALU_DEP_1)
	v_fma_f64 v[12:13], v[12:13], v[14:15], v[12:13]
	v_fma_f64 v[14:15], -v[4:5], v[12:13], 1.0
	s_delay_alu instid0(VALU_DEP_1) | instskip(SKIP_1) | instid1(VALU_DEP_1)
	v_fma_f64 v[12:13], v[12:13], v[14:15], v[12:13]
	v_div_scale_f64 v[14:15], vcc_lo, 1.0, v[2:3], 1.0
	v_mul_f64 v[16:17], v[14:15], v[12:13]
	s_delay_alu instid0(VALU_DEP_1) | instskip(NEXT) | instid1(VALU_DEP_1)
	v_fma_f64 v[4:5], -v[4:5], v[16:17], v[14:15]
	v_div_fmas_f64 v[4:5], v[4:5], v[12:13], v[16:17]
	s_delay_alu instid0(VALU_DEP_1) | instskip(NEXT) | instid1(VALU_DEP_1)
	v_div_fixup_f64 v[2:3], v[4:5], v[2:3], 1.0
	v_mul_f64 v[4:5], v[8:9], -v[2:3]
.LBB250_38:
	s_or_b32 exec_lo, exec_lo, s0
.LBB250_39:
	s_waitcnt vmcnt(0) lgkmcnt(0)
	s_delay_alu instid0(VALU_DEP_1) | instskip(NEXT) | instid1(VALU_DEP_3)
	v_mul_f64 v[8:9], v[10:11], v[4:5]
	v_mul_f64 v[10:11], v[10:11], v[2:3]
	s_delay_alu instid0(VALU_DEP_2) | instskip(NEXT) | instid1(VALU_DEP_2)
	v_fma_f64 v[2:3], v[0:1], v[2:3], -v[8:9]
	v_fma_f64 v[10:11], v[0:1], v[4:5], v[10:11]
	s_delay_alu instid0(VALU_DEP_2)
	v_dual_mov_b32 v0, v2 :: v_dual_mov_b32 v1, v3
.LBB250_40:
	s_or_b32 exec_lo, exec_lo, s1
	s_delay_alu instid0(VALU_DEP_2)
	v_dual_mov_b32 v2, v10 :: v_dual_mov_b32 v3, v11
	global_store_b128 v[6:7], v[0:3], off
.LBB250_41:
	s_nop 0
	s_sendmsg sendmsg(MSG_DEALLOC_VGPRS)
	s_endpgm
	.section	.rodata,"a",@progbits
	.p2align	6, 0x0
	.amdhsa_kernel _ZL40rocblas_trsm_block_backward_substitutionI19rocblas_complex_numIdES1_PKPKS1_PKPS1_Lb1ELb1ELb0EEv18rocblas_operation_llT0_T1_lllT2_lllib
		.amdhsa_group_segment_fixed_size 0
		.amdhsa_private_segment_fixed_size 0
		.amdhsa_kernarg_size 368
		.amdhsa_user_sgpr_count 13
		.amdhsa_user_sgpr_dispatch_ptr 0
		.amdhsa_user_sgpr_queue_ptr 0
		.amdhsa_user_sgpr_kernarg_segment_ptr 1
		.amdhsa_user_sgpr_dispatch_id 0
		.amdhsa_user_sgpr_private_segment_size 0
		.amdhsa_wavefront_size32 1
		.amdhsa_uses_dynamic_stack 0
		.amdhsa_enable_private_segment 0
		.amdhsa_system_sgpr_workgroup_id_x 1
		.amdhsa_system_sgpr_workgroup_id_y 1
		.amdhsa_system_sgpr_workgroup_id_z 1
		.amdhsa_system_sgpr_workgroup_info 0
		.amdhsa_system_vgpr_workitem_id 1
		.amdhsa_next_free_vgpr 25
		.amdhsa_next_free_sgpr 32
		.amdhsa_reserve_vcc 1
		.amdhsa_float_round_mode_32 0
		.amdhsa_float_round_mode_16_64 0
		.amdhsa_float_denorm_mode_32 3
		.amdhsa_float_denorm_mode_16_64 3
		.amdhsa_dx10_clamp 1
		.amdhsa_ieee_mode 1
		.amdhsa_fp16_overflow 0
		.amdhsa_workgroup_processor_mode 1
		.amdhsa_memory_ordered 1
		.amdhsa_forward_progress 0
		.amdhsa_shared_vgpr_count 0
		.amdhsa_exception_fp_ieee_invalid_op 0
		.amdhsa_exception_fp_denorm_src 0
		.amdhsa_exception_fp_ieee_div_zero 0
		.amdhsa_exception_fp_ieee_overflow 0
		.amdhsa_exception_fp_ieee_underflow 0
		.amdhsa_exception_fp_ieee_inexact 0
		.amdhsa_exception_int_div_zero 0
	.end_amdhsa_kernel
	.section	.text._ZL40rocblas_trsm_block_backward_substitutionI19rocblas_complex_numIdES1_PKPKS1_PKPS1_Lb1ELb1ELb0EEv18rocblas_operation_llT0_T1_lllT2_lllib,"axG",@progbits,_ZL40rocblas_trsm_block_backward_substitutionI19rocblas_complex_numIdES1_PKPKS1_PKPS1_Lb1ELb1ELb0EEv18rocblas_operation_llT0_T1_lllT2_lllib,comdat
.Lfunc_end250:
	.size	_ZL40rocblas_trsm_block_backward_substitutionI19rocblas_complex_numIdES1_PKPKS1_PKPS1_Lb1ELb1ELb0EEv18rocblas_operation_llT0_T1_lllT2_lllib, .Lfunc_end250-_ZL40rocblas_trsm_block_backward_substitutionI19rocblas_complex_numIdES1_PKPKS1_PKPS1_Lb1ELb1ELb0EEv18rocblas_operation_llT0_T1_lllT2_lllib
                                        ; -- End function
	.section	.AMDGPU.csdata,"",@progbits
; Kernel info:
; codeLenInByte = 3192
; NumSgprs: 34
; NumVgprs: 25
; ScratchSize: 0
; MemoryBound: 1
; FloatMode: 240
; IeeeMode: 1
; LDSByteSize: 0 bytes/workgroup (compile time only)
; SGPRBlocks: 4
; VGPRBlocks: 3
; NumSGPRsForWavesPerEU: 34
; NumVGPRsForWavesPerEU: 25
; Occupancy: 16
; WaveLimiterHint : 1
; COMPUTE_PGM_RSRC2:SCRATCH_EN: 0
; COMPUTE_PGM_RSRC2:USER_SGPR: 13
; COMPUTE_PGM_RSRC2:TRAP_HANDLER: 0
; COMPUTE_PGM_RSRC2:TGID_X_EN: 1
; COMPUTE_PGM_RSRC2:TGID_Y_EN: 1
; COMPUTE_PGM_RSRC2:TGID_Z_EN: 1
; COMPUTE_PGM_RSRC2:TIDIG_COMP_CNT: 1
	.section	.text._ZL39rocblas_trsm_block_forward_substitutionI19rocblas_complex_numIdES1_PKPKS1_PKPS1_Lb1ELb1ELb1EEv18rocblas_operation_llT0_T1_lllT2_lllib,"axG",@progbits,_ZL39rocblas_trsm_block_forward_substitutionI19rocblas_complex_numIdES1_PKPKS1_PKPS1_Lb1ELb1ELb1EEv18rocblas_operation_llT0_T1_lllT2_lllib,comdat
	.globl	_ZL39rocblas_trsm_block_forward_substitutionI19rocblas_complex_numIdES1_PKPKS1_PKPS1_Lb1ELb1ELb1EEv18rocblas_operation_llT0_T1_lllT2_lllib ; -- Begin function _ZL39rocblas_trsm_block_forward_substitutionI19rocblas_complex_numIdES1_PKPKS1_PKPS1_Lb1ELb1ELb1EEv18rocblas_operation_llT0_T1_lllT2_lllib
	.p2align	8
	.type	_ZL39rocblas_trsm_block_forward_substitutionI19rocblas_complex_numIdES1_PKPKS1_PKPS1_Lb1ELb1ELb1EEv18rocblas_operation_llT0_T1_lllT2_lllib,@function
_ZL39rocblas_trsm_block_forward_substitutionI19rocblas_complex_numIdES1_PKPKS1_PKPS1_Lb1ELb1ELb1EEv18rocblas_operation_llT0_T1_lllT2_lllib: ; @_ZL39rocblas_trsm_block_forward_substitutionI19rocblas_complex_numIdES1_PKPKS1_PKPS1_Lb1ELb1ELb1EEv18rocblas_operation_llT0_T1_lllT2_lllib
; %bb.0:
	s_clause 0x1
	s_load_b128 s[4:7], s[0:1], 0x28
	s_load_b64 s[28:29], s[0:1], 0x38
	s_mov_b32 s2, s15
	s_mov_b32 s3, 0
	s_load_b64 s[20:21], s[0:1], 0x58
	s_lshl_b64 s[2:3], s[2:3], 3
	v_and_b32_e32 v4, 0x3ff, v0
	v_bfe_u32 v6, v0, 10, 10
	s_waitcnt lgkmcnt(0)
	s_add_u32 s4, s4, s2
	s_addc_u32 s5, s5, s3
	s_lshl_b64 s[6:7], s[6:7], 4
	s_load_b64 s[4:5], s[4:5], 0x0
	s_clause 0x2
	s_load_b128 s[16:19], s[0:1], 0x48
	s_load_b32 s12, s[0:1], 0x6c
	s_load_b32 s13, s[0:1], 0x7c
	s_waitcnt lgkmcnt(0)
	s_add_u32 s22, s4, s6
	s_addc_u32 s23, s5, s7
	s_add_u32 s2, s16, s2
	s_addc_u32 s3, s17, s3
	s_load_b256 s[4:11], s[0:1], 0x8
	s_load_b64 s[16:17], s[2:3], 0x0
	s_add_u32 s24, s0, 0x70
	s_addc_u32 s25, s1, 0
	s_lshr_b32 s15, s13, 16
	s_bitcmp0_b32 s12, 0
	s_mov_b64 s[2:3], 1
	s_cbranch_scc1 .LBB251_6
; %bb.1:
	s_waitcnt lgkmcnt(0)
	v_cmp_lt_i64_e64 s2, s[4:5], 1
	s_lshl_b32 s3, s15, 4
	s_mov_b64 s[12:13], 1
	s_add_i32 s26, s3, 0
	s_delay_alu instid0(VALU_DEP_1)
	s_and_b32 vcc_lo, exec_lo, s2
	s_cbranch_vccnz .LBB251_7
; %bb.2:
	v_mad_u64_u32 v[0:1], null, v4, s28, 0
	v_mov_b32_e32 v5, 0
	s_delay_alu instid0(VALU_DEP_1) | instskip(NEXT) | instid1(VALU_DEP_3)
	v_cmp_gt_u64_e64 s2, s[4:5], v[4:5]
	v_mad_u64_u32 v[2:3], null, v4, s29, v[1:2]
	s_delay_alu instid0(VALU_DEP_1) | instskip(SKIP_1) | instid1(VALU_DEP_2)
	v_mov_b32_e32 v1, v2
	v_lshl_add_u32 v2, v4, 4, s26
	v_lshlrev_b64 v[0:1], 4, v[0:1]
	s_delay_alu instid0(VALU_DEP_1) | instskip(NEXT) | instid1(VALU_DEP_2)
	v_add_co_u32 v3, vcc_lo, s22, v0
	v_add_co_ci_u32_e32 v5, vcc_lo, s23, v1, vcc_lo
	s_mov_b32 s22, 0
	s_set_inst_prefetch_distance 0x1
	s_branch .LBB251_4
	.p2align	6
.LBB251_3:                              ;   in Loop: Header=BB251_4 Depth=1
	s_or_b32 exec_lo, exec_lo, s3
	s_add_i32 s22, s22, s15
	s_delay_alu instid0(SALU_CYCLE_1) | instskip(NEXT) | instid1(SALU_CYCLE_1)
	s_ashr_i32 s23, s22, 31
	v_cmp_ge_i64_e64 s3, s[22:23], s[4:5]
	s_delay_alu instid0(VALU_DEP_1)
	s_and_b32 vcc_lo, exec_lo, s3
	s_cbranch_vccnz .LBB251_7
.LBB251_4:                              ; =>This Inner Loop Header: Depth=1
	v_add_nc_u32_e32 v0, s22, v6
	s_delay_alu instid0(VALU_DEP_1) | instskip(SKIP_1) | instid1(SALU_CYCLE_1)
	v_cmp_gt_i32_e32 vcc_lo, v4, v0
	s_and_b32 s23, s2, vcc_lo
	s_and_saveexec_b32 s3, s23
	s_cbranch_execz .LBB251_3
; %bb.5:                                ;   in Loop: Header=BB251_4 Depth=1
	v_ashrrev_i32_e32 v1, 31, v0
	s_load_b32 s23, s[24:25], 0xc
	s_delay_alu instid0(VALU_DEP_1) | instskip(NEXT) | instid1(VALU_DEP_1)
	v_lshlrev_b64 v[7:8], 4, v[0:1]
	v_add_co_u32 v7, vcc_lo, v3, v7
	s_delay_alu instid0(VALU_DEP_2) | instskip(SKIP_3) | instid1(SALU_CYCLE_1)
	v_add_co_ci_u32_e32 v8, vcc_lo, v5, v8, vcc_lo
	global_load_b128 v[7:10], v[7:8], off
	s_waitcnt lgkmcnt(0)
	s_and_b32 s23, s23, 0xffff
	v_mul_lo_u32 v0, v0, s23
	s_delay_alu instid0(VALU_DEP_1)
	v_lshl_add_u32 v0, v0, 4, v2
	s_waitcnt vmcnt(0)
	ds_store_2addr_b64 v0, v[7:8], v[9:10] offset1:1
	s_branch .LBB251_3
.LBB251_6:
	s_mov_b64 s[12:13], s[28:29]
	s_branch .LBB251_8
.LBB251_7:
	s_set_inst_prefetch_distance 0x2
	s_load_b32 s22, s[24:25], 0xc
	s_mov_b64 s[2:3], src_shared_base
	s_delay_alu instid0(SALU_CYCLE_1)
	s_mov_b32 s27, s3
	s_waitcnt lgkmcnt(0)
	s_and_b32 s2, s22, 0xffff
	s_mov_b64 s[22:23], s[26:27]
.LBB251_8:
	v_mad_u64_u32 v[0:1], null, s14, s15, v[6:7]
	v_mov_b32_e32 v1, 0
	s_mov_b32 s3, exec_lo
	s_waitcnt lgkmcnt(0)
	s_delay_alu instid0(VALU_DEP_1)
	v_cmpx_gt_i64_e64 s[6:7], v[0:1]
	s_cbranch_execz .LBB251_18
; %bb.9:
	v_mov_b32_e32 v5, v1
	s_delay_alu instid0(VALU_DEP_1)
	v_cmp_gt_i64_e32 vcc_lo, s[4:5], v[4:5]
	s_and_b32 exec_lo, exec_lo, vcc_lo
	s_cbranch_execz .LBB251_18
; %bb.10:
	v_mad_u64_u32 v[2:3], null, v4, s20, 0
	s_lshl_b64 s[6:7], s[18:19], 4
	v_lshlrev_b64 v[0:1], 4, v[0:1]
	s_add_u32 s3, s16, s6
	s_addc_u32 s6, s17, s7
	s_delay_alu instid0(VALU_DEP_2) | instskip(NEXT) | instid1(VALU_DEP_1)
	v_mad_u64_u32 v[7:8], null, v4, s21, v[3:4]
	v_mov_b32_e32 v3, v7
	s_delay_alu instid0(VALU_DEP_1) | instskip(NEXT) | instid1(VALU_DEP_1)
	v_lshlrev_b64 v[2:3], 4, v[2:3]
	v_add_co_u32 v2, vcc_lo, s3, v2
	s_delay_alu instid0(VALU_DEP_2) | instskip(SKIP_1) | instid1(VALU_DEP_3)
	v_add_co_ci_u32_e32 v3, vcc_lo, s6, v3, vcc_lo
	v_cmp_lt_u64_e64 s3, s[4:5], 2
	v_add_co_u32 v7, vcc_lo, v2, v0
	s_delay_alu instid0(VALU_DEP_3) | instskip(NEXT) | instid1(VALU_DEP_3)
	v_add_co_ci_u32_e32 v8, vcc_lo, v3, v1, vcc_lo
	s_and_b32 vcc_lo, exec_lo, s3
	global_load_b128 v[9:12], v[7:8], off
	s_waitcnt vmcnt(0)
	v_mul_f64 v[0:1], s[10:11], v[11:12]
	v_mul_f64 v[2:3], s[8:9], v[11:12]
	s_delay_alu instid0(VALU_DEP_2) | instskip(NEXT) | instid1(VALU_DEP_2)
	v_fma_f64 v[0:1], s[8:9], v[9:10], -v[0:1]
	v_fma_f64 v[2:3], s[10:11], v[9:10], v[2:3]
	s_cbranch_vccnz .LBB251_17
; %bb.11:
	v_mad_u64_u32 v[9:10], null, s12, v4, 0
	s_load_b32 s0, s[0:1], 0x0
	v_lshl_add_u32 v6, v6, 4, 0
	s_delay_alu instid0(VALU_DEP_2) | instskip(NEXT) | instid1(VALU_DEP_1)
	v_mad_u64_u32 v[11:12], null, s13, v4, v[10:11]
	v_mov_b32_e32 v10, v11
	s_delay_alu instid0(VALU_DEP_1)
	v_lshlrev_b64 v[9:10], 4, v[9:10]
	s_waitcnt lgkmcnt(0)
	s_cmpk_eq_i32 s0, 0x71
	s_cselect_b32 vcc_lo, -1, 0
	s_add_u32 s4, s4, -1
	s_addc_u32 s5, s5, -1
	v_add_co_u32 v9, s0, s22, v9
	s_delay_alu instid0(VALU_DEP_1)
	v_add_co_ci_u32_e64 v10, s0, s23, v10, s0
	s_lshl_b32 s1, s2, 4
	s_mov_b64 s[2:3], 0
	s_set_inst_prefetch_distance 0x1
	s_branch .LBB251_13
	.p2align	6
.LBB251_12:                             ;   in Loop: Header=BB251_13 Depth=1
	s_or_b32 exec_lo, exec_lo, s6
	v_add_co_u32 v9, s0, v9, s1
	s_add_u32 s2, s2, 1
	v_add_co_ci_u32_e64 v10, s0, 0, v10, s0
	s_addc_u32 s3, s3, 0
	s_delay_alu instid0(SALU_CYCLE_1)
	s_cmp_eq_u64 s[4:5], s[2:3]
	s_cbranch_scc1 .LBB251_17
.LBB251_13:                             ; =>This Inner Loop Header: Depth=1
	s_mov_b32 s6, exec_lo
	s_barrier
	buffer_gl0_inv
	v_cmpx_eq_u64_e64 s[2:3], v[4:5]
	s_cbranch_execz .LBB251_15
; %bb.14:                               ;   in Loop: Header=BB251_13 Depth=1
	ds_store_2addr_b64 v6, v[0:1], v[2:3] offset1:1
.LBB251_15:                             ;   in Loop: Header=BB251_13 Depth=1
	s_or_b32 exec_lo, exec_lo, s6
	s_delay_alu instid0(SALU_CYCLE_1)
	s_mov_b32 s6, exec_lo
	s_waitcnt lgkmcnt(0)
	s_barrier
	buffer_gl0_inv
	v_cmpx_lt_u64_e64 s[2:3], v[4:5]
	s_cbranch_execz .LBB251_12
; %bb.16:                               ;   in Loop: Header=BB251_13 Depth=1
	flat_load_b128 v[11:14], v[9:10]
	ds_load_2addr_b64 v[15:18], v6 offset1:1
	s_waitcnt vmcnt(0) lgkmcnt(1)
	v_xor_b32_e32 v19, 0x80000000, v14
	s_delay_alu instid0(VALU_DEP_1) | instskip(SKIP_1) | instid1(VALU_DEP_1)
	v_cndmask_b32_e32 v14, v14, v19, vcc_lo
	s_waitcnt lgkmcnt(0)
	v_mul_f64 v[19:20], v[13:14], v[17:18]
	v_mul_f64 v[17:18], v[11:12], v[17:18]
	s_delay_alu instid0(VALU_DEP_2) | instskip(NEXT) | instid1(VALU_DEP_2)
	v_fma_f64 v[11:12], v[11:12], v[15:16], -v[19:20]
	v_fma_f64 v[13:14], v[13:14], v[15:16], v[17:18]
	s_delay_alu instid0(VALU_DEP_2) | instskip(NEXT) | instid1(VALU_DEP_2)
	v_add_f64 v[0:1], v[0:1], -v[11:12]
	v_add_f64 v[2:3], v[2:3], -v[13:14]
	s_branch .LBB251_12
.LBB251_17:
	s_set_inst_prefetch_distance 0x2
	global_store_b128 v[7:8], v[0:3], off
.LBB251_18:
	s_nop 0
	s_sendmsg sendmsg(MSG_DEALLOC_VGPRS)
	s_endpgm
	.section	.rodata,"a",@progbits
	.p2align	6, 0x0
	.amdhsa_kernel _ZL39rocblas_trsm_block_forward_substitutionI19rocblas_complex_numIdES1_PKPKS1_PKPS1_Lb1ELb1ELb1EEv18rocblas_operation_llT0_T1_lllT2_lllib
		.amdhsa_group_segment_fixed_size 0
		.amdhsa_private_segment_fixed_size 0
		.amdhsa_kernarg_size 368
		.amdhsa_user_sgpr_count 13
		.amdhsa_user_sgpr_dispatch_ptr 0
		.amdhsa_user_sgpr_queue_ptr 0
		.amdhsa_user_sgpr_kernarg_segment_ptr 1
		.amdhsa_user_sgpr_dispatch_id 0
		.amdhsa_user_sgpr_private_segment_size 0
		.amdhsa_wavefront_size32 1
		.amdhsa_uses_dynamic_stack 0
		.amdhsa_enable_private_segment 0
		.amdhsa_system_sgpr_workgroup_id_x 1
		.amdhsa_system_sgpr_workgroup_id_y 1
		.amdhsa_system_sgpr_workgroup_id_z 1
		.amdhsa_system_sgpr_workgroup_info 0
		.amdhsa_system_vgpr_workitem_id 1
		.amdhsa_next_free_vgpr 21
		.amdhsa_next_free_sgpr 30
		.amdhsa_reserve_vcc 1
		.amdhsa_float_round_mode_32 0
		.amdhsa_float_round_mode_16_64 0
		.amdhsa_float_denorm_mode_32 3
		.amdhsa_float_denorm_mode_16_64 3
		.amdhsa_dx10_clamp 1
		.amdhsa_ieee_mode 1
		.amdhsa_fp16_overflow 0
		.amdhsa_workgroup_processor_mode 1
		.amdhsa_memory_ordered 1
		.amdhsa_forward_progress 0
		.amdhsa_shared_vgpr_count 0
		.amdhsa_exception_fp_ieee_invalid_op 0
		.amdhsa_exception_fp_denorm_src 0
		.amdhsa_exception_fp_ieee_div_zero 0
		.amdhsa_exception_fp_ieee_overflow 0
		.amdhsa_exception_fp_ieee_underflow 0
		.amdhsa_exception_fp_ieee_inexact 0
		.amdhsa_exception_int_div_zero 0
	.end_amdhsa_kernel
	.section	.text._ZL39rocblas_trsm_block_forward_substitutionI19rocblas_complex_numIdES1_PKPKS1_PKPS1_Lb1ELb1ELb1EEv18rocblas_operation_llT0_T1_lllT2_lllib,"axG",@progbits,_ZL39rocblas_trsm_block_forward_substitutionI19rocblas_complex_numIdES1_PKPKS1_PKPS1_Lb1ELb1ELb1EEv18rocblas_operation_llT0_T1_lllT2_lllib,comdat
.Lfunc_end251:
	.size	_ZL39rocblas_trsm_block_forward_substitutionI19rocblas_complex_numIdES1_PKPKS1_PKPS1_Lb1ELb1ELb1EEv18rocblas_operation_llT0_T1_lllT2_lllib, .Lfunc_end251-_ZL39rocblas_trsm_block_forward_substitutionI19rocblas_complex_numIdES1_PKPKS1_PKPS1_Lb1ELb1ELb1EEv18rocblas_operation_llT0_T1_lllT2_lllib
                                        ; -- End function
	.section	.AMDGPU.csdata,"",@progbits
; Kernel info:
; codeLenInByte = 1052
; NumSgprs: 32
; NumVgprs: 21
; ScratchSize: 0
; MemoryBound: 0
; FloatMode: 240
; IeeeMode: 1
; LDSByteSize: 0 bytes/workgroup (compile time only)
; SGPRBlocks: 3
; VGPRBlocks: 2
; NumSGPRsForWavesPerEU: 32
; NumVGPRsForWavesPerEU: 21
; Occupancy: 16
; WaveLimiterHint : 1
; COMPUTE_PGM_RSRC2:SCRATCH_EN: 0
; COMPUTE_PGM_RSRC2:USER_SGPR: 13
; COMPUTE_PGM_RSRC2:TRAP_HANDLER: 0
; COMPUTE_PGM_RSRC2:TGID_X_EN: 1
; COMPUTE_PGM_RSRC2:TGID_Y_EN: 1
; COMPUTE_PGM_RSRC2:TGID_Z_EN: 1
; COMPUTE_PGM_RSRC2:TIDIG_COMP_CNT: 1
	.section	.text._ZL40rocblas_trsm_block_backward_substitutionI19rocblas_complex_numIdES1_PKPKS1_PKPS1_Lb1ELb1ELb1EEv18rocblas_operation_llT0_T1_lllT2_lllib,"axG",@progbits,_ZL40rocblas_trsm_block_backward_substitutionI19rocblas_complex_numIdES1_PKPKS1_PKPS1_Lb1ELb1ELb1EEv18rocblas_operation_llT0_T1_lllT2_lllib,comdat
	.globl	_ZL40rocblas_trsm_block_backward_substitutionI19rocblas_complex_numIdES1_PKPKS1_PKPS1_Lb1ELb1ELb1EEv18rocblas_operation_llT0_T1_lllT2_lllib ; -- Begin function _ZL40rocblas_trsm_block_backward_substitutionI19rocblas_complex_numIdES1_PKPKS1_PKPS1_Lb1ELb1ELb1EEv18rocblas_operation_llT0_T1_lllT2_lllib
	.p2align	8
	.type	_ZL40rocblas_trsm_block_backward_substitutionI19rocblas_complex_numIdES1_PKPKS1_PKPS1_Lb1ELb1ELb1EEv18rocblas_operation_llT0_T1_lllT2_lllib,@function
_ZL40rocblas_trsm_block_backward_substitutionI19rocblas_complex_numIdES1_PKPKS1_PKPS1_Lb1ELb1ELb1EEv18rocblas_operation_llT0_T1_lllT2_lllib: ; @_ZL40rocblas_trsm_block_backward_substitutionI19rocblas_complex_numIdES1_PKPKS1_PKPS1_Lb1ELb1ELb1EEv18rocblas_operation_llT0_T1_lllT2_lllib
; %bb.0:
	s_clause 0x1
	s_load_b128 s[4:7], s[0:1], 0x28
	s_load_b64 s[12:13], s[0:1], 0x38
	s_mov_b32 s2, s15
	s_mov_b32 s3, 0
	s_load_b64 s[20:21], s[0:1], 0x58
	s_lshl_b64 s[2:3], s[2:3], 3
	v_and_b32_e32 v4, 0x3ff, v0
	v_bfe_u32 v6, v0, 10, 10
	s_waitcnt lgkmcnt(0)
	s_add_u32 s4, s4, s2
	s_addc_u32 s5, s5, s3
	s_lshl_b64 s[6:7], s[6:7], 4
	s_load_b64 s[4:5], s[4:5], 0x0
	s_clause 0x2
	s_load_b128 s[16:19], s[0:1], 0x48
	s_load_b32 s26, s[0:1], 0x6c
	s_load_b32 s15, s[0:1], 0x7c
	s_waitcnt lgkmcnt(0)
	s_add_u32 s22, s4, s6
	s_addc_u32 s23, s5, s7
	s_add_u32 s2, s16, s2
	s_addc_u32 s3, s17, s3
	s_load_b256 s[4:11], s[0:1], 0x8
	s_load_b64 s[16:17], s[2:3], 0x0
	s_add_u32 s24, s0, 0x70
	s_addc_u32 s25, s1, 0
	s_lshr_b32 s15, s15, 16
	s_bitcmp0_b32 s26, 0
	s_cbranch_scc1 .LBB252_7
; %bb.1:
	s_waitcnt lgkmcnt(0)
	v_cmp_lt_i64_e64 s2, s[4:5], 1
	s_lshl_b32 s3, s15, 4
	s_delay_alu instid0(SALU_CYCLE_1) | instskip(NEXT) | instid1(VALU_DEP_1)
	s_add_i32 s26, s3, 0
	s_and_b32 vcc_lo, exec_lo, s2
	s_cbranch_vccnz .LBB252_6
; %bb.2:
	v_dual_mov_b32 v5, 0 :: v_dual_lshlrev_b32 v0, 4, v4
	s_delay_alu instid0(VALU_DEP_1) | instskip(NEXT) | instid1(VALU_DEP_2)
	v_add_co_u32 v3, s3, s22, v0
	v_cmp_gt_u64_e64 s2, s[4:5], v[4:5]
	v_add_nc_u32_e32 v2, s26, v0
	v_add_co_ci_u32_e64 v5, null, s23, 0, s3
	s_mov_b32 s22, 0
	s_set_inst_prefetch_distance 0x1
	s_branch .LBB252_4
	.p2align	6
.LBB252_3:                              ;   in Loop: Header=BB252_4 Depth=1
	s_or_b32 exec_lo, exec_lo, s3
	s_add_i32 s22, s22, s15
	s_delay_alu instid0(SALU_CYCLE_1) | instskip(NEXT) | instid1(SALU_CYCLE_1)
	s_ashr_i32 s23, s22, 31
	v_cmp_ge_i64_e64 s3, s[22:23], s[4:5]
	s_delay_alu instid0(VALU_DEP_1)
	s_and_b32 vcc_lo, exec_lo, s3
	s_cbranch_vccnz .LBB252_6
.LBB252_4:                              ; =>This Inner Loop Header: Depth=1
	v_add_nc_u32_e32 v0, s22, v6
	s_delay_alu instid0(VALU_DEP_1) | instskip(SKIP_1) | instid1(VALU_DEP_2)
	v_ashrrev_i32_e32 v1, 31, v0
	v_cmp_lt_i32_e64 s3, v4, v0
	v_cmp_gt_i64_e32 vcc_lo, s[4:5], v[0:1]
	s_delay_alu instid0(VALU_DEP_2) | instskip(NEXT) | instid1(SALU_CYCLE_1)
	s_and_b32 s3, s3, vcc_lo
	s_and_b32 s23, s2, s3
	s_delay_alu instid0(SALU_CYCLE_1)
	s_and_saveexec_b32 s3, s23
	s_cbranch_execz .LBB252_3
; %bb.5:                                ;   in Loop: Header=BB252_4 Depth=1
	v_mul_lo_u32 v1, v1, s12
	v_mul_lo_u32 v9, v0, s13
	v_mad_u64_u32 v[7:8], null, v0, s12, 0
	s_load_b32 s23, s[24:25], 0xc
	s_delay_alu instid0(VALU_DEP_1) | instskip(NEXT) | instid1(VALU_DEP_1)
	v_add3_u32 v8, v8, v9, v1
	v_lshlrev_b64 v[7:8], 4, v[7:8]
	s_delay_alu instid0(VALU_DEP_1) | instskip(NEXT) | instid1(VALU_DEP_2)
	v_add_co_u32 v7, vcc_lo, v3, v7
	v_add_co_ci_u32_e32 v8, vcc_lo, v5, v8, vcc_lo
	s_waitcnt lgkmcnt(0)
	s_and_b32 s23, s23, 0xffff
	s_delay_alu instid0(SALU_CYCLE_1)
	v_mul_lo_u32 v0, v0, s23
	global_load_b128 v[7:10], v[7:8], off
	v_lshl_add_u32 v0, v0, 4, v2
	s_waitcnt vmcnt(0)
	ds_store_2addr_b64 v0, v[7:8], v[9:10] offset1:1
	s_branch .LBB252_3
.LBB252_6:
	s_set_inst_prefetch_distance 0x2
	s_load_b32 s12, s[24:25], 0xc
	s_mov_b64 s[2:3], src_shared_base
	s_mov_b32 s13, 0
	s_mov_b32 s27, s3
	s_delay_alu instid0(SALU_CYCLE_1)
	s_mov_b64 s[22:23], s[26:27]
	s_waitcnt lgkmcnt(0)
	s_and_b32 s12, s12, 0xffff
.LBB252_7:
	v_mad_u64_u32 v[0:1], null, s14, s15, v[6:7]
	v_mov_b32_e32 v1, 0
	s_mov_b32 s2, exec_lo
	s_waitcnt lgkmcnt(0)
	s_delay_alu instid0(VALU_DEP_1)
	v_cmpx_gt_i64_e64 s[6:7], v[0:1]
	s_cbranch_execz .LBB252_18
; %bb.8:
	v_mov_b32_e32 v5, v1
	s_delay_alu instid0(VALU_DEP_1)
	v_cmp_gt_i64_e32 vcc_lo, s[4:5], v[4:5]
	s_and_b32 exec_lo, exec_lo, vcc_lo
	s_cbranch_execz .LBB252_18
; %bb.9:
	v_mad_u64_u32 v[1:2], null, v0, s20, 0
	s_lshl_b64 s[2:3], s[18:19], 4
	v_lshlrev_b32_e32 v9, 4, v4
	s_add_u32 s2, s16, s2
	s_addc_u32 s3, s17, s3
	s_delay_alu instid0(VALU_DEP_2) | instskip(NEXT) | instid1(VALU_DEP_1)
	v_mad_u64_u32 v[7:8], null, v0, s21, v[2:3]
	v_mov_b32_e32 v2, v7
	s_delay_alu instid0(VALU_DEP_1) | instskip(NEXT) | instid1(VALU_DEP_1)
	v_lshlrev_b64 v[0:1], 4, v[1:2]
	v_add_co_u32 v0, vcc_lo, s2, v0
	s_delay_alu instid0(VALU_DEP_2) | instskip(SKIP_1) | instid1(VALU_DEP_3)
	v_add_co_ci_u32_e32 v1, vcc_lo, s3, v1, vcc_lo
	v_cmp_lt_u64_e64 s2, s[4:5], 2
	v_add_co_u32 v7, vcc_lo, v0, v9
	s_delay_alu instid0(VALU_DEP_3) | instskip(NEXT) | instid1(VALU_DEP_3)
	v_add_co_ci_u32_e32 v8, vcc_lo, 0, v1, vcc_lo
	s_and_b32 vcc_lo, exec_lo, s2
	global_load_b128 v[10:13], v[7:8], off
	s_waitcnt vmcnt(0)
	v_mul_f64 v[0:1], s[10:11], v[12:13]
	v_mul_f64 v[2:3], s[8:9], v[12:13]
	s_delay_alu instid0(VALU_DEP_2) | instskip(NEXT) | instid1(VALU_DEP_2)
	v_fma_f64 v[0:1], s[8:9], v[10:11], -v[0:1]
	v_fma_f64 v[2:3], s[10:11], v[10:11], v[2:3]
	s_cbranch_vccnz .LBB252_17
; %bb.10:
	s_load_b32 s0, s[0:1], 0x0
	v_lshl_add_u32 v6, v6, 4, 0
	s_waitcnt lgkmcnt(0)
	s_cmpk_eq_i32 s0, 0x71
	s_cselect_b32 s0, -1, 0
	s_add_u32 s2, s4, -1
	s_addc_u32 s3, s5, -1
	s_mul_hi_u32 s1, s12, s2
	s_mul_i32 s4, s12, s3
	s_mul_i32 s5, s13, s2
	s_add_i32 s1, s1, s4
	s_mul_i32 s4, s12, s2
	s_add_i32 s5, s1, s5
	s_delay_alu instid0(SALU_CYCLE_1) | instskip(NEXT) | instid1(SALU_CYCLE_1)
	s_lshl_b64 s[4:5], s[4:5], 4
	s_add_u32 s1, s22, s4
	s_addc_u32 s4, s23, s5
	v_add_co_u32 v9, s1, s1, v9
	s_delay_alu instid0(VALU_DEP_1) | instskip(SKIP_1) | instid1(SALU_CYCLE_1)
	v_add_co_ci_u32_e64 v10, null, s4, 0, s1
	s_lshl_b64 s[4:5], s[12:13], 4
	s_sub_u32 s1, 0, s4
	s_subb_u32 s6, 0, s5
	s_set_inst_prefetch_distance 0x1
	.p2align	6
.LBB252_11:                             ; =>This Inner Loop Header: Depth=1
	s_mov_b32 s4, exec_lo
	s_barrier
	buffer_gl0_inv
	v_cmpx_eq_u64_e64 s[2:3], v[4:5]
	s_cbranch_execz .LBB252_13
; %bb.12:                               ;   in Loop: Header=BB252_11 Depth=1
	ds_store_2addr_b64 v6, v[0:1], v[2:3] offset1:1
.LBB252_13:                             ;   in Loop: Header=BB252_11 Depth=1
	s_or_b32 exec_lo, exec_lo, s4
	s_delay_alu instid0(SALU_CYCLE_1)
	s_mov_b32 s4, exec_lo
	s_waitcnt lgkmcnt(0)
	s_barrier
	buffer_gl0_inv
	v_cmpx_gt_i64_e64 s[2:3], v[4:5]
	s_cbranch_execz .LBB252_15
; %bb.14:                               ;   in Loop: Header=BB252_11 Depth=1
	flat_load_b128 v[11:14], v[9:10]
	ds_load_2addr_b64 v[15:18], v6 offset1:1
	s_waitcnt vmcnt(0) lgkmcnt(1)
	v_xor_b32_e32 v19, 0x80000000, v14
	s_delay_alu instid0(VALU_DEP_1) | instskip(SKIP_1) | instid1(VALU_DEP_1)
	v_cndmask_b32_e64 v14, v14, v19, s0
	s_waitcnt lgkmcnt(0)
	v_mul_f64 v[19:20], v[13:14], v[17:18]
	v_mul_f64 v[17:18], v[11:12], v[17:18]
	s_delay_alu instid0(VALU_DEP_2) | instskip(NEXT) | instid1(VALU_DEP_2)
	v_fma_f64 v[11:12], v[11:12], v[15:16], -v[19:20]
	v_fma_f64 v[13:14], v[13:14], v[15:16], v[17:18]
	s_delay_alu instid0(VALU_DEP_2) | instskip(NEXT) | instid1(VALU_DEP_2)
	v_add_f64 v[0:1], v[0:1], -v[11:12]
	v_add_f64 v[2:3], v[2:3], -v[13:14]
.LBB252_15:                             ;   in Loop: Header=BB252_11 Depth=1
	s_or_b32 exec_lo, exec_lo, s4
	s_add_u32 s4, s2, -1
	s_addc_u32 s5, s3, -1
	s_add_u32 s2, s2, 1
	s_addc_u32 s3, s3, 0
	v_add_co_u32 v9, vcc_lo, v9, s1
	v_cmp_lt_u64_e64 s2, s[2:3], 3
	v_add_co_ci_u32_e32 v10, vcc_lo, s6, v10, vcc_lo
	s_delay_alu instid0(VALU_DEP_2)
	s_and_b32 vcc_lo, exec_lo, s2
	s_cbranch_vccnz .LBB252_17
; %bb.16:                               ;   in Loop: Header=BB252_11 Depth=1
	s_mov_b64 s[2:3], s[4:5]
	s_branch .LBB252_11
.LBB252_17:
	s_set_inst_prefetch_distance 0x2
	global_store_b128 v[7:8], v[0:3], off
.LBB252_18:
	s_nop 0
	s_sendmsg sendmsg(MSG_DEALLOC_VGPRS)
	s_endpgm
	.section	.rodata,"a",@progbits
	.p2align	6, 0x0
	.amdhsa_kernel _ZL40rocblas_trsm_block_backward_substitutionI19rocblas_complex_numIdES1_PKPKS1_PKPS1_Lb1ELb1ELb1EEv18rocblas_operation_llT0_T1_lllT2_lllib
		.amdhsa_group_segment_fixed_size 0
		.amdhsa_private_segment_fixed_size 0
		.amdhsa_kernarg_size 368
		.amdhsa_user_sgpr_count 13
		.amdhsa_user_sgpr_dispatch_ptr 0
		.amdhsa_user_sgpr_queue_ptr 0
		.amdhsa_user_sgpr_kernarg_segment_ptr 1
		.amdhsa_user_sgpr_dispatch_id 0
		.amdhsa_user_sgpr_private_segment_size 0
		.amdhsa_wavefront_size32 1
		.amdhsa_uses_dynamic_stack 0
		.amdhsa_enable_private_segment 0
		.amdhsa_system_sgpr_workgroup_id_x 1
		.amdhsa_system_sgpr_workgroup_id_y 1
		.amdhsa_system_sgpr_workgroup_id_z 1
		.amdhsa_system_sgpr_workgroup_info 0
		.amdhsa_system_vgpr_workitem_id 1
		.amdhsa_next_free_vgpr 21
		.amdhsa_next_free_sgpr 28
		.amdhsa_reserve_vcc 1
		.amdhsa_float_round_mode_32 0
		.amdhsa_float_round_mode_16_64 0
		.amdhsa_float_denorm_mode_32 3
		.amdhsa_float_denorm_mode_16_64 3
		.amdhsa_dx10_clamp 1
		.amdhsa_ieee_mode 1
		.amdhsa_fp16_overflow 0
		.amdhsa_workgroup_processor_mode 1
		.amdhsa_memory_ordered 1
		.amdhsa_forward_progress 0
		.amdhsa_shared_vgpr_count 0
		.amdhsa_exception_fp_ieee_invalid_op 0
		.amdhsa_exception_fp_denorm_src 0
		.amdhsa_exception_fp_ieee_div_zero 0
		.amdhsa_exception_fp_ieee_overflow 0
		.amdhsa_exception_fp_ieee_underflow 0
		.amdhsa_exception_fp_ieee_inexact 0
		.amdhsa_exception_int_div_zero 0
	.end_amdhsa_kernel
	.section	.text._ZL40rocblas_trsm_block_backward_substitutionI19rocblas_complex_numIdES1_PKPKS1_PKPS1_Lb1ELb1ELb1EEv18rocblas_operation_llT0_T1_lllT2_lllib,"axG",@progbits,_ZL40rocblas_trsm_block_backward_substitutionI19rocblas_complex_numIdES1_PKPKS1_PKPS1_Lb1ELb1ELb1EEv18rocblas_operation_llT0_T1_lllT2_lllib,comdat
.Lfunc_end252:
	.size	_ZL40rocblas_trsm_block_backward_substitutionI19rocblas_complex_numIdES1_PKPKS1_PKPS1_Lb1ELb1ELb1EEv18rocblas_operation_llT0_T1_lllT2_lllib, .Lfunc_end252-_ZL40rocblas_trsm_block_backward_substitutionI19rocblas_complex_numIdES1_PKPKS1_PKPS1_Lb1ELb1ELb1EEv18rocblas_operation_llT0_T1_lllT2_lllib
                                        ; -- End function
	.section	.AMDGPU.csdata,"",@progbits
; Kernel info:
; codeLenInByte = 1080
; NumSgprs: 30
; NumVgprs: 21
; ScratchSize: 0
; MemoryBound: 0
; FloatMode: 240
; IeeeMode: 1
; LDSByteSize: 0 bytes/workgroup (compile time only)
; SGPRBlocks: 3
; VGPRBlocks: 2
; NumSGPRsForWavesPerEU: 30
; NumVGPRsForWavesPerEU: 21
; Occupancy: 16
; WaveLimiterHint : 1
; COMPUTE_PGM_RSRC2:SCRATCH_EN: 0
; COMPUTE_PGM_RSRC2:USER_SGPR: 13
; COMPUTE_PGM_RSRC2:TRAP_HANDLER: 0
; COMPUTE_PGM_RSRC2:TGID_X_EN: 1
; COMPUTE_PGM_RSRC2:TGID_Y_EN: 1
; COMPUTE_PGM_RSRC2:TGID_Z_EN: 1
; COMPUTE_PGM_RSRC2:TIDIG_COMP_CNT: 1
	.section	.text._ZL39rocblas_trsm_block_forward_substitutionI19rocblas_complex_numIdES1_PKPKS1_PKPS1_Lb1ELb0ELb0EEv18rocblas_operation_llT0_T1_lllT2_lllib,"axG",@progbits,_ZL39rocblas_trsm_block_forward_substitutionI19rocblas_complex_numIdES1_PKPKS1_PKPS1_Lb1ELb0ELb0EEv18rocblas_operation_llT0_T1_lllT2_lllib,comdat
	.globl	_ZL39rocblas_trsm_block_forward_substitutionI19rocblas_complex_numIdES1_PKPKS1_PKPS1_Lb1ELb0ELb0EEv18rocblas_operation_llT0_T1_lllT2_lllib ; -- Begin function _ZL39rocblas_trsm_block_forward_substitutionI19rocblas_complex_numIdES1_PKPKS1_PKPS1_Lb1ELb0ELb0EEv18rocblas_operation_llT0_T1_lllT2_lllib
	.p2align	8
	.type	_ZL39rocblas_trsm_block_forward_substitutionI19rocblas_complex_numIdES1_PKPKS1_PKPS1_Lb1ELb0ELb0EEv18rocblas_operation_llT0_T1_lllT2_lllib,@function
_ZL39rocblas_trsm_block_forward_substitutionI19rocblas_complex_numIdES1_PKPKS1_PKPS1_Lb1ELb0ELb0EEv18rocblas_operation_llT0_T1_lllT2_lllib: ; @_ZL39rocblas_trsm_block_forward_substitutionI19rocblas_complex_numIdES1_PKPKS1_PKPS1_Lb1ELb0ELb0EEv18rocblas_operation_llT0_T1_lllT2_lllib
; %bb.0:
	s_clause 0x3
	s_load_b32 s3, s[0:1], 0x6c
	s_load_b128 s[4:7], s[0:1], 0x28
	s_load_b64 s[28:29], s[0:1], 0x38
	s_load_b32 s26, s[0:1], 0x7c
	s_mov_b32 s2, s15
	s_load_b64 s[22:23], s[0:1], 0x58
	v_and_b32_e32 v8, 0x3ff, v0
	v_bfe_u32 v12, v0, 10, 10
	s_waitcnt lgkmcnt(0)
	s_bitcmp1_b32 s3, 0
	s_mov_b32 s3, 0
	s_cselect_b32 s10, -1, 0
	s_lshl_b64 s[8:9], s[2:3], 3
	s_xor_b32 s15, s10, -1
	s_add_u32 s2, s4, s8
	s_addc_u32 s3, s5, s9
	s_lshl_b64 s[4:5], s[6:7], 4
	s_load_b64 s[2:3], s[2:3], 0x0
	s_load_b128 s[16:19], s[0:1], 0x48
	s_waitcnt lgkmcnt(0)
	s_add_u32 s2, s2, s4
	s_addc_u32 s3, s3, s5
	s_add_u32 s12, s16, s8
	s_addc_u32 s13, s17, s9
	s_load_b256 s[4:11], s[0:1], 0x8
	s_load_b64 s[20:21], s[12:13], 0x0
	s_add_u32 s24, s0, 0x70
	s_addc_u32 s25, s1, 0
	s_lshr_b32 s30, s26, 16
	s_and_b32 vcc_lo, exec_lo, s15
	s_mov_b64 s[16:17], 1
	s_cbranch_vccnz .LBB253_14
; %bb.1:
	s_waitcnt lgkmcnt(0)
	v_cmp_lt_i64_e64 s12, s[4:5], 1
	s_lshl_b32 s13, s30, 4
	s_delay_alu instid0(SALU_CYCLE_1) | instskip(NEXT) | instid1(VALU_DEP_1)
	s_add_i32 s26, s13, 0
	s_and_b32 vcc_lo, exec_lo, s12
	s_mov_b64 s[12:13], 1
	s_cbranch_vccnz .LBB253_15
; %bb.2:
	v_mad_u64_u32 v[0:1], null, v8, s28, 0
	v_mov_b32_e32 v9, 0
	v_mov_b32_e32 v13, v12
	s_delay_alu instid0(VALU_DEP_3) | instskip(NEXT) | instid1(VALU_DEP_1)
	v_mad_u64_u32 v[2:3], null, v8, s29, v[1:2]
	v_dual_mov_b32 v1, v2 :: v_dual_lshlrev_b32 v2, 4, v8
	s_delay_alu instid0(VALU_DEP_1) | instskip(NEXT) | instid1(VALU_DEP_2)
	v_lshlrev_b64 v[0:1], 4, v[0:1]
	v_add_nc_u32_e32 v11, s26, v2
	s_delay_alu instid0(VALU_DEP_2) | instskip(NEXT) | instid1(VALU_DEP_3)
	v_add_co_u32 v16, vcc_lo, s2, v0
	v_add_co_ci_u32_e32 v17, vcc_lo, s3, v1, vcc_lo
	v_cmp_le_u64_e32 vcc_lo, s[4:5], v[8:9]
	s_delay_alu instid0(VALU_DEP_3) | instskip(NEXT) | instid1(VALU_DEP_1)
	v_add_co_u32 v9, s2, v16, v2
	v_add_co_ci_u32_e64 v10, s2, 0, v17, s2
	s_mov_b32 s2, s30
	s_xor_b32 s16, vcc_lo, -1
	s_branch .LBB253_6
.LBB253_3:                              ;   in Loop: Header=BB253_6 Depth=1
	s_or_b32 exec_lo, exec_lo, s27
	s_load_b32 s27, s[24:25], 0xc
	s_waitcnt lgkmcnt(0)
	s_and_b32 s27, s27, 0xffff
	s_delay_alu instid0(SALU_CYCLE_1) | instskip(NEXT) | instid1(VALU_DEP_1)
	v_mul_u32_u24_e32 v0, s27, v8
	v_lshl_add_u32 v0, v0, 4, v11
	ds_store_2addr_b64 v0, v[14:15], v[6:7] offset1:1
.LBB253_4:                              ;   in Loop: Header=BB253_6 Depth=1
	s_or_b32 exec_lo, exec_lo, s17
.LBB253_5:                              ;   in Loop: Header=BB253_6 Depth=1
	s_delay_alu instid0(SALU_CYCLE_1) | instskip(SKIP_4) | instid1(VALU_DEP_1)
	s_or_b32 exec_lo, exec_lo, s3
	s_ashr_i32 s3, s2, 31
	v_add_nc_u32_e32 v13, s30, v13
	v_cmp_ge_i64_e64 s3, s[2:3], s[4:5]
	s_add_i32 s2, s2, s30
	s_and_b32 vcc_lo, exec_lo, s3
	s_cbranch_vccnz .LBB253_15
.LBB253_6:                              ; =>This Inner Loop Header: Depth=1
	v_cmp_gt_i32_e32 vcc_lo, v8, v13
	s_and_b32 s3, s16, vcc_lo
	s_delay_alu instid0(SALU_CYCLE_1) | instskip(NEXT) | instid1(SALU_CYCLE_1)
	s_and_saveexec_b32 s17, s3
	s_xor_b32 s3, exec_lo, s17
	s_cbranch_execz .LBB253_8
; %bb.7:                                ;   in Loop: Header=BB253_6 Depth=1
	v_ashrrev_i32_e32 v14, 31, v13
	s_load_b32 s17, s[24:25], 0xc
	s_delay_alu instid0(VALU_DEP_1) | instskip(NEXT) | instid1(VALU_DEP_1)
	v_lshlrev_b64 v[0:1], 4, v[13:14]
	v_add_co_u32 v0, vcc_lo, v16, v0
	s_delay_alu instid0(VALU_DEP_2) | instskip(SKIP_3) | instid1(SALU_CYCLE_1)
	v_add_co_ci_u32_e32 v1, vcc_lo, v17, v1, vcc_lo
	global_load_b128 v[0:3], v[0:1], off
	s_waitcnt lgkmcnt(0)
	s_and_b32 s17, s17, 0xffff
	v_mul_lo_u32 v4, v13, s17
	s_delay_alu instid0(VALU_DEP_1)
	v_lshl_add_u32 v4, v4, 4, v11
	s_waitcnt vmcnt(0)
	ds_store_2addr_b64 v4, v[0:1], v[2:3] offset1:1
.LBB253_8:                              ;   in Loop: Header=BB253_6 Depth=1
	s_and_not1_saveexec_b32 s3, s3
	s_cbranch_execz .LBB253_5
; %bb.9:                                ;   in Loop: Header=BB253_6 Depth=1
	v_cmp_eq_u32_e32 vcc_lo, v8, v13
	s_and_b32 s27, s16, vcc_lo
	s_delay_alu instid0(SALU_CYCLE_1)
	s_and_saveexec_b32 s17, s27
	s_cbranch_execz .LBB253_4
; %bb.10:                               ;   in Loop: Header=BB253_6 Depth=1
	global_load_b128 v[0:3], v[9:10], off
	s_mov_b32 s27, exec_lo
                                        ; implicit-def: $vgpr14_vgpr15
	s_waitcnt vmcnt(0)
	v_cmp_gt_f64_e32 vcc_lo, 0, v[0:1]
	v_xor_b32_e32 v5, 0x80000000, v1
	v_mov_b32_e32 v4, v0
	v_xor_b32_e32 v6, 0x80000000, v3
	s_delay_alu instid0(VALU_DEP_3) | instskip(SKIP_1) | instid1(VALU_DEP_3)
	v_cndmask_b32_e32 v5, v1, v5, vcc_lo
	v_cmp_gt_f64_e32 vcc_lo, 0, v[2:3]
	v_dual_cndmask_b32 v7, v3, v6 :: v_dual_mov_b32 v6, v2
	s_delay_alu instid0(VALU_DEP_1)
	v_cmpx_ngt_f64_e32 v[4:5], v[6:7]
	s_xor_b32 s27, exec_lo, s27
                                        ; implicit-def: $vgpr4_vgpr5_vgpr6_vgpr7
	s_cbranch_execz .LBB253_12
; %bb.11:                               ;   in Loop: Header=BB253_6 Depth=1
	v_div_scale_f64 v[4:5], null, v[2:3], v[2:3], v[0:1]
	v_div_scale_f64 v[18:19], vcc_lo, v[0:1], v[2:3], v[0:1]
	s_delay_alu instid0(VALU_DEP_2) | instskip(SKIP_2) | instid1(VALU_DEP_1)
	v_rcp_f64_e32 v[6:7], v[4:5]
	s_waitcnt_depctr 0xfff
	v_fma_f64 v[14:15], -v[4:5], v[6:7], 1.0
	v_fma_f64 v[6:7], v[6:7], v[14:15], v[6:7]
	s_delay_alu instid0(VALU_DEP_1) | instskip(NEXT) | instid1(VALU_DEP_1)
	v_fma_f64 v[14:15], -v[4:5], v[6:7], 1.0
	v_fma_f64 v[6:7], v[6:7], v[14:15], v[6:7]
	s_delay_alu instid0(VALU_DEP_1) | instskip(NEXT) | instid1(VALU_DEP_1)
	v_mul_f64 v[14:15], v[18:19], v[6:7]
	v_fma_f64 v[4:5], -v[4:5], v[14:15], v[18:19]
	s_delay_alu instid0(VALU_DEP_1) | instskip(NEXT) | instid1(VALU_DEP_1)
	v_div_fmas_f64 v[4:5], v[4:5], v[6:7], v[14:15]
	v_div_fixup_f64 v[4:5], v[4:5], v[2:3], v[0:1]
	s_delay_alu instid0(VALU_DEP_1) | instskip(NEXT) | instid1(VALU_DEP_1)
	v_fma_f64 v[0:1], v[0:1], v[4:5], v[2:3]
	v_div_scale_f64 v[2:3], null, v[0:1], v[0:1], 1.0
	s_delay_alu instid0(VALU_DEP_1) | instskip(SKIP_2) | instid1(VALU_DEP_1)
	v_rcp_f64_e32 v[6:7], v[2:3]
	s_waitcnt_depctr 0xfff
	v_fma_f64 v[14:15], -v[2:3], v[6:7], 1.0
	v_fma_f64 v[6:7], v[6:7], v[14:15], v[6:7]
	s_delay_alu instid0(VALU_DEP_1) | instskip(NEXT) | instid1(VALU_DEP_1)
	v_fma_f64 v[14:15], -v[2:3], v[6:7], 1.0
	v_fma_f64 v[6:7], v[6:7], v[14:15], v[6:7]
	v_div_scale_f64 v[14:15], vcc_lo, 1.0, v[0:1], 1.0
	s_delay_alu instid0(VALU_DEP_1) | instskip(NEXT) | instid1(VALU_DEP_1)
	v_mul_f64 v[18:19], v[14:15], v[6:7]
	v_fma_f64 v[2:3], -v[2:3], v[18:19], v[14:15]
	s_delay_alu instid0(VALU_DEP_1) | instskip(NEXT) | instid1(VALU_DEP_1)
	v_div_fmas_f64 v[2:3], v[2:3], v[6:7], v[18:19]
	v_div_fixup_f64 v[6:7], v[2:3], v[0:1], 1.0
                                        ; implicit-def: $vgpr0_vgpr1
	s_delay_alu instid0(VALU_DEP_1)
	v_mul_f64 v[14:15], v[4:5], v[6:7]
	v_xor_b32_e32 v7, 0x80000000, v7
.LBB253_12:                             ;   in Loop: Header=BB253_6 Depth=1
	s_and_not1_saveexec_b32 s27, s27
	s_cbranch_execz .LBB253_3
; %bb.13:                               ;   in Loop: Header=BB253_6 Depth=1
	v_div_scale_f64 v[4:5], null, v[0:1], v[0:1], v[2:3]
	v_div_scale_f64 v[18:19], vcc_lo, v[2:3], v[0:1], v[2:3]
	s_delay_alu instid0(VALU_DEP_2) | instskip(SKIP_2) | instid1(VALU_DEP_1)
	v_rcp_f64_e32 v[6:7], v[4:5]
	s_waitcnt_depctr 0xfff
	v_fma_f64 v[14:15], -v[4:5], v[6:7], 1.0
	v_fma_f64 v[6:7], v[6:7], v[14:15], v[6:7]
	s_delay_alu instid0(VALU_DEP_1) | instskip(NEXT) | instid1(VALU_DEP_1)
	v_fma_f64 v[14:15], -v[4:5], v[6:7], 1.0
	v_fma_f64 v[6:7], v[6:7], v[14:15], v[6:7]
	s_delay_alu instid0(VALU_DEP_1) | instskip(NEXT) | instid1(VALU_DEP_1)
	v_mul_f64 v[14:15], v[18:19], v[6:7]
	v_fma_f64 v[4:5], -v[4:5], v[14:15], v[18:19]
	s_delay_alu instid0(VALU_DEP_1) | instskip(NEXT) | instid1(VALU_DEP_1)
	v_div_fmas_f64 v[4:5], v[4:5], v[6:7], v[14:15]
	v_div_fixup_f64 v[4:5], v[4:5], v[0:1], v[2:3]
	s_delay_alu instid0(VALU_DEP_1) | instskip(NEXT) | instid1(VALU_DEP_1)
	v_fma_f64 v[0:1], v[2:3], v[4:5], v[0:1]
	v_div_scale_f64 v[2:3], null, v[0:1], v[0:1], 1.0
	s_delay_alu instid0(VALU_DEP_1) | instskip(SKIP_2) | instid1(VALU_DEP_1)
	v_rcp_f64_e32 v[6:7], v[2:3]
	s_waitcnt_depctr 0xfff
	v_fma_f64 v[14:15], -v[2:3], v[6:7], 1.0
	v_fma_f64 v[6:7], v[6:7], v[14:15], v[6:7]
	s_delay_alu instid0(VALU_DEP_1) | instskip(NEXT) | instid1(VALU_DEP_1)
	v_fma_f64 v[14:15], -v[2:3], v[6:7], 1.0
	v_fma_f64 v[6:7], v[6:7], v[14:15], v[6:7]
	v_div_scale_f64 v[14:15], vcc_lo, 1.0, v[0:1], 1.0
	s_delay_alu instid0(VALU_DEP_1) | instskip(NEXT) | instid1(VALU_DEP_1)
	v_mul_f64 v[18:19], v[14:15], v[6:7]
	v_fma_f64 v[2:3], -v[2:3], v[18:19], v[14:15]
	s_delay_alu instid0(VALU_DEP_1) | instskip(NEXT) | instid1(VALU_DEP_1)
	v_div_fmas_f64 v[2:3], v[2:3], v[6:7], v[18:19]
	v_div_fixup_f64 v[14:15], v[2:3], v[0:1], 1.0
	s_delay_alu instid0(VALU_DEP_1)
	v_mul_f64 v[6:7], v[4:5], -v[14:15]
	s_branch .LBB253_3
.LBB253_14:
	s_mov_b64 s[12:13], s[28:29]
	s_branch .LBB253_16
.LBB253_15:
	s_load_b32 s16, s[24:25], 0xc
	s_mov_b64 s[2:3], src_shared_base
	s_mov_b32 s17, 0
	s_mov_b32 s27, s3
	s_delay_alu instid0(SALU_CYCLE_1)
	s_mov_b64 s[2:3], s[26:27]
	s_waitcnt lgkmcnt(0)
	s_and_b32 s16, s16, 0xffff
.LBB253_16:
	v_mad_u64_u32 v[0:1], null, s14, s30, v[12:13]
	v_mov_b32_e32 v1, 0
	s_waitcnt lgkmcnt(0)
	s_delay_alu instid0(VALU_DEP_1)
	v_cmp_gt_i64_e32 vcc_lo, s[6:7], v[0:1]
	s_and_saveexec_b32 s6, vcc_lo
	s_cbranch_execz .LBB253_40
; %bb.17:
	v_mov_b32_e32 v9, v1
	s_delay_alu instid0(VALU_DEP_1)
	v_cmp_gt_i64_e32 vcc_lo, s[4:5], v[8:9]
	s_and_b32 exec_lo, exec_lo, vcc_lo
	s_cbranch_execz .LBB253_40
; %bb.18:
	v_mad_u64_u32 v[1:2], null, v0, s22, 0
	s_lshl_b64 s[6:7], s[18:19], 4
	s_delay_alu instid0(SALU_CYCLE_1) | instskip(SKIP_1) | instid1(VALU_DEP_1)
	s_add_u32 s6, s20, s6
	s_addc_u32 s7, s21, s7
	v_mad_u64_u32 v[3:4], null, v0, s23, v[2:3]
	s_delay_alu instid0(VALU_DEP_1) | instskip(NEXT) | instid1(VALU_DEP_1)
	v_mov_b32_e32 v2, v3
	v_lshlrev_b64 v[0:1], 4, v[1:2]
	v_lshlrev_b32_e32 v2, 4, v8
	s_delay_alu instid0(VALU_DEP_2) | instskip(NEXT) | instid1(VALU_DEP_3)
	v_add_co_u32 v0, vcc_lo, s6, v0
	v_add_co_ci_u32_e32 v1, vcc_lo, s7, v1, vcc_lo
	v_cmp_lt_u64_e64 s6, s[4:5], 2
	s_delay_alu instid0(VALU_DEP_3) | instskip(NEXT) | instid1(VALU_DEP_3)
	v_add_co_u32 v6, vcc_lo, v0, v2
	v_add_co_ci_u32_e32 v7, vcc_lo, 0, v1, vcc_lo
	s_add_u32 s4, s4, -1
	s_addc_u32 s5, s5, -1
	s_delay_alu instid0(VALU_DEP_3) | instskip(SKIP_4) | instid1(VALU_DEP_2)
	s_and_b32 vcc_lo, exec_lo, s6
	global_load_b128 v[2:5], v[6:7], off
	s_waitcnt vmcnt(0)
	v_mul_f64 v[0:1], s[10:11], v[4:5]
	v_mul_f64 v[4:5], s[8:9], v[4:5]
	v_fma_f64 v[0:1], s[8:9], v[2:3], -v[0:1]
	s_delay_alu instid0(VALU_DEP_2)
	v_fma_f64 v[10:11], s[10:11], v[2:3], v[4:5]
	s_cbranch_vccnz .LBB253_31
; %bb.19:
	s_load_b32 s0, s[0:1], 0x0
	v_mad_u64_u32 v[2:3], null, s12, v8, 0
	v_lshl_add_u32 v16, v12, 4, 0
	s_mov_b64 s[6:7], 0
	s_waitcnt lgkmcnt(0)
	s_cmpk_eq_i32 s0, 0x71
	s_cselect_b32 s0, -1, 0
	s_add_u32 s1, s16, s12
	s_delay_alu instid0(SALU_CYCLE_1) | instskip(SKIP_2) | instid1(VALU_DEP_1)
	v_mad_u64_u32 v[4:5], null, s1, v8, 0
	s_addc_u32 s1, s17, s13
	s_lshl_b32 s8, s16, 4
	v_mad_u64_u32 v[13:14], null, s13, v8, v[3:4]
	s_delay_alu instid0(VALU_DEP_2) | instskip(NEXT) | instid1(VALU_DEP_2)
	v_mad_u64_u32 v[14:15], null, s1, v8, v[5:6]
	v_mov_b32_e32 v3, v13
	s_delay_alu instid0(VALU_DEP_2) | instskip(NEXT) | instid1(VALU_DEP_2)
	v_mov_b32_e32 v5, v14
	v_lshlrev_b64 v[2:3], 4, v[2:3]
	s_delay_alu instid0(VALU_DEP_2) | instskip(NEXT) | instid1(VALU_DEP_2)
	v_lshlrev_b64 v[4:5], 4, v[4:5]
	v_add_co_u32 v12, vcc_lo, s2, v2
	s_delay_alu instid0(VALU_DEP_3) | instskip(NEXT) | instid1(VALU_DEP_3)
	v_add_co_ci_u32_e32 v13, vcc_lo, s3, v3, vcc_lo
	v_add_co_u32 v14, vcc_lo, s2, v4
	s_delay_alu instid0(VALU_DEP_4)
	v_add_co_ci_u32_e32 v15, vcc_lo, s3, v5, vcc_lo
	s_branch .LBB253_21
.LBB253_20:                             ;   in Loop: Header=BB253_21 Depth=1
	s_or_b32 exec_lo, exec_lo, s1
	v_add_co_u32 v12, vcc_lo, v12, s8
	s_add_u32 s6, s6, 1
	v_add_co_ci_u32_e32 v13, vcc_lo, 0, v13, vcc_lo
	s_addc_u32 s7, s7, 0
	s_delay_alu instid0(SALU_CYCLE_1)
	s_cmp_eq_u64 s[4:5], s[6:7]
	s_cbranch_scc1 .LBB253_31
.LBB253_21:                             ; =>This Inner Loop Header: Depth=1
	s_mov_b32 s9, exec_lo
	s_barrier
	buffer_gl0_inv
	v_cmpx_eq_u64_e64 s[6:7], v[8:9]
	s_cbranch_execz .LBB253_29
; %bb.22:                               ;   in Loop: Header=BB253_21 Depth=1
	flat_load_b128 v[2:5], v[14:15]
	s_and_not1_b32 vcc_lo, exec_lo, s15
	s_cbranch_vccnz .LBB253_28
; %bb.23:                               ;   in Loop: Header=BB253_21 Depth=1
	s_waitcnt vmcnt(0) lgkmcnt(0)
	v_cmp_gt_f64_e32 vcc_lo, 0, v[2:3]
	v_cmp_gt_f64_e64 s1, 0, v[4:5]
	v_xor_b32_e32 v17, 0x80000000, v3
	v_xor_b32_e32 v19, 0x80000000, v5
	s_delay_alu instid0(VALU_DEP_2) | instskip(NEXT) | instid1(VALU_DEP_2)
	v_dual_cndmask_b32 v18, v3, v17 :: v_dual_cndmask_b32 v17, v2, v2
	v_cndmask_b32_e64 v20, v5, v19, s1
	v_cndmask_b32_e64 v19, v4, v4, s1
	s_mov_b32 s1, exec_lo
	s_delay_alu instid0(VALU_DEP_1)
	v_cmpx_ngt_f64_e32 v[17:18], v[19:20]
	s_xor_b32 s1, exec_lo, s1
	s_cbranch_execz .LBB253_25
; %bb.24:                               ;   in Loop: Header=BB253_21 Depth=1
	v_div_scale_f64 v[17:18], null, v[4:5], v[4:5], v[2:3]
	v_div_scale_f64 v[23:24], vcc_lo, v[2:3], v[4:5], v[2:3]
	s_delay_alu instid0(VALU_DEP_2) | instskip(SKIP_2) | instid1(VALU_DEP_1)
	v_rcp_f64_e32 v[19:20], v[17:18]
	s_waitcnt_depctr 0xfff
	v_fma_f64 v[21:22], -v[17:18], v[19:20], 1.0
	v_fma_f64 v[19:20], v[19:20], v[21:22], v[19:20]
	s_delay_alu instid0(VALU_DEP_1) | instskip(NEXT) | instid1(VALU_DEP_1)
	v_fma_f64 v[21:22], -v[17:18], v[19:20], 1.0
	v_fma_f64 v[19:20], v[19:20], v[21:22], v[19:20]
	s_delay_alu instid0(VALU_DEP_1) | instskip(NEXT) | instid1(VALU_DEP_1)
	v_mul_f64 v[21:22], v[23:24], v[19:20]
	v_fma_f64 v[17:18], -v[17:18], v[21:22], v[23:24]
	s_delay_alu instid0(VALU_DEP_1) | instskip(NEXT) | instid1(VALU_DEP_1)
	v_div_fmas_f64 v[17:18], v[17:18], v[19:20], v[21:22]
	v_div_fixup_f64 v[17:18], v[17:18], v[4:5], v[2:3]
	s_delay_alu instid0(VALU_DEP_1) | instskip(NEXT) | instid1(VALU_DEP_1)
	v_fma_f64 v[2:3], v[2:3], v[17:18], v[4:5]
	v_div_scale_f64 v[4:5], null, v[2:3], v[2:3], 1.0
	s_delay_alu instid0(VALU_DEP_1) | instskip(SKIP_2) | instid1(VALU_DEP_1)
	v_rcp_f64_e32 v[19:20], v[4:5]
	s_waitcnt_depctr 0xfff
	v_fma_f64 v[21:22], -v[4:5], v[19:20], 1.0
	v_fma_f64 v[19:20], v[19:20], v[21:22], v[19:20]
	s_delay_alu instid0(VALU_DEP_1) | instskip(NEXT) | instid1(VALU_DEP_1)
	v_fma_f64 v[21:22], -v[4:5], v[19:20], 1.0
	v_fma_f64 v[19:20], v[19:20], v[21:22], v[19:20]
	v_div_scale_f64 v[21:22], vcc_lo, 1.0, v[2:3], 1.0
	s_delay_alu instid0(VALU_DEP_1) | instskip(NEXT) | instid1(VALU_DEP_1)
	v_mul_f64 v[23:24], v[21:22], v[19:20]
	v_fma_f64 v[4:5], -v[4:5], v[23:24], v[21:22]
	s_delay_alu instid0(VALU_DEP_1) | instskip(NEXT) | instid1(VALU_DEP_1)
	v_div_fmas_f64 v[4:5], v[4:5], v[19:20], v[23:24]
	v_div_fixup_f64 v[4:5], v[4:5], v[2:3], 1.0
	s_delay_alu instid0(VALU_DEP_1)
	v_mul_f64 v[2:3], v[17:18], v[4:5]
	v_xor_b32_e32 v5, 0x80000000, v5
.LBB253_25:                             ;   in Loop: Header=BB253_21 Depth=1
	s_and_not1_saveexec_b32 s1, s1
	s_cbranch_execz .LBB253_27
; %bb.26:                               ;   in Loop: Header=BB253_21 Depth=1
	s_delay_alu instid0(VALU_DEP_1) | instskip(SKIP_1) | instid1(VALU_DEP_2)
	v_div_scale_f64 v[17:18], null, v[2:3], v[2:3], v[4:5]
	v_div_scale_f64 v[23:24], vcc_lo, v[4:5], v[2:3], v[4:5]
	v_rcp_f64_e32 v[19:20], v[17:18]
	s_waitcnt_depctr 0xfff
	v_fma_f64 v[21:22], -v[17:18], v[19:20], 1.0
	s_delay_alu instid0(VALU_DEP_1) | instskip(NEXT) | instid1(VALU_DEP_1)
	v_fma_f64 v[19:20], v[19:20], v[21:22], v[19:20]
	v_fma_f64 v[21:22], -v[17:18], v[19:20], 1.0
	s_delay_alu instid0(VALU_DEP_1) | instskip(NEXT) | instid1(VALU_DEP_1)
	v_fma_f64 v[19:20], v[19:20], v[21:22], v[19:20]
	v_mul_f64 v[21:22], v[23:24], v[19:20]
	s_delay_alu instid0(VALU_DEP_1) | instskip(NEXT) | instid1(VALU_DEP_1)
	v_fma_f64 v[17:18], -v[17:18], v[21:22], v[23:24]
	v_div_fmas_f64 v[17:18], v[17:18], v[19:20], v[21:22]
	s_delay_alu instid0(VALU_DEP_1) | instskip(NEXT) | instid1(VALU_DEP_1)
	v_div_fixup_f64 v[17:18], v[17:18], v[2:3], v[4:5]
	v_fma_f64 v[2:3], v[4:5], v[17:18], v[2:3]
	s_delay_alu instid0(VALU_DEP_1) | instskip(NEXT) | instid1(VALU_DEP_1)
	v_div_scale_f64 v[4:5], null, v[2:3], v[2:3], 1.0
	v_rcp_f64_e32 v[19:20], v[4:5]
	s_waitcnt_depctr 0xfff
	v_fma_f64 v[21:22], -v[4:5], v[19:20], 1.0
	s_delay_alu instid0(VALU_DEP_1) | instskip(NEXT) | instid1(VALU_DEP_1)
	v_fma_f64 v[19:20], v[19:20], v[21:22], v[19:20]
	v_fma_f64 v[21:22], -v[4:5], v[19:20], 1.0
	s_delay_alu instid0(VALU_DEP_1) | instskip(SKIP_1) | instid1(VALU_DEP_1)
	v_fma_f64 v[19:20], v[19:20], v[21:22], v[19:20]
	v_div_scale_f64 v[21:22], vcc_lo, 1.0, v[2:3], 1.0
	v_mul_f64 v[23:24], v[21:22], v[19:20]
	s_delay_alu instid0(VALU_DEP_1) | instskip(NEXT) | instid1(VALU_DEP_1)
	v_fma_f64 v[4:5], -v[4:5], v[23:24], v[21:22]
	v_div_fmas_f64 v[4:5], v[4:5], v[19:20], v[23:24]
	s_delay_alu instid0(VALU_DEP_1) | instskip(NEXT) | instid1(VALU_DEP_1)
	v_div_fixup_f64 v[2:3], v[4:5], v[2:3], 1.0
	v_mul_f64 v[4:5], v[17:18], -v[2:3]
.LBB253_27:                             ;   in Loop: Header=BB253_21 Depth=1
	s_or_b32 exec_lo, exec_lo, s1
.LBB253_28:                             ;   in Loop: Header=BB253_21 Depth=1
	s_waitcnt vmcnt(0) lgkmcnt(0)
	s_delay_alu instid0(VALU_DEP_1) | instskip(SKIP_1) | instid1(VALU_DEP_2)
	v_mul_f64 v[17:18], v[10:11], v[4:5]
	v_mul_f64 v[4:5], v[0:1], v[4:5]
	v_fma_f64 v[17:18], v[0:1], v[2:3], -v[17:18]
	s_delay_alu instid0(VALU_DEP_2) | instskip(NEXT) | instid1(VALU_DEP_2)
	v_fma_f64 v[10:11], v[10:11], v[2:3], v[4:5]
	v_dual_mov_b32 v0, v17 :: v_dual_mov_b32 v1, v18
	ds_store_2addr_b64 v16, v[17:18], v[10:11] offset1:1
.LBB253_29:                             ;   in Loop: Header=BB253_21 Depth=1
	s_or_b32 exec_lo, exec_lo, s9
	s_delay_alu instid0(SALU_CYCLE_1)
	s_mov_b32 s1, exec_lo
	s_waitcnt lgkmcnt(0)
	s_barrier
	buffer_gl0_inv
	v_cmpx_lt_u64_e64 s[6:7], v[8:9]
	s_cbranch_execz .LBB253_20
; %bb.30:                               ;   in Loop: Header=BB253_21 Depth=1
	flat_load_b128 v[2:5], v[12:13]
	ds_load_2addr_b64 v[17:20], v16 offset1:1
	s_waitcnt vmcnt(0) lgkmcnt(1)
	v_xor_b32_e32 v21, 0x80000000, v5
	s_delay_alu instid0(VALU_DEP_1) | instskip(SKIP_1) | instid1(VALU_DEP_1)
	v_cndmask_b32_e64 v5, v5, v21, s0
	s_waitcnt lgkmcnt(0)
	v_mul_f64 v[21:22], v[4:5], v[19:20]
	v_mul_f64 v[19:20], v[2:3], v[19:20]
	s_delay_alu instid0(VALU_DEP_2) | instskip(NEXT) | instid1(VALU_DEP_2)
	v_fma_f64 v[2:3], v[2:3], v[17:18], -v[21:22]
	v_fma_f64 v[4:5], v[4:5], v[17:18], v[19:20]
	s_delay_alu instid0(VALU_DEP_2) | instskip(NEXT) | instid1(VALU_DEP_2)
	v_add_f64 v[0:1], v[0:1], -v[2:3]
	v_add_f64 v[10:11], v[10:11], -v[4:5]
	s_branch .LBB253_20
.LBB253_31:
	s_mov_b32 s1, exec_lo
	v_cmpx_eq_u64_e64 s[4:5], v[8:9]
	s_cbranch_execz .LBB253_39
; %bb.32:
	s_add_u32 s0, s16, s12
	s_delay_alu instid0(SALU_CYCLE_1)
	v_mad_u64_u32 v[2:3], null, s0, v8, 0
	s_addc_u32 s0, s17, s13
	s_delay_alu instid0(VALU_DEP_1) | instid1(SALU_CYCLE_1)
	v_mad_u64_u32 v[4:5], null, s0, v8, v[3:4]
	s_delay_alu instid0(VALU_DEP_1) | instskip(NEXT) | instid1(VALU_DEP_1)
	v_mov_b32_e32 v3, v4
	v_lshlrev_b64 v[2:3], 4, v[2:3]
	s_delay_alu instid0(VALU_DEP_1) | instskip(NEXT) | instid1(VALU_DEP_2)
	v_add_co_u32 v2, vcc_lo, s2, v2
	v_add_co_ci_u32_e32 v3, vcc_lo, s3, v3, vcc_lo
	s_and_not1_b32 vcc_lo, exec_lo, s15
	flat_load_b128 v[2:5], v[2:3]
	s_cbranch_vccnz .LBB253_38
; %bb.33:
	s_waitcnt vmcnt(0) lgkmcnt(0)
	v_cmp_gt_f64_e32 vcc_lo, 0, v[2:3]
	v_cmp_gt_f64_e64 s0, 0, v[4:5]
	v_xor_b32_e32 v8, 0x80000000, v3
	v_xor_b32_e32 v12, 0x80000000, v5
	s_delay_alu instid0(VALU_DEP_2) | instskip(NEXT) | instid1(VALU_DEP_2)
	v_dual_cndmask_b32 v9, v3, v8 :: v_dual_cndmask_b32 v8, v2, v2
	v_cndmask_b32_e64 v13, v5, v12, s0
	v_cndmask_b32_e64 v12, v4, v4, s0
	s_mov_b32 s0, exec_lo
	s_delay_alu instid0(VALU_DEP_1)
	v_cmpx_ngt_f64_e32 v[8:9], v[12:13]
	s_xor_b32 s0, exec_lo, s0
	s_cbranch_execz .LBB253_35
; %bb.34:
	v_div_scale_f64 v[8:9], null, v[4:5], v[4:5], v[2:3]
	v_div_scale_f64 v[16:17], vcc_lo, v[2:3], v[4:5], v[2:3]
	s_delay_alu instid0(VALU_DEP_2) | instskip(SKIP_2) | instid1(VALU_DEP_1)
	v_rcp_f64_e32 v[12:13], v[8:9]
	s_waitcnt_depctr 0xfff
	v_fma_f64 v[14:15], -v[8:9], v[12:13], 1.0
	v_fma_f64 v[12:13], v[12:13], v[14:15], v[12:13]
	s_delay_alu instid0(VALU_DEP_1) | instskip(NEXT) | instid1(VALU_DEP_1)
	v_fma_f64 v[14:15], -v[8:9], v[12:13], 1.0
	v_fma_f64 v[12:13], v[12:13], v[14:15], v[12:13]
	s_delay_alu instid0(VALU_DEP_1) | instskip(NEXT) | instid1(VALU_DEP_1)
	v_mul_f64 v[14:15], v[16:17], v[12:13]
	v_fma_f64 v[8:9], -v[8:9], v[14:15], v[16:17]
	s_delay_alu instid0(VALU_DEP_1) | instskip(NEXT) | instid1(VALU_DEP_1)
	v_div_fmas_f64 v[8:9], v[8:9], v[12:13], v[14:15]
	v_div_fixup_f64 v[8:9], v[8:9], v[4:5], v[2:3]
	s_delay_alu instid0(VALU_DEP_1) | instskip(NEXT) | instid1(VALU_DEP_1)
	v_fma_f64 v[2:3], v[2:3], v[8:9], v[4:5]
	v_div_scale_f64 v[4:5], null, v[2:3], v[2:3], 1.0
	s_delay_alu instid0(VALU_DEP_1) | instskip(SKIP_2) | instid1(VALU_DEP_1)
	v_rcp_f64_e32 v[12:13], v[4:5]
	s_waitcnt_depctr 0xfff
	v_fma_f64 v[14:15], -v[4:5], v[12:13], 1.0
	v_fma_f64 v[12:13], v[12:13], v[14:15], v[12:13]
	s_delay_alu instid0(VALU_DEP_1) | instskip(NEXT) | instid1(VALU_DEP_1)
	v_fma_f64 v[14:15], -v[4:5], v[12:13], 1.0
	v_fma_f64 v[12:13], v[12:13], v[14:15], v[12:13]
	v_div_scale_f64 v[14:15], vcc_lo, 1.0, v[2:3], 1.0
	s_delay_alu instid0(VALU_DEP_1) | instskip(NEXT) | instid1(VALU_DEP_1)
	v_mul_f64 v[16:17], v[14:15], v[12:13]
	v_fma_f64 v[4:5], -v[4:5], v[16:17], v[14:15]
	s_delay_alu instid0(VALU_DEP_1) | instskip(NEXT) | instid1(VALU_DEP_1)
	v_div_fmas_f64 v[4:5], v[4:5], v[12:13], v[16:17]
	v_div_fixup_f64 v[4:5], v[4:5], v[2:3], 1.0
	s_delay_alu instid0(VALU_DEP_1)
	v_mul_f64 v[2:3], v[8:9], v[4:5]
	v_xor_b32_e32 v5, 0x80000000, v5
.LBB253_35:
	s_and_not1_saveexec_b32 s0, s0
	s_cbranch_execz .LBB253_37
; %bb.36:
	s_delay_alu instid0(VALU_DEP_1) | instskip(SKIP_1) | instid1(VALU_DEP_2)
	v_div_scale_f64 v[8:9], null, v[2:3], v[2:3], v[4:5]
	v_div_scale_f64 v[16:17], vcc_lo, v[4:5], v[2:3], v[4:5]
	v_rcp_f64_e32 v[12:13], v[8:9]
	s_waitcnt_depctr 0xfff
	v_fma_f64 v[14:15], -v[8:9], v[12:13], 1.0
	s_delay_alu instid0(VALU_DEP_1) | instskip(NEXT) | instid1(VALU_DEP_1)
	v_fma_f64 v[12:13], v[12:13], v[14:15], v[12:13]
	v_fma_f64 v[14:15], -v[8:9], v[12:13], 1.0
	s_delay_alu instid0(VALU_DEP_1) | instskip(NEXT) | instid1(VALU_DEP_1)
	v_fma_f64 v[12:13], v[12:13], v[14:15], v[12:13]
	v_mul_f64 v[14:15], v[16:17], v[12:13]
	s_delay_alu instid0(VALU_DEP_1) | instskip(NEXT) | instid1(VALU_DEP_1)
	v_fma_f64 v[8:9], -v[8:9], v[14:15], v[16:17]
	v_div_fmas_f64 v[8:9], v[8:9], v[12:13], v[14:15]
	s_delay_alu instid0(VALU_DEP_1) | instskip(NEXT) | instid1(VALU_DEP_1)
	v_div_fixup_f64 v[8:9], v[8:9], v[2:3], v[4:5]
	v_fma_f64 v[2:3], v[4:5], v[8:9], v[2:3]
	s_delay_alu instid0(VALU_DEP_1) | instskip(NEXT) | instid1(VALU_DEP_1)
	v_div_scale_f64 v[4:5], null, v[2:3], v[2:3], 1.0
	v_rcp_f64_e32 v[12:13], v[4:5]
	s_waitcnt_depctr 0xfff
	v_fma_f64 v[14:15], -v[4:5], v[12:13], 1.0
	s_delay_alu instid0(VALU_DEP_1) | instskip(NEXT) | instid1(VALU_DEP_1)
	v_fma_f64 v[12:13], v[12:13], v[14:15], v[12:13]
	v_fma_f64 v[14:15], -v[4:5], v[12:13], 1.0
	s_delay_alu instid0(VALU_DEP_1) | instskip(SKIP_1) | instid1(VALU_DEP_1)
	v_fma_f64 v[12:13], v[12:13], v[14:15], v[12:13]
	v_div_scale_f64 v[14:15], vcc_lo, 1.0, v[2:3], 1.0
	v_mul_f64 v[16:17], v[14:15], v[12:13]
	s_delay_alu instid0(VALU_DEP_1) | instskip(NEXT) | instid1(VALU_DEP_1)
	v_fma_f64 v[4:5], -v[4:5], v[16:17], v[14:15]
	v_div_fmas_f64 v[4:5], v[4:5], v[12:13], v[16:17]
	s_delay_alu instid0(VALU_DEP_1) | instskip(NEXT) | instid1(VALU_DEP_1)
	v_div_fixup_f64 v[2:3], v[4:5], v[2:3], 1.0
	v_mul_f64 v[4:5], v[8:9], -v[2:3]
.LBB253_37:
	s_or_b32 exec_lo, exec_lo, s0
.LBB253_38:
	s_waitcnt vmcnt(0) lgkmcnt(0)
	s_delay_alu instid0(VALU_DEP_1) | instskip(NEXT) | instid1(VALU_DEP_3)
	v_mul_f64 v[8:9], v[10:11], v[4:5]
	v_mul_f64 v[10:11], v[10:11], v[2:3]
	s_delay_alu instid0(VALU_DEP_2) | instskip(NEXT) | instid1(VALU_DEP_2)
	v_fma_f64 v[2:3], v[0:1], v[2:3], -v[8:9]
	v_fma_f64 v[10:11], v[0:1], v[4:5], v[10:11]
	s_delay_alu instid0(VALU_DEP_2)
	v_dual_mov_b32 v0, v2 :: v_dual_mov_b32 v1, v3
.LBB253_39:
	s_or_b32 exec_lo, exec_lo, s1
	s_delay_alu instid0(VALU_DEP_2)
	v_dual_mov_b32 v2, v10 :: v_dual_mov_b32 v3, v11
	global_store_b128 v[6:7], v[0:3], off
.LBB253_40:
	s_nop 0
	s_sendmsg sendmsg(MSG_DEALLOC_VGPRS)
	s_endpgm
	.section	.rodata,"a",@progbits
	.p2align	6, 0x0
	.amdhsa_kernel _ZL39rocblas_trsm_block_forward_substitutionI19rocblas_complex_numIdES1_PKPKS1_PKPS1_Lb1ELb0ELb0EEv18rocblas_operation_llT0_T1_lllT2_lllib
		.amdhsa_group_segment_fixed_size 0
		.amdhsa_private_segment_fixed_size 0
		.amdhsa_kernarg_size 368
		.amdhsa_user_sgpr_count 13
		.amdhsa_user_sgpr_dispatch_ptr 0
		.amdhsa_user_sgpr_queue_ptr 0
		.amdhsa_user_sgpr_kernarg_segment_ptr 1
		.amdhsa_user_sgpr_dispatch_id 0
		.amdhsa_user_sgpr_private_segment_size 0
		.amdhsa_wavefront_size32 1
		.amdhsa_uses_dynamic_stack 0
		.amdhsa_enable_private_segment 0
		.amdhsa_system_sgpr_workgroup_id_x 1
		.amdhsa_system_sgpr_workgroup_id_y 1
		.amdhsa_system_sgpr_workgroup_id_z 1
		.amdhsa_system_sgpr_workgroup_info 0
		.amdhsa_system_vgpr_workitem_id 1
		.amdhsa_next_free_vgpr 25
		.amdhsa_next_free_sgpr 31
		.amdhsa_reserve_vcc 1
		.amdhsa_float_round_mode_32 0
		.amdhsa_float_round_mode_16_64 0
		.amdhsa_float_denorm_mode_32 3
		.amdhsa_float_denorm_mode_16_64 3
		.amdhsa_dx10_clamp 1
		.amdhsa_ieee_mode 1
		.amdhsa_fp16_overflow 0
		.amdhsa_workgroup_processor_mode 1
		.amdhsa_memory_ordered 1
		.amdhsa_forward_progress 0
		.amdhsa_shared_vgpr_count 0
		.amdhsa_exception_fp_ieee_invalid_op 0
		.amdhsa_exception_fp_denorm_src 0
		.amdhsa_exception_fp_ieee_div_zero 0
		.amdhsa_exception_fp_ieee_overflow 0
		.amdhsa_exception_fp_ieee_underflow 0
		.amdhsa_exception_fp_ieee_inexact 0
		.amdhsa_exception_int_div_zero 0
	.end_amdhsa_kernel
	.section	.text._ZL39rocblas_trsm_block_forward_substitutionI19rocblas_complex_numIdES1_PKPKS1_PKPS1_Lb1ELb0ELb0EEv18rocblas_operation_llT0_T1_lllT2_lllib,"axG",@progbits,_ZL39rocblas_trsm_block_forward_substitutionI19rocblas_complex_numIdES1_PKPKS1_PKPS1_Lb1ELb0ELb0EEv18rocblas_operation_llT0_T1_lllT2_lllib,comdat
.Lfunc_end253:
	.size	_ZL39rocblas_trsm_block_forward_substitutionI19rocblas_complex_numIdES1_PKPKS1_PKPS1_Lb1ELb0ELb0EEv18rocblas_operation_llT0_T1_lllT2_lllib, .Lfunc_end253-_ZL39rocblas_trsm_block_forward_substitutionI19rocblas_complex_numIdES1_PKPKS1_PKPS1_Lb1ELb0ELb0EEv18rocblas_operation_llT0_T1_lllT2_lllib
                                        ; -- End function
	.section	.AMDGPU.csdata,"",@progbits
; Kernel info:
; codeLenInByte = 3124
; NumSgprs: 33
; NumVgprs: 25
; ScratchSize: 0
; MemoryBound: 1
; FloatMode: 240
; IeeeMode: 1
; LDSByteSize: 0 bytes/workgroup (compile time only)
; SGPRBlocks: 4
; VGPRBlocks: 3
; NumSGPRsForWavesPerEU: 33
; NumVGPRsForWavesPerEU: 25
; Occupancy: 16
; WaveLimiterHint : 1
; COMPUTE_PGM_RSRC2:SCRATCH_EN: 0
; COMPUTE_PGM_RSRC2:USER_SGPR: 13
; COMPUTE_PGM_RSRC2:TRAP_HANDLER: 0
; COMPUTE_PGM_RSRC2:TGID_X_EN: 1
; COMPUTE_PGM_RSRC2:TGID_Y_EN: 1
; COMPUTE_PGM_RSRC2:TGID_Z_EN: 1
; COMPUTE_PGM_RSRC2:TIDIG_COMP_CNT: 1
	.section	.text._ZL40rocblas_trsm_block_backward_substitutionI19rocblas_complex_numIdES1_PKPKS1_PKPS1_Lb1ELb0ELb0EEv18rocblas_operation_llT0_T1_lllT2_lllib,"axG",@progbits,_ZL40rocblas_trsm_block_backward_substitutionI19rocblas_complex_numIdES1_PKPKS1_PKPS1_Lb1ELb0ELb0EEv18rocblas_operation_llT0_T1_lllT2_lllib,comdat
	.globl	_ZL40rocblas_trsm_block_backward_substitutionI19rocblas_complex_numIdES1_PKPKS1_PKPS1_Lb1ELb0ELb0EEv18rocblas_operation_llT0_T1_lllT2_lllib ; -- Begin function _ZL40rocblas_trsm_block_backward_substitutionI19rocblas_complex_numIdES1_PKPKS1_PKPS1_Lb1ELb0ELb0EEv18rocblas_operation_llT0_T1_lllT2_lllib
	.p2align	8
	.type	_ZL40rocblas_trsm_block_backward_substitutionI19rocblas_complex_numIdES1_PKPKS1_PKPS1_Lb1ELb0ELb0EEv18rocblas_operation_llT0_T1_lllT2_lllib,@function
_ZL40rocblas_trsm_block_backward_substitutionI19rocblas_complex_numIdES1_PKPKS1_PKPS1_Lb1ELb0ELb0EEv18rocblas_operation_llT0_T1_lllT2_lllib: ; @_ZL40rocblas_trsm_block_backward_substitutionI19rocblas_complex_numIdES1_PKPKS1_PKPS1_Lb1ELb0ELb0EEv18rocblas_operation_llT0_T1_lllT2_lllib
; %bb.0:
	s_clause 0x3
	s_load_b32 s3, s[0:1], 0x6c
	s_load_b128 s[4:7], s[0:1], 0x28
	s_load_b64 s[12:13], s[0:1], 0x38
	s_load_b32 s24, s[0:1], 0x7c
	s_mov_b32 s2, s15
	s_load_b64 s[20:21], s[0:1], 0x58
	v_and_b32_e32 v8, 0x3ff, v0
	v_bfe_u32 v12, v0, 10, 10
	s_waitcnt lgkmcnt(0)
	s_bitcmp1_b32 s3, 0
	s_mov_b32 s3, 0
	s_cselect_b32 s10, -1, 0
	s_lshl_b64 s[8:9], s[2:3], 3
	s_xor_b32 s15, s10, -1
	s_add_u32 s2, s4, s8
	s_addc_u32 s3, s5, s9
	s_lshl_b64 s[4:5], s[6:7], 4
	s_load_b64 s[2:3], s[2:3], 0x0
	s_load_b128 s[16:19], s[0:1], 0x48
	s_waitcnt lgkmcnt(0)
	s_add_u32 s2, s2, s4
	s_addc_u32 s3, s3, s5
	s_add_u32 s16, s16, s8
	s_addc_u32 s17, s17, s9
	s_load_b256 s[4:11], s[0:1], 0x8
	s_load_b64 s[16:17], s[16:17], 0x0
	s_add_u32 s22, s0, 0x70
	s_addc_u32 s23, s1, 0
	s_and_b32 vcc_lo, exec_lo, s15
	s_lshr_b32 s28, s24, 16
	s_cbranch_vccnz .LBB254_16
; %bb.1:
	s_waitcnt lgkmcnt(0)
	v_cmp_lt_i64_e64 s24, s[4:5], 1
	s_lshl_b32 s25, s28, 4
	s_delay_alu instid0(VALU_DEP_1)
	s_and_b32 vcc_lo, exec_lo, s24
	s_add_i32 s24, s25, 0
	s_cbranch_vccnz .LBB254_15
; %bb.2:
	v_mad_u64_u32 v[0:1], null, v8, s12, 0
	v_mov_b32_e32 v9, 0
	v_mov_b32_e32 v13, v12
	s_mov_b32 s26, s28
	s_delay_alu instid0(VALU_DEP_2) | instskip(NEXT) | instid1(VALU_DEP_4)
	v_cmp_le_u64_e64 s25, s[4:5], v[8:9]
	v_mad_u64_u32 v[2:3], null, v8, s13, v[1:2]
	v_lshlrev_b32_e32 v3, 4, v8
	s_delay_alu instid0(VALU_DEP_3) | instskip(NEXT) | instid1(VALU_DEP_1)
	s_xor_b32 s29, s25, -1
	v_add_co_u32 v16, s2, s2, v3
	s_delay_alu instid0(VALU_DEP_3) | instskip(SKIP_3) | instid1(VALU_DEP_4)
	v_mov_b32_e32 v1, v2
	v_add_co_ci_u32_e64 v17, null, s3, 0, s2
	v_cmp_gt_u64_e64 s2, s[4:5], v[8:9]
	v_add_nc_u32_e32 v11, s24, v3
	v_lshlrev_b64 v[0:1], 4, v[0:1]
	s_delay_alu instid0(VALU_DEP_1) | instskip(NEXT) | instid1(VALU_DEP_2)
	v_add_co_u32 v9, vcc_lo, v16, v0
	v_add_co_ci_u32_e32 v10, vcc_lo, v17, v1, vcc_lo
	s_branch .LBB254_5
.LBB254_3:                              ;   in Loop: Header=BB254_5 Depth=1
	s_or_b32 exec_lo, exec_lo, s27
	s_load_b32 s27, s[22:23], 0xc
	s_waitcnt lgkmcnt(0)
	s_and_b32 s27, s27, 0xffff
	s_delay_alu instid0(SALU_CYCLE_1) | instskip(NEXT) | instid1(VALU_DEP_1)
	v_mul_u32_u24_e32 v0, s27, v8
	v_lshl_add_u32 v0, v0, 4, v11
	ds_store_2addr_b64 v0, v[14:15], v[6:7] offset1:1
.LBB254_4:                              ;   in Loop: Header=BB254_5 Depth=1
	s_or_b32 exec_lo, exec_lo, s3
	s_ashr_i32 s27, s26, 31
	v_add_nc_u32_e32 v13, s28, v13
	v_cmp_ge_i64_e64 s3, s[26:27], s[4:5]
	s_add_i32 s26, s26, s28
	s_delay_alu instid0(VALU_DEP_1)
	s_and_b32 vcc_lo, exec_lo, s3
	s_cbranch_vccnz .LBB254_15
.LBB254_5:                              ; =>This Inner Loop Header: Depth=1
	s_mov_b32 s30, s25
	s_and_saveexec_b32 s27, s2
	s_cbranch_execz .LBB254_9
; %bb.6:                                ;   in Loop: Header=BB254_5 Depth=1
	v_ashrrev_i32_e32 v14, 31, v13
	v_cmp_lt_i32_e64 s3, v8, v13
	s_mov_b32 s30, -1
	s_delay_alu instid0(VALU_DEP_2) | instskip(NEXT) | instid1(VALU_DEP_2)
	v_cmp_gt_i64_e32 vcc_lo, s[4:5], v[13:14]
	s_and_b32 s31, s3, vcc_lo
	s_delay_alu instid0(SALU_CYCLE_1)
	s_and_saveexec_b32 s3, s31
	s_cbranch_execz .LBB254_8
; %bb.7:                                ;   in Loop: Header=BB254_5 Depth=1
	v_mul_lo_u32 v2, v14, s12
	v_mul_lo_u32 v3, v13, s13
	v_mad_u64_u32 v[0:1], null, v13, s12, 0
	s_load_b32 s30, s[22:23], 0xc
	s_delay_alu instid0(VALU_DEP_1) | instskip(NEXT) | instid1(VALU_DEP_1)
	v_add3_u32 v1, v1, v3, v2
	v_lshlrev_b64 v[0:1], 4, v[0:1]
	s_delay_alu instid0(VALU_DEP_1) | instskip(NEXT) | instid1(VALU_DEP_2)
	v_add_co_u32 v0, vcc_lo, v16, v0
	v_add_co_ci_u32_e32 v1, vcc_lo, v17, v1, vcc_lo
	s_waitcnt lgkmcnt(0)
	s_and_b32 s30, s30, 0xffff
	s_delay_alu instid0(SALU_CYCLE_1)
	v_mul_lo_u32 v4, v13, s30
	global_load_b128 v[0:3], v[0:1], off
	s_xor_b32 s30, exec_lo, -1
	v_lshl_add_u32 v4, v4, 4, v11
	s_waitcnt vmcnt(0)
	ds_store_2addr_b64 v4, v[0:1], v[2:3] offset1:1
.LBB254_8:                              ;   in Loop: Header=BB254_5 Depth=1
	s_or_b32 exec_lo, exec_lo, s3
	s_delay_alu instid0(SALU_CYCLE_1) | instskip(SKIP_1) | instid1(SALU_CYCLE_1)
	s_and_not1_b32 s3, s25, exec_lo
	s_and_b32 s30, s30, exec_lo
	s_or_b32 s30, s3, s30
.LBB254_9:                              ;   in Loop: Header=BB254_5 Depth=1
	s_or_b32 exec_lo, exec_lo, s27
	s_and_saveexec_b32 s3, s30
	s_cbranch_execz .LBB254_4
; %bb.10:                               ;   in Loop: Header=BB254_5 Depth=1
	v_cmp_eq_u32_e32 vcc_lo, v8, v13
	s_and_b32 s27, s29, vcc_lo
	s_delay_alu instid0(SALU_CYCLE_1)
	s_and_b32 exec_lo, exec_lo, s27
	s_cbranch_execz .LBB254_4
; %bb.11:                               ;   in Loop: Header=BB254_5 Depth=1
	global_load_b128 v[0:3], v[9:10], off
	s_mov_b32 s27, exec_lo
                                        ; implicit-def: $vgpr14_vgpr15
	s_waitcnt vmcnt(0)
	v_cmp_gt_f64_e32 vcc_lo, 0, v[0:1]
	v_xor_b32_e32 v5, 0x80000000, v1
	v_mov_b32_e32 v4, v0
	v_xor_b32_e32 v6, 0x80000000, v3
	s_delay_alu instid0(VALU_DEP_3) | instskip(SKIP_1) | instid1(VALU_DEP_3)
	v_cndmask_b32_e32 v5, v1, v5, vcc_lo
	v_cmp_gt_f64_e32 vcc_lo, 0, v[2:3]
	v_dual_cndmask_b32 v7, v3, v6 :: v_dual_mov_b32 v6, v2
	s_delay_alu instid0(VALU_DEP_1)
	v_cmpx_ngt_f64_e32 v[4:5], v[6:7]
	s_xor_b32 s27, exec_lo, s27
                                        ; implicit-def: $vgpr4_vgpr5_vgpr6_vgpr7
	s_cbranch_execz .LBB254_13
; %bb.12:                               ;   in Loop: Header=BB254_5 Depth=1
	v_div_scale_f64 v[4:5], null, v[2:3], v[2:3], v[0:1]
	v_div_scale_f64 v[18:19], vcc_lo, v[0:1], v[2:3], v[0:1]
	s_delay_alu instid0(VALU_DEP_2) | instskip(SKIP_2) | instid1(VALU_DEP_1)
	v_rcp_f64_e32 v[6:7], v[4:5]
	s_waitcnt_depctr 0xfff
	v_fma_f64 v[14:15], -v[4:5], v[6:7], 1.0
	v_fma_f64 v[6:7], v[6:7], v[14:15], v[6:7]
	s_delay_alu instid0(VALU_DEP_1) | instskip(NEXT) | instid1(VALU_DEP_1)
	v_fma_f64 v[14:15], -v[4:5], v[6:7], 1.0
	v_fma_f64 v[6:7], v[6:7], v[14:15], v[6:7]
	s_delay_alu instid0(VALU_DEP_1) | instskip(NEXT) | instid1(VALU_DEP_1)
	v_mul_f64 v[14:15], v[18:19], v[6:7]
	v_fma_f64 v[4:5], -v[4:5], v[14:15], v[18:19]
	s_delay_alu instid0(VALU_DEP_1) | instskip(NEXT) | instid1(VALU_DEP_1)
	v_div_fmas_f64 v[4:5], v[4:5], v[6:7], v[14:15]
	v_div_fixup_f64 v[4:5], v[4:5], v[2:3], v[0:1]
	s_delay_alu instid0(VALU_DEP_1) | instskip(NEXT) | instid1(VALU_DEP_1)
	v_fma_f64 v[0:1], v[0:1], v[4:5], v[2:3]
	v_div_scale_f64 v[2:3], null, v[0:1], v[0:1], 1.0
	s_delay_alu instid0(VALU_DEP_1) | instskip(SKIP_2) | instid1(VALU_DEP_1)
	v_rcp_f64_e32 v[6:7], v[2:3]
	s_waitcnt_depctr 0xfff
	v_fma_f64 v[14:15], -v[2:3], v[6:7], 1.0
	v_fma_f64 v[6:7], v[6:7], v[14:15], v[6:7]
	s_delay_alu instid0(VALU_DEP_1) | instskip(NEXT) | instid1(VALU_DEP_1)
	v_fma_f64 v[14:15], -v[2:3], v[6:7], 1.0
	v_fma_f64 v[6:7], v[6:7], v[14:15], v[6:7]
	v_div_scale_f64 v[14:15], vcc_lo, 1.0, v[0:1], 1.0
	s_delay_alu instid0(VALU_DEP_1) | instskip(NEXT) | instid1(VALU_DEP_1)
	v_mul_f64 v[18:19], v[14:15], v[6:7]
	v_fma_f64 v[2:3], -v[2:3], v[18:19], v[14:15]
	s_delay_alu instid0(VALU_DEP_1) | instskip(NEXT) | instid1(VALU_DEP_1)
	v_div_fmas_f64 v[2:3], v[2:3], v[6:7], v[18:19]
	v_div_fixup_f64 v[6:7], v[2:3], v[0:1], 1.0
                                        ; implicit-def: $vgpr0_vgpr1
	s_delay_alu instid0(VALU_DEP_1)
	v_mul_f64 v[14:15], v[4:5], v[6:7]
	v_xor_b32_e32 v7, 0x80000000, v7
.LBB254_13:                             ;   in Loop: Header=BB254_5 Depth=1
	s_and_not1_saveexec_b32 s27, s27
	s_cbranch_execz .LBB254_3
; %bb.14:                               ;   in Loop: Header=BB254_5 Depth=1
	v_div_scale_f64 v[4:5], null, v[0:1], v[0:1], v[2:3]
	v_div_scale_f64 v[18:19], vcc_lo, v[2:3], v[0:1], v[2:3]
	s_delay_alu instid0(VALU_DEP_2) | instskip(SKIP_2) | instid1(VALU_DEP_1)
	v_rcp_f64_e32 v[6:7], v[4:5]
	s_waitcnt_depctr 0xfff
	v_fma_f64 v[14:15], -v[4:5], v[6:7], 1.0
	v_fma_f64 v[6:7], v[6:7], v[14:15], v[6:7]
	s_delay_alu instid0(VALU_DEP_1) | instskip(NEXT) | instid1(VALU_DEP_1)
	v_fma_f64 v[14:15], -v[4:5], v[6:7], 1.0
	v_fma_f64 v[6:7], v[6:7], v[14:15], v[6:7]
	s_delay_alu instid0(VALU_DEP_1) | instskip(NEXT) | instid1(VALU_DEP_1)
	v_mul_f64 v[14:15], v[18:19], v[6:7]
	v_fma_f64 v[4:5], -v[4:5], v[14:15], v[18:19]
	s_delay_alu instid0(VALU_DEP_1) | instskip(NEXT) | instid1(VALU_DEP_1)
	v_div_fmas_f64 v[4:5], v[4:5], v[6:7], v[14:15]
	v_div_fixup_f64 v[4:5], v[4:5], v[0:1], v[2:3]
	s_delay_alu instid0(VALU_DEP_1) | instskip(NEXT) | instid1(VALU_DEP_1)
	v_fma_f64 v[0:1], v[2:3], v[4:5], v[0:1]
	v_div_scale_f64 v[2:3], null, v[0:1], v[0:1], 1.0
	s_delay_alu instid0(VALU_DEP_1) | instskip(SKIP_2) | instid1(VALU_DEP_1)
	v_rcp_f64_e32 v[6:7], v[2:3]
	s_waitcnt_depctr 0xfff
	v_fma_f64 v[14:15], -v[2:3], v[6:7], 1.0
	v_fma_f64 v[6:7], v[6:7], v[14:15], v[6:7]
	s_delay_alu instid0(VALU_DEP_1) | instskip(NEXT) | instid1(VALU_DEP_1)
	v_fma_f64 v[14:15], -v[2:3], v[6:7], 1.0
	v_fma_f64 v[6:7], v[6:7], v[14:15], v[6:7]
	v_div_scale_f64 v[14:15], vcc_lo, 1.0, v[0:1], 1.0
	s_delay_alu instid0(VALU_DEP_1) | instskip(NEXT) | instid1(VALU_DEP_1)
	v_mul_f64 v[18:19], v[14:15], v[6:7]
	v_fma_f64 v[2:3], -v[2:3], v[18:19], v[14:15]
	s_delay_alu instid0(VALU_DEP_1) | instskip(NEXT) | instid1(VALU_DEP_1)
	v_div_fmas_f64 v[2:3], v[2:3], v[6:7], v[18:19]
	v_div_fixup_f64 v[14:15], v[2:3], v[0:1], 1.0
	s_delay_alu instid0(VALU_DEP_1)
	v_mul_f64 v[6:7], v[4:5], -v[14:15]
	s_branch .LBB254_3
.LBB254_15:
	s_load_b32 s12, s[22:23], 0xc
	s_mov_b64 s[2:3], src_shared_base
	s_mov_b32 s13, 0
	s_mov_b32 s25, s3
	s_delay_alu instid0(SALU_CYCLE_1)
	s_mov_b64 s[2:3], s[24:25]
	s_waitcnt lgkmcnt(0)
	s_and_b32 s12, s12, 0xffff
.LBB254_16:
	v_mad_u64_u32 v[0:1], null, s14, s28, v[12:13]
	v_mov_b32_e32 v1, 0
	s_waitcnt lgkmcnt(0)
	s_delay_alu instid0(VALU_DEP_1)
	v_cmp_gt_i64_e32 vcc_lo, s[6:7], v[0:1]
	s_and_saveexec_b32 s6, vcc_lo
	s_cbranch_execz .LBB254_41
; %bb.17:
	v_mov_b32_e32 v9, v1
	s_delay_alu instid0(VALU_DEP_1)
	v_cmp_gt_i64_e32 vcc_lo, s[4:5], v[8:9]
	s_and_b32 exec_lo, exec_lo, vcc_lo
	s_cbranch_execz .LBB254_41
; %bb.18:
	v_mad_u64_u32 v[2:3], null, v8, s20, 0
	s_lshl_b64 s[6:7], s[18:19], 4
	v_lshlrev_b64 v[0:1], 4, v[0:1]
	s_add_u32 s6, s16, s6
	s_addc_u32 s7, s17, s7
	s_delay_alu instid0(VALU_DEP_2) | instskip(NEXT) | instid1(VALU_DEP_1)
	v_mad_u64_u32 v[4:5], null, v8, s21, v[3:4]
	v_mov_b32_e32 v3, v4
	s_delay_alu instid0(VALU_DEP_1) | instskip(NEXT) | instid1(VALU_DEP_1)
	v_lshlrev_b64 v[2:3], 4, v[2:3]
	v_add_co_u32 v2, vcc_lo, s6, v2
	s_delay_alu instid0(VALU_DEP_2) | instskip(SKIP_1) | instid1(VALU_DEP_3)
	v_add_co_ci_u32_e32 v3, vcc_lo, s7, v3, vcc_lo
	v_cmp_lt_u64_e64 s6, s[4:5], 2
	v_add_co_u32 v6, vcc_lo, v2, v0
	s_delay_alu instid0(VALU_DEP_3) | instskip(NEXT) | instid1(VALU_DEP_3)
	v_add_co_ci_u32_e32 v7, vcc_lo, v3, v1, vcc_lo
	s_and_b32 vcc_lo, exec_lo, s6
	global_load_b128 v[2:5], v[6:7], off
	s_waitcnt vmcnt(0)
	v_mul_f64 v[0:1], s[10:11], v[4:5]
	v_mul_f64 v[4:5], s[8:9], v[4:5]
	s_delay_alu instid0(VALU_DEP_2) | instskip(NEXT) | instid1(VALU_DEP_2)
	v_fma_f64 v[0:1], s[8:9], v[2:3], -v[0:1]
	v_fma_f64 v[10:11], s[10:11], v[2:3], v[4:5]
	s_cbranch_vccnz .LBB254_32
; %bb.19:
	s_load_b32 s0, s[0:1], 0x0
	v_mad_u64_u32 v[2:3], null, v8, s12, v[8:9]
	v_lshl_add_u32 v16, v12, 4, 0
	s_delay_alu instid0(VALU_DEP_2) | instskip(NEXT) | instid1(VALU_DEP_1)
	v_mad_u64_u32 v[4:5], null, v8, s13, v[3:4]
	v_dual_mov_b32 v3, v4 :: v_dual_lshlrev_b32 v4, 4, v8
	s_waitcnt lgkmcnt(0)
	s_cmpk_eq_i32 s0, 0x71
	s_delay_alu instid0(VALU_DEP_1)
	v_lshlrev_b64 v[2:3], 4, v[2:3]
	s_cselect_b32 s0, -1, 0
	s_add_u32 s4, s4, -1
	s_addc_u32 s5, s5, -1
	s_mul_hi_u32 s1, s12, s4
	s_mul_i32 s6, s12, s5
	s_mul_i32 s7, s13, s4
	s_add_i32 s1, s1, s6
	s_mul_i32 s6, s12, s4
	s_add_i32 s7, s1, s7
	v_add_co_u32 v12, vcc_lo, s2, v2
	s_lshl_b64 s[6:7], s[6:7], 4
	v_add_co_ci_u32_e32 v13, vcc_lo, s3, v3, vcc_lo
	s_add_u32 s1, s2, s6
	s_addc_u32 s8, s3, s7
	v_add_co_u32 v14, s1, s1, v4
	s_lshl_b64 s[6:7], s[12:13], 4
	v_add_co_ci_u32_e64 v15, null, s8, 0, s1
	s_sub_u32 s8, 0, s6
	s_subb_u32 s9, 0, s7
.LBB254_20:                             ; =>This Inner Loop Header: Depth=1
	s_mov_b32 s6, exec_lo
	s_barrier
	buffer_gl0_inv
	v_cmpx_eq_u64_e64 s[4:5], v[8:9]
	s_cbranch_execz .LBB254_28
; %bb.21:                               ;   in Loop: Header=BB254_20 Depth=1
	flat_load_b128 v[2:5], v[12:13]
	s_and_not1_b32 vcc_lo, exec_lo, s15
	s_cbranch_vccnz .LBB254_27
; %bb.22:                               ;   in Loop: Header=BB254_20 Depth=1
	s_waitcnt vmcnt(0) lgkmcnt(0)
	v_cmp_gt_f64_e32 vcc_lo, 0, v[2:3]
	v_cmp_gt_f64_e64 s1, 0, v[4:5]
	v_xor_b32_e32 v17, 0x80000000, v3
	v_xor_b32_e32 v19, 0x80000000, v5
	s_delay_alu instid0(VALU_DEP_2) | instskip(NEXT) | instid1(VALU_DEP_2)
	v_dual_cndmask_b32 v18, v3, v17 :: v_dual_cndmask_b32 v17, v2, v2
	v_cndmask_b32_e64 v20, v5, v19, s1
	v_cndmask_b32_e64 v19, v4, v4, s1
	s_mov_b32 s1, exec_lo
	s_delay_alu instid0(VALU_DEP_1)
	v_cmpx_ngt_f64_e32 v[17:18], v[19:20]
	s_xor_b32 s1, exec_lo, s1
	s_cbranch_execz .LBB254_24
; %bb.23:                               ;   in Loop: Header=BB254_20 Depth=1
	v_div_scale_f64 v[17:18], null, v[4:5], v[4:5], v[2:3]
	v_div_scale_f64 v[23:24], vcc_lo, v[2:3], v[4:5], v[2:3]
	s_delay_alu instid0(VALU_DEP_2) | instskip(SKIP_2) | instid1(VALU_DEP_1)
	v_rcp_f64_e32 v[19:20], v[17:18]
	s_waitcnt_depctr 0xfff
	v_fma_f64 v[21:22], -v[17:18], v[19:20], 1.0
	v_fma_f64 v[19:20], v[19:20], v[21:22], v[19:20]
	s_delay_alu instid0(VALU_DEP_1) | instskip(NEXT) | instid1(VALU_DEP_1)
	v_fma_f64 v[21:22], -v[17:18], v[19:20], 1.0
	v_fma_f64 v[19:20], v[19:20], v[21:22], v[19:20]
	s_delay_alu instid0(VALU_DEP_1) | instskip(NEXT) | instid1(VALU_DEP_1)
	v_mul_f64 v[21:22], v[23:24], v[19:20]
	v_fma_f64 v[17:18], -v[17:18], v[21:22], v[23:24]
	s_delay_alu instid0(VALU_DEP_1) | instskip(NEXT) | instid1(VALU_DEP_1)
	v_div_fmas_f64 v[17:18], v[17:18], v[19:20], v[21:22]
	v_div_fixup_f64 v[17:18], v[17:18], v[4:5], v[2:3]
	s_delay_alu instid0(VALU_DEP_1) | instskip(NEXT) | instid1(VALU_DEP_1)
	v_fma_f64 v[2:3], v[2:3], v[17:18], v[4:5]
	v_div_scale_f64 v[4:5], null, v[2:3], v[2:3], 1.0
	s_delay_alu instid0(VALU_DEP_1) | instskip(SKIP_2) | instid1(VALU_DEP_1)
	v_rcp_f64_e32 v[19:20], v[4:5]
	s_waitcnt_depctr 0xfff
	v_fma_f64 v[21:22], -v[4:5], v[19:20], 1.0
	v_fma_f64 v[19:20], v[19:20], v[21:22], v[19:20]
	s_delay_alu instid0(VALU_DEP_1) | instskip(NEXT) | instid1(VALU_DEP_1)
	v_fma_f64 v[21:22], -v[4:5], v[19:20], 1.0
	v_fma_f64 v[19:20], v[19:20], v[21:22], v[19:20]
	v_div_scale_f64 v[21:22], vcc_lo, 1.0, v[2:3], 1.0
	s_delay_alu instid0(VALU_DEP_1) | instskip(NEXT) | instid1(VALU_DEP_1)
	v_mul_f64 v[23:24], v[21:22], v[19:20]
	v_fma_f64 v[4:5], -v[4:5], v[23:24], v[21:22]
	s_delay_alu instid0(VALU_DEP_1) | instskip(NEXT) | instid1(VALU_DEP_1)
	v_div_fmas_f64 v[4:5], v[4:5], v[19:20], v[23:24]
	v_div_fixup_f64 v[4:5], v[4:5], v[2:3], 1.0
	s_delay_alu instid0(VALU_DEP_1)
	v_mul_f64 v[2:3], v[17:18], v[4:5]
	v_xor_b32_e32 v5, 0x80000000, v5
.LBB254_24:                             ;   in Loop: Header=BB254_20 Depth=1
	s_and_not1_saveexec_b32 s1, s1
	s_cbranch_execz .LBB254_26
; %bb.25:                               ;   in Loop: Header=BB254_20 Depth=1
	s_delay_alu instid0(VALU_DEP_1) | instskip(SKIP_1) | instid1(VALU_DEP_2)
	v_div_scale_f64 v[17:18], null, v[2:3], v[2:3], v[4:5]
	v_div_scale_f64 v[23:24], vcc_lo, v[4:5], v[2:3], v[4:5]
	v_rcp_f64_e32 v[19:20], v[17:18]
	s_waitcnt_depctr 0xfff
	v_fma_f64 v[21:22], -v[17:18], v[19:20], 1.0
	s_delay_alu instid0(VALU_DEP_1) | instskip(NEXT) | instid1(VALU_DEP_1)
	v_fma_f64 v[19:20], v[19:20], v[21:22], v[19:20]
	v_fma_f64 v[21:22], -v[17:18], v[19:20], 1.0
	s_delay_alu instid0(VALU_DEP_1) | instskip(NEXT) | instid1(VALU_DEP_1)
	v_fma_f64 v[19:20], v[19:20], v[21:22], v[19:20]
	v_mul_f64 v[21:22], v[23:24], v[19:20]
	s_delay_alu instid0(VALU_DEP_1) | instskip(NEXT) | instid1(VALU_DEP_1)
	v_fma_f64 v[17:18], -v[17:18], v[21:22], v[23:24]
	v_div_fmas_f64 v[17:18], v[17:18], v[19:20], v[21:22]
	s_delay_alu instid0(VALU_DEP_1) | instskip(NEXT) | instid1(VALU_DEP_1)
	v_div_fixup_f64 v[17:18], v[17:18], v[2:3], v[4:5]
	v_fma_f64 v[2:3], v[4:5], v[17:18], v[2:3]
	s_delay_alu instid0(VALU_DEP_1) | instskip(NEXT) | instid1(VALU_DEP_1)
	v_div_scale_f64 v[4:5], null, v[2:3], v[2:3], 1.0
	v_rcp_f64_e32 v[19:20], v[4:5]
	s_waitcnt_depctr 0xfff
	v_fma_f64 v[21:22], -v[4:5], v[19:20], 1.0
	s_delay_alu instid0(VALU_DEP_1) | instskip(NEXT) | instid1(VALU_DEP_1)
	v_fma_f64 v[19:20], v[19:20], v[21:22], v[19:20]
	v_fma_f64 v[21:22], -v[4:5], v[19:20], 1.0
	s_delay_alu instid0(VALU_DEP_1) | instskip(SKIP_1) | instid1(VALU_DEP_1)
	v_fma_f64 v[19:20], v[19:20], v[21:22], v[19:20]
	v_div_scale_f64 v[21:22], vcc_lo, 1.0, v[2:3], 1.0
	v_mul_f64 v[23:24], v[21:22], v[19:20]
	s_delay_alu instid0(VALU_DEP_1) | instskip(NEXT) | instid1(VALU_DEP_1)
	v_fma_f64 v[4:5], -v[4:5], v[23:24], v[21:22]
	v_div_fmas_f64 v[4:5], v[4:5], v[19:20], v[23:24]
	s_delay_alu instid0(VALU_DEP_1) | instskip(NEXT) | instid1(VALU_DEP_1)
	v_div_fixup_f64 v[2:3], v[4:5], v[2:3], 1.0
	v_mul_f64 v[4:5], v[17:18], -v[2:3]
.LBB254_26:                             ;   in Loop: Header=BB254_20 Depth=1
	s_or_b32 exec_lo, exec_lo, s1
.LBB254_27:                             ;   in Loop: Header=BB254_20 Depth=1
	s_waitcnt vmcnt(0) lgkmcnt(0)
	s_delay_alu instid0(VALU_DEP_1) | instskip(SKIP_1) | instid1(VALU_DEP_2)
	v_mul_f64 v[17:18], v[10:11], v[4:5]
	v_mul_f64 v[4:5], v[0:1], v[4:5]
	v_fma_f64 v[17:18], v[0:1], v[2:3], -v[17:18]
	s_delay_alu instid0(VALU_DEP_2) | instskip(NEXT) | instid1(VALU_DEP_2)
	v_fma_f64 v[10:11], v[10:11], v[2:3], v[4:5]
	v_dual_mov_b32 v0, v17 :: v_dual_mov_b32 v1, v18
	ds_store_2addr_b64 v16, v[17:18], v[10:11] offset1:1
.LBB254_28:                             ;   in Loop: Header=BB254_20 Depth=1
	s_or_b32 exec_lo, exec_lo, s6
	s_delay_alu instid0(SALU_CYCLE_1)
	s_mov_b32 s1, exec_lo
	s_waitcnt lgkmcnt(0)
	s_barrier
	buffer_gl0_inv
	v_cmpx_gt_i64_e64 s[4:5], v[8:9]
	s_cbranch_execz .LBB254_30
; %bb.29:                               ;   in Loop: Header=BB254_20 Depth=1
	flat_load_b128 v[2:5], v[14:15]
	ds_load_2addr_b64 v[17:20], v16 offset1:1
	s_waitcnt vmcnt(0) lgkmcnt(1)
	v_xor_b32_e32 v21, 0x80000000, v5
	s_delay_alu instid0(VALU_DEP_1) | instskip(SKIP_1) | instid1(VALU_DEP_1)
	v_cndmask_b32_e64 v5, v5, v21, s0
	s_waitcnt lgkmcnt(0)
	v_mul_f64 v[21:22], v[4:5], v[19:20]
	v_mul_f64 v[19:20], v[2:3], v[19:20]
	s_delay_alu instid0(VALU_DEP_2) | instskip(NEXT) | instid1(VALU_DEP_2)
	v_fma_f64 v[2:3], v[2:3], v[17:18], -v[21:22]
	v_fma_f64 v[4:5], v[4:5], v[17:18], v[19:20]
	s_delay_alu instid0(VALU_DEP_2) | instskip(NEXT) | instid1(VALU_DEP_2)
	v_add_f64 v[0:1], v[0:1], -v[2:3]
	v_add_f64 v[10:11], v[10:11], -v[4:5]
.LBB254_30:                             ;   in Loop: Header=BB254_20 Depth=1
	s_or_b32 exec_lo, exec_lo, s1
	s_add_u32 s6, s4, -1
	s_addc_u32 s7, s5, -1
	s_add_u32 s4, s4, 1
	s_addc_u32 s5, s5, 0
	v_add_co_u32 v14, vcc_lo, v14, s8
	v_cmp_lt_u64_e64 s1, s[4:5], 3
	v_add_co_ci_u32_e32 v15, vcc_lo, s9, v15, vcc_lo
	s_delay_alu instid0(VALU_DEP_2)
	s_and_b32 vcc_lo, exec_lo, s1
	s_cbranch_vccnz .LBB254_32
; %bb.31:                               ;   in Loop: Header=BB254_20 Depth=1
	s_mov_b64 s[4:5], s[6:7]
	s_branch .LBB254_20
.LBB254_32:
	s_mov_b32 s1, exec_lo
	v_cmpx_eq_u32_e32 0, v8
	s_cbranch_execz .LBB254_40
; %bb.33:
	v_mad_u64_u32 v[2:3], null, v8, s12, v[8:9]
	s_delay_alu instid0(VALU_DEP_1) | instskip(NEXT) | instid1(VALU_DEP_1)
	v_mad_u64_u32 v[4:5], null, v8, s13, v[3:4]
	v_mov_b32_e32 v3, v4
	s_delay_alu instid0(VALU_DEP_1) | instskip(NEXT) | instid1(VALU_DEP_1)
	v_lshlrev_b64 v[2:3], 4, v[2:3]
	v_add_co_u32 v2, vcc_lo, s2, v2
	s_delay_alu instid0(VALU_DEP_2)
	v_add_co_ci_u32_e32 v3, vcc_lo, s3, v3, vcc_lo
	s_and_not1_b32 vcc_lo, exec_lo, s15
	flat_load_b128 v[2:5], v[2:3]
	s_cbranch_vccnz .LBB254_39
; %bb.34:
	s_waitcnt vmcnt(0) lgkmcnt(0)
	v_cmp_gt_f64_e32 vcc_lo, 0, v[2:3]
	v_cmp_gt_f64_e64 s0, 0, v[4:5]
	v_xor_b32_e32 v8, 0x80000000, v3
	v_xor_b32_e32 v12, 0x80000000, v5
	s_delay_alu instid0(VALU_DEP_2) | instskip(NEXT) | instid1(VALU_DEP_2)
	v_dual_cndmask_b32 v9, v3, v8 :: v_dual_cndmask_b32 v8, v2, v2
	v_cndmask_b32_e64 v13, v5, v12, s0
	v_cndmask_b32_e64 v12, v4, v4, s0
	s_mov_b32 s0, exec_lo
	s_delay_alu instid0(VALU_DEP_1)
	v_cmpx_ngt_f64_e32 v[8:9], v[12:13]
	s_xor_b32 s0, exec_lo, s0
	s_cbranch_execz .LBB254_36
; %bb.35:
	v_div_scale_f64 v[8:9], null, v[4:5], v[4:5], v[2:3]
	v_div_scale_f64 v[16:17], vcc_lo, v[2:3], v[4:5], v[2:3]
	s_delay_alu instid0(VALU_DEP_2) | instskip(SKIP_2) | instid1(VALU_DEP_1)
	v_rcp_f64_e32 v[12:13], v[8:9]
	s_waitcnt_depctr 0xfff
	v_fma_f64 v[14:15], -v[8:9], v[12:13], 1.0
	v_fma_f64 v[12:13], v[12:13], v[14:15], v[12:13]
	s_delay_alu instid0(VALU_DEP_1) | instskip(NEXT) | instid1(VALU_DEP_1)
	v_fma_f64 v[14:15], -v[8:9], v[12:13], 1.0
	v_fma_f64 v[12:13], v[12:13], v[14:15], v[12:13]
	s_delay_alu instid0(VALU_DEP_1) | instskip(NEXT) | instid1(VALU_DEP_1)
	v_mul_f64 v[14:15], v[16:17], v[12:13]
	v_fma_f64 v[8:9], -v[8:9], v[14:15], v[16:17]
	s_delay_alu instid0(VALU_DEP_1) | instskip(NEXT) | instid1(VALU_DEP_1)
	v_div_fmas_f64 v[8:9], v[8:9], v[12:13], v[14:15]
	v_div_fixup_f64 v[8:9], v[8:9], v[4:5], v[2:3]
	s_delay_alu instid0(VALU_DEP_1) | instskip(NEXT) | instid1(VALU_DEP_1)
	v_fma_f64 v[2:3], v[2:3], v[8:9], v[4:5]
	v_div_scale_f64 v[4:5], null, v[2:3], v[2:3], 1.0
	s_delay_alu instid0(VALU_DEP_1) | instskip(SKIP_2) | instid1(VALU_DEP_1)
	v_rcp_f64_e32 v[12:13], v[4:5]
	s_waitcnt_depctr 0xfff
	v_fma_f64 v[14:15], -v[4:5], v[12:13], 1.0
	v_fma_f64 v[12:13], v[12:13], v[14:15], v[12:13]
	s_delay_alu instid0(VALU_DEP_1) | instskip(NEXT) | instid1(VALU_DEP_1)
	v_fma_f64 v[14:15], -v[4:5], v[12:13], 1.0
	v_fma_f64 v[12:13], v[12:13], v[14:15], v[12:13]
	v_div_scale_f64 v[14:15], vcc_lo, 1.0, v[2:3], 1.0
	s_delay_alu instid0(VALU_DEP_1) | instskip(NEXT) | instid1(VALU_DEP_1)
	v_mul_f64 v[16:17], v[14:15], v[12:13]
	v_fma_f64 v[4:5], -v[4:5], v[16:17], v[14:15]
	s_delay_alu instid0(VALU_DEP_1) | instskip(NEXT) | instid1(VALU_DEP_1)
	v_div_fmas_f64 v[4:5], v[4:5], v[12:13], v[16:17]
	v_div_fixup_f64 v[4:5], v[4:5], v[2:3], 1.0
	s_delay_alu instid0(VALU_DEP_1)
	v_mul_f64 v[2:3], v[8:9], v[4:5]
	v_xor_b32_e32 v5, 0x80000000, v5
.LBB254_36:
	s_and_not1_saveexec_b32 s0, s0
	s_cbranch_execz .LBB254_38
; %bb.37:
	s_delay_alu instid0(VALU_DEP_1) | instskip(SKIP_1) | instid1(VALU_DEP_2)
	v_div_scale_f64 v[8:9], null, v[2:3], v[2:3], v[4:5]
	v_div_scale_f64 v[16:17], vcc_lo, v[4:5], v[2:3], v[4:5]
	v_rcp_f64_e32 v[12:13], v[8:9]
	s_waitcnt_depctr 0xfff
	v_fma_f64 v[14:15], -v[8:9], v[12:13], 1.0
	s_delay_alu instid0(VALU_DEP_1) | instskip(NEXT) | instid1(VALU_DEP_1)
	v_fma_f64 v[12:13], v[12:13], v[14:15], v[12:13]
	v_fma_f64 v[14:15], -v[8:9], v[12:13], 1.0
	s_delay_alu instid0(VALU_DEP_1) | instskip(NEXT) | instid1(VALU_DEP_1)
	v_fma_f64 v[12:13], v[12:13], v[14:15], v[12:13]
	v_mul_f64 v[14:15], v[16:17], v[12:13]
	s_delay_alu instid0(VALU_DEP_1) | instskip(NEXT) | instid1(VALU_DEP_1)
	v_fma_f64 v[8:9], -v[8:9], v[14:15], v[16:17]
	v_div_fmas_f64 v[8:9], v[8:9], v[12:13], v[14:15]
	s_delay_alu instid0(VALU_DEP_1) | instskip(NEXT) | instid1(VALU_DEP_1)
	v_div_fixup_f64 v[8:9], v[8:9], v[2:3], v[4:5]
	v_fma_f64 v[2:3], v[4:5], v[8:9], v[2:3]
	s_delay_alu instid0(VALU_DEP_1) | instskip(NEXT) | instid1(VALU_DEP_1)
	v_div_scale_f64 v[4:5], null, v[2:3], v[2:3], 1.0
	v_rcp_f64_e32 v[12:13], v[4:5]
	s_waitcnt_depctr 0xfff
	v_fma_f64 v[14:15], -v[4:5], v[12:13], 1.0
	s_delay_alu instid0(VALU_DEP_1) | instskip(NEXT) | instid1(VALU_DEP_1)
	v_fma_f64 v[12:13], v[12:13], v[14:15], v[12:13]
	v_fma_f64 v[14:15], -v[4:5], v[12:13], 1.0
	s_delay_alu instid0(VALU_DEP_1) | instskip(SKIP_1) | instid1(VALU_DEP_1)
	v_fma_f64 v[12:13], v[12:13], v[14:15], v[12:13]
	v_div_scale_f64 v[14:15], vcc_lo, 1.0, v[2:3], 1.0
	v_mul_f64 v[16:17], v[14:15], v[12:13]
	s_delay_alu instid0(VALU_DEP_1) | instskip(NEXT) | instid1(VALU_DEP_1)
	v_fma_f64 v[4:5], -v[4:5], v[16:17], v[14:15]
	v_div_fmas_f64 v[4:5], v[4:5], v[12:13], v[16:17]
	s_delay_alu instid0(VALU_DEP_1) | instskip(NEXT) | instid1(VALU_DEP_1)
	v_div_fixup_f64 v[2:3], v[4:5], v[2:3], 1.0
	v_mul_f64 v[4:5], v[8:9], -v[2:3]
.LBB254_38:
	s_or_b32 exec_lo, exec_lo, s0
.LBB254_39:
	s_waitcnt vmcnt(0) lgkmcnt(0)
	s_delay_alu instid0(VALU_DEP_1) | instskip(NEXT) | instid1(VALU_DEP_3)
	v_mul_f64 v[8:9], v[10:11], v[4:5]
	v_mul_f64 v[10:11], v[10:11], v[2:3]
	s_delay_alu instid0(VALU_DEP_2) | instskip(NEXT) | instid1(VALU_DEP_2)
	v_fma_f64 v[2:3], v[0:1], v[2:3], -v[8:9]
	v_fma_f64 v[10:11], v[0:1], v[4:5], v[10:11]
	s_delay_alu instid0(VALU_DEP_2)
	v_dual_mov_b32 v0, v2 :: v_dual_mov_b32 v1, v3
.LBB254_40:
	s_or_b32 exec_lo, exec_lo, s1
	s_delay_alu instid0(VALU_DEP_2)
	v_dual_mov_b32 v2, v10 :: v_dual_mov_b32 v3, v11
	global_store_b128 v[6:7], v[0:3], off
.LBB254_41:
	s_nop 0
	s_sendmsg sendmsg(MSG_DEALLOC_VGPRS)
	s_endpgm
	.section	.rodata,"a",@progbits
	.p2align	6, 0x0
	.amdhsa_kernel _ZL40rocblas_trsm_block_backward_substitutionI19rocblas_complex_numIdES1_PKPKS1_PKPS1_Lb1ELb0ELb0EEv18rocblas_operation_llT0_T1_lllT2_lllib
		.amdhsa_group_segment_fixed_size 0
		.amdhsa_private_segment_fixed_size 0
		.amdhsa_kernarg_size 368
		.amdhsa_user_sgpr_count 13
		.amdhsa_user_sgpr_dispatch_ptr 0
		.amdhsa_user_sgpr_queue_ptr 0
		.amdhsa_user_sgpr_kernarg_segment_ptr 1
		.amdhsa_user_sgpr_dispatch_id 0
		.amdhsa_user_sgpr_private_segment_size 0
		.amdhsa_wavefront_size32 1
		.amdhsa_uses_dynamic_stack 0
		.amdhsa_enable_private_segment 0
		.amdhsa_system_sgpr_workgroup_id_x 1
		.amdhsa_system_sgpr_workgroup_id_y 1
		.amdhsa_system_sgpr_workgroup_id_z 1
		.amdhsa_system_sgpr_workgroup_info 0
		.amdhsa_system_vgpr_workitem_id 1
		.amdhsa_next_free_vgpr 25
		.amdhsa_next_free_sgpr 32
		.amdhsa_reserve_vcc 1
		.amdhsa_float_round_mode_32 0
		.amdhsa_float_round_mode_16_64 0
		.amdhsa_float_denorm_mode_32 3
		.amdhsa_float_denorm_mode_16_64 3
		.amdhsa_dx10_clamp 1
		.amdhsa_ieee_mode 1
		.amdhsa_fp16_overflow 0
		.amdhsa_workgroup_processor_mode 1
		.amdhsa_memory_ordered 1
		.amdhsa_forward_progress 0
		.amdhsa_shared_vgpr_count 0
		.amdhsa_exception_fp_ieee_invalid_op 0
		.amdhsa_exception_fp_denorm_src 0
		.amdhsa_exception_fp_ieee_div_zero 0
		.amdhsa_exception_fp_ieee_overflow 0
		.amdhsa_exception_fp_ieee_underflow 0
		.amdhsa_exception_fp_ieee_inexact 0
		.amdhsa_exception_int_div_zero 0
	.end_amdhsa_kernel
	.section	.text._ZL40rocblas_trsm_block_backward_substitutionI19rocblas_complex_numIdES1_PKPKS1_PKPS1_Lb1ELb0ELb0EEv18rocblas_operation_llT0_T1_lllT2_lllib,"axG",@progbits,_ZL40rocblas_trsm_block_backward_substitutionI19rocblas_complex_numIdES1_PKPKS1_PKPS1_Lb1ELb0ELb0EEv18rocblas_operation_llT0_T1_lllT2_lllib,comdat
.Lfunc_end254:
	.size	_ZL40rocblas_trsm_block_backward_substitutionI19rocblas_complex_numIdES1_PKPKS1_PKPS1_Lb1ELb0ELb0EEv18rocblas_operation_llT0_T1_lllT2_lllib, .Lfunc_end254-_ZL40rocblas_trsm_block_backward_substitutionI19rocblas_complex_numIdES1_PKPKS1_PKPS1_Lb1ELb0ELb0EEv18rocblas_operation_llT0_T1_lllT2_lllib
                                        ; -- End function
	.section	.AMDGPU.csdata,"",@progbits
; Kernel info:
; codeLenInByte = 3196
; NumSgprs: 34
; NumVgprs: 25
; ScratchSize: 0
; MemoryBound: 1
; FloatMode: 240
; IeeeMode: 1
; LDSByteSize: 0 bytes/workgroup (compile time only)
; SGPRBlocks: 4
; VGPRBlocks: 3
; NumSGPRsForWavesPerEU: 34
; NumVGPRsForWavesPerEU: 25
; Occupancy: 16
; WaveLimiterHint : 1
; COMPUTE_PGM_RSRC2:SCRATCH_EN: 0
; COMPUTE_PGM_RSRC2:USER_SGPR: 13
; COMPUTE_PGM_RSRC2:TRAP_HANDLER: 0
; COMPUTE_PGM_RSRC2:TGID_X_EN: 1
; COMPUTE_PGM_RSRC2:TGID_Y_EN: 1
; COMPUTE_PGM_RSRC2:TGID_Z_EN: 1
; COMPUTE_PGM_RSRC2:TIDIG_COMP_CNT: 1
	.section	.text._ZL39rocblas_trsm_block_forward_substitutionI19rocblas_complex_numIdES1_PKPKS1_PKPS1_Lb1ELb0ELb1EEv18rocblas_operation_llT0_T1_lllT2_lllib,"axG",@progbits,_ZL39rocblas_trsm_block_forward_substitutionI19rocblas_complex_numIdES1_PKPKS1_PKPS1_Lb1ELb0ELb1EEv18rocblas_operation_llT0_T1_lllT2_lllib,comdat
	.globl	_ZL39rocblas_trsm_block_forward_substitutionI19rocblas_complex_numIdES1_PKPKS1_PKPS1_Lb1ELb0ELb1EEv18rocblas_operation_llT0_T1_lllT2_lllib ; -- Begin function _ZL39rocblas_trsm_block_forward_substitutionI19rocblas_complex_numIdES1_PKPKS1_PKPS1_Lb1ELb0ELb1EEv18rocblas_operation_llT0_T1_lllT2_lllib
	.p2align	8
	.type	_ZL39rocblas_trsm_block_forward_substitutionI19rocblas_complex_numIdES1_PKPKS1_PKPS1_Lb1ELb0ELb1EEv18rocblas_operation_llT0_T1_lllT2_lllib,@function
_ZL39rocblas_trsm_block_forward_substitutionI19rocblas_complex_numIdES1_PKPKS1_PKPS1_Lb1ELb0ELb1EEv18rocblas_operation_llT0_T1_lllT2_lllib: ; @_ZL39rocblas_trsm_block_forward_substitutionI19rocblas_complex_numIdES1_PKPKS1_PKPS1_Lb1ELb0ELb1EEv18rocblas_operation_llT0_T1_lllT2_lllib
; %bb.0:
	s_clause 0x1
	s_load_b128 s[4:7], s[0:1], 0x28
	s_load_b64 s[28:29], s[0:1], 0x38
	s_mov_b32 s2, s15
	s_mov_b32 s3, 0
	s_load_b64 s[20:21], s[0:1], 0x58
	s_lshl_b64 s[2:3], s[2:3], 3
	v_and_b32_e32 v4, 0x3ff, v0
	v_bfe_u32 v6, v0, 10, 10
	s_waitcnt lgkmcnt(0)
	s_add_u32 s4, s4, s2
	s_addc_u32 s5, s5, s3
	s_lshl_b64 s[6:7], s[6:7], 4
	s_load_b64 s[4:5], s[4:5], 0x0
	s_clause 0x2
	s_load_b128 s[16:19], s[0:1], 0x48
	s_load_b32 s12, s[0:1], 0x6c
	s_load_b32 s13, s[0:1], 0x7c
	s_waitcnt lgkmcnt(0)
	s_add_u32 s22, s4, s6
	s_addc_u32 s23, s5, s7
	s_add_u32 s2, s16, s2
	s_addc_u32 s3, s17, s3
	s_load_b256 s[4:11], s[0:1], 0x8
	s_load_b64 s[16:17], s[2:3], 0x0
	s_add_u32 s24, s0, 0x70
	s_addc_u32 s25, s1, 0
	s_lshr_b32 s15, s13, 16
	s_bitcmp0_b32 s12, 0
	s_mov_b64 s[2:3], 1
	s_cbranch_scc1 .LBB255_6
; %bb.1:
	s_waitcnt lgkmcnt(0)
	v_cmp_lt_i64_e64 s2, s[4:5], 1
	s_lshl_b32 s3, s15, 4
	s_mov_b64 s[12:13], 1
	s_add_i32 s26, s3, 0
	s_delay_alu instid0(VALU_DEP_1)
	s_and_b32 vcc_lo, exec_lo, s2
	s_cbranch_vccnz .LBB255_7
; %bb.2:
	v_mad_u64_u32 v[0:1], null, v4, s28, 0
	v_mov_b32_e32 v5, 0
	s_delay_alu instid0(VALU_DEP_1) | instskip(NEXT) | instid1(VALU_DEP_3)
	v_cmp_gt_u64_e64 s2, s[4:5], v[4:5]
	v_mad_u64_u32 v[2:3], null, v4, s29, v[1:2]
	s_delay_alu instid0(VALU_DEP_1) | instskip(SKIP_1) | instid1(VALU_DEP_2)
	v_mov_b32_e32 v1, v2
	v_lshl_add_u32 v2, v4, 4, s26
	v_lshlrev_b64 v[0:1], 4, v[0:1]
	s_delay_alu instid0(VALU_DEP_1) | instskip(NEXT) | instid1(VALU_DEP_2)
	v_add_co_u32 v3, vcc_lo, s22, v0
	v_add_co_ci_u32_e32 v5, vcc_lo, s23, v1, vcc_lo
	s_mov_b32 s22, 0
	s_set_inst_prefetch_distance 0x1
	s_branch .LBB255_4
	.p2align	6
.LBB255_3:                              ;   in Loop: Header=BB255_4 Depth=1
	s_or_b32 exec_lo, exec_lo, s3
	s_add_i32 s22, s22, s15
	s_delay_alu instid0(SALU_CYCLE_1) | instskip(NEXT) | instid1(SALU_CYCLE_1)
	s_ashr_i32 s23, s22, 31
	v_cmp_ge_i64_e64 s3, s[22:23], s[4:5]
	s_delay_alu instid0(VALU_DEP_1)
	s_and_b32 vcc_lo, exec_lo, s3
	s_cbranch_vccnz .LBB255_7
.LBB255_4:                              ; =>This Inner Loop Header: Depth=1
	v_add_nc_u32_e32 v0, s22, v6
	s_delay_alu instid0(VALU_DEP_1) | instskip(SKIP_1) | instid1(SALU_CYCLE_1)
	v_cmp_gt_i32_e32 vcc_lo, v4, v0
	s_and_b32 s23, s2, vcc_lo
	s_and_saveexec_b32 s3, s23
	s_cbranch_execz .LBB255_3
; %bb.5:                                ;   in Loop: Header=BB255_4 Depth=1
	v_ashrrev_i32_e32 v1, 31, v0
	s_load_b32 s23, s[24:25], 0xc
	s_delay_alu instid0(VALU_DEP_1) | instskip(NEXT) | instid1(VALU_DEP_1)
	v_lshlrev_b64 v[7:8], 4, v[0:1]
	v_add_co_u32 v7, vcc_lo, v3, v7
	s_delay_alu instid0(VALU_DEP_2) | instskip(SKIP_3) | instid1(SALU_CYCLE_1)
	v_add_co_ci_u32_e32 v8, vcc_lo, v5, v8, vcc_lo
	global_load_b128 v[7:10], v[7:8], off
	s_waitcnt lgkmcnt(0)
	s_and_b32 s23, s23, 0xffff
	v_mul_lo_u32 v0, v0, s23
	s_delay_alu instid0(VALU_DEP_1)
	v_lshl_add_u32 v0, v0, 4, v2
	s_waitcnt vmcnt(0)
	ds_store_2addr_b64 v0, v[7:8], v[9:10] offset1:1
	s_branch .LBB255_3
.LBB255_6:
	s_mov_b64 s[12:13], s[28:29]
	s_branch .LBB255_8
.LBB255_7:
	s_set_inst_prefetch_distance 0x2
	s_load_b32 s22, s[24:25], 0xc
	s_mov_b64 s[2:3], src_shared_base
	s_delay_alu instid0(SALU_CYCLE_1)
	s_mov_b32 s27, s3
	s_waitcnt lgkmcnt(0)
	s_and_b32 s2, s22, 0xffff
	s_mov_b64 s[22:23], s[26:27]
.LBB255_8:
	v_mad_u64_u32 v[0:1], null, s14, s15, v[6:7]
	v_mov_b32_e32 v1, 0
	s_mov_b32 s3, exec_lo
	s_waitcnt lgkmcnt(0)
	s_delay_alu instid0(VALU_DEP_1)
	v_cmpx_gt_i64_e64 s[6:7], v[0:1]
	s_cbranch_execz .LBB255_18
; %bb.9:
	v_mov_b32_e32 v5, v1
	s_delay_alu instid0(VALU_DEP_1)
	v_cmp_gt_i64_e32 vcc_lo, s[4:5], v[4:5]
	s_and_b32 exec_lo, exec_lo, vcc_lo
	s_cbranch_execz .LBB255_18
; %bb.10:
	v_mad_u64_u32 v[1:2], null, v0, s20, 0
	s_lshl_b64 s[6:7], s[18:19], 4
	s_delay_alu instid0(SALU_CYCLE_1) | instskip(SKIP_1) | instid1(VALU_DEP_1)
	s_add_u32 s3, s16, s6
	s_addc_u32 s6, s17, s7
	v_mad_u64_u32 v[7:8], null, v0, s21, v[2:3]
	s_delay_alu instid0(VALU_DEP_1) | instskip(NEXT) | instid1(VALU_DEP_1)
	v_mov_b32_e32 v2, v7
	v_lshlrev_b64 v[0:1], 4, v[1:2]
	v_lshlrev_b32_e32 v2, 4, v4
	s_delay_alu instid0(VALU_DEP_2) | instskip(NEXT) | instid1(VALU_DEP_3)
	v_add_co_u32 v0, vcc_lo, s3, v0
	v_add_co_ci_u32_e32 v1, vcc_lo, s6, v1, vcc_lo
	v_cmp_lt_u64_e64 s3, s[4:5], 2
	s_delay_alu instid0(VALU_DEP_3) | instskip(NEXT) | instid1(VALU_DEP_3)
	v_add_co_u32 v7, vcc_lo, v0, v2
	v_add_co_ci_u32_e32 v8, vcc_lo, 0, v1, vcc_lo
	s_delay_alu instid0(VALU_DEP_3) | instskip(SKIP_4) | instid1(VALU_DEP_2)
	s_and_b32 vcc_lo, exec_lo, s3
	global_load_b128 v[9:12], v[7:8], off
	s_waitcnt vmcnt(0)
	v_mul_f64 v[0:1], s[10:11], v[11:12]
	v_mul_f64 v[2:3], s[8:9], v[11:12]
	v_fma_f64 v[0:1], s[8:9], v[9:10], -v[0:1]
	s_delay_alu instid0(VALU_DEP_2)
	v_fma_f64 v[2:3], s[10:11], v[9:10], v[2:3]
	s_cbranch_vccnz .LBB255_17
; %bb.11:
	v_mad_u64_u32 v[9:10], null, s12, v4, 0
	s_load_b32 s0, s[0:1], 0x0
	v_lshl_add_u32 v6, v6, 4, 0
	s_delay_alu instid0(VALU_DEP_2) | instskip(NEXT) | instid1(VALU_DEP_1)
	v_mad_u64_u32 v[11:12], null, s13, v4, v[10:11]
	v_mov_b32_e32 v10, v11
	s_delay_alu instid0(VALU_DEP_1)
	v_lshlrev_b64 v[9:10], 4, v[9:10]
	s_waitcnt lgkmcnt(0)
	s_cmpk_eq_i32 s0, 0x71
	s_cselect_b32 vcc_lo, -1, 0
	s_add_u32 s4, s4, -1
	s_addc_u32 s5, s5, -1
	v_add_co_u32 v9, s0, s22, v9
	s_delay_alu instid0(VALU_DEP_1)
	v_add_co_ci_u32_e64 v10, s0, s23, v10, s0
	s_lshl_b32 s1, s2, 4
	s_mov_b64 s[2:3], 0
	s_set_inst_prefetch_distance 0x1
	s_branch .LBB255_13
	.p2align	6
.LBB255_12:                             ;   in Loop: Header=BB255_13 Depth=1
	s_or_b32 exec_lo, exec_lo, s6
	v_add_co_u32 v9, s0, v9, s1
	s_add_u32 s2, s2, 1
	v_add_co_ci_u32_e64 v10, s0, 0, v10, s0
	s_addc_u32 s3, s3, 0
	s_delay_alu instid0(SALU_CYCLE_1)
	s_cmp_eq_u64 s[4:5], s[2:3]
	s_cbranch_scc1 .LBB255_17
.LBB255_13:                             ; =>This Inner Loop Header: Depth=1
	s_mov_b32 s6, exec_lo
	s_barrier
	buffer_gl0_inv
	v_cmpx_eq_u64_e64 s[2:3], v[4:5]
	s_cbranch_execz .LBB255_15
; %bb.14:                               ;   in Loop: Header=BB255_13 Depth=1
	ds_store_2addr_b64 v6, v[0:1], v[2:3] offset1:1
.LBB255_15:                             ;   in Loop: Header=BB255_13 Depth=1
	s_or_b32 exec_lo, exec_lo, s6
	s_delay_alu instid0(SALU_CYCLE_1)
	s_mov_b32 s6, exec_lo
	s_waitcnt lgkmcnt(0)
	s_barrier
	buffer_gl0_inv
	v_cmpx_lt_u64_e64 s[2:3], v[4:5]
	s_cbranch_execz .LBB255_12
; %bb.16:                               ;   in Loop: Header=BB255_13 Depth=1
	flat_load_b128 v[11:14], v[9:10]
	ds_load_2addr_b64 v[15:18], v6 offset1:1
	s_waitcnt vmcnt(0) lgkmcnt(1)
	v_xor_b32_e32 v19, 0x80000000, v14
	s_delay_alu instid0(VALU_DEP_1) | instskip(SKIP_1) | instid1(VALU_DEP_1)
	v_cndmask_b32_e32 v14, v14, v19, vcc_lo
	s_waitcnt lgkmcnt(0)
	v_mul_f64 v[19:20], v[13:14], v[17:18]
	v_mul_f64 v[17:18], v[11:12], v[17:18]
	s_delay_alu instid0(VALU_DEP_2) | instskip(NEXT) | instid1(VALU_DEP_2)
	v_fma_f64 v[11:12], v[11:12], v[15:16], -v[19:20]
	v_fma_f64 v[13:14], v[13:14], v[15:16], v[17:18]
	s_delay_alu instid0(VALU_DEP_2) | instskip(NEXT) | instid1(VALU_DEP_2)
	v_add_f64 v[0:1], v[0:1], -v[11:12]
	v_add_f64 v[2:3], v[2:3], -v[13:14]
	s_branch .LBB255_12
.LBB255_17:
	s_set_inst_prefetch_distance 0x2
	global_store_b128 v[7:8], v[0:3], off
.LBB255_18:
	s_nop 0
	s_sendmsg sendmsg(MSG_DEALLOC_VGPRS)
	s_endpgm
	.section	.rodata,"a",@progbits
	.p2align	6, 0x0
	.amdhsa_kernel _ZL39rocblas_trsm_block_forward_substitutionI19rocblas_complex_numIdES1_PKPKS1_PKPS1_Lb1ELb0ELb1EEv18rocblas_operation_llT0_T1_lllT2_lllib
		.amdhsa_group_segment_fixed_size 0
		.amdhsa_private_segment_fixed_size 0
		.amdhsa_kernarg_size 368
		.amdhsa_user_sgpr_count 13
		.amdhsa_user_sgpr_dispatch_ptr 0
		.amdhsa_user_sgpr_queue_ptr 0
		.amdhsa_user_sgpr_kernarg_segment_ptr 1
		.amdhsa_user_sgpr_dispatch_id 0
		.amdhsa_user_sgpr_private_segment_size 0
		.amdhsa_wavefront_size32 1
		.amdhsa_uses_dynamic_stack 0
		.amdhsa_enable_private_segment 0
		.amdhsa_system_sgpr_workgroup_id_x 1
		.amdhsa_system_sgpr_workgroup_id_y 1
		.amdhsa_system_sgpr_workgroup_id_z 1
		.amdhsa_system_sgpr_workgroup_info 0
		.amdhsa_system_vgpr_workitem_id 1
		.amdhsa_next_free_vgpr 21
		.amdhsa_next_free_sgpr 30
		.amdhsa_reserve_vcc 1
		.amdhsa_float_round_mode_32 0
		.amdhsa_float_round_mode_16_64 0
		.amdhsa_float_denorm_mode_32 3
		.amdhsa_float_denorm_mode_16_64 3
		.amdhsa_dx10_clamp 1
		.amdhsa_ieee_mode 1
		.amdhsa_fp16_overflow 0
		.amdhsa_workgroup_processor_mode 1
		.amdhsa_memory_ordered 1
		.amdhsa_forward_progress 0
		.amdhsa_shared_vgpr_count 0
		.amdhsa_exception_fp_ieee_invalid_op 0
		.amdhsa_exception_fp_denorm_src 0
		.amdhsa_exception_fp_ieee_div_zero 0
		.amdhsa_exception_fp_ieee_overflow 0
		.amdhsa_exception_fp_ieee_underflow 0
		.amdhsa_exception_fp_ieee_inexact 0
		.amdhsa_exception_int_div_zero 0
	.end_amdhsa_kernel
	.section	.text._ZL39rocblas_trsm_block_forward_substitutionI19rocblas_complex_numIdES1_PKPKS1_PKPS1_Lb1ELb0ELb1EEv18rocblas_operation_llT0_T1_lllT2_lllib,"axG",@progbits,_ZL39rocblas_trsm_block_forward_substitutionI19rocblas_complex_numIdES1_PKPKS1_PKPS1_Lb1ELb0ELb1EEv18rocblas_operation_llT0_T1_lllT2_lllib,comdat
.Lfunc_end255:
	.size	_ZL39rocblas_trsm_block_forward_substitutionI19rocblas_complex_numIdES1_PKPKS1_PKPS1_Lb1ELb0ELb1EEv18rocblas_operation_llT0_T1_lllT2_lllib, .Lfunc_end255-_ZL39rocblas_trsm_block_forward_substitutionI19rocblas_complex_numIdES1_PKPKS1_PKPS1_Lb1ELb0ELb1EEv18rocblas_operation_llT0_T1_lllT2_lllib
                                        ; -- End function
	.section	.AMDGPU.csdata,"",@progbits
; Kernel info:
; codeLenInByte = 1052
; NumSgprs: 32
; NumVgprs: 21
; ScratchSize: 0
; MemoryBound: 0
; FloatMode: 240
; IeeeMode: 1
; LDSByteSize: 0 bytes/workgroup (compile time only)
; SGPRBlocks: 3
; VGPRBlocks: 2
; NumSGPRsForWavesPerEU: 32
; NumVGPRsForWavesPerEU: 21
; Occupancy: 16
; WaveLimiterHint : 1
; COMPUTE_PGM_RSRC2:SCRATCH_EN: 0
; COMPUTE_PGM_RSRC2:USER_SGPR: 13
; COMPUTE_PGM_RSRC2:TRAP_HANDLER: 0
; COMPUTE_PGM_RSRC2:TGID_X_EN: 1
; COMPUTE_PGM_RSRC2:TGID_Y_EN: 1
; COMPUTE_PGM_RSRC2:TGID_Z_EN: 1
; COMPUTE_PGM_RSRC2:TIDIG_COMP_CNT: 1
	.section	.text._ZL40rocblas_trsm_block_backward_substitutionI19rocblas_complex_numIdES1_PKPKS1_PKPS1_Lb1ELb0ELb1EEv18rocblas_operation_llT0_T1_lllT2_lllib,"axG",@progbits,_ZL40rocblas_trsm_block_backward_substitutionI19rocblas_complex_numIdES1_PKPKS1_PKPS1_Lb1ELb0ELb1EEv18rocblas_operation_llT0_T1_lllT2_lllib,comdat
	.globl	_ZL40rocblas_trsm_block_backward_substitutionI19rocblas_complex_numIdES1_PKPKS1_PKPS1_Lb1ELb0ELb1EEv18rocblas_operation_llT0_T1_lllT2_lllib ; -- Begin function _ZL40rocblas_trsm_block_backward_substitutionI19rocblas_complex_numIdES1_PKPKS1_PKPS1_Lb1ELb0ELb1EEv18rocblas_operation_llT0_T1_lllT2_lllib
	.p2align	8
	.type	_ZL40rocblas_trsm_block_backward_substitutionI19rocblas_complex_numIdES1_PKPKS1_PKPS1_Lb1ELb0ELb1EEv18rocblas_operation_llT0_T1_lllT2_lllib,@function
_ZL40rocblas_trsm_block_backward_substitutionI19rocblas_complex_numIdES1_PKPKS1_PKPS1_Lb1ELb0ELb1EEv18rocblas_operation_llT0_T1_lllT2_lllib: ; @_ZL40rocblas_trsm_block_backward_substitutionI19rocblas_complex_numIdES1_PKPKS1_PKPS1_Lb1ELb0ELb1EEv18rocblas_operation_llT0_T1_lllT2_lllib
; %bb.0:
	s_clause 0x1
	s_load_b128 s[4:7], s[0:1], 0x28
	s_load_b64 s[12:13], s[0:1], 0x38
	s_mov_b32 s2, s15
	s_mov_b32 s3, 0
	s_load_b64 s[20:21], s[0:1], 0x58
	s_lshl_b64 s[2:3], s[2:3], 3
	v_and_b32_e32 v4, 0x3ff, v0
	v_bfe_u32 v6, v0, 10, 10
	s_waitcnt lgkmcnt(0)
	s_add_u32 s4, s4, s2
	s_addc_u32 s5, s5, s3
	s_lshl_b64 s[6:7], s[6:7], 4
	s_load_b64 s[4:5], s[4:5], 0x0
	s_clause 0x2
	s_load_b128 s[16:19], s[0:1], 0x48
	s_load_b32 s26, s[0:1], 0x6c
	s_load_b32 s15, s[0:1], 0x7c
	s_waitcnt lgkmcnt(0)
	s_add_u32 s22, s4, s6
	s_addc_u32 s23, s5, s7
	s_add_u32 s2, s16, s2
	s_addc_u32 s3, s17, s3
	s_load_b256 s[4:11], s[0:1], 0x8
	s_load_b64 s[16:17], s[2:3], 0x0
	s_add_u32 s24, s0, 0x70
	s_addc_u32 s25, s1, 0
	s_lshr_b32 s15, s15, 16
	s_bitcmp0_b32 s26, 0
	s_cbranch_scc1 .LBB256_7
; %bb.1:
	s_waitcnt lgkmcnt(0)
	v_cmp_lt_i64_e64 s2, s[4:5], 1
	s_lshl_b32 s3, s15, 4
	s_delay_alu instid0(SALU_CYCLE_1) | instskip(NEXT) | instid1(VALU_DEP_1)
	s_add_i32 s26, s3, 0
	s_and_b32 vcc_lo, exec_lo, s2
	s_cbranch_vccnz .LBB256_6
; %bb.2:
	v_dual_mov_b32 v5, 0 :: v_dual_lshlrev_b32 v0, 4, v4
	s_delay_alu instid0(VALU_DEP_1) | instskip(NEXT) | instid1(VALU_DEP_2)
	v_add_co_u32 v3, s3, s22, v0
	v_cmp_gt_u64_e64 s2, s[4:5], v[4:5]
	v_add_nc_u32_e32 v2, s26, v0
	v_add_co_ci_u32_e64 v5, null, s23, 0, s3
	s_mov_b32 s22, 0
	s_set_inst_prefetch_distance 0x1
	s_branch .LBB256_4
	.p2align	6
.LBB256_3:                              ;   in Loop: Header=BB256_4 Depth=1
	s_or_b32 exec_lo, exec_lo, s3
	s_add_i32 s22, s22, s15
	s_delay_alu instid0(SALU_CYCLE_1) | instskip(NEXT) | instid1(SALU_CYCLE_1)
	s_ashr_i32 s23, s22, 31
	v_cmp_ge_i64_e64 s3, s[22:23], s[4:5]
	s_delay_alu instid0(VALU_DEP_1)
	s_and_b32 vcc_lo, exec_lo, s3
	s_cbranch_vccnz .LBB256_6
.LBB256_4:                              ; =>This Inner Loop Header: Depth=1
	v_add_nc_u32_e32 v0, s22, v6
	s_delay_alu instid0(VALU_DEP_1) | instskip(SKIP_1) | instid1(VALU_DEP_2)
	v_ashrrev_i32_e32 v1, 31, v0
	v_cmp_lt_i32_e64 s3, v4, v0
	v_cmp_gt_i64_e32 vcc_lo, s[4:5], v[0:1]
	s_delay_alu instid0(VALU_DEP_2) | instskip(NEXT) | instid1(SALU_CYCLE_1)
	s_and_b32 s3, s3, vcc_lo
	s_and_b32 s23, s2, s3
	s_delay_alu instid0(SALU_CYCLE_1)
	s_and_saveexec_b32 s3, s23
	s_cbranch_execz .LBB256_3
; %bb.5:                                ;   in Loop: Header=BB256_4 Depth=1
	v_mul_lo_u32 v1, v1, s12
	v_mul_lo_u32 v9, v0, s13
	v_mad_u64_u32 v[7:8], null, v0, s12, 0
	s_load_b32 s23, s[24:25], 0xc
	s_delay_alu instid0(VALU_DEP_1) | instskip(NEXT) | instid1(VALU_DEP_1)
	v_add3_u32 v8, v8, v9, v1
	v_lshlrev_b64 v[7:8], 4, v[7:8]
	s_delay_alu instid0(VALU_DEP_1) | instskip(NEXT) | instid1(VALU_DEP_2)
	v_add_co_u32 v7, vcc_lo, v3, v7
	v_add_co_ci_u32_e32 v8, vcc_lo, v5, v8, vcc_lo
	s_waitcnt lgkmcnt(0)
	s_and_b32 s23, s23, 0xffff
	s_delay_alu instid0(SALU_CYCLE_1)
	v_mul_lo_u32 v0, v0, s23
	global_load_b128 v[7:10], v[7:8], off
	v_lshl_add_u32 v0, v0, 4, v2
	s_waitcnt vmcnt(0)
	ds_store_2addr_b64 v0, v[7:8], v[9:10] offset1:1
	s_branch .LBB256_3
.LBB256_6:
	s_set_inst_prefetch_distance 0x2
	s_load_b32 s12, s[24:25], 0xc
	s_mov_b64 s[2:3], src_shared_base
	s_mov_b32 s13, 0
	s_mov_b32 s27, s3
	s_delay_alu instid0(SALU_CYCLE_1)
	s_mov_b64 s[22:23], s[26:27]
	s_waitcnt lgkmcnt(0)
	s_and_b32 s12, s12, 0xffff
.LBB256_7:
	v_mad_u64_u32 v[0:1], null, s14, s15, v[6:7]
	v_mov_b32_e32 v1, 0
	s_mov_b32 s2, exec_lo
	s_waitcnt lgkmcnt(0)
	s_delay_alu instid0(VALU_DEP_1)
	v_cmpx_gt_i64_e64 s[6:7], v[0:1]
	s_cbranch_execz .LBB256_18
; %bb.8:
	v_mov_b32_e32 v5, v1
	s_delay_alu instid0(VALU_DEP_1)
	v_cmp_gt_i64_e32 vcc_lo, s[4:5], v[4:5]
	s_and_b32 exec_lo, exec_lo, vcc_lo
	s_cbranch_execz .LBB256_18
; %bb.9:
	v_mad_u64_u32 v[2:3], null, v4, s20, 0
	s_lshl_b64 s[2:3], s[18:19], 4
	v_lshlrev_b64 v[0:1], 4, v[0:1]
	s_add_u32 s2, s16, s2
	s_addc_u32 s3, s17, s3
	s_delay_alu instid0(VALU_DEP_2) | instskip(NEXT) | instid1(VALU_DEP_1)
	v_mad_u64_u32 v[7:8], null, v4, s21, v[3:4]
	v_mov_b32_e32 v3, v7
	s_delay_alu instid0(VALU_DEP_1) | instskip(NEXT) | instid1(VALU_DEP_1)
	v_lshlrev_b64 v[2:3], 4, v[2:3]
	v_add_co_u32 v2, vcc_lo, s2, v2
	s_delay_alu instid0(VALU_DEP_2) | instskip(SKIP_1) | instid1(VALU_DEP_3)
	v_add_co_ci_u32_e32 v3, vcc_lo, s3, v3, vcc_lo
	v_cmp_lt_u64_e64 s2, s[4:5], 2
	v_add_co_u32 v7, vcc_lo, v2, v0
	s_delay_alu instid0(VALU_DEP_3) | instskip(NEXT) | instid1(VALU_DEP_3)
	v_add_co_ci_u32_e32 v8, vcc_lo, v3, v1, vcc_lo
	s_and_b32 vcc_lo, exec_lo, s2
	global_load_b128 v[9:12], v[7:8], off
	s_waitcnt vmcnt(0)
	v_mul_f64 v[0:1], s[10:11], v[11:12]
	v_mul_f64 v[2:3], s[8:9], v[11:12]
	s_delay_alu instid0(VALU_DEP_2) | instskip(NEXT) | instid1(VALU_DEP_2)
	v_fma_f64 v[0:1], s[8:9], v[9:10], -v[0:1]
	v_fma_f64 v[2:3], s[10:11], v[9:10], v[2:3]
	s_cbranch_vccnz .LBB256_17
; %bb.10:
	s_load_b32 s0, s[0:1], 0x0
	v_lshlrev_b32_e32 v9, 4, v4
	v_lshl_add_u32 v6, v6, 4, 0
	s_waitcnt lgkmcnt(0)
	s_cmpk_eq_i32 s0, 0x71
	s_cselect_b32 s0, -1, 0
	s_add_u32 s2, s4, -1
	s_addc_u32 s3, s5, -1
	s_mul_hi_u32 s1, s12, s2
	s_mul_i32 s4, s12, s3
	s_mul_i32 s5, s13, s2
	s_add_i32 s1, s1, s4
	s_mul_i32 s4, s12, s2
	s_add_i32 s5, s1, s5
	s_delay_alu instid0(SALU_CYCLE_1) | instskip(NEXT) | instid1(SALU_CYCLE_1)
	s_lshl_b64 s[4:5], s[4:5], 4
	s_add_u32 s1, s22, s4
	s_addc_u32 s4, s23, s5
	v_add_co_u32 v9, s1, s1, v9
	s_delay_alu instid0(VALU_DEP_1) | instskip(SKIP_1) | instid1(SALU_CYCLE_1)
	v_add_co_ci_u32_e64 v10, null, s4, 0, s1
	s_lshl_b64 s[4:5], s[12:13], 4
	s_sub_u32 s1, 0, s4
	s_subb_u32 s6, 0, s5
	s_set_inst_prefetch_distance 0x1
	.p2align	6
.LBB256_11:                             ; =>This Inner Loop Header: Depth=1
	s_mov_b32 s4, exec_lo
	s_barrier
	buffer_gl0_inv
	v_cmpx_eq_u64_e64 s[2:3], v[4:5]
	s_cbranch_execz .LBB256_13
; %bb.12:                               ;   in Loop: Header=BB256_11 Depth=1
	ds_store_2addr_b64 v6, v[0:1], v[2:3] offset1:1
.LBB256_13:                             ;   in Loop: Header=BB256_11 Depth=1
	s_or_b32 exec_lo, exec_lo, s4
	s_delay_alu instid0(SALU_CYCLE_1)
	s_mov_b32 s4, exec_lo
	s_waitcnt lgkmcnt(0)
	s_barrier
	buffer_gl0_inv
	v_cmpx_gt_i64_e64 s[2:3], v[4:5]
	s_cbranch_execz .LBB256_15
; %bb.14:                               ;   in Loop: Header=BB256_11 Depth=1
	flat_load_b128 v[11:14], v[9:10]
	ds_load_2addr_b64 v[15:18], v6 offset1:1
	s_waitcnt vmcnt(0) lgkmcnt(1)
	v_xor_b32_e32 v19, 0x80000000, v14
	s_delay_alu instid0(VALU_DEP_1) | instskip(SKIP_1) | instid1(VALU_DEP_1)
	v_cndmask_b32_e64 v14, v14, v19, s0
	s_waitcnt lgkmcnt(0)
	v_mul_f64 v[19:20], v[13:14], v[17:18]
	v_mul_f64 v[17:18], v[11:12], v[17:18]
	s_delay_alu instid0(VALU_DEP_2) | instskip(NEXT) | instid1(VALU_DEP_2)
	v_fma_f64 v[11:12], v[11:12], v[15:16], -v[19:20]
	v_fma_f64 v[13:14], v[13:14], v[15:16], v[17:18]
	s_delay_alu instid0(VALU_DEP_2) | instskip(NEXT) | instid1(VALU_DEP_2)
	v_add_f64 v[0:1], v[0:1], -v[11:12]
	v_add_f64 v[2:3], v[2:3], -v[13:14]
.LBB256_15:                             ;   in Loop: Header=BB256_11 Depth=1
	s_or_b32 exec_lo, exec_lo, s4
	s_add_u32 s4, s2, -1
	s_addc_u32 s5, s3, -1
	s_add_u32 s2, s2, 1
	s_addc_u32 s3, s3, 0
	v_add_co_u32 v9, vcc_lo, v9, s1
	v_cmp_lt_u64_e64 s2, s[2:3], 3
	v_add_co_ci_u32_e32 v10, vcc_lo, s6, v10, vcc_lo
	s_delay_alu instid0(VALU_DEP_2)
	s_and_b32 vcc_lo, exec_lo, s2
	s_cbranch_vccnz .LBB256_17
; %bb.16:                               ;   in Loop: Header=BB256_11 Depth=1
	s_mov_b64 s[2:3], s[4:5]
	s_branch .LBB256_11
.LBB256_17:
	s_set_inst_prefetch_distance 0x2
	global_store_b128 v[7:8], v[0:3], off
.LBB256_18:
	s_nop 0
	s_sendmsg sendmsg(MSG_DEALLOC_VGPRS)
	s_endpgm
	.section	.rodata,"a",@progbits
	.p2align	6, 0x0
	.amdhsa_kernel _ZL40rocblas_trsm_block_backward_substitutionI19rocblas_complex_numIdES1_PKPKS1_PKPS1_Lb1ELb0ELb1EEv18rocblas_operation_llT0_T1_lllT2_lllib
		.amdhsa_group_segment_fixed_size 0
		.amdhsa_private_segment_fixed_size 0
		.amdhsa_kernarg_size 368
		.amdhsa_user_sgpr_count 13
		.amdhsa_user_sgpr_dispatch_ptr 0
		.amdhsa_user_sgpr_queue_ptr 0
		.amdhsa_user_sgpr_kernarg_segment_ptr 1
		.amdhsa_user_sgpr_dispatch_id 0
		.amdhsa_user_sgpr_private_segment_size 0
		.amdhsa_wavefront_size32 1
		.amdhsa_uses_dynamic_stack 0
		.amdhsa_enable_private_segment 0
		.amdhsa_system_sgpr_workgroup_id_x 1
		.amdhsa_system_sgpr_workgroup_id_y 1
		.amdhsa_system_sgpr_workgroup_id_z 1
		.amdhsa_system_sgpr_workgroup_info 0
		.amdhsa_system_vgpr_workitem_id 1
		.amdhsa_next_free_vgpr 21
		.amdhsa_next_free_sgpr 28
		.amdhsa_reserve_vcc 1
		.amdhsa_float_round_mode_32 0
		.amdhsa_float_round_mode_16_64 0
		.amdhsa_float_denorm_mode_32 3
		.amdhsa_float_denorm_mode_16_64 3
		.amdhsa_dx10_clamp 1
		.amdhsa_ieee_mode 1
		.amdhsa_fp16_overflow 0
		.amdhsa_workgroup_processor_mode 1
		.amdhsa_memory_ordered 1
		.amdhsa_forward_progress 0
		.amdhsa_shared_vgpr_count 0
		.amdhsa_exception_fp_ieee_invalid_op 0
		.amdhsa_exception_fp_denorm_src 0
		.amdhsa_exception_fp_ieee_div_zero 0
		.amdhsa_exception_fp_ieee_overflow 0
		.amdhsa_exception_fp_ieee_underflow 0
		.amdhsa_exception_fp_ieee_inexact 0
		.amdhsa_exception_int_div_zero 0
	.end_amdhsa_kernel
	.section	.text._ZL40rocblas_trsm_block_backward_substitutionI19rocblas_complex_numIdES1_PKPKS1_PKPS1_Lb1ELb0ELb1EEv18rocblas_operation_llT0_T1_lllT2_lllib,"axG",@progbits,_ZL40rocblas_trsm_block_backward_substitutionI19rocblas_complex_numIdES1_PKPKS1_PKPS1_Lb1ELb0ELb1EEv18rocblas_operation_llT0_T1_lllT2_lllib,comdat
.Lfunc_end256:
	.size	_ZL40rocblas_trsm_block_backward_substitutionI19rocblas_complex_numIdES1_PKPKS1_PKPS1_Lb1ELb0ELb1EEv18rocblas_operation_llT0_T1_lllT2_lllib, .Lfunc_end256-_ZL40rocblas_trsm_block_backward_substitutionI19rocblas_complex_numIdES1_PKPKS1_PKPS1_Lb1ELb0ELb1EEv18rocblas_operation_llT0_T1_lllT2_lllib
                                        ; -- End function
	.section	.AMDGPU.csdata,"",@progbits
; Kernel info:
; codeLenInByte = 1088
; NumSgprs: 30
; NumVgprs: 21
; ScratchSize: 0
; MemoryBound: 0
; FloatMode: 240
; IeeeMode: 1
; LDSByteSize: 0 bytes/workgroup (compile time only)
; SGPRBlocks: 3
; VGPRBlocks: 2
; NumSGPRsForWavesPerEU: 30
; NumVGPRsForWavesPerEU: 21
; Occupancy: 16
; WaveLimiterHint : 1
; COMPUTE_PGM_RSRC2:SCRATCH_EN: 0
; COMPUTE_PGM_RSRC2:USER_SGPR: 13
; COMPUTE_PGM_RSRC2:TRAP_HANDLER: 0
; COMPUTE_PGM_RSRC2:TGID_X_EN: 1
; COMPUTE_PGM_RSRC2:TGID_Y_EN: 1
; COMPUTE_PGM_RSRC2:TGID_Z_EN: 1
; COMPUTE_PGM_RSRC2:TIDIG_COMP_CNT: 1
	.section	.text._ZL26setup_batched_array_kernelILi128E19rocblas_complex_numIdEEvPT0_lPS3_,"axG",@progbits,_ZL26setup_batched_array_kernelILi128E19rocblas_complex_numIdEEvPT0_lPS3_,comdat
	.globl	_ZL26setup_batched_array_kernelILi128E19rocblas_complex_numIdEEvPT0_lPS3_ ; -- Begin function _ZL26setup_batched_array_kernelILi128E19rocblas_complex_numIdEEvPT0_lPS3_
	.p2align	8
	.type	_ZL26setup_batched_array_kernelILi128E19rocblas_complex_numIdEEvPT0_lPS3_,@function
_ZL26setup_batched_array_kernelILi128E19rocblas_complex_numIdEEvPT0_lPS3_: ; @_ZL26setup_batched_array_kernelILi128E19rocblas_complex_numIdEEvPT0_lPS3_
; %bb.0:
	s_clause 0x1
	s_load_b128 s[4:7], s[0:1], 0x0
	s_load_b64 s[0:1], s[0:1], 0x10
	s_mov_b32 s2, s15
	s_waitcnt lgkmcnt(0)
	s_mul_i32 s3, s15, s7
	s_mul_hi_u32 s7, s15, s6
	s_mul_i32 s6, s15, s6
	s_add_i32 s7, s7, s3
	s_mov_b32 s3, 0
	s_lshl_b64 s[6:7], s[6:7], 4
	s_delay_alu instid0(SALU_CYCLE_1)
	s_add_u32 s4, s4, s6
	s_addc_u32 s5, s5, s7
	v_mov_b32_e32 v0, s4
	s_lshl_b64 s[2:3], s[2:3], 3
	v_dual_mov_b32 v2, 0 :: v_dual_mov_b32 v1, s5
	s_add_u32 s0, s0, s2
	s_addc_u32 s1, s1, s3
	global_store_b64 v2, v[0:1], s[0:1]
	s_nop 0
	s_sendmsg sendmsg(MSG_DEALLOC_VGPRS)
	s_endpgm
	.section	.rodata,"a",@progbits
	.p2align	6, 0x0
	.amdhsa_kernel _ZL26setup_batched_array_kernelILi128E19rocblas_complex_numIdEEvPT0_lPS3_
		.amdhsa_group_segment_fixed_size 0
		.amdhsa_private_segment_fixed_size 0
		.amdhsa_kernarg_size 24
		.amdhsa_user_sgpr_count 15
		.amdhsa_user_sgpr_dispatch_ptr 0
		.amdhsa_user_sgpr_queue_ptr 0
		.amdhsa_user_sgpr_kernarg_segment_ptr 1
		.amdhsa_user_sgpr_dispatch_id 0
		.amdhsa_user_sgpr_private_segment_size 0
		.amdhsa_wavefront_size32 1
		.amdhsa_uses_dynamic_stack 0
		.amdhsa_enable_private_segment 0
		.amdhsa_system_sgpr_workgroup_id_x 1
		.amdhsa_system_sgpr_workgroup_id_y 0
		.amdhsa_system_sgpr_workgroup_id_z 0
		.amdhsa_system_sgpr_workgroup_info 0
		.amdhsa_system_vgpr_workitem_id 0
		.amdhsa_next_free_vgpr 3
		.amdhsa_next_free_sgpr 16
		.amdhsa_reserve_vcc 0
		.amdhsa_float_round_mode_32 0
		.amdhsa_float_round_mode_16_64 0
		.amdhsa_float_denorm_mode_32 3
		.amdhsa_float_denorm_mode_16_64 3
		.amdhsa_dx10_clamp 1
		.amdhsa_ieee_mode 1
		.amdhsa_fp16_overflow 0
		.amdhsa_workgroup_processor_mode 1
		.amdhsa_memory_ordered 1
		.amdhsa_forward_progress 0
		.amdhsa_shared_vgpr_count 0
		.amdhsa_exception_fp_ieee_invalid_op 0
		.amdhsa_exception_fp_denorm_src 0
		.amdhsa_exception_fp_ieee_div_zero 0
		.amdhsa_exception_fp_ieee_overflow 0
		.amdhsa_exception_fp_ieee_underflow 0
		.amdhsa_exception_fp_ieee_inexact 0
		.amdhsa_exception_int_div_zero 0
	.end_amdhsa_kernel
	.section	.text._ZL26setup_batched_array_kernelILi128E19rocblas_complex_numIdEEvPT0_lPS3_,"axG",@progbits,_ZL26setup_batched_array_kernelILi128E19rocblas_complex_numIdEEvPT0_lPS3_,comdat
.Lfunc_end257:
	.size	_ZL26setup_batched_array_kernelILi128E19rocblas_complex_numIdEEvPT0_lPS3_, .Lfunc_end257-_ZL26setup_batched_array_kernelILi128E19rocblas_complex_numIdEEvPT0_lPS3_
                                        ; -- End function
	.section	.AMDGPU.csdata,"",@progbits
; Kernel info:
; codeLenInByte = 108
; NumSgprs: 16
; NumVgprs: 3
; ScratchSize: 0
; MemoryBound: 0
; FloatMode: 240
; IeeeMode: 1
; LDSByteSize: 0 bytes/workgroup (compile time only)
; SGPRBlocks: 1
; VGPRBlocks: 0
; NumSGPRsForWavesPerEU: 16
; NumVGPRsForWavesPerEU: 3
; Occupancy: 16
; WaveLimiterHint : 0
; COMPUTE_PGM_RSRC2:SCRATCH_EN: 0
; COMPUTE_PGM_RSRC2:USER_SGPR: 15
; COMPUTE_PGM_RSRC2:TRAP_HANDLER: 0
; COMPUTE_PGM_RSRC2:TGID_X_EN: 1
; COMPUTE_PGM_RSRC2:TGID_Y_EN: 0
; COMPUTE_PGM_RSRC2:TGID_Z_EN: 0
; COMPUTE_PGM_RSRC2:TIDIG_COMP_CNT: 0
	.section	.text._ZL25rocblas_trtri_trsm_kernelILi128ELi16ELi8E19rocblas_complex_numIdEPKPKS1_PKPS1_Ev13rocblas_fill_17rocblas_diagonal_T3_lilT4_lli,"axG",@progbits,_ZL25rocblas_trtri_trsm_kernelILi128ELi16ELi8E19rocblas_complex_numIdEPKPKS1_PKPS1_Ev13rocblas_fill_17rocblas_diagonal_T3_lilT4_lli,comdat
	.globl	_ZL25rocblas_trtri_trsm_kernelILi128ELi16ELi8E19rocblas_complex_numIdEPKPKS1_PKPS1_Ev13rocblas_fill_17rocblas_diagonal_T3_lilT4_lli ; -- Begin function _ZL25rocblas_trtri_trsm_kernelILi128ELi16ELi8E19rocblas_complex_numIdEPKPKS1_PKPS1_Ev13rocblas_fill_17rocblas_diagonal_T3_lilT4_lli
	.p2align	8
	.type	_ZL25rocblas_trtri_trsm_kernelILi128ELi16ELi8E19rocblas_complex_numIdEPKPKS1_PKPS1_Ev13rocblas_fill_17rocblas_diagonal_T3_lilT4_lli,@function
_ZL25rocblas_trtri_trsm_kernelILi128ELi16ELi8E19rocblas_complex_numIdEPKPKS1_PKPS1_Ev13rocblas_fill_17rocblas_diagonal_T3_lilT4_lli: ; @_ZL25rocblas_trtri_trsm_kernelILi128ELi16ELi8E19rocblas_complex_numIdEPKPKS1_PKPS1_Ev13rocblas_fill_17rocblas_diagonal_T3_lilT4_lli
; %bb.0:
	s_clause 0x1
	s_load_b128 s[8:11], s[0:1], 0x8
	s_load_b128 s[4:7], s[0:1], 0x28
	s_mov_b32 s2, s15
	s_mov_b32 s3, 0
	v_cmp_lt_u32_e32 vcc_lo, 31, v0
	s_lshl_b64 s[2:3], s[2:3], 3
	v_mov_b32_e32 v15, v0
	s_waitcnt lgkmcnt(0)
	s_add_u32 s8, s8, s2
	s_addc_u32 s9, s9, s3
	s_add_u32 s2, s4, s2
	s_addc_u32 s3, s5, s3
	s_load_b64 s[18:19], s[8:9], 0x0
	s_load_b64 s[8:9], s[2:3], 0x0
	v_cmp_gt_u32_e64 s2, 16, v0
	v_cmp_gt_u32_e64 s3, 32, v0
	s_mov_b32 s5, exec_lo
	v_cmpx_lt_u32_e32 15, v0
	s_cbranch_execz .LBB258_6
; %bb.1:
                                        ; implicit-def: $vgpr15
	s_and_saveexec_b32 s4, vcc_lo
	s_delay_alu instid0(SALU_CYCLE_1)
	s_xor_b32 s4, exec_lo, s4
; %bb.2:
	v_subrev_nc_u32_e32 v15, 32, v0
; %bb.3:
	s_and_not1_saveexec_b32 s4, s4
; %bb.4:
	v_add_nc_u32_e32 v15, -16, v0
; %bb.5:
	s_or_b32 exec_lo, exec_lo, s4
.LBB258_6:
	s_delay_alu instid0(SALU_CYCLE_1)
	s_or_b32 exec_lo, exec_lo, s5
	s_clause 0x1
	s_load_b32 s12, s[0:1], 0x18
	s_load_b64 s[4:5], s[0:1], 0x0
	s_lshl_b32 s1, s14, 1
	v_cndmask_b32_e64 v3, 0, 0x3000, s3
	s_waitcnt lgkmcnt(0)
	s_ashr_i32 s13, s12, 31
	s_delay_alu instid0(SALU_CYCLE_1) | instskip(NEXT) | instid1(SALU_CYCLE_1)
	s_lshl_b64 s[16:17], s[12:13], 4
	s_add_u32 s0, s16, 16
	s_addc_u32 s20, s17, 0
	s_mul_hi_u32 s15, s0, s1
	s_mul_i32 s21, s20, s1
	s_mul_i32 s22, s0, s1
	s_add_i32 s23, s15, s21
	s_delay_alu instid0(SALU_CYCLE_1) | instskip(NEXT) | instid1(SALU_CYCLE_1)
	s_lshl_b64 s[22:23], s[22:23], 4
	s_add_u32 s15, s18, s22
	s_addc_u32 s21, s19, s23
	s_lshl_b64 s[18:19], s[10:11], 4
	s_delay_alu instid0(SALU_CYCLE_1) | instskip(SKIP_2) | instid1(SALU_CYCLE_1)
	s_add_u32 s11, s15, s18
	s_addc_u32 s15, s21, s19
	s_and_saveexec_b32 s10, vcc_lo
	s_xor_b32 s10, exec_lo, s10
	s_cbranch_execz .LBB258_13
; %bb.7:
	s_mov_b32 s18, exec_lo
	v_cmpx_gt_u32_e32 48, v0
	s_cbranch_execz .LBB258_12
; %bb.8:
	v_mov_b32_e32 v16, 0
	s_cmpk_eq_i32 s4, 0x7a
	s_mov_b32 s19, -1
	s_delay_alu instid0(VALU_DEP_1)
	v_lshlrev_b64 v[1:2], 4, v[15:16]
	s_cbranch_scc1 .LBB258_10
; %bb.9:
	s_lshl_b64 s[22:23], s[12:13], 8
	s_delay_alu instid0(SALU_CYCLE_1) | instskip(SKIP_1) | instid1(VALU_DEP_1)
	s_add_u32 s19, s11, s22
	s_addc_u32 s21, s15, s23
	v_add_co_u32 v12, vcc_lo, s19, v1
	v_add_co_ci_u32_e32 v13, vcc_lo, s21, v2, vcc_lo
	s_mov_b32 s19, 0
	s_delay_alu instid0(VALU_DEP_1) | instskip(NEXT) | instid1(VALU_DEP_1)
	v_mad_i64_i32 v[4:5], null, 0xf0, s12, v[12:13]
	v_sub_co_u32 v8, vcc_lo, v4, s16
	s_delay_alu instid0(VALU_DEP_2)
	v_subrev_co_ci_u32_e32 v9, vcc_lo, s17, v5, vcc_lo
	global_load_b128 v[4:7], v[4:5], off
	v_sub_co_u32 v16, vcc_lo, v8, s16
	v_subrev_co_ci_u32_e32 v17, vcc_lo, s17, v9, vcc_lo
	global_load_b128 v[8:11], v[8:9], off
	v_sub_co_u32 v20, vcc_lo, v16, s16
	;; [unrolled: 3-line block ×10, first 2 shown]
	v_subrev_co_ci_u32_e32 v53, vcc_lo, s17, v49, vcc_lo
	s_delay_alu instid0(VALU_DEP_2) | instskip(NEXT) | instid1(VALU_DEP_2)
	v_sub_co_u32 v56, vcc_lo, v52, s16
	v_subrev_co_ci_u32_e32 v57, vcc_lo, s17, v53, vcc_lo
	s_delay_alu instid0(VALU_DEP_2) | instskip(NEXT) | instid1(VALU_DEP_2)
	v_sub_co_u32 v60, vcc_lo, v56, s16
	;; [unrolled: 3-line block ×3, first 2 shown]
	v_subrev_co_ci_u32_e32 v65, vcc_lo, s17, v61, vcc_lo
	global_load_b128 v[48:51], v[48:49], off
	global_load_b128 v[52:55], v[52:53], off
	;; [unrolled: 1-line block ×6, first 2 shown]
	v_lshlrev_b32_e32 v12, 4, v15
	s_delay_alu instid0(VALU_DEP_1)
	v_add_nc_u32_e32 v13, 0xf00, v12
	v_add_nc_u32_e32 v14, 0xe00, v12
	;; [unrolled: 1-line block ×8, first 2 shown]
	s_waitcnt vmcnt(15)
	ds_store_2addr_b64 v13, v[4:5], v[6:7] offset1:1
	s_waitcnt vmcnt(14)
	ds_store_2addr_b64 v14, v[8:9], v[10:11] offset1:1
	;; [unrolled: 2-line block ×8, first 2 shown]
	s_waitcnt vmcnt(7)
	ds_store_2addr_b64 v12, v[40:41], v[42:43] offset0:224 offset1:225
	s_waitcnt vmcnt(6)
	ds_store_2addr_b64 v12, v[44:45], v[46:47] offset0:192 offset1:193
	;; [unrolled: 2-line block ×7, first 2 shown]
	s_waitcnt vmcnt(0)
	ds_store_2addr_b64 v12, v[68:69], v[70:71] offset1:1
.LBB258_10:
	s_and_not1_b32 vcc_lo, exec_lo, s19
	s_cbranch_vccnz .LBB258_12
; %bb.11:
	s_delay_alu instid0(VALU_DEP_1) | instskip(NEXT) | instid1(VALU_DEP_2)
	v_add_co_u32 v1, vcc_lo, s11, v1
	v_add_co_ci_u32_e32 v2, vcc_lo, s15, v2, vcc_lo
	s_delay_alu instid0(VALU_DEP_2) | instskip(NEXT) | instid1(VALU_DEP_2)
	v_add_co_u32 v8, vcc_lo, v1, s16
	v_add_co_ci_u32_e32 v9, vcc_lo, s17, v2, vcc_lo
	s_delay_alu instid0(VALU_DEP_2) | instskip(NEXT) | instid1(VALU_DEP_2)
	v_add_co_u32 v12, vcc_lo, v8, s16
	v_add_co_ci_u32_e32 v13, vcc_lo, s17, v9, vcc_lo
	s_clause 0x1
	global_load_b128 v[4:7], v[1:2], off offset:256
	global_load_b128 v[8:11], v[8:9], off offset:256
	v_add_co_u32 v20, vcc_lo, v12, s16
	v_add_co_ci_u32_e32 v21, vcc_lo, s17, v13, vcc_lo
	global_load_b128 v[16:19], v[12:13], off offset:256
	v_add_co_u32 v24, vcc_lo, v20, s16
	v_add_co_ci_u32_e32 v25, vcc_lo, s17, v21, vcc_lo
	;; [unrolled: 3-line block ×10, first 2 shown]
	s_delay_alu instid0(VALU_DEP_2) | instskip(NEXT) | instid1(VALU_DEP_2)
	v_add_co_u32 v60, vcc_lo, v12, s16
	v_add_co_ci_u32_e32 v61, vcc_lo, s17, v13, vcc_lo
	s_delay_alu instid0(VALU_DEP_2) | instskip(NEXT) | instid1(VALU_DEP_2)
	v_add_co_u32 v64, vcc_lo, v60, s16
	v_add_co_ci_u32_e32 v65, vcc_lo, s17, v61, vcc_lo
	;; [unrolled: 3-line block ×3, first 2 shown]
	global_load_b128 v[52:55], v[1:2], off offset:256
	global_load_b128 v[56:59], v[12:13], off offset:256
	;; [unrolled: 1-line block ×5, first 2 shown]
	v_lshlrev_b32_e32 v1, 4, v15
	s_waitcnt vmcnt(15)
	ds_store_2addr_b64 v1, v[4:5], v[6:7] offset1:1
	s_waitcnt vmcnt(14)
	ds_store_2addr_b64 v1, v[8:9], v[10:11] offset0:32 offset1:33
	s_waitcnt vmcnt(13)
	ds_store_2addr_b64 v1, v[16:17], v[18:19] offset0:64 offset1:65
	;; [unrolled: 2-line block ×3, first 2 shown]
	v_add_nc_u32_e32 v2, 0x800, v1
	v_add_nc_u32_e32 v4, 0x900, v1
	;; [unrolled: 1-line block ×5, first 2 shown]
	s_waitcnt vmcnt(11)
	ds_store_2addr_b64 v1, v[24:25], v[26:27] offset0:128 offset1:129
	s_waitcnt vmcnt(10)
	ds_store_2addr_b64 v1, v[28:29], v[30:31] offset0:160 offset1:161
	;; [unrolled: 2-line block ×4, first 2 shown]
	s_waitcnt vmcnt(7)
	ds_store_2addr_b64 v2, v[40:41], v[42:43] offset1:1
	s_waitcnt vmcnt(6)
	ds_store_2addr_b64 v4, v[44:45], v[46:47] offset1:1
	v_add_nc_u32_e32 v2, 0xa00, v1
	v_add_nc_u32_e32 v4, 0xb00, v1
	;; [unrolled: 1-line block ×3, first 2 shown]
	s_waitcnt vmcnt(5)
	ds_store_2addr_b64 v2, v[48:49], v[50:51] offset1:1
	s_waitcnt vmcnt(4)
	ds_store_2addr_b64 v4, v[52:53], v[54:55] offset1:1
	;; [unrolled: 2-line block ×6, first 2 shown]
.LBB258_12:
	s_or_b32 exec_lo, exec_lo, s18
.LBB258_13:
	s_or_saveexec_b32 s10, s10
	v_cndmask_b32_e64 v17, v3, 0x2000, s2
	s_xor_b32 exec_lo, exec_lo, s10
	s_cbranch_execz .LBB258_80
; %bb.14:
	v_cndmask_b32_e64 v2, s20, 0, s2
	v_cndmask_b32_e64 v1, s0, 0, s2
	s_cmpk_eq_i32 s4, 0x7a
	s_mov_b32 s0, -1
	s_delay_alu instid0(VALU_DEP_1)
	v_lshlrev_b64 v[18:19], 4, v[1:2]
	s_cbranch_scc1 .LBB258_48
; %bb.15:
	v_dual_mov_b32 v16, 0 :: v_dual_mov_b32 v1, 0
	s_delay_alu instid0(VALU_DEP_2) | instskip(NEXT) | instid1(VALU_DEP_3)
	v_add_co_u32 v5, vcc_lo, s11, v18
	v_add_co_ci_u32_e32 v6, vcc_lo, s15, v19, vcc_lo
	s_delay_alu instid0(VALU_DEP_3) | instskip(SKIP_1) | instid1(VALU_DEP_1)
	v_lshlrev_b64 v[3:4], 4, v[15:16]
	v_mov_b32_e32 v2, 0
	v_dual_mov_b32 v8, v2 :: v_dual_mov_b32 v7, v1
	s_delay_alu instid0(VALU_DEP_3) | instskip(NEXT) | instid1(VALU_DEP_1)
	v_add_co_u32 v20, s0, v5, v3
	v_add_co_ci_u32_e64 v21, s0, v6, v4, s0
	v_dual_mov_b32 v6, v2 :: v_dual_mov_b32 v5, v1
	s_mov_b32 s0, exec_lo
	v_cmpx_gt_u32_e32 16, v15
	s_cbranch_execz .LBB258_17
; %bb.16:
	v_mad_i64_i32 v[3:4], null, 0xf0, s12, v[20:21]
	global_load_b128 v[5:8], v[3:4], off
.LBB258_17:
	s_or_b32 exec_lo, exec_lo, s0
	v_sub_nc_u32_e32 v3, 0xffffff10, v15
	s_mov_b32 s0, exec_lo
	s_delay_alu instid0(VALU_DEP_1)
	v_lshl_add_u32 v9, v3, 4, v17
	v_dual_mov_b32 v4, v2 :: v_dual_mov_b32 v3, v1
	s_waitcnt vmcnt(0)
	ds_store_b128 v9, v[5:8] offset:4080
	v_cmpx_gt_u32_e32 15, v15
	s_cbranch_execz .LBB258_19
; %bb.18:
	v_mad_i64_i32 v[1:2], null, 0xe0, s12, v[20:21]
	global_load_b128 v[1:4], v[1:2], off
.LBB258_19:
	s_or_b32 exec_lo, exec_lo, s0
	v_mov_b32_e32 v7, 0
	v_sub_nc_u32_e32 v5, 0xffffff20, v15
	v_mov_b32_e32 v8, 0
	s_mov_b32 s0, exec_lo
	s_delay_alu instid0(VALU_DEP_2) | instskip(NEXT) | instid1(VALU_DEP_2)
	v_lshl_add_u32 v5, v5, 4, v17
	v_dual_mov_b32 v12, v8 :: v_dual_mov_b32 v11, v7
	v_dual_mov_b32 v14, v8 :: v_dual_mov_b32 v13, v7
	s_waitcnt vmcnt(0)
	ds_store_b128 v5, v[1:4] offset:4080
	v_cmpx_gt_u32_e32 14, v15
	s_cbranch_execz .LBB258_21
; %bb.20:
	v_mad_i64_i32 v[1:2], null, 0xd0, s12, v[20:21]
	global_load_b128 v[11:14], v[1:2], off
.LBB258_21:
	s_or_b32 exec_lo, exec_lo, s0
	v_sub_nc_u32_e32 v1, 0xffffff30, v15
	v_dual_mov_b32 v10, v8 :: v_dual_mov_b32 v9, v7
	s_mov_b32 s0, exec_lo
	s_delay_alu instid0(VALU_DEP_2)
	v_lshl_add_u32 v1, v1, 4, v17
	s_waitcnt vmcnt(0)
	ds_store_b128 v1, v[11:14] offset:4080
	v_cmpx_gt_u32_e32 13, v15
	s_cbranch_execz .LBB258_23
; %bb.22:
	v_mad_i64_i32 v[1:2], null, 0xc0, s12, v[20:21]
	global_load_b128 v[7:10], v[1:2], off
.LBB258_23:
	s_or_b32 exec_lo, exec_lo, s0
	v_mov_b32_e32 v5, 0
	v_sub_nc_u32_e32 v1, 0xffffff40, v15
	v_mov_b32_e32 v6, 0
	s_delay_alu instid0(VALU_DEP_3) | instskip(SKIP_1) | instid1(VALU_DEP_3)
	v_mov_b32_e32 v3, v5
	s_mov_b32 s0, exec_lo
	v_lshl_add_u32 v11, v1, 4, v17
	s_delay_alu instid0(VALU_DEP_3)
	v_dual_mov_b32 v4, v6 :: v_dual_mov_b32 v1, v5
	v_mov_b32_e32 v2, v6
	s_waitcnt vmcnt(0)
	ds_store_b128 v11, v[7:10] offset:4080
	v_cmpx_gt_u32_e32 12, v15
	s_cbranch_execz .LBB258_25
; %bb.24:
	v_mad_i64_i32 v[1:2], null, 0xb0, s12, v[20:21]
	global_load_b128 v[1:4], v[1:2], off
.LBB258_25:
	s_or_b32 exec_lo, exec_lo, s0
	v_sub_nc_u32_e32 v7, 0xffffff50, v15
	s_mov_b32 s0, exec_lo
	s_delay_alu instid0(VALU_DEP_1)
	v_lshl_add_u32 v9, v7, 4, v17
	v_dual_mov_b32 v8, v6 :: v_dual_mov_b32 v7, v5
	s_waitcnt vmcnt(0)
	ds_store_b128 v9, v[1:4] offset:4080
	v_cmpx_gt_u32_e32 11, v15
	s_cbranch_execz .LBB258_27
; %bb.26:
	v_mad_i64_i32 v[1:2], null, 0xa0, s12, v[20:21]
	global_load_b128 v[5:8], v[1:2], off
.LBB258_27:
	s_or_b32 exec_lo, exec_lo, s0
	v_mov_b32_e32 v3, 0
	v_sub_nc_u32_e32 v1, 0xffffff60, v15
	v_mov_b32_e32 v4, 0
	s_mov_b32 s0, exec_lo
	s_delay_alu instid0(VALU_DEP_2) | instskip(NEXT) | instid1(VALU_DEP_2)
	v_lshl_add_u32 v1, v1, 4, v17
	v_dual_mov_b32 v10, v4 :: v_dual_mov_b32 v9, v3
	v_dual_mov_b32 v12, v4 :: v_dual_mov_b32 v11, v3
	s_waitcnt vmcnt(0)
	ds_store_b128 v1, v[5:8] offset:4080
	v_cmpx_gt_u32_e32 10, v15
	s_cbranch_execz .LBB258_29
; %bb.28:
	v_mad_i64_i32 v[1:2], null, 0x90, s12, v[20:21]
	global_load_b128 v[9:12], v[1:2], off
.LBB258_29:
	s_or_b32 exec_lo, exec_lo, s0
	v_sub_nc_u32_e32 v1, 0xffffff70, v15
	v_dual_mov_b32 v6, v4 :: v_dual_mov_b32 v5, v3
	s_mov_b32 s0, exec_lo
	s_delay_alu instid0(VALU_DEP_2)
	v_lshl_add_u32 v1, v1, 4, v17
	s_waitcnt vmcnt(0)
	ds_store_b128 v1, v[9:12] offset:4080
	v_cmpx_gt_u32_e32 9, v15
	s_cbranch_execz .LBB258_31
; %bb.30:
	s_lshl_b64 s[18:19], s[12:13], 7
	s_delay_alu instid0(SALU_CYCLE_1)
	v_add_co_u32 v1, vcc_lo, v20, s18
	v_add_co_ci_u32_e32 v2, vcc_lo, s19, v21, vcc_lo
	global_load_b128 v[3:6], v[1:2], off
.LBB258_31:
	s_or_b32 exec_lo, exec_lo, s0
	v_mov_b32_e32 v1, 0
	v_sub_nc_u32_e32 v7, 0xffffff80, v15
	v_mov_b32_e32 v2, 0
	s_mov_b32 s0, exec_lo
	s_delay_alu instid0(VALU_DEP_2) | instskip(NEXT) | instid1(VALU_DEP_2)
	v_lshl_add_u32 v11, v7, 4, v17
	v_dual_mov_b32 v8, v2 :: v_dual_mov_b32 v7, v1
	v_dual_mov_b32 v10, v2 :: v_dual_mov_b32 v9, v1
	s_waitcnt vmcnt(0)
	ds_store_b128 v11, v[3:6] offset:4080
	v_cmpx_gt_u32_e32 8, v15
	s_cbranch_execz .LBB258_33
; %bb.32:
	v_mad_i64_i32 v[3:4], null, 0x70, s12, v[20:21]
	global_load_b128 v[7:10], v[3:4], off
.LBB258_33:
	s_or_b32 exec_lo, exec_lo, s0
	v_sub_nc_u32_e32 v3, 0xffffff90, v15
	s_mov_b32 s0, exec_lo
	s_delay_alu instid0(VALU_DEP_1)
	v_lshl_add_u32 v5, v3, 4, v17
	v_dual_mov_b32 v4, v2 :: v_dual_mov_b32 v3, v1
	s_waitcnt vmcnt(0)
	ds_store_b128 v5, v[7:10] offset:4080
	v_cmpx_gt_u32_e32 7, v15
	s_cbranch_execz .LBB258_35
; %bb.34:
	v_mad_i64_i32 v[1:2], null, 0x60, s12, v[20:21]
	global_load_b128 v[1:4], v[1:2], off
.LBB258_35:
	s_or_b32 exec_lo, exec_lo, s0
	v_mov_b32_e32 v5, 0
	v_sub_nc_u32_e32 v7, 0xffffffa0, v15
	v_mov_b32_e32 v6, 0
	s_mov_b32 s0, exec_lo
	s_delay_alu instid0(VALU_DEP_2) | instskip(NEXT) | instid1(VALU_DEP_2)
	v_lshl_add_u32 v7, v7, 4, v17
	v_dual_mov_b32 v10, v6 :: v_dual_mov_b32 v9, v5
	v_dual_mov_b32 v12, v6 :: v_dual_mov_b32 v11, v5
	s_waitcnt vmcnt(0)
	ds_store_b128 v7, v[1:4] offset:4080
	v_cmpx_gt_u32_e32 6, v15
	s_cbranch_execz .LBB258_37
; %bb.36:
	v_mad_i64_i32 v[1:2], null, 0x50, s12, v[20:21]
	global_load_b128 v[9:12], v[1:2], off
.LBB258_37:
	s_or_b32 exec_lo, exec_lo, s0
	v_sub_nc_u32_e32 v1, 0xffffffb0, v15
	v_dual_mov_b32 v8, v6 :: v_dual_mov_b32 v7, v5
	s_mov_b32 s0, exec_lo
	s_delay_alu instid0(VALU_DEP_2)
	v_lshl_add_u32 v1, v1, 4, v17
	s_waitcnt vmcnt(0)
	ds_store_b128 v1, v[9:12] offset:4080
	v_cmpx_gt_u32_e32 5, v15
	s_cbranch_execz .LBB258_39
; %bb.38:
	s_lshl_b64 s[18:19], s[12:13], 6
	s_delay_alu instid0(SALU_CYCLE_1)
	v_add_co_u32 v1, vcc_lo, v20, s18
	v_add_co_ci_u32_e32 v2, vcc_lo, s19, v21, vcc_lo
	global_load_b128 v[5:8], v[1:2], off
.LBB258_39:
	s_or_b32 exec_lo, exec_lo, s0
	v_mov_b32_e32 v3, 0
	v_sub_nc_u32_e32 v1, 0xffffffc0, v15
	v_mov_b32_e32 v4, 0
	s_mov_b32 s0, exec_lo
	s_delay_alu instid0(VALU_DEP_2) | instskip(NEXT) | instid1(VALU_DEP_2)
	v_lshl_add_u32 v1, v1, 4, v17
	v_dual_mov_b32 v10, v4 :: v_dual_mov_b32 v9, v3
	v_dual_mov_b32 v12, v4 :: v_dual_mov_b32 v11, v3
	s_waitcnt vmcnt(0)
	ds_store_b128 v1, v[5:8] offset:4080
	v_cmpx_gt_u32_e32 4, v15
	s_cbranch_execz .LBB258_41
; %bb.40:
	v_mad_i64_i32 v[1:2], null, s12, 48, v[20:21]
	global_load_b128 v[9:12], v[1:2], off
.LBB258_41:
	s_or_b32 exec_lo, exec_lo, s0
	v_sub_nc_u32_e32 v1, 0xffffffd0, v15
	v_dual_mov_b32 v6, v4 :: v_dual_mov_b32 v5, v3
	s_mov_b32 s0, exec_lo
	s_delay_alu instid0(VALU_DEP_2)
	v_lshl_add_u32 v1, v1, 4, v17
	s_waitcnt vmcnt(0)
	ds_store_b128 v1, v[9:12] offset:4080
	v_cmpx_gt_u32_e32 3, v15
	s_cbranch_execz .LBB258_43
; %bb.42:
	s_lshl_b64 s[18:19], s[12:13], 5
	s_delay_alu instid0(SALU_CYCLE_1)
	v_add_co_u32 v1, vcc_lo, v20, s18
	v_add_co_ci_u32_e32 v2, vcc_lo, s19, v21, vcc_lo
	global_load_b128 v[3:6], v[1:2], off
.LBB258_43:
	s_or_b32 exec_lo, exec_lo, s0
	v_mov_b32_e32 v1, 0
	v_sub_nc_u32_e32 v7, 0xffffffe0, v15
	v_mov_b32_e32 v2, 0
	s_mov_b32 s0, exec_lo
	s_delay_alu instid0(VALU_DEP_2) | instskip(NEXT) | instid1(VALU_DEP_2)
	v_lshl_add_u32 v11, v7, 4, v17
	v_dual_mov_b32 v8, v2 :: v_dual_mov_b32 v7, v1
	v_dual_mov_b32 v10, v2 :: v_dual_mov_b32 v9, v1
	s_waitcnt vmcnt(0)
	ds_store_b128 v11, v[3:6] offset:4080
	v_cmpx_gt_u32_e32 2, v15
	s_cbranch_execz .LBB258_45
; %bb.44:
	v_add_co_u32 v3, vcc_lo, v20, s16
	v_add_co_ci_u32_e32 v4, vcc_lo, s17, v21, vcc_lo
	global_load_b128 v[7:10], v[3:4], off
.LBB258_45:
	s_or_b32 exec_lo, exec_lo, s0
	v_sub_nc_u32_e32 v3, -16, v15
	s_mov_b32 s0, 0
	s_mov_b32 s18, exec_lo
	s_delay_alu instid0(VALU_DEP_1)
	v_lshl_add_u32 v5, v3, 4, v17
	v_dual_mov_b32 v4, v2 :: v_dual_mov_b32 v3, v1
	s_waitcnt vmcnt(0)
	ds_store_b128 v5, v[7:10] offset:4080
	v_cmpx_eq_u32_e32 0, v15
	s_cbranch_execz .LBB258_47
; %bb.46:
	global_load_b128 v[1:4], v[20:21], off
.LBB258_47:
	s_or_b32 exec_lo, exec_lo, s18
	v_lshlrev_b32_e32 v5, 4, v15
	s_delay_alu instid0(VALU_DEP_1)
	v_sub_nc_u32_e32 v5, v17, v5
	s_waitcnt vmcnt(0)
	ds_store_b128 v5, v[1:4] offset:4080
.LBB258_48:
	s_and_b32 vcc_lo, exec_lo, s0
	s_cbranch_vccz .LBB258_80
; %bb.49:
	v_mov_b32_e32 v16, 0
	s_delay_alu instid0(VALU_DEP_2) | instskip(SKIP_1) | instid1(VALU_DEP_3)
	v_add_co_u32 v3, vcc_lo, s11, v18
	v_add_co_ci_u32_e32 v4, vcc_lo, s15, v19, vcc_lo
	v_lshlrev_b64 v[1:2], 4, v[15:16]
	v_lshl_add_u32 v16, v15, 4, v17
	s_mov_b32 s0, exec_lo
	s_delay_alu instid0(VALU_DEP_2) | instskip(NEXT) | instid1(VALU_DEP_3)
	v_add_co_u32 v13, vcc_lo, v3, v1
	v_add_co_ci_u32_e32 v14, vcc_lo, v4, v2, vcc_lo
	v_mov_b32_e32 v1, 0
	v_mov_b32_e32 v2, 0
	global_load_b128 v[9:12], v[13:14], off
	v_dual_mov_b32 v6, v2 :: v_dual_mov_b32 v5, v1
	v_dual_mov_b32 v8, v2 :: v_dual_mov_b32 v7, v1
	s_waitcnt vmcnt(0)
	ds_store_b128 v16, v[9:12]
	v_cmpx_ne_u32_e32 0, v15
	s_cbranch_execz .LBB258_51
; %bb.50:
	v_add_co_u32 v3, vcc_lo, v13, s16
	v_add_co_ci_u32_e32 v4, vcc_lo, s17, v14, vcc_lo
	global_load_b128 v[5:8], v[3:4], off
.LBB258_51:
	s_or_b32 exec_lo, exec_lo, s0
	v_dual_mov_b32 v4, v2 :: v_dual_mov_b32 v3, v1
	s_mov_b32 s0, exec_lo
	s_waitcnt vmcnt(0)
	ds_store_b128 v16, v[5:8] offset:256
	v_cmpx_lt_u32_e32 1, v15
	s_cbranch_execz .LBB258_53
; %bb.52:
	s_lshl_b64 s[16:17], s[12:13], 5
	s_delay_alu instid0(SALU_CYCLE_1)
	v_add_co_u32 v1, vcc_lo, v13, s16
	v_add_co_ci_u32_e32 v2, vcc_lo, s17, v14, vcc_lo
	global_load_b128 v[1:4], v[1:2], off
.LBB258_53:
	s_or_b32 exec_lo, exec_lo, s0
	v_mov_b32_e32 v5, 0
	v_mov_b32_e32 v6, 0
	s_mov_b32 s0, exec_lo
	s_waitcnt vmcnt(0)
	ds_store_b128 v16, v[1:4] offset:512
	v_dual_mov_b32 v10, v6 :: v_dual_mov_b32 v9, v5
	v_dual_mov_b32 v12, v6 :: v_dual_mov_b32 v11, v5
	v_cmpx_lt_u32_e32 2, v15
	s_cbranch_execz .LBB258_55
; %bb.54:
	v_mad_i64_i32 v[1:2], null, s12, 48, v[13:14]
	global_load_b128 v[9:12], v[1:2], off
.LBB258_55:
	s_or_b32 exec_lo, exec_lo, s0
	v_dual_mov_b32 v8, v6 :: v_dual_mov_b32 v7, v5
	s_mov_b32 s0, exec_lo
	s_waitcnt vmcnt(0)
	ds_store_b128 v16, v[9:12] offset:768
	v_cmpx_lt_u32_e32 3, v15
	s_cbranch_execz .LBB258_57
; %bb.56:
	s_lshl_b64 s[16:17], s[12:13], 6
	s_delay_alu instid0(SALU_CYCLE_1)
	v_add_co_u32 v1, vcc_lo, v13, s16
	v_add_co_ci_u32_e32 v2, vcc_lo, s17, v14, vcc_lo
	global_load_b128 v[5:8], v[1:2], off
.LBB258_57:
	s_or_b32 exec_lo, exec_lo, s0
	v_mov_b32_e32 v3, 0
	v_mov_b32_e32 v4, 0
	s_mov_b32 s0, exec_lo
	s_waitcnt vmcnt(0)
	ds_store_b128 v16, v[5:8] offset:1024
	v_dual_mov_b32 v10, v4 :: v_dual_mov_b32 v9, v3
	v_dual_mov_b32 v12, v4 :: v_dual_mov_b32 v11, v3
	v_cmpx_lt_u32_e32 4, v15
	s_cbranch_execz .LBB258_59
; %bb.58:
	v_mad_i64_i32 v[1:2], null, 0x50, s12, v[13:14]
	global_load_b128 v[9:12], v[1:2], off
.LBB258_59:
	s_or_b32 exec_lo, exec_lo, s0
	v_dual_mov_b32 v6, v4 :: v_dual_mov_b32 v5, v3
	s_mov_b32 s0, exec_lo
	s_waitcnt vmcnt(0)
	ds_store_b128 v16, v[9:12] offset:1280
	v_cmpx_lt_u32_e32 5, v15
	s_cbranch_execz .LBB258_61
; %bb.60:
	v_mad_i64_i32 v[1:2], null, 0x60, s12, v[13:14]
	global_load_b128 v[3:6], v[1:2], off
.LBB258_61:
	s_or_b32 exec_lo, exec_lo, s0
	v_mov_b32_e32 v1, 0
	v_mov_b32_e32 v2, 0
	s_mov_b32 s0, exec_lo
	s_waitcnt vmcnt(0)
	ds_store_b128 v16, v[3:6] offset:1536
	v_dual_mov_b32 v8, v2 :: v_dual_mov_b32 v7, v1
	v_dual_mov_b32 v10, v2 :: v_dual_mov_b32 v9, v1
	v_cmpx_lt_u32_e32 6, v15
	s_cbranch_execz .LBB258_63
; %bb.62:
	v_mad_i64_i32 v[3:4], null, 0x70, s12, v[13:14]
	global_load_b128 v[7:10], v[3:4], off
.LBB258_63:
	s_or_b32 exec_lo, exec_lo, s0
	v_dual_mov_b32 v4, v2 :: v_dual_mov_b32 v3, v1
	s_mov_b32 s0, exec_lo
	s_waitcnt vmcnt(0)
	ds_store_b128 v16, v[7:10] offset:1792
	v_cmpx_lt_u32_e32 7, v15
	s_cbranch_execz .LBB258_65
; %bb.64:
	s_lshl_b64 s[16:17], s[12:13], 7
	s_delay_alu instid0(SALU_CYCLE_1)
	v_add_co_u32 v1, vcc_lo, v13, s16
	v_add_co_ci_u32_e32 v2, vcc_lo, s17, v14, vcc_lo
	global_load_b128 v[1:4], v[1:2], off
.LBB258_65:
	s_or_b32 exec_lo, exec_lo, s0
	v_mov_b32_e32 v5, 0
	v_mov_b32_e32 v6, 0
	s_mov_b32 s0, exec_lo
	s_waitcnt vmcnt(0)
	ds_store_b128 v16, v[1:4] offset:2048
	v_dual_mov_b32 v10, v6 :: v_dual_mov_b32 v9, v5
	v_dual_mov_b32 v12, v6 :: v_dual_mov_b32 v11, v5
	v_cmpx_lt_u32_e32 8, v15
	s_cbranch_execz .LBB258_67
; %bb.66:
	v_mad_i64_i32 v[1:2], null, 0x90, s12, v[13:14]
	global_load_b128 v[9:12], v[1:2], off
.LBB258_67:
	s_or_b32 exec_lo, exec_lo, s0
	v_dual_mov_b32 v8, v6 :: v_dual_mov_b32 v7, v5
	s_mov_b32 s0, exec_lo
	s_waitcnt vmcnt(0)
	ds_store_b128 v16, v[9:12] offset:2304
	v_cmpx_lt_u32_e32 9, v15
	s_cbranch_execz .LBB258_69
; %bb.68:
	v_mad_i64_i32 v[1:2], null, 0xa0, s12, v[13:14]
	global_load_b128 v[5:8], v[1:2], off
.LBB258_69:
	s_or_b32 exec_lo, exec_lo, s0
	v_mov_b32_e32 v3, 0
	v_mov_b32_e32 v4, 0
	s_mov_b32 s0, exec_lo
	s_waitcnt vmcnt(0)
	ds_store_b128 v16, v[5:8] offset:2560
	v_dual_mov_b32 v10, v4 :: v_dual_mov_b32 v9, v3
	v_dual_mov_b32 v12, v4 :: v_dual_mov_b32 v11, v3
	v_cmpx_lt_u32_e32 10, v15
	s_cbranch_execz .LBB258_71
; %bb.70:
	v_mad_i64_i32 v[1:2], null, 0xb0, s12, v[13:14]
	global_load_b128 v[9:12], v[1:2], off
.LBB258_71:
	s_or_b32 exec_lo, exec_lo, s0
	v_dual_mov_b32 v6, v4 :: v_dual_mov_b32 v5, v3
	s_mov_b32 s0, exec_lo
	s_waitcnt vmcnt(0)
	ds_store_b128 v16, v[9:12] offset:2816
	v_cmpx_lt_u32_e32 11, v15
	s_cbranch_execz .LBB258_73
; %bb.72:
	v_mad_i64_i32 v[1:2], null, 0xc0, s12, v[13:14]
	global_load_b128 v[3:6], v[1:2], off
.LBB258_73:
	;; [unrolled: 25-line block ×3, first 2 shown]
	s_or_b32 exec_lo, exec_lo, s0
	v_mov_b32_e32 v5, 0
	v_mov_b32_e32 v6, 0
	s_mov_b32 s0, exec_lo
	s_waitcnt vmcnt(0)
	ds_store_b128 v16, v[1:4] offset:3584
	v_dual_mov_b32 v8, v6 :: v_dual_mov_b32 v7, v5
	v_cmpx_lt_u32_e32 14, v15
	s_cbranch_execz .LBB258_79
; %bb.78:
	v_mad_i64_i32 v[1:2], null, 0xf0, s12, v[13:14]
	global_load_b128 v[5:8], v[1:2], off
.LBB258_79:
	s_or_b32 exec_lo, exec_lo, s0
	s_waitcnt vmcnt(0)
	ds_store_b128 v16, v[5:8] offset:3840
.LBB258_80:
	s_or_b32 exec_lo, exec_lo, s10
	v_mul_i32_i24_e32 v9, 0x110, v15
	s_waitcnt lgkmcnt(0)
	s_barrier
	buffer_gl0_inv
	s_and_saveexec_b32 s10, s3
	s_cbranch_execz .LBB258_91
; %bb.81:
	v_add_nc_u32_e32 v10, v17, v9
	s_cmpk_eq_i32 s5, 0x84
	s_cbranch_scc1 .LBB258_89
; %bb.82:
	ds_load_b128 v[1:4], v10
	v_mov_b32_e32 v7, 0
	v_dual_mov_b32 v8, 0 :: v_dual_mov_b32 v5, 0
	v_mov_b32_e32 v6, 0x3ff00000
	s_waitcnt lgkmcnt(0)
	v_cmp_neq_f64_e32 vcc_lo, 0, v[1:2]
	v_cmp_neq_f64_e64 s0, 0, v[3:4]
	s_delay_alu instid0(VALU_DEP_1) | instskip(NEXT) | instid1(SALU_CYCLE_1)
	s_or_b32 s0, vcc_lo, s0
	s_and_saveexec_b32 s5, s0
	s_cbranch_execz .LBB258_88
; %bb.83:
	v_cmp_gt_f64_e32 vcc_lo, 0, v[1:2]
	v_cmp_gt_f64_e64 s0, 0, v[3:4]
	v_xor_b32_e32 v5, 0x80000000, v2
	v_xor_b32_e32 v7, 0x80000000, v4
	s_delay_alu instid0(VALU_DEP_2) | instskip(NEXT) | instid1(VALU_DEP_2)
	v_cndmask_b32_e32 v6, v2, v5, vcc_lo
	v_cndmask_b32_e64 v8, v4, v7, s0
	v_cndmask_b32_e32 v5, v1, v1, vcc_lo
	v_cndmask_b32_e64 v7, v3, v3, s0
	s_delay_alu instid0(VALU_DEP_1) | instskip(SKIP_1) | instid1(SALU_CYCLE_1)
	v_cmp_ngt_f64_e32 vcc_lo, v[5:6], v[7:8]
                                        ; implicit-def: $vgpr7_vgpr8
	s_and_saveexec_b32 s0, vcc_lo
	s_xor_b32 s0, exec_lo, s0
	s_cbranch_execz .LBB258_85
; %bb.84:
	v_div_scale_f64 v[5:6], null, v[3:4], v[3:4], v[1:2]
	v_div_scale_f64 v[13:14], vcc_lo, v[1:2], v[3:4], v[1:2]
	s_delay_alu instid0(VALU_DEP_2) | instskip(SKIP_2) | instid1(VALU_DEP_1)
	v_rcp_f64_e32 v[7:8], v[5:6]
	s_waitcnt_depctr 0xfff
	v_fma_f64 v[11:12], -v[5:6], v[7:8], 1.0
	v_fma_f64 v[7:8], v[7:8], v[11:12], v[7:8]
	s_delay_alu instid0(VALU_DEP_1) | instskip(NEXT) | instid1(VALU_DEP_1)
	v_fma_f64 v[11:12], -v[5:6], v[7:8], 1.0
	v_fma_f64 v[7:8], v[7:8], v[11:12], v[7:8]
	s_delay_alu instid0(VALU_DEP_1) | instskip(NEXT) | instid1(VALU_DEP_1)
	v_mul_f64 v[11:12], v[13:14], v[7:8]
	v_fma_f64 v[5:6], -v[5:6], v[11:12], v[13:14]
	s_delay_alu instid0(VALU_DEP_1) | instskip(NEXT) | instid1(VALU_DEP_1)
	v_div_fmas_f64 v[5:6], v[5:6], v[7:8], v[11:12]
	v_div_fixup_f64 v[5:6], v[5:6], v[3:4], v[1:2]
	s_delay_alu instid0(VALU_DEP_1) | instskip(NEXT) | instid1(VALU_DEP_1)
	v_fma_f64 v[1:2], v[1:2], v[5:6], v[3:4]
	v_div_scale_f64 v[3:4], null, v[1:2], v[1:2], 1.0
	s_delay_alu instid0(VALU_DEP_1) | instskip(SKIP_2) | instid1(VALU_DEP_1)
	v_rcp_f64_e32 v[7:8], v[3:4]
	s_waitcnt_depctr 0xfff
	v_fma_f64 v[11:12], -v[3:4], v[7:8], 1.0
	v_fma_f64 v[7:8], v[7:8], v[11:12], v[7:8]
	s_delay_alu instid0(VALU_DEP_1) | instskip(NEXT) | instid1(VALU_DEP_1)
	v_fma_f64 v[11:12], -v[3:4], v[7:8], 1.0
	v_fma_f64 v[7:8], v[7:8], v[11:12], v[7:8]
	v_div_scale_f64 v[11:12], vcc_lo, 1.0, v[1:2], 1.0
	s_delay_alu instid0(VALU_DEP_1) | instskip(NEXT) | instid1(VALU_DEP_1)
	v_mul_f64 v[13:14], v[11:12], v[7:8]
	v_fma_f64 v[3:4], -v[3:4], v[13:14], v[11:12]
	s_delay_alu instid0(VALU_DEP_1) | instskip(NEXT) | instid1(VALU_DEP_1)
	v_div_fmas_f64 v[3:4], v[3:4], v[7:8], v[13:14]
	v_div_fixup_f64 v[7:8], v[3:4], v[1:2], 1.0
                                        ; implicit-def: $vgpr1_vgpr2
	s_delay_alu instid0(VALU_DEP_1)
	v_mul_f64 v[5:6], v[5:6], v[7:8]
	v_xor_b32_e32 v8, 0x80000000, v8
.LBB258_85:
	s_and_not1_saveexec_b32 s0, s0
	s_cbranch_execz .LBB258_87
; %bb.86:
	v_div_scale_f64 v[5:6], null, v[1:2], v[1:2], v[3:4]
	v_div_scale_f64 v[13:14], vcc_lo, v[3:4], v[1:2], v[3:4]
	s_delay_alu instid0(VALU_DEP_2) | instskip(SKIP_2) | instid1(VALU_DEP_1)
	v_rcp_f64_e32 v[7:8], v[5:6]
	s_waitcnt_depctr 0xfff
	v_fma_f64 v[11:12], -v[5:6], v[7:8], 1.0
	v_fma_f64 v[7:8], v[7:8], v[11:12], v[7:8]
	s_delay_alu instid0(VALU_DEP_1) | instskip(NEXT) | instid1(VALU_DEP_1)
	v_fma_f64 v[11:12], -v[5:6], v[7:8], 1.0
	v_fma_f64 v[7:8], v[7:8], v[11:12], v[7:8]
	s_delay_alu instid0(VALU_DEP_1) | instskip(NEXT) | instid1(VALU_DEP_1)
	v_mul_f64 v[11:12], v[13:14], v[7:8]
	v_fma_f64 v[5:6], -v[5:6], v[11:12], v[13:14]
	s_delay_alu instid0(VALU_DEP_1) | instskip(NEXT) | instid1(VALU_DEP_1)
	v_div_fmas_f64 v[5:6], v[5:6], v[7:8], v[11:12]
	v_div_fixup_f64 v[7:8], v[5:6], v[1:2], v[3:4]
	s_delay_alu instid0(VALU_DEP_1) | instskip(NEXT) | instid1(VALU_DEP_1)
	v_fma_f64 v[1:2], v[3:4], v[7:8], v[1:2]
	v_div_scale_f64 v[3:4], null, v[1:2], v[1:2], 1.0
	s_delay_alu instid0(VALU_DEP_1) | instskip(SKIP_2) | instid1(VALU_DEP_1)
	v_rcp_f64_e32 v[5:6], v[3:4]
	s_waitcnt_depctr 0xfff
	v_fma_f64 v[11:12], -v[3:4], v[5:6], 1.0
	v_fma_f64 v[5:6], v[5:6], v[11:12], v[5:6]
	s_delay_alu instid0(VALU_DEP_1) | instskip(NEXT) | instid1(VALU_DEP_1)
	v_fma_f64 v[11:12], -v[3:4], v[5:6], 1.0
	v_fma_f64 v[5:6], v[5:6], v[11:12], v[5:6]
	v_div_scale_f64 v[11:12], vcc_lo, 1.0, v[1:2], 1.0
	s_delay_alu instid0(VALU_DEP_1) | instskip(NEXT) | instid1(VALU_DEP_1)
	v_mul_f64 v[13:14], v[11:12], v[5:6]
	v_fma_f64 v[3:4], -v[3:4], v[13:14], v[11:12]
	s_delay_alu instid0(VALU_DEP_1) | instskip(NEXT) | instid1(VALU_DEP_1)
	v_div_fmas_f64 v[3:4], v[3:4], v[5:6], v[13:14]
	v_div_fixup_f64 v[5:6], v[3:4], v[1:2], 1.0
	s_delay_alu instid0(VALU_DEP_1)
	v_mul_f64 v[7:8], v[7:8], -v[5:6]
.LBB258_87:
	s_or_b32 exec_lo, exec_lo, s0
.LBB258_88:
	s_delay_alu instid0(SALU_CYCLE_1)
	s_or_b32 exec_lo, exec_lo, s5
	s_branch .LBB258_90
.LBB258_89:
	v_mov_b32_e32 v5, 0
	v_dual_mov_b32 v6, 0x3ff00000 :: v_dual_mov_b32 v7, 0
	v_mov_b32_e32 v8, 0
.LBB258_90:
	ds_store_b128 v10, v[5:8]
.LBB258_91:
	s_or_b32 exec_lo, exec_lo, s10
	s_waitcnt lgkmcnt(0)
	s_barrier
	buffer_gl0_inv
	s_and_saveexec_b32 s0, s3
	s_cbranch_execz .LBB258_103
; %bb.92:
	v_lshl_add_u32 v5, v15, 4, v17
	v_add_nc_u32_e32 v6, 16, v17
	v_add_nc_u32_e32 v8, v17, v9
	s_mov_b32 s5, 0
	s_delay_alu instid0(VALU_DEP_3)
	v_add_nc_u32_e32 v7, 0x100, v5
	s_branch .LBB258_94
.LBB258_93:                             ;   in Loop: Header=BB258_94 Depth=1
	s_set_inst_prefetch_distance 0x2
	v_add_nc_u32_e32 v6, 0x110, v6
	v_add_nc_u32_e32 v7, 0x100, v7
	s_cmp_eq_u32 s5, 16
	s_cbranch_scc1 .LBB258_103
.LBB258_94:                             ; =>This Loop Header: Depth=1
                                        ;     Child Loop BB258_99 Depth 2
	v_mov_b32_e32 v1, 0
	v_mov_b32_e32 v2, 0
	s_mov_b32 s10, s5
	s_mov_b32 s5, exec_lo
	s_delay_alu instid0(VALU_DEP_1)
	v_dual_mov_b32 v4, v2 :: v_dual_mov_b32 v3, v1
	v_cmpx_lt_i32_e64 s10, v15
	s_cbranch_execz .LBB258_96
; %bb.95:                               ;   in Loop: Header=BB258_94 Depth=1
	v_mad_u64_u32 v[1:2], null, 0x110, s10, v[17:18]
	v_lshl_add_u32 v9, s10, 8, v5
	ds_load_b128 v[1:4], v1
	ds_load_b128 v[9:12], v9
	s_waitcnt lgkmcnt(0)
	v_mul_f64 v[13:14], v[3:4], v[11:12]
	v_mul_f64 v[11:12], v[1:2], v[11:12]
	s_delay_alu instid0(VALU_DEP_2) | instskip(NEXT) | instid1(VALU_DEP_2)
	v_fma_f64 v[1:2], v[1:2], v[9:10], -v[13:14]
	v_fma_f64 v[3:4], v[3:4], v[9:10], v[11:12]
	s_delay_alu instid0(VALU_DEP_2) | instskip(NEXT) | instid1(VALU_DEP_2)
	v_add_f64 v[1:2], v[1:2], 0
	v_add_f64 v[3:4], v[3:4], 0
.LBB258_96:                             ;   in Loop: Header=BB258_94 Depth=1
	s_or_b32 exec_lo, exec_lo, s5
	s_add_i32 s5, s10, 1
	s_cmp_gt_u32 s10, 14
	s_cbranch_scc1 .LBB258_93
; %bb.97:                               ;   in Loop: Header=BB258_94 Depth=1
	s_lshl_b32 s10, s10, 8
	s_delay_alu instid0(SALU_CYCLE_1)
	v_dual_mov_b32 v9, v7 :: v_dual_add_nc_u32 v10, s10, v5
	v_mov_b32_e32 v11, v6
	s_mov_b32 s10, s5
	s_set_inst_prefetch_distance 0x1
	s_branch .LBB258_99
	.p2align	6
.LBB258_98:                             ;   in Loop: Header=BB258_99 Depth=2
	s_or_b32 exec_lo, exec_lo, s11
	v_add_nc_u32_e32 v11, 16, v11
	v_add_nc_u32_e32 v9, 0x100, v9
	s_add_i32 s11, s10, 1
	s_cmp_gt_u32 s10, 14
	s_mov_b32 s10, s11
	s_cbranch_scc1 .LBB258_93
.LBB258_99:                             ;   Parent Loop BB258_94 Depth=1
                                        ; =>  This Inner Loop Header: Depth=2
	s_mov_b32 s11, exec_lo
	v_cmpx_eq_u32_e64 s10, v15
	s_cbranch_execz .LBB258_101
; %bb.100:                              ;   in Loop: Header=BB258_99 Depth=2
	ds_load_b128 v[18:21], v8
	v_add_f64 v[12:13], -v[1:2], 0
	s_waitcnt lgkmcnt(0)
	v_mul_f64 v[22:23], v[3:4], v[20:21]
	v_mul_f64 v[24:25], v[3:4], v[18:19]
	s_delay_alu instid0(VALU_DEP_2) | instskip(NEXT) | instid1(VALU_DEP_2)
	v_fma_f64 v[18:19], v[12:13], v[18:19], v[22:23]
	v_fma_f64 v[20:21], v[12:13], v[20:21], -v[24:25]
	ds_store_b128 v10, v[18:21]
.LBB258_101:                            ;   in Loop: Header=BB258_99 Depth=2
	s_or_b32 exec_lo, exec_lo, s11
	s_delay_alu instid0(SALU_CYCLE_1)
	s_mov_b32 s11, exec_lo
	v_cmpx_lt_i32_e64 s10, v15
	s_cbranch_execz .LBB258_98
; %bb.102:                              ;   in Loop: Header=BB258_99 Depth=2
	ds_load_b128 v[18:21], v11
	ds_load_b128 v[22:25], v9
	s_waitcnt lgkmcnt(0)
	v_mul_f64 v[12:13], v[20:21], v[24:25]
	v_mul_f64 v[24:25], v[18:19], v[24:25]
	s_delay_alu instid0(VALU_DEP_2) | instskip(NEXT) | instid1(VALU_DEP_2)
	v_fma_f64 v[12:13], v[18:19], v[22:23], -v[12:13]
	v_fma_f64 v[18:19], v[20:21], v[22:23], v[24:25]
	s_delay_alu instid0(VALU_DEP_2) | instskip(NEXT) | instid1(VALU_DEP_2)
	v_add_f64 v[1:2], v[1:2], v[12:13]
	v_add_f64 v[3:4], v[3:4], v[18:19]
	s_branch .LBB258_98
.LBB258_103:
	s_or_b32 exec_lo, exec_lo, s0
	s_cmpk_lg_i32 s4, 0x7a
	v_and_b32_e32 v5, 15, v0
	v_lshrrev_b32_e32 v6, 4, v0
	v_cmp_gt_u32_e64 s0, 0x100, v0
	s_cselect_b32 s10, -1, 0
	s_waitcnt lgkmcnt(0)
	s_and_b32 vcc_lo, exec_lo, s10
	s_barrier
	buffer_gl0_inv
	s_cbranch_vccz .LBB258_114
; %bb.104:
	s_mov_b32 s4, 0
	s_mov_b32 s11, 0
                                        ; implicit-def: $vgpr3_vgpr4
	s_and_saveexec_b32 s5, s0
	s_cbranch_execz .LBB258_115
; %bb.105:
	v_dual_mov_b32 v1, 0 :: v_dual_mov_b32 v8, 0
	v_dual_mov_b32 v2, 0 :: v_dual_and_b32 v3, 0xf0, v0
	v_add_nc_u32_e32 v9, 1, v6
	s_mov_b32 s11, exec_lo
	s_delay_alu instid0(VALU_DEP_2) | instskip(NEXT) | instid1(VALU_DEP_3)
	v_xor_b32_e32 v7, 0xff, v3
	v_dual_mov_b32 v4, v2 :: v_dual_mov_b32 v3, v1
	v_cmpx_lt_u32_e32 47, v0
	s_cbranch_execz .LBB258_109
; %bb.106:
	v_dual_mov_b32 v3, 0 :: v_dual_and_b32 v8, 28, v9
	v_mov_b32_e32 v4, 0
	s_delay_alu instid0(VALU_DEP_2) | instskip(SKIP_2) | instid1(VALU_DEP_3)
	v_dual_mov_b32 v1, v3 :: v_dual_lshlrev_b32 v10, 4, v5
	v_lshl_add_u32 v11, v7, 4, 0x2fd0
	s_mov_b32 s12, 0
	v_mov_b32_e32 v2, v4
	s_mov_b32 s13, 0
.LBB258_107:                            ; =>This Inner Loop Header: Depth=1
	ds_load_b128 v[18:21], v11 offset:48
	ds_load_b128 v[22:25], v10
	ds_load_b128 v[26:29], v11 offset:32
	ds_load_b128 v[30:33], v10 offset:256
	s_add_i32 s13, s13, 4
	s_delay_alu instid0(SALU_CYCLE_1)
	v_cmp_eq_u32_e32 vcc_lo, s13, v8
	s_or_b32 s12, vcc_lo, s12
	s_waitcnt lgkmcnt(2)
	v_mul_f64 v[12:13], v[20:21], v[24:25]
	v_mul_f64 v[24:25], v[18:19], v[24:25]
	s_waitcnt lgkmcnt(0)
	v_mul_f64 v[40:41], v[28:29], v[32:33]
	v_mul_f64 v[42:43], v[26:27], v[32:33]
	s_delay_alu instid0(VALU_DEP_4) | instskip(NEXT) | instid1(VALU_DEP_4)
	v_fma_f64 v[12:13], v[18:19], v[22:23], -v[12:13]
	v_fma_f64 v[44:45], v[20:21], v[22:23], v[24:25]
	ds_load_b128 v[18:21], v11 offset:16
	ds_load_b128 v[22:25], v10 offset:512
	ds_load_b128 v[32:35], v11
	ds_load_b128 v[36:39], v10 offset:768
	v_fma_f64 v[26:27], v[26:27], v[30:31], -v[40:41]
	v_fma_f64 v[28:29], v[28:29], v[30:31], v[42:43]
	v_add_nc_u32_e32 v10, 0x400, v10
	v_subrev_nc_u32_e32 v11, 64, v11
	s_waitcnt lgkmcnt(2)
	v_mul_f64 v[46:47], v[20:21], v[24:25]
	v_mul_f64 v[24:25], v[18:19], v[24:25]
	s_waitcnt lgkmcnt(0)
	v_mul_f64 v[30:31], v[32:33], v[38:39]
	v_add_f64 v[1:2], v[1:2], v[12:13]
	v_add_f64 v[3:4], v[3:4], v[44:45]
	v_mul_f64 v[12:13], v[34:35], v[38:39]
	v_fma_f64 v[18:19], v[18:19], v[22:23], -v[46:47]
	v_fma_f64 v[20:21], v[20:21], v[22:23], v[24:25]
	v_fma_f64 v[22:23], v[34:35], v[36:37], v[30:31]
	v_add_f64 v[1:2], v[1:2], v[26:27]
	v_add_f64 v[3:4], v[3:4], v[28:29]
	v_fma_f64 v[12:13], v[32:33], v[36:37], -v[12:13]
	s_delay_alu instid0(VALU_DEP_3) | instskip(NEXT) | instid1(VALU_DEP_3)
	v_add_f64 v[1:2], v[1:2], v[18:19]
	v_add_f64 v[3:4], v[3:4], v[20:21]
	s_delay_alu instid0(VALU_DEP_2) | instskip(NEXT) | instid1(VALU_DEP_2)
	v_add_f64 v[1:2], v[1:2], v[12:13]
	v_add_f64 v[3:4], v[3:4], v[22:23]
	s_and_not1_b32 exec_lo, exec_lo, s12
	s_cbranch_execnz .LBB258_107
; %bb.108:
	s_or_b32 exec_lo, exec_lo, s12
.LBB258_109:
	s_delay_alu instid0(SALU_CYCLE_1) | instskip(SKIP_3) | instid1(VALU_DEP_1)
	s_or_b32 exec_lo, exec_lo, s11
	v_and_b32_e32 v9, 3, v9
	s_mov_b32 s12, 0
	s_mov_b32 s11, exec_lo
	v_cmpx_ne_u32_e32 0, v9
	s_cbranch_execz .LBB258_113
; %bb.110:
	v_lshlrev_b32_e32 v7, 4, v7
	v_lshlrev_b32_e32 v10, 4, v8
	s_delay_alu instid0(VALU_DEP_1) | instskip(SKIP_1) | instid1(VALU_DEP_2)
	v_sub_nc_u32_e32 v7, v7, v10
	v_lshlrev_b32_e32 v10, 4, v5
	v_add_nc_u32_e32 v7, 0x3000, v7
	s_delay_alu instid0(VALU_DEP_2)
	v_lshl_or_b32 v8, v8, 8, v10
	.p2align	6
.LBB258_111:                            ; =>This Inner Loop Header: Depth=1
	ds_load_b128 v[10:13], v7
	ds_load_b128 v[18:21], v8
	v_add_nc_u32_e32 v9, -1, v9
	v_add_nc_u32_e32 v7, -16, v7
	v_add_nc_u32_e32 v8, 0x100, v8
	s_delay_alu instid0(VALU_DEP_3) | instskip(SKIP_4) | instid1(VALU_DEP_2)
	v_cmp_eq_u32_e32 vcc_lo, 0, v9
	s_or_b32 s12, vcc_lo, s12
	s_waitcnt lgkmcnt(0)
	v_mul_f64 v[22:23], v[12:13], v[20:21]
	v_mul_f64 v[20:21], v[10:11], v[20:21]
	v_fma_f64 v[10:11], v[10:11], v[18:19], -v[22:23]
	s_delay_alu instid0(VALU_DEP_2) | instskip(NEXT) | instid1(VALU_DEP_2)
	v_fma_f64 v[12:13], v[12:13], v[18:19], v[20:21]
	v_add_f64 v[1:2], v[1:2], v[10:11]
	s_delay_alu instid0(VALU_DEP_2)
	v_add_f64 v[3:4], v[3:4], v[12:13]
	s_and_not1_b32 exec_lo, exec_lo, s12
	s_cbranch_execnz .LBB258_111
; %bb.112:
	s_or_b32 exec_lo, exec_lo, s12
.LBB258_113:
	s_delay_alu instid0(SALU_CYCLE_1) | instskip(NEXT) | instid1(SALU_CYCLE_1)
	s_or_b32 exec_lo, exec_lo, s11
	s_mov_b32 s11, exec_lo
	s_or_b32 exec_lo, exec_lo, s5
	s_delay_alu instid0(SALU_CYCLE_1)
	s_and_b32 vcc_lo, exec_lo, s4
	s_cbranch_vccnz .LBB258_116
	s_branch .LBB258_121
.LBB258_114:
	s_mov_b32 s11, 0
                                        ; implicit-def: $vgpr3_vgpr4
	s_cbranch_execnz .LBB258_116
	s_branch .LBB258_121
.LBB258_115:
	s_or_b32 exec_lo, exec_lo, s5
	s_delay_alu instid0(SALU_CYCLE_1)
	s_and_b32 vcc_lo, exec_lo, s4
	s_cbranch_vccz .LBB258_121
.LBB258_116:
                                        ; implicit-def: $vgpr3_vgpr4
	s_and_saveexec_b32 s4, s0
	s_cbranch_execz .LBB258_120
; %bb.117:
	v_lshlrev_b32_e32 v1, 4, v0
	v_dual_mov_b32 v3, 0 :: v_dual_lshlrev_b32 v2, 4, v6
	v_mov_b32_e32 v4, 0
	v_lshlrev_b32_e32 v8, 4, v5
	s_delay_alu instid0(VALU_DEP_4) | instskip(SKIP_2) | instid1(VALU_DEP_2)
	v_and_b32_e32 v1, 0xf00, v1
	v_add_nc_u32_e32 v7, -1, v6
	s_mov_b32 s5, 0
	v_or3_b32 v9, v1, v2, 0x2000
	v_dual_mov_b32 v1, v3 :: v_dual_mov_b32 v2, v4
	v_lshl_or_b32 v8, v6, 8, v8
	.p2align	6
.LBB258_118:                            ; =>This Inner Loop Header: Depth=1
	ds_load_b128 v[10:13], v9
	ds_load_b128 v[18:21], v8
	v_add_nc_u32_e32 v7, 1, v7
	v_add_nc_u32_e32 v9, 16, v9
	;; [unrolled: 1-line block ×3, first 2 shown]
	s_delay_alu instid0(VALU_DEP_3) | instskip(SKIP_4) | instid1(VALU_DEP_2)
	v_cmp_lt_u32_e32 vcc_lo, 14, v7
	s_or_b32 s5, vcc_lo, s5
	s_waitcnt lgkmcnt(0)
	v_mul_f64 v[22:23], v[12:13], v[20:21]
	v_mul_f64 v[20:21], v[10:11], v[20:21]
	v_fma_f64 v[10:11], v[10:11], v[18:19], -v[22:23]
	s_delay_alu instid0(VALU_DEP_2) | instskip(NEXT) | instid1(VALU_DEP_2)
	v_fma_f64 v[12:13], v[12:13], v[18:19], v[20:21]
	v_add_f64 v[1:2], v[1:2], v[10:11]
	s_delay_alu instid0(VALU_DEP_2)
	v_add_f64 v[3:4], v[3:4], v[12:13]
	s_and_not1_b32 exec_lo, exec_lo, s5
	s_cbranch_execnz .LBB258_118
; %bb.119:
	s_or_b32 exec_lo, exec_lo, s5
	s_delay_alu instid0(SALU_CYCLE_1)
	s_or_b32 s11, s11, exec_lo
.LBB258_120:
	s_or_b32 exec_lo, exec_lo, s4
.LBB258_121:
	s_and_saveexec_b32 s4, s11
	s_cbranch_execz .LBB258_123
; %bb.122:
	v_lshlrev_b32_e32 v7, 4, v0
	ds_store_b128 v7, v[1:4] offset:4096
.LBB258_123:
	s_or_b32 exec_lo, exec_lo, s4
	s_bfe_u32 s4, s14, 0x1d0002
	s_and_b32 s1, s1, 6
	s_mov_b32 s5, 0
	s_mul_i32 s1, s1, 0x8100
	s_lshl_b64 s[12:13], s[4:5], 18
	s_waitcnt lgkmcnt(0)
	s_or_b32 s1, s12, s1
	s_barrier
	s_add_u32 s1, s8, s1
	s_addc_u32 s4, s9, s13
	s_lshl_b64 s[6:7], s[6:7], 4
	buffer_gl0_inv
	s_add_u32 s1, s1, s6
	s_addc_u32 s4, s4, s7
	s_and_b32 vcc_lo, exec_lo, s10
	s_cbranch_vccz .LBB258_129
; %bb.124:
	s_mov_b32 s6, 0
                                        ; implicit-def: $vgpr3_vgpr4
                                        ; implicit-def: $sgpr8
	s_and_saveexec_b32 s7, s0
	s_cbranch_execz .LBB258_128
; %bb.125:
	v_xor_b32_e32 v1, 0xff, v5
	v_lshlrev_b32_e32 v3, 4, v0
	v_lshlrev_b32_e32 v4, 8, v5
	s_delay_alu instid0(VALU_DEP_3)
	v_lshlrev_b32_e32 v7, 4, v1
	v_mov_b32_e32 v1, 0
	v_mov_b32_e32 v2, 0
	v_lshlrev_b32_e32 v8, 4, v5
	v_and_b32_e32 v3, 0xf00, v3
	v_sub_nc_u32_e32 v4, v7, v4
	v_add_nc_u32_e32 v7, -1, v5
	s_delay_alu instid0(VALU_DEP_3) | instskip(NEXT) | instid1(VALU_DEP_3)
	v_or3_b32 v8, v3, v8, 0x1000
	v_or_b32_e32 v9, 0x2000, v4
	v_dual_mov_b32 v4, v2 :: v_dual_mov_b32 v3, v1
	.p2align	6
.LBB258_126:                            ; =>This Inner Loop Header: Depth=1
	ds_load_b128 v[10:13], v9
	ds_load_b128 v[18:21], v8
	v_add_nc_u32_e32 v7, 1, v7
	v_add_nc_u32_e32 v8, 16, v8
	;; [unrolled: 1-line block ×3, first 2 shown]
	s_delay_alu instid0(VALU_DEP_3) | instskip(SKIP_4) | instid1(VALU_DEP_2)
	v_cmp_lt_u32_e32 vcc_lo, 14, v7
	s_or_b32 s5, vcc_lo, s5
	s_waitcnt lgkmcnt(0)
	v_mul_f64 v[22:23], v[10:11], v[18:19]
	v_mul_f64 v[10:11], v[10:11], v[20:21]
	v_fma_f64 v[20:21], v[12:13], v[20:21], -v[22:23]
	s_delay_alu instid0(VALU_DEP_2) | instskip(NEXT) | instid1(VALU_DEP_2)
	v_fma_f64 v[10:11], v[18:19], -v[12:13], -v[10:11]
	v_add_f64 v[1:2], v[1:2], v[20:21]
	s_delay_alu instid0(VALU_DEP_2)
	v_add_f64 v[3:4], v[3:4], v[10:11]
	s_and_not1_b32 exec_lo, exec_lo, s5
	s_cbranch_execnz .LBB258_126
; %bb.127:
	s_or_b32 exec_lo, exec_lo, s5
	s_delay_alu instid0(SALU_CYCLE_1)
	s_mov_b32 s5, exec_lo
	s_movk_i32 s8, 0x800
.LBB258_128:
	s_or_b32 exec_lo, exec_lo, s7
	s_delay_alu instid0(SALU_CYCLE_1)
	s_and_b32 vcc_lo, exec_lo, s6
	s_cbranch_vccnz .LBB258_130
	s_branch .LBB258_141
.LBB258_129:
                                        ; implicit-def: $vgpr3_vgpr4
                                        ; implicit-def: $sgpr8
	s_cbranch_execz .LBB258_141
.LBB258_130:
                                        ; implicit-def: $vgpr3_vgpr4
                                        ; implicit-def: $sgpr8
	s_and_saveexec_b32 s6, s0
	s_cbranch_execz .LBB258_140
; %bb.131:
	v_dual_mov_b32 v3, 0 :: v_dual_add_nc_u32 v8, 1, v5
	v_dual_mov_b32 v4, 0 :: v_dual_mov_b32 v7, 0
	s_delay_alu instid0(VALU_DEP_2) | instskip(SKIP_1) | instid1(VALU_DEP_2)
	v_dual_mov_b32 v1, v3 :: v_dual_lshlrev_b32 v0, 4, v0
	s_mov_b32 s0, exec_lo
	v_mov_b32_e32 v2, v4
	v_cmpx_lt_u32_e32 2, v5
	s_cbranch_execz .LBB258_135
; %bb.132:
	v_mov_b32_e32 v1, 0
	v_dual_mov_b32 v2, 0 :: v_dual_and_b32 v7, 28, v8
	s_movk_i32 s7, 0xf00
	v_lshl_or_b32 v9, v5, 4, 0x3000
	v_and_or_b32 v10, v0, s7, 0x1000
	s_delay_alu instid0(VALU_DEP_3)
	v_dual_mov_b32 v4, v2 :: v_dual_mov_b32 v3, v1
	s_mov_b32 s7, 0
	s_mov_b32 s8, 0
.LBB258_133:                            ; =>This Inner Loop Header: Depth=1
	ds_load_b128 v[11:14], v9
	ds_load_b128 v[18:21], v10
	ds_load_b128 v[22:25], v10 offset:16
	ds_load_b128 v[26:29], v9 offset:256
	s_add_i32 s8, s8, 4
	s_delay_alu instid0(SALU_CYCLE_1)
	v_cmp_eq_u32_e32 vcc_lo, s8, v7
	s_or_b32 s7, vcc_lo, s7
	s_waitcnt lgkmcnt(2)
	v_mul_f64 v[30:31], v[11:12], v[18:19]
	v_mul_f64 v[11:12], v[11:12], v[20:21]
	s_waitcnt lgkmcnt(0)
	v_mul_f64 v[38:39], v[26:27], v[22:23]
	v_mul_f64 v[26:27], v[26:27], v[24:25]
	s_delay_alu instid0(VALU_DEP_4) | instskip(NEXT) | instid1(VALU_DEP_4)
	v_fma_f64 v[40:41], v[13:14], v[20:21], -v[30:31]
	v_fma_f64 v[42:43], v[18:19], -v[13:14], -v[11:12]
	ds_load_b128 v[11:14], v9 offset:512
	ds_load_b128 v[18:21], v10 offset:32
	;; [unrolled: 1-line block ×4, first 2 shown]
	v_fma_f64 v[24:25], v[28:29], v[24:25], -v[38:39]
	v_fma_f64 v[22:23], v[22:23], -v[28:29], -v[26:27]
	v_add_nc_u32_e32 v9, 0x400, v9
	v_add_nc_u32_e32 v10, 64, v10
	s_waitcnt lgkmcnt(2)
	v_mul_f64 v[44:45], v[11:12], v[18:19]
	v_mul_f64 v[11:12], v[11:12], v[20:21]
	s_waitcnt lgkmcnt(0)
	v_mul_f64 v[26:27], v[34:35], v[30:31]
	v_mul_f64 v[28:29], v[34:35], v[32:33]
	v_add_f64 v[1:2], v[1:2], v[40:41]
	v_add_f64 v[3:4], v[3:4], v[42:43]
	v_fma_f64 v[20:21], v[13:14], v[20:21], -v[44:45]
	v_fma_f64 v[11:12], v[18:19], -v[13:14], -v[11:12]
	v_fma_f64 v[13:14], v[36:37], v[32:33], -v[26:27]
	v_fma_f64 v[18:19], v[30:31], -v[36:37], -v[28:29]
	v_add_f64 v[1:2], v[1:2], v[24:25]
	v_add_f64 v[3:4], v[3:4], v[22:23]
	s_delay_alu instid0(VALU_DEP_2) | instskip(NEXT) | instid1(VALU_DEP_2)
	v_add_f64 v[1:2], v[1:2], v[20:21]
	v_add_f64 v[3:4], v[3:4], v[11:12]
	s_delay_alu instid0(VALU_DEP_2) | instskip(NEXT) | instid1(VALU_DEP_2)
	v_add_f64 v[1:2], v[1:2], v[13:14]
	v_add_f64 v[3:4], v[3:4], v[18:19]
	s_and_not1_b32 exec_lo, exec_lo, s7
	s_cbranch_execnz .LBB258_133
; %bb.134:
	s_or_b32 exec_lo, exec_lo, s7
.LBB258_135:
	s_delay_alu instid0(SALU_CYCLE_1) | instskip(SKIP_3) | instid1(VALU_DEP_1)
	s_or_b32 exec_lo, exec_lo, s0
	v_and_b32_e32 v8, 3, v8
	s_mov_b32 s7, 0
	s_mov_b32 s0, exec_lo
	v_cmpx_ne_u32_e32 0, v8
	s_cbranch_execz .LBB258_139
; %bb.136:
	v_lshlrev_b32_e32 v9, 4, v5
	v_and_b32_e32 v0, 0xf00, v0
	v_lshlrev_b32_e32 v10, 4, v7
	s_delay_alu instid0(VALU_DEP_3) | instskip(NEXT) | instid1(VALU_DEP_2)
	v_lshl_or_b32 v7, v7, 8, v9
	v_add3_u32 v0, v0, v10, 0x1000
	s_delay_alu instid0(VALU_DEP_2)
	v_add_nc_u32_e32 v7, 0x3000, v7
	.p2align	6
.LBB258_137:                            ; =>This Inner Loop Header: Depth=1
	ds_load_b128 v[9:12], v7
	ds_load_b128 v[18:21], v0
	v_add_nc_u32_e32 v8, -1, v8
	v_add_nc_u32_e32 v0, 16, v0
	v_add_nc_u32_e32 v7, 0x100, v7
	s_delay_alu instid0(VALU_DEP_3) | instskip(SKIP_4) | instid1(VALU_DEP_2)
	v_cmp_eq_u32_e32 vcc_lo, 0, v8
	s_or_b32 s7, vcc_lo, s7
	s_waitcnt lgkmcnt(0)
	v_mul_f64 v[13:14], v[9:10], v[18:19]
	v_mul_f64 v[9:10], v[9:10], v[20:21]
	v_fma_f64 v[13:14], v[11:12], v[20:21], -v[13:14]
	s_delay_alu instid0(VALU_DEP_2) | instskip(NEXT) | instid1(VALU_DEP_2)
	v_fma_f64 v[9:10], v[18:19], -v[11:12], -v[9:10]
	v_add_f64 v[1:2], v[1:2], v[13:14]
	s_delay_alu instid0(VALU_DEP_2)
	v_add_f64 v[3:4], v[3:4], v[9:10]
	s_and_not1_b32 exec_lo, exec_lo, s7
	s_cbranch_execnz .LBB258_137
; %bb.138:
	s_or_b32 exec_lo, exec_lo, s7
.LBB258_139:
	s_delay_alu instid0(SALU_CYCLE_1)
	s_or_b32 exec_lo, exec_lo, s0
	s_mov_b32 s8, 16
	s_or_b32 s5, s5, exec_lo
.LBB258_140:
	s_or_b32 exec_lo, exec_lo, s6
.LBB258_141:
	s_and_saveexec_b32 s0, s5
	s_cbranch_execnz .LBB258_143
; %bb.142:
	s_or_b32 exec_lo, exec_lo, s0
	s_and_saveexec_b32 s0, s3
	s_cbranch_execnz .LBB258_144
	s_branch .LBB258_153
.LBB258_143:
	v_lshlrev_b32_e32 v0, 7, v6
	v_mov_b32_e32 v6, 0
	s_delay_alu instid0(VALU_DEP_2) | instskip(NEXT) | instid1(VALU_DEP_1)
	v_or3_b32 v5, v0, s8, v5
	v_lshlrev_b64 v[5:6], 4, v[5:6]
	s_delay_alu instid0(VALU_DEP_1) | instskip(NEXT) | instid1(VALU_DEP_2)
	v_add_co_u32 v5, vcc_lo, s1, v5
	v_add_co_ci_u32_e32 v6, vcc_lo, s4, v6, vcc_lo
	global_store_b128 v[5:6], v[1:4], off
	s_or_b32 exec_lo, exec_lo, s0
	s_and_saveexec_b32 s0, s3
	s_cbranch_execz .LBB258_153
.LBB258_144:
	v_cndmask_b32_e64 v0, 0x810, 0, s2
	s_and_not1_b32 vcc_lo, exec_lo, s10
	s_mov_b32 s0, -1
	s_cbranch_vccnz .LBB258_149
; %bb.145:
	s_mov_b32 s2, 16
	s_mov_b32 s5, exec_lo
	v_cmpx_gt_i32_e32 16, v15
	s_cbranch_execz .LBB258_148
; %bb.146:
	v_dual_mov_b32 v16, 0 :: v_dual_lshlrev_b32 v3, 4, v0
	v_lshlrev_b32_e32 v4, 4, v15
	s_mov_b32 s3, 0
	s_mov_b32 s6, 0
	s_delay_alu instid0(VALU_DEP_2) | instskip(SKIP_1) | instid1(VALU_DEP_1)
	v_lshlrev_b64 v[1:2], 4, v[15:16]
	v_add_co_u32 v3, s0, s1, v3
	v_add_co_ci_u32_e64 v5, null, s4, 0, s0
	v_sub_nc_u32_e32 v4, v17, v4
	s_delay_alu instid0(VALU_DEP_3) | instskip(NEXT) | instid1(VALU_DEP_3)
	v_add_co_u32 v1, vcc_lo, v3, v1
	v_add_co_ci_u32_e32 v2, vcc_lo, v5, v2, vcc_lo
	s_delay_alu instid0(VALU_DEP_3)
	v_add_nc_u32_e32 v3, 0xf0, v4
.LBB258_147:                            ; =>This Inner Loop Header: Depth=1
	ds_load_2addr_b64 v[4:7], v3 offset1:1
	s_add_i32 s2, s2, -1
	v_add_nc_u32_e32 v3, 0x100, v3
	s_lshl_b64 s[8:9], s[2:3], 11
	v_cmp_le_i32_e32 vcc_lo, s2, v15
	v_add_co_u32 v8, s0, v1, s8
	s_delay_alu instid0(VALU_DEP_1)
	v_add_co_ci_u32_e64 v9, s0, s9, v2, s0
	s_or_b32 s6, vcc_lo, s6
	s_waitcnt lgkmcnt(0)
	global_store_b128 v[8:9], v[4:7], off
	s_and_not1_b32 exec_lo, exec_lo, s6
	s_cbranch_execnz .LBB258_147
.LBB258_148:
	s_or_b32 exec_lo, exec_lo, s5
	s_mov_b32 s0, 0
.LBB258_149:
	s_delay_alu instid0(SALU_CYCLE_1)
	s_and_not1_b32 vcc_lo, exec_lo, s0
	s_cbranch_vccnz .LBB258_153
; %bb.150:
	v_cmp_lt_i32_e32 vcc_lo, -1, v15
	s_and_b32 exec_lo, exec_lo, vcc_lo
	s_cbranch_execz .LBB258_153
; %bb.151:
	v_mov_b32_e32 v16, 0
	v_lshlrev_b32_e32 v2, 4, v0
	s_delay_alu instid0(VALU_DEP_2) | instskip(NEXT) | instid1(VALU_DEP_2)
	v_lshlrev_b64 v[0:1], 4, v[15:16]
	v_add_co_u32 v3, s0, s1, v2
	s_delay_alu instid0(VALU_DEP_1) | instskip(SKIP_1) | instid1(VALU_DEP_3)
	v_add_co_ci_u32_e64 v4, null, s4, 0, s0
	v_lshl_add_u32 v2, v15, 4, v17
	v_add_co_u32 v0, vcc_lo, v3, v0
	v_add_nc_u32_e32 v3, 1, v15
	s_delay_alu instid0(VALU_DEP_4)
	v_add_co_ci_u32_e32 v1, vcc_lo, v4, v1, vcc_lo
	s_mov_b32 s1, 0
.LBB258_152:                            ; =>This Inner Loop Header: Depth=1
	ds_load_2addr_b64 v[4:7], v2 offset1:1
	v_add_nc_u32_e32 v3, -1, v3
	v_add_nc_u32_e32 v2, 0x100, v2
	s_delay_alu instid0(VALU_DEP_2) | instskip(SKIP_4) | instid1(VALU_DEP_1)
	v_cmp_eq_u32_e32 vcc_lo, 0, v3
	s_or_b32 s1, vcc_lo, s1
	s_waitcnt lgkmcnt(0)
	global_store_b128 v[0:1], v[4:7], off
	v_add_co_u32 v0, s0, 0x800, v0
	v_add_co_ci_u32_e64 v1, s0, 0, v1, s0
	s_and_not1_b32 exec_lo, exec_lo, s1
	s_cbranch_execnz .LBB258_152
.LBB258_153:
	s_nop 0
	s_sendmsg sendmsg(MSG_DEALLOC_VGPRS)
	s_endpgm
	.section	.rodata,"a",@progbits
	.p2align	6, 0x0
	.amdhsa_kernel _ZL25rocblas_trtri_trsm_kernelILi128ELi16ELi8E19rocblas_complex_numIdEPKPKS1_PKPS1_Ev13rocblas_fill_17rocblas_diagonal_T3_lilT4_lli
		.amdhsa_group_segment_fixed_size 16384
		.amdhsa_private_segment_fixed_size 0
		.amdhsa_kernarg_size 68
		.amdhsa_user_sgpr_count 14
		.amdhsa_user_sgpr_dispatch_ptr 0
		.amdhsa_user_sgpr_queue_ptr 0
		.amdhsa_user_sgpr_kernarg_segment_ptr 1
		.amdhsa_user_sgpr_dispatch_id 0
		.amdhsa_user_sgpr_private_segment_size 0
		.amdhsa_wavefront_size32 1
		.amdhsa_uses_dynamic_stack 0
		.amdhsa_enable_private_segment 0
		.amdhsa_system_sgpr_workgroup_id_x 1
		.amdhsa_system_sgpr_workgroup_id_y 0
		.amdhsa_system_sgpr_workgroup_id_z 1
		.amdhsa_system_sgpr_workgroup_info 0
		.amdhsa_system_vgpr_workitem_id 0
		.amdhsa_next_free_vgpr 78
		.amdhsa_next_free_sgpr 24
		.amdhsa_reserve_vcc 1
		.amdhsa_float_round_mode_32 0
		.amdhsa_float_round_mode_16_64 0
		.amdhsa_float_denorm_mode_32 3
		.amdhsa_float_denorm_mode_16_64 3
		.amdhsa_dx10_clamp 1
		.amdhsa_ieee_mode 1
		.amdhsa_fp16_overflow 0
		.amdhsa_workgroup_processor_mode 1
		.amdhsa_memory_ordered 1
		.amdhsa_forward_progress 0
		.amdhsa_shared_vgpr_count 0
		.amdhsa_exception_fp_ieee_invalid_op 0
		.amdhsa_exception_fp_denorm_src 0
		.amdhsa_exception_fp_ieee_div_zero 0
		.amdhsa_exception_fp_ieee_overflow 0
		.amdhsa_exception_fp_ieee_underflow 0
		.amdhsa_exception_fp_ieee_inexact 0
		.amdhsa_exception_int_div_zero 0
	.end_amdhsa_kernel
	.section	.text._ZL25rocblas_trtri_trsm_kernelILi128ELi16ELi8E19rocblas_complex_numIdEPKPKS1_PKPS1_Ev13rocblas_fill_17rocblas_diagonal_T3_lilT4_lli,"axG",@progbits,_ZL25rocblas_trtri_trsm_kernelILi128ELi16ELi8E19rocblas_complex_numIdEPKPKS1_PKPS1_Ev13rocblas_fill_17rocblas_diagonal_T3_lilT4_lli,comdat
.Lfunc_end258:
	.size	_ZL25rocblas_trtri_trsm_kernelILi128ELi16ELi8E19rocblas_complex_numIdEPKPKS1_PKPS1_Ev13rocblas_fill_17rocblas_diagonal_T3_lilT4_lli, .Lfunc_end258-_ZL25rocblas_trtri_trsm_kernelILi128ELi16ELi8E19rocblas_complex_numIdEPKPKS1_PKPS1_Ev13rocblas_fill_17rocblas_diagonal_T3_lilT4_lli
                                        ; -- End function
	.section	.AMDGPU.csdata,"",@progbits
; Kernel info:
; codeLenInByte = 7684
; NumSgprs: 26
; NumVgprs: 78
; ScratchSize: 0
; MemoryBound: 1
; FloatMode: 240
; IeeeMode: 1
; LDSByteSize: 16384 bytes/workgroup (compile time only)
; SGPRBlocks: 3
; VGPRBlocks: 9
; NumSGPRsForWavesPerEU: 26
; NumVGPRsForWavesPerEU: 78
; Occupancy: 16
; WaveLimiterHint : 1
; COMPUTE_PGM_RSRC2:SCRATCH_EN: 0
; COMPUTE_PGM_RSRC2:USER_SGPR: 14
; COMPUTE_PGM_RSRC2:TRAP_HANDLER: 0
; COMPUTE_PGM_RSRC2:TGID_X_EN: 1
; COMPUTE_PGM_RSRC2:TGID_Y_EN: 0
; COMPUTE_PGM_RSRC2:TGID_Z_EN: 1
; COMPUTE_PGM_RSRC2:TIDIG_COMP_CNT: 0
	.section	.text._ZL18rocblas_trtri_fillILi128E19rocblas_complex_numIdEPKPS1_EvP15_rocblas_handle13rocblas_fill_ililT1_llii,"axG",@progbits,_ZL18rocblas_trtri_fillILi128E19rocblas_complex_numIdEPKPS1_EvP15_rocblas_handle13rocblas_fill_ililT1_llii,comdat
	.globl	_ZL18rocblas_trtri_fillILi128E19rocblas_complex_numIdEPKPS1_EvP15_rocblas_handle13rocblas_fill_ililT1_llii ; -- Begin function _ZL18rocblas_trtri_fillILi128E19rocblas_complex_numIdEPKPS1_EvP15_rocblas_handle13rocblas_fill_ililT1_llii
	.p2align	8
	.type	_ZL18rocblas_trtri_fillILi128E19rocblas_complex_numIdEPKPS1_EvP15_rocblas_handle13rocblas_fill_ililT1_llii,@function
_ZL18rocblas_trtri_fillILi128E19rocblas_complex_numIdEPKPS1_EvP15_rocblas_handle13rocblas_fill_ililT1_llii: ; @_ZL18rocblas_trtri_fillILi128E19rocblas_complex_numIdEPKPS1_EvP15_rocblas_handle13rocblas_fill_ililT1_llii
; %bb.0:
	s_clause 0x1
	s_load_b64 s[2:3], s[0:1], 0x10
	s_load_b32 s6, s[0:1], 0x40
	s_mov_b32 s12, s15
	s_mov_b32 s15, 0
	s_delay_alu instid0(SALU_CYCLE_1) | instskip(NEXT) | instid1(SALU_CYCLE_1)
	s_lshl_b64 s[4:5], s[14:15], 7
	v_mov_b32_e32 v5, s5
	v_or_b32_e32 v4, s4, v0
	s_waitcnt lgkmcnt(0)
	s_mul_i32 s4, s6, s3
	s_mul_hi_u32 s5, s6, s2
	s_ashr_i32 s7, s6, 31
	s_add_i32 s4, s5, s4
	s_mul_i32 s7, s7, s2
	s_mul_i32 s8, s6, s2
	s_add_i32 s9, s4, s7
	s_mov_b32 s4, exec_lo
	v_cmpx_gt_u64_e64 s[8:9], v[4:5]
	s_cbranch_execz .LBB259_16
; %bb.1:
	s_clause 0x1
	s_load_b32 s10, s[0:1], 0x18
	s_load_b128 s[4:7], s[0:1], 0x20
	s_mov_b32 s13, s15
	s_load_b64 s[16:17], s[0:1], 0x30
	s_lshl_b64 s[12:13], s[12:13], 3
	v_cvt_f32_u32_e32 v0, s2
	v_cvt_f32_u32_e32 v1, s3
	;; [unrolled: 1-line block ×3, first 2 shown]
	s_delay_alu instid0(VALU_DEP_2) | instskip(NEXT) | instid1(VALU_DEP_2)
	v_fmamk_f32 v0, v1, 0x4f800000, v0
	v_rcp_iflag_f32_e32 v1, v2
	s_delay_alu instid0(VALU_DEP_1)
	v_rcp_f32_e32 v0, v0
	s_waitcnt lgkmcnt(0)
	s_ashr_i32 s11, s10, 31
	s_add_u32 s6, s6, s12
	s_addc_u32 s7, s7, s13
	s_lshl_b64 s[16:17], s[16:17], 4
	s_load_b64 s[12:13], s[6:7], 0x0
	s_load_b64 s[6:7], s[0:1], 0x8
	s_waitcnt_depctr 0xfff
	v_mul_f32_e32 v1, 0x4f7ffffe, v1
	v_mul_f32_e32 v0, 0x5f7ffffc, v0
	s_clause 0x1
	s_load_b32 s20, s[0:1], 0x48
	s_load_b32 s0, s[0:1], 0x54
	s_delay_alu instid0(VALU_DEP_1) | instskip(NEXT) | instid1(VALU_DEP_1)
	v_mul_f32_e32 v2, 0x2f800000, v0
	v_trunc_f32_e32 v2, v2
	s_delay_alu instid0(VALU_DEP_1)
	v_fmamk_f32 v8, v2, 0xcf800000, v0
	v_mov_b32_e32 v0, 0
	s_waitcnt lgkmcnt(0)
	s_add_u32 s14, s12, s16
	s_addc_u32 s16, s13, s17
	s_add_i32 s12, s7, -2
	v_cvt_u32_f32_e32 v1, v1
	v_cvt_f64_i32_e32 v[6:7], s12
	s_add_i32 s12, s7, -1
	s_ashr_i32 s17, s7, 31
	s_mul_hi_i32 s13, s12, s7
	s_mul_i32 s12, s12, s7
	v_cvt_u32_f32_e32 v12, v8
	s_lshl_b64 s[18:19], s[12:13], 2
	v_cvt_u32_f32_e32 v13, v2
	s_add_u32 s1, s18, -7
	s_addc_u32 s18, s19, -1
	s_sub_i32 s19, 0, s2
	s_and_b32 s0, s0, 0xffff
	v_mul_lo_u32 v3, s19, v1
	s_lshr_b64 s[12:13], s[12:13], 1
	s_mul_hi_u32 s19, s0, s20
	s_mul_i32 s20, s0, s20
	s_delay_alu instid0(VALU_DEP_1) | instskip(NEXT) | instid1(VALU_DEP_1)
	v_mul_hi_u32 v3, v1, v3
	v_add_nc_u32_e32 v14, v1, v3
	s_branch .LBB259_3
.LBB259_2:                              ;   in Loop: Header=BB259_3 Depth=1
	v_add_co_u32 v4, vcc_lo, v4, s20
	v_add_co_ci_u32_e32 v5, vcc_lo, s19, v5, vcc_lo
	s_delay_alu instid0(VALU_DEP_1) | instskip(SKIP_1) | instid1(SALU_CYCLE_1)
	v_cmp_le_u64_e32 vcc_lo, s[8:9], v[4:5]
	s_or_b32 s15, vcc_lo, s15
	s_and_not1_b32 exec_lo, exec_lo, s15
	s_cbranch_execz .LBB259_16
.LBB259_3:                              ; =>This Inner Loop Header: Depth=1
	v_or_b32_e32 v1, s3, v5
	s_delay_alu instid0(VALU_DEP_1) | instskip(SKIP_1) | instid1(SALU_CYCLE_1)
	v_cmp_ne_u64_e32 vcc_lo, 0, v[0:1]
                                        ; implicit-def: $vgpr1_vgpr2
	s_and_saveexec_b32 s0, vcc_lo
	s_xor_b32 s21, exec_lo, s0
	s_cbranch_execz .LBB259_5
; %bb.4:                                ;   in Loop: Header=BB259_3 Depth=1
	s_sub_u32 s0, 0, s2
	s_subb_u32 s22, 0, s3
	v_mul_hi_u32 v1, s0, v12
	v_mul_lo_u32 v2, s0, v13
	v_mul_lo_u32 v3, s22, v12
	s_delay_alu instid0(VALU_DEP_2) | instskip(SKIP_1) | instid1(VALU_DEP_2)
	v_add_nc_u32_e32 v1, v1, v2
	v_mul_lo_u32 v2, s0, v12
	v_add_nc_u32_e32 v1, v1, v3
	s_delay_alu instid0(VALU_DEP_2) | instskip(NEXT) | instid1(VALU_DEP_2)
	v_mul_hi_u32 v3, v12, v2
	v_mul_lo_u32 v8, v12, v1
	v_mul_hi_u32 v9, v12, v1
	v_mul_hi_u32 v10, v13, v2
	v_mul_lo_u32 v2, v13, v2
	v_mul_hi_u32 v11, v13, v1
	v_mul_lo_u32 v1, v13, v1
	v_add_co_u32 v3, vcc_lo, v3, v8
	v_add_co_ci_u32_e32 v8, vcc_lo, 0, v9, vcc_lo
	s_delay_alu instid0(VALU_DEP_2) | instskip(NEXT) | instid1(VALU_DEP_2)
	v_add_co_u32 v2, vcc_lo, v3, v2
	v_add_co_ci_u32_e32 v2, vcc_lo, v8, v10, vcc_lo
	v_add_co_ci_u32_e32 v3, vcc_lo, 0, v11, vcc_lo
	s_delay_alu instid0(VALU_DEP_2) | instskip(NEXT) | instid1(VALU_DEP_2)
	v_add_co_u32 v1, vcc_lo, v2, v1
	v_add_co_ci_u32_e32 v2, vcc_lo, 0, v3, vcc_lo
	s_delay_alu instid0(VALU_DEP_2) | instskip(NEXT) | instid1(VALU_DEP_2)
	v_add_co_u32 v1, vcc_lo, v12, v1
	v_add_co_ci_u32_e32 v2, vcc_lo, v13, v2, vcc_lo
	s_delay_alu instid0(VALU_DEP_2) | instskip(SKIP_1) | instid1(VALU_DEP_3)
	v_mul_hi_u32 v3, s0, v1
	v_mul_lo_u32 v9, s22, v1
	v_mul_lo_u32 v8, s0, v2
	s_delay_alu instid0(VALU_DEP_1) | instskip(SKIP_1) | instid1(VALU_DEP_2)
	v_add_nc_u32_e32 v3, v3, v8
	v_mul_lo_u32 v8, s0, v1
	v_add_nc_u32_e32 v3, v3, v9
	s_delay_alu instid0(VALU_DEP_2) | instskip(NEXT) | instid1(VALU_DEP_2)
	v_mul_hi_u32 v9, v1, v8
	v_mul_lo_u32 v10, v1, v3
	v_mul_hi_u32 v11, v1, v3
	v_mul_hi_u32 v15, v2, v8
	v_mul_lo_u32 v8, v2, v8
	v_mul_hi_u32 v16, v2, v3
	v_mul_lo_u32 v3, v2, v3
	v_add_co_u32 v9, vcc_lo, v9, v10
	v_add_co_ci_u32_e32 v10, vcc_lo, 0, v11, vcc_lo
	s_delay_alu instid0(VALU_DEP_2) | instskip(NEXT) | instid1(VALU_DEP_2)
	v_add_co_u32 v8, vcc_lo, v9, v8
	v_add_co_ci_u32_e32 v8, vcc_lo, v10, v15, vcc_lo
	v_add_co_ci_u32_e32 v9, vcc_lo, 0, v16, vcc_lo
	s_delay_alu instid0(VALU_DEP_2) | instskip(NEXT) | instid1(VALU_DEP_2)
	v_add_co_u32 v3, vcc_lo, v8, v3
	v_add_co_ci_u32_e32 v8, vcc_lo, 0, v9, vcc_lo
	s_delay_alu instid0(VALU_DEP_2) | instskip(NEXT) | instid1(VALU_DEP_2)
	v_add_co_u32 v3, vcc_lo, v1, v3
	v_add_co_ci_u32_e32 v15, vcc_lo, v2, v8, vcc_lo
	s_delay_alu instid0(VALU_DEP_2) | instskip(SKIP_1) | instid1(VALU_DEP_3)
	v_mul_hi_u32 v16, v4, v3
	v_mad_u64_u32 v[8:9], null, v5, v3, 0
	v_mad_u64_u32 v[1:2], null, v4, v15, 0
	;; [unrolled: 1-line block ×3, first 2 shown]
	s_delay_alu instid0(VALU_DEP_2) | instskip(NEXT) | instid1(VALU_DEP_3)
	v_add_co_u32 v1, vcc_lo, v16, v1
	v_add_co_ci_u32_e32 v2, vcc_lo, 0, v2, vcc_lo
	s_delay_alu instid0(VALU_DEP_2) | instskip(NEXT) | instid1(VALU_DEP_2)
	v_add_co_u32 v1, vcc_lo, v1, v8
	v_add_co_ci_u32_e32 v1, vcc_lo, v2, v9, vcc_lo
	v_add_co_ci_u32_e32 v2, vcc_lo, 0, v11, vcc_lo
	s_delay_alu instid0(VALU_DEP_2) | instskip(NEXT) | instid1(VALU_DEP_2)
	v_add_co_u32 v3, vcc_lo, v1, v10
	v_add_co_ci_u32_e32 v8, vcc_lo, 0, v2, vcc_lo
	s_delay_alu instid0(VALU_DEP_2) | instskip(SKIP_1) | instid1(VALU_DEP_3)
	v_mul_lo_u32 v9, s3, v3
	v_mad_u64_u32 v[1:2], null, s2, v3, 0
	v_mul_lo_u32 v10, s2, v8
	s_delay_alu instid0(VALU_DEP_2) | instskip(NEXT) | instid1(VALU_DEP_2)
	v_sub_co_u32 v1, vcc_lo, v4, v1
	v_add3_u32 v2, v2, v10, v9
	s_delay_alu instid0(VALU_DEP_1) | instskip(NEXT) | instid1(VALU_DEP_1)
	v_sub_nc_u32_e32 v9, v5, v2
	v_subrev_co_ci_u32_e64 v9, s0, s3, v9, vcc_lo
	v_add_co_u32 v10, s0, v3, 2
	s_delay_alu instid0(VALU_DEP_1) | instskip(SKIP_3) | instid1(VALU_DEP_3)
	v_add_co_ci_u32_e64 v11, s0, 0, v8, s0
	v_sub_co_u32 v15, s0, v1, s2
	v_sub_co_ci_u32_e32 v2, vcc_lo, v5, v2, vcc_lo
	v_subrev_co_ci_u32_e64 v9, s0, 0, v9, s0
	v_cmp_le_u32_e32 vcc_lo, s2, v15
	s_delay_alu instid0(VALU_DEP_3) | instskip(SKIP_1) | instid1(VALU_DEP_4)
	v_cmp_eq_u32_e64 s0, s3, v2
	v_cndmask_b32_e64 v15, 0, -1, vcc_lo
	v_cmp_le_u32_e32 vcc_lo, s3, v9
	v_cndmask_b32_e64 v16, 0, -1, vcc_lo
	v_cmp_le_u32_e32 vcc_lo, s2, v1
	;; [unrolled: 2-line block ×3, first 2 shown]
	v_cndmask_b32_e64 v17, 0, -1, vcc_lo
	v_cmp_eq_u32_e32 vcc_lo, s3, v9
	s_delay_alu instid0(VALU_DEP_2) | instskip(SKIP_3) | instid1(VALU_DEP_3)
	v_cndmask_b32_e64 v1, v17, v1, s0
	v_cndmask_b32_e32 v9, v16, v15, vcc_lo
	v_add_co_u32 v15, vcc_lo, v3, 1
	v_add_co_ci_u32_e32 v16, vcc_lo, 0, v8, vcc_lo
	v_cmp_ne_u32_e32 vcc_lo, 0, v9
	s_delay_alu instid0(VALU_DEP_2) | instskip(SKIP_1) | instid1(VALU_DEP_2)
	v_dual_cndmask_b32 v2, v16, v11 :: v_dual_cndmask_b32 v9, v15, v10
	v_cmp_ne_u32_e32 vcc_lo, 0, v1
	v_dual_cndmask_b32 v2, v8, v2 :: v_dual_cndmask_b32 v1, v3, v9
.LBB259_5:                              ;   in Loop: Header=BB259_3 Depth=1
	s_and_not1_saveexec_b32 s0, s21
; %bb.6:                                ;   in Loop: Header=BB259_3 Depth=1
	v_mul_hi_u32 v1, v4, v14
	s_delay_alu instid0(VALU_DEP_1) | instskip(NEXT) | instid1(VALU_DEP_1)
	v_mul_lo_u32 v2, v1, s2
	v_sub_nc_u32_e32 v2, v4, v2
	s_delay_alu instid0(VALU_DEP_1) | instskip(SKIP_1) | instid1(VALU_DEP_2)
	v_subrev_nc_u32_e32 v8, s2, v2
	v_cmp_le_u32_e32 vcc_lo, s2, v2
	v_dual_cndmask_b32 v2, v2, v8 :: v_dual_add_nc_u32 v3, 1, v1
	s_delay_alu instid0(VALU_DEP_1) | instskip(NEXT) | instid1(VALU_DEP_2)
	v_cndmask_b32_e32 v1, v1, v3, vcc_lo
	v_cmp_le_u32_e32 vcc_lo, s2, v2
	s_delay_alu instid0(VALU_DEP_2) | instskip(NEXT) | instid1(VALU_DEP_1)
	v_dual_mov_b32 v2, v0 :: v_dual_add_nc_u32 v3, 1, v1
	v_cndmask_b32_e32 v1, v1, v3, vcc_lo
; %bb.7:                                ;   in Loop: Header=BB259_3 Depth=1
	s_or_b32 exec_lo, exec_lo, s0
	s_delay_alu instid0(VALU_DEP_2) | instskip(NEXT) | instid1(VALU_DEP_2)
	v_mul_lo_u32 v3, v2, s2
	v_mul_lo_u32 v10, v1, s3
	v_mad_u64_u32 v[8:9], null, v1, s2, 0
	s_cmpk_lt_i32 s6, 0x7a
	s_delay_alu instid0(VALU_DEP_1) | instskip(NEXT) | instid1(VALU_DEP_2)
	v_add3_u32 v3, v9, v10, v3
	v_sub_co_u32 v8, vcc_lo, v4, v8
	s_delay_alu instid0(VALU_DEP_2)
	v_sub_co_ci_u32_e32 v9, vcc_lo, v5, v3, vcc_lo
	s_cbranch_scc1 .LBB259_10
; %bb.8:                                ;   in Loop: Header=BB259_3 Depth=1
	s_mov_b32 s0, 0
	s_cmpk_eq_i32 s6, 0x7a
	s_mov_b32 s21, 0
                                        ; implicit-def: $vgpr10_vgpr11
	s_cbranch_scc0 .LBB259_11
; %bb.9:                                ;   in Loop: Header=BB259_3 Depth=1
	v_lshlrev_b64 v[10:11], 3, v[8:9]
	s_mov_b32 s21, -1
	s_delay_alu instid0(VALU_DEP_1) | instskip(NEXT) | instid1(VALU_DEP_2)
	v_sub_co_u32 v3, vcc_lo, s1, v10
	v_sub_co_ci_u32_e32 v10, vcc_lo, s18, v11, vcc_lo
	s_delay_alu instid0(VALU_DEP_2) | instskip(NEXT) | instid1(VALU_DEP_2)
	v_cvt_f64_u32_e32 v[15:16], v3
	v_cvt_f64_u32_e32 v[10:11], v10
	s_delay_alu instid0(VALU_DEP_1) | instskip(NEXT) | instid1(VALU_DEP_1)
	v_ldexp_f64 v[10:11], v[10:11], 32
	v_add_f64 v[10:11], v[10:11], v[15:16]
	s_delay_alu instid0(VALU_DEP_1) | instskip(SKIP_1) | instid1(VALU_DEP_1)
	v_cmp_gt_f64_e32 vcc_lo, 0x10000000, v[10:11]
	v_cndmask_b32_e64 v3, 0, 1, vcc_lo
	v_lshlrev_b32_e32 v3, 8, v3
	s_delay_alu instid0(VALU_DEP_1) | instskip(SKIP_1) | instid1(VALU_DEP_2)
	v_ldexp_f64 v[10:11], v[10:11], v3
	v_cndmask_b32_e64 v3, 0, 0xffffff80, vcc_lo
	v_rsq_f64_e32 v[15:16], v[10:11]
	v_cmp_class_f64_e64 vcc_lo, v[10:11], 0x260
	s_waitcnt_depctr 0xfff
	v_mul_f64 v[17:18], v[10:11], v[15:16]
	v_mul_f64 v[15:16], v[15:16], 0.5
	s_delay_alu instid0(VALU_DEP_1) | instskip(NEXT) | instid1(VALU_DEP_1)
	v_fma_f64 v[19:20], -v[15:16], v[17:18], 0.5
	v_fma_f64 v[17:18], v[17:18], v[19:20], v[17:18]
	v_fma_f64 v[15:16], v[15:16], v[19:20], v[15:16]
	s_delay_alu instid0(VALU_DEP_2) | instskip(NEXT) | instid1(VALU_DEP_1)
	v_fma_f64 v[19:20], -v[17:18], v[17:18], v[10:11]
	v_fma_f64 v[17:18], v[19:20], v[15:16], v[17:18]
	s_delay_alu instid0(VALU_DEP_1) | instskip(NEXT) | instid1(VALU_DEP_1)
	v_fma_f64 v[19:20], -v[17:18], v[17:18], v[10:11]
	v_fma_f64 v[15:16], v[19:20], v[15:16], v[17:18]
	v_mul_lo_u32 v17, v1, s5
	s_delay_alu instid0(VALU_DEP_2) | instskip(SKIP_1) | instid1(VALU_DEP_2)
	v_ldexp_f64 v[15:16], v[15:16], v3
	v_mul_lo_u32 v3, v2, s4
	v_dual_cndmask_b32 v10, v15, v10 :: v_dual_cndmask_b32 v11, v16, v11
	s_delay_alu instid0(VALU_DEP_1) | instskip(NEXT) | instid1(VALU_DEP_1)
	v_fma_f64 v[10:11], v[10:11], 0.5, -0.5
	v_floor_f64_e32 v[10:11], v[10:11]
	s_delay_alu instid0(VALU_DEP_1) | instskip(NEXT) | instid1(VALU_DEP_1)
	v_add_f64 v[10:11], v[6:7], -v[10:11]
	v_trunc_f64_e32 v[10:11], v[10:11]
	s_delay_alu instid0(VALU_DEP_1) | instskip(NEXT) | instid1(VALU_DEP_1)
	v_ldexp_f64 v[15:16], v[10:11], 0xffffffe0
	v_floor_f64_e32 v[15:16], v[15:16]
	s_delay_alu instid0(VALU_DEP_1) | instskip(SKIP_1) | instid1(VALU_DEP_2)
	v_fma_f64 v[10:11], 0xc1f00000, v[15:16], v[10:11]
	v_cvt_u32_f64_e32 v16, v[15:16]
	v_cvt_u32_f64_e32 v15, v[10:11]
	v_mad_u64_u32 v[10:11], null, v1, s4, 0
	s_delay_alu instid0(VALU_DEP_1) | instskip(NEXT) | instid1(VALU_DEP_4)
	v_add3_u32 v11, v11, v17, v3
	v_mul_lo_u32 v3, v16, s10
	s_delay_alu instid0(VALU_DEP_2) | instskip(SKIP_4) | instid1(VALU_DEP_4)
	v_lshlrev_b64 v[10:11], 4, v[10:11]
	v_sub_co_u32 v23, vcc_lo, s7, v15
	v_sub_co_ci_u32_e32 v21, vcc_lo, s17, v16, vcc_lo
	v_mul_lo_u32 v22, v15, s11
	v_mad_u64_u32 v[17:18], null, v15, s10, 0
	v_add_co_u32 v24, vcc_lo, v23, -1
	s_delay_alu instid0(VALU_DEP_4) | instskip(SKIP_1) | instid1(VALU_DEP_4)
	v_add_co_ci_u32_e32 v25, vcc_lo, -1, v21, vcc_lo
	v_sub_co_u32 v19, vcc_lo, v8, s12
	v_add3_u32 v18, v18, v22, v3
	s_delay_alu instid0(VALU_DEP_3)
	v_mul_lo_u32 v3, v25, v23
	v_mul_lo_u32 v25, v24, v21
	v_mad_u64_u32 v[21:22], null, v24, v23, 0
	v_subrev_co_ci_u32_e32 v20, vcc_lo, s13, v9, vcc_lo
	v_lshlrev_b64 v[17:18], 4, v[17:18]
	v_add_co_u32 v10, vcc_lo, s14, v10
	v_add_co_ci_u32_e32 v11, vcc_lo, s16, v11, vcc_lo
	s_delay_alu instid0(VALU_DEP_4) | instskip(SKIP_1) | instid1(VALU_DEP_4)
	v_lshlrev_b64 v[19:20], 4, v[19:20]
	v_add3_u32 v22, v22, v25, v3
	v_add_co_u32 v3, vcc_lo, v10, v17
	s_delay_alu instid0(VALU_DEP_4) | instskip(NEXT) | instid1(VALU_DEP_3)
	v_add_co_ci_u32_e32 v17, vcc_lo, v11, v18, vcc_lo
	v_lshlrev_b64 v[10:11], 3, v[21:22]
	v_lshlrev_b64 v[15:16], 4, v[15:16]
	s_delay_alu instid0(VALU_DEP_4) | instskip(NEXT) | instid1(VALU_DEP_4)
	v_add_co_u32 v3, vcc_lo, v3, v19
	v_add_co_ci_u32_e32 v17, vcc_lo, v17, v20, vcc_lo
	s_delay_alu instid0(VALU_DEP_4) | instskip(NEXT) | instid1(VALU_DEP_3)
	v_and_b32_e32 v10, -16, v10
	v_add_co_u32 v3, vcc_lo, v3, v15
	s_delay_alu instid0(VALU_DEP_3) | instskip(NEXT) | instid1(VALU_DEP_2)
	v_add_co_ci_u32_e32 v15, vcc_lo, v17, v16, vcc_lo
	v_add_co_u32 v3, vcc_lo, v3, v10
	s_delay_alu instid0(VALU_DEP_2) | instskip(NEXT) | instid1(VALU_DEP_2)
	v_add_co_ci_u32_e32 v11, vcc_lo, v15, v11, vcc_lo
	v_add_co_u32 v10, vcc_lo, v3, 16
	s_delay_alu instid0(VALU_DEP_2)
	v_add_co_ci_u32_e32 v11, vcc_lo, 0, v11, vcc_lo
	s_branch .LBB259_11
.LBB259_10:                             ;   in Loop: Header=BB259_3 Depth=1
	s_mov_b32 s0, -1
	s_mov_b32 s21, 0
                                        ; implicit-def: $vgpr10_vgpr11
.LBB259_11:                             ;   in Loop: Header=BB259_3 Depth=1
	s_and_b32 vcc_lo, exec_lo, s0
	s_cbranch_vccz .LBB259_14
; %bb.12:                               ;   in Loop: Header=BB259_3 Depth=1
	s_cmpk_eq_i32 s6, 0x79
                                        ; implicit-def: $vgpr10_vgpr11
	s_cbranch_scc0 .LBB259_14
; %bb.13:                               ;   in Loop: Header=BB259_3 Depth=1
	v_lshlrev_b64 v[10:11], 3, v[8:9]
	s_mov_b32 s21, -1
	s_delay_alu instid0(VALU_DEP_1) | instskip(NEXT) | instid1(VALU_DEP_2)
	v_cvt_f64_u32_e32 v[15:16], v11
	v_or_b32_e32 v3, 1, v10
	s_delay_alu instid0(VALU_DEP_1) | instskip(NEXT) | instid1(VALU_DEP_3)
	v_cvt_f64_u32_e32 v[10:11], v3
	v_ldexp_f64 v[15:16], v[15:16], 32
	s_delay_alu instid0(VALU_DEP_1) | instskip(NEXT) | instid1(VALU_DEP_1)
	v_add_f64 v[10:11], v[15:16], v[10:11]
	v_cmp_gt_f64_e32 vcc_lo, 0x10000000, v[10:11]
	v_cndmask_b32_e64 v3, 0, 1, vcc_lo
	s_delay_alu instid0(VALU_DEP_1) | instskip(NEXT) | instid1(VALU_DEP_1)
	v_lshlrev_b32_e32 v3, 8, v3
	v_ldexp_f64 v[10:11], v[10:11], v3
	v_cndmask_b32_e64 v3, 0, 0xffffff80, vcc_lo
	s_delay_alu instid0(VALU_DEP_2) | instskip(SKIP_4) | instid1(VALU_DEP_1)
	v_rsq_f64_e32 v[15:16], v[10:11]
	v_cmp_class_f64_e64 vcc_lo, v[10:11], 0x260
	s_waitcnt_depctr 0xfff
	v_mul_f64 v[17:18], v[10:11], v[15:16]
	v_mul_f64 v[15:16], v[15:16], 0.5
	v_fma_f64 v[19:20], -v[15:16], v[17:18], 0.5
	s_delay_alu instid0(VALU_DEP_1) | instskip(SKIP_1) | instid1(VALU_DEP_2)
	v_fma_f64 v[17:18], v[17:18], v[19:20], v[17:18]
	v_fma_f64 v[15:16], v[15:16], v[19:20], v[15:16]
	v_fma_f64 v[19:20], -v[17:18], v[17:18], v[10:11]
	s_delay_alu instid0(VALU_DEP_1) | instskip(NEXT) | instid1(VALU_DEP_1)
	v_fma_f64 v[17:18], v[19:20], v[15:16], v[17:18]
	v_fma_f64 v[19:20], -v[17:18], v[17:18], v[10:11]
	s_delay_alu instid0(VALU_DEP_1) | instskip(SKIP_2) | instid1(VALU_DEP_3)
	v_fma_f64 v[15:16], v[19:20], v[15:16], v[17:18]
	v_mul_lo_u32 v18, v2, s4
	v_mul_lo_u32 v19, v1, s5
	v_ldexp_f64 v[15:16], v[15:16], v3
	v_mad_u64_u32 v[2:3], null, v1, s4, 0
	s_delay_alu instid0(VALU_DEP_1) | instskip(NEXT) | instid1(VALU_DEP_3)
	v_add3_u32 v3, v3, v19, v18
	v_dual_cndmask_b32 v10, v15, v10 :: v_dual_cndmask_b32 v11, v16, v11
	s_delay_alu instid0(VALU_DEP_1) | instskip(NEXT) | instid1(VALU_DEP_1)
	v_add_f64 v[10:11], v[10:11], -1.0
	v_mul_f64 v[10:11], v[10:11], 0.5
	s_delay_alu instid0(VALU_DEP_1) | instskip(NEXT) | instid1(VALU_DEP_1)
	v_trunc_f64_e32 v[10:11], v[10:11]
	v_ldexp_f64 v[15:16], v[10:11], 0xffffffe0
	s_delay_alu instid0(VALU_DEP_1) | instskip(NEXT) | instid1(VALU_DEP_1)
	v_floor_f64_e32 v[15:16], v[15:16]
	v_fma_f64 v[10:11], 0xc1f00000, v[15:16], v[10:11]
	v_cvt_u32_f64_e32 v16, v[15:16]
	s_delay_alu instid0(VALU_DEP_2) | instskip(NEXT) | instid1(VALU_DEP_2)
	v_cvt_u32_f64_e32 v15, v[10:11]
	v_mul_lo_u32 v20, s10, v16
	s_delay_alu instid0(VALU_DEP_2) | instskip(SKIP_3) | instid1(VALU_DEP_3)
	v_mad_u64_u32 v[10:11], null, v15, v15, v[15:16]
	v_mul_lo_u32 v1, v15, v16
	v_mul_lo_u32 v21, s11, v15
	v_mad_u64_u32 v[16:17], null, s10, v15, s[10:11]
	v_add3_u32 v11, v1, v11, v1
	v_lshlrev_b64 v[1:2], 4, v[2:3]
	s_delay_alu instid0(VALU_DEP_3) | instskip(NEXT) | instid1(VALU_DEP_3)
	v_add3_u32 v17, v21, v17, v20
	v_lshrrev_b64 v[10:11], 1, v[10:11]
	s_delay_alu instid0(VALU_DEP_2) | instskip(NEXT) | instid1(VALU_DEP_2)
	v_lshlrev_b64 v[15:16], 4, v[16:17]
	v_sub_co_u32 v8, vcc_lo, v8, v10
	s_delay_alu instid0(VALU_DEP_3) | instskip(SKIP_2) | instid1(VALU_DEP_3)
	v_sub_co_ci_u32_e32 v9, vcc_lo, v9, v11, vcc_lo
	v_add_co_u32 v3, vcc_lo, s14, v1
	v_add_co_ci_u32_e32 v10, vcc_lo, s16, v2, vcc_lo
	v_lshlrev_b64 v[1:2], 4, v[8:9]
	s_delay_alu instid0(VALU_DEP_3) | instskip(NEXT) | instid1(VALU_DEP_3)
	v_add_co_u32 v3, vcc_lo, v3, v15
	v_add_co_ci_u32_e32 v8, vcc_lo, v10, v16, vcc_lo
	s_delay_alu instid0(VALU_DEP_2) | instskip(NEXT) | instid1(VALU_DEP_2)
	v_add_co_u32 v10, vcc_lo, v3, v1
	v_add_co_ci_u32_e32 v11, vcc_lo, v8, v2, vcc_lo
.LBB259_14:                             ;   in Loop: Header=BB259_3 Depth=1
	s_and_b32 vcc_lo, exec_lo, s21
	s_cbranch_vccz .LBB259_2
; %bb.15:                               ;   in Loop: Header=BB259_3 Depth=1
	v_mov_b32_e32 v1, v0
	v_mov_b32_e32 v2, v0
	;; [unrolled: 1-line block ×3, first 2 shown]
	global_store_b128 v[10:11], v[0:3], off
	s_branch .LBB259_2
.LBB259_16:
	s_nop 0
	s_sendmsg sendmsg(MSG_DEALLOC_VGPRS)
	s_endpgm
	.section	.rodata,"a",@progbits
	.p2align	6, 0x0
	.amdhsa_kernel _ZL18rocblas_trtri_fillILi128E19rocblas_complex_numIdEPKPS1_EvP15_rocblas_handle13rocblas_fill_ililT1_llii
		.amdhsa_group_segment_fixed_size 0
		.amdhsa_private_segment_fixed_size 0
		.amdhsa_kernarg_size 328
		.amdhsa_user_sgpr_count 14
		.amdhsa_user_sgpr_dispatch_ptr 0
		.amdhsa_user_sgpr_queue_ptr 0
		.amdhsa_user_sgpr_kernarg_segment_ptr 1
		.amdhsa_user_sgpr_dispatch_id 0
		.amdhsa_user_sgpr_private_segment_size 0
		.amdhsa_wavefront_size32 1
		.amdhsa_uses_dynamic_stack 0
		.amdhsa_enable_private_segment 0
		.amdhsa_system_sgpr_workgroup_id_x 1
		.amdhsa_system_sgpr_workgroup_id_y 0
		.amdhsa_system_sgpr_workgroup_id_z 1
		.amdhsa_system_sgpr_workgroup_info 0
		.amdhsa_system_vgpr_workitem_id 0
		.amdhsa_next_free_vgpr 26
		.amdhsa_next_free_sgpr 23
		.amdhsa_reserve_vcc 1
		.amdhsa_float_round_mode_32 0
		.amdhsa_float_round_mode_16_64 0
		.amdhsa_float_denorm_mode_32 3
		.amdhsa_float_denorm_mode_16_64 3
		.amdhsa_dx10_clamp 1
		.amdhsa_ieee_mode 1
		.amdhsa_fp16_overflow 0
		.amdhsa_workgroup_processor_mode 1
		.amdhsa_memory_ordered 1
		.amdhsa_forward_progress 0
		.amdhsa_shared_vgpr_count 0
		.amdhsa_exception_fp_ieee_invalid_op 0
		.amdhsa_exception_fp_denorm_src 0
		.amdhsa_exception_fp_ieee_div_zero 0
		.amdhsa_exception_fp_ieee_overflow 0
		.amdhsa_exception_fp_ieee_underflow 0
		.amdhsa_exception_fp_ieee_inexact 0
		.amdhsa_exception_int_div_zero 0
	.end_amdhsa_kernel
	.section	.text._ZL18rocblas_trtri_fillILi128E19rocblas_complex_numIdEPKPS1_EvP15_rocblas_handle13rocblas_fill_ililT1_llii,"axG",@progbits,_ZL18rocblas_trtri_fillILi128E19rocblas_complex_numIdEPKPS1_EvP15_rocblas_handle13rocblas_fill_ililT1_llii,comdat
.Lfunc_end259:
	.size	_ZL18rocblas_trtri_fillILi128E19rocblas_complex_numIdEPKPS1_EvP15_rocblas_handle13rocblas_fill_ililT1_llii, .Lfunc_end259-_ZL18rocblas_trtri_fillILi128E19rocblas_complex_numIdEPKPS1_EvP15_rocblas_handle13rocblas_fill_ililT1_llii
                                        ; -- End function
	.section	.AMDGPU.csdata,"",@progbits
; Kernel info:
; codeLenInByte = 2420
; NumSgprs: 25
; NumVgprs: 26
; ScratchSize: 0
; MemoryBound: 0
; FloatMode: 240
; IeeeMode: 1
; LDSByteSize: 0 bytes/workgroup (compile time only)
; SGPRBlocks: 3
; VGPRBlocks: 3
; NumSGPRsForWavesPerEU: 25
; NumVGPRsForWavesPerEU: 26
; Occupancy: 16
; WaveLimiterHint : 0
; COMPUTE_PGM_RSRC2:SCRATCH_EN: 0
; COMPUTE_PGM_RSRC2:USER_SGPR: 14
; COMPUTE_PGM_RSRC2:TRAP_HANDLER: 0
; COMPUTE_PGM_RSRC2:TGID_X_EN: 1
; COMPUTE_PGM_RSRC2:TGID_Y_EN: 0
; COMPUTE_PGM_RSRC2:TGID_Z_EN: 1
; COMPUTE_PGM_RSRC2:TIDIG_COMP_CNT: 0
	.section	.text._ZL24rocblas_copy_matrix_trsmILi128ELi8E19rocblas_complex_numIdEPKPKS1_PKPS1_EviiiT2_ilT3_illli,"axG",@progbits,_ZL24rocblas_copy_matrix_trsmILi128ELi8E19rocblas_complex_numIdEPKPKS1_PKPS1_EviiiT2_ilT3_illli,comdat
	.globl	_ZL24rocblas_copy_matrix_trsmILi128ELi8E19rocblas_complex_numIdEPKPKS1_PKPS1_EviiiT2_ilT3_illli ; -- Begin function _ZL24rocblas_copy_matrix_trsmILi128ELi8E19rocblas_complex_numIdEPKPKS1_PKPS1_EviiiT2_ilT3_illli
	.p2align	8
	.type	_ZL24rocblas_copy_matrix_trsmILi128ELi8E19rocblas_complex_numIdEPKPKS1_PKPS1_EviiiT2_ilT3_illli,@function
_ZL24rocblas_copy_matrix_trsmILi128ELi8E19rocblas_complex_numIdEPKPKS1_PKPS1_EviiiT2_ilT3_illli: ; @_ZL24rocblas_copy_matrix_trsmILi128ELi8E19rocblas_complex_numIdEPKPKS1_PKPS1_EviiiT2_ilT3_illli
; %bb.0:
	s_load_b64 s[2:3], s[0:1], 0x0
	v_dual_mov_b32 v3, 0 :: v_dual_and_b32 v2, 0x3ff, v0
	v_bfe_u32 v0, v0, 10, 10
	s_mov_b32 s5, 0
	s_delay_alu instid0(VALU_DEP_2) | instskip(NEXT) | instid1(VALU_DEP_3)
	v_mov_b32_e32 v1, v3
	v_lshl_add_u32 v2, s13, 7, v2
	s_delay_alu instid0(VALU_DEP_3) | instskip(SKIP_4) | instid1(SALU_CYCLE_1)
	v_lshl_add_u32 v0, s14, 3, v0
	s_waitcnt lgkmcnt(0)
	s_ashr_i32 s7, s3, 31
	s_mov_b32 s6, s3
	s_ashr_i32 s3, s2, 31
	v_cmp_gt_u64_e32 vcc_lo, s[2:3], v[2:3]
	v_cmp_gt_u64_e64 s2, s[6:7], v[0:1]
	s_delay_alu instid0(VALU_DEP_1) | instskip(NEXT) | instid1(SALU_CYCLE_1)
	s_and_b32 s2, vcc_lo, s2
	s_and_saveexec_b32 s3, s2
	s_cbranch_execz .LBB260_3
; %bb.1:
	s_mov_b32 s4, s15
	s_clause 0x5
	s_load_b32 s14, s[0:1], 0x30
	s_load_b32 s16, s[0:1], 0x18
	s_load_b64 s[2:3], s[0:1], 0x10
	s_load_b64 s[12:13], s[0:1], 0x28
	s_load_b32 s15, s[0:1], 0x5c
	s_load_b128 s[8:11], s[0:1], 0x40
	s_lshl_b64 s[0:1], s[4:5], 3
	v_lshlrev_b64 v[2:3], 4, v[2:3]
	s_waitcnt lgkmcnt(0)
	v_mad_u64_u32 v[4:5], null, s14, v0, 0
	v_mad_u64_u32 v[6:7], null, s16, v0, 0
	s_ashr_i32 s17, s14, 31
	s_ashr_i32 s4, s16, 31
	s_add_u32 s2, s2, s0
	s_addc_u32 s3, s3, s1
	s_add_u32 s12, s12, s0
	s_addc_u32 s13, s13, s1
	s_delay_alu instid0(VALU_DEP_1)
	v_mad_u64_u32 v[8:9], null, s17, v0, v[5:6]
	s_load_b64 s[12:13], s[12:13], 0x0
	s_load_b64 s[2:3], s[2:3], 0x0
	s_lshl_b64 s[10:11], s[10:11], 4
	s_lshl_b64 s[8:9], s[8:9], 4
	s_lshl_b32 s1, s15, 3
	s_delay_alu instid0(VALU_DEP_1)
	v_mad_u64_u32 v[9:10], null, s4, v0, v[7:8]
	v_mov_b32_e32 v5, v8
	s_mul_i32 s17, s17, s1
	s_mul_hi_u32 s0, s14, s1
	s_mul_i32 s4, s4, s1
	s_mul_hi_u32 s18, s16, s1
	v_lshlrev_b64 v[4:5], 4, v[4:5]
	s_delay_alu instid0(VALU_DEP_3) | instskip(SKIP_2) | instid1(VALU_DEP_1)
	v_mov_b32_e32 v7, v9
	s_mul_i32 s14, s14, s1
	s_add_i32 s15, s0, s17
	v_lshlrev_b64 v[6:7], 4, v[6:7]
	s_delay_alu instid0(VALU_DEP_3) | instskip(SKIP_1) | instid1(VALU_DEP_3)
	v_add_co_u32 v4, vcc_lo, v4, s10
	v_add_co_ci_u32_e32 v5, vcc_lo, s11, v5, vcc_lo
	v_add_co_u32 v6, vcc_lo, v6, s8
	s_delay_alu instid0(VALU_DEP_4) | instskip(NEXT) | instid1(VALU_DEP_4)
	v_add_co_ci_u32_e32 v7, vcc_lo, s9, v7, vcc_lo
	v_add_co_u32 v4, vcc_lo, v4, v2
	s_delay_alu instid0(VALU_DEP_4) | instskip(NEXT) | instid1(VALU_DEP_4)
	v_add_co_ci_u32_e32 v5, vcc_lo, v5, v3, vcc_lo
	v_add_co_u32 v6, vcc_lo, v6, v2
	s_delay_alu instid0(VALU_DEP_4)
	v_add_co_ci_u32_e32 v7, vcc_lo, v7, v3, vcc_lo
	s_waitcnt lgkmcnt(0)
	v_add_co_u32 v2, vcc_lo, s12, v4
	v_add_co_ci_u32_e32 v3, vcc_lo, s13, v5, vcc_lo
	v_add_co_u32 v4, vcc_lo, s2, v6
	v_add_co_ci_u32_e32 v5, vcc_lo, s3, v7, vcc_lo
	s_add_i32 s9, s18, s4
	s_mul_i32 s8, s16, s1
	s_lshl_b64 s[2:3], s[14:15], 4
	s_lshl_b64 s[8:9], s[8:9], 4
	.p2align	6
.LBB260_2:                              ; =>This Inner Loop Header: Depth=1
	global_load_b128 v[6:9], v[4:5], off
	v_add_co_u32 v0, vcc_lo, v0, s1
	v_add_co_ci_u32_e32 v1, vcc_lo, 0, v1, vcc_lo
	v_add_co_u32 v4, vcc_lo, v4, s8
	v_add_co_ci_u32_e32 v5, vcc_lo, s9, v5, vcc_lo
	s_delay_alu instid0(VALU_DEP_3) | instskip(SKIP_4) | instid1(VALU_DEP_1)
	v_cmp_le_u64_e32 vcc_lo, s[6:7], v[0:1]
	s_or_b32 s5, vcc_lo, s5
	s_waitcnt vmcnt(0)
	global_store_b128 v[2:3], v[6:9], off
	v_add_co_u32 v2, s0, v2, s2
	v_add_co_ci_u32_e64 v3, s0, s3, v3, s0
	s_and_not1_b32 exec_lo, exec_lo, s5
	s_cbranch_execnz .LBB260_2
.LBB260_3:
	s_nop 0
	s_sendmsg sendmsg(MSG_DEALLOC_VGPRS)
	s_endpgm
	.section	.rodata,"a",@progbits
	.p2align	6, 0x0
	.amdhsa_kernel _ZL24rocblas_copy_matrix_trsmILi128ELi8E19rocblas_complex_numIdEPKPKS1_PKPS1_EviiiT2_ilT3_illli
		.amdhsa_group_segment_fixed_size 0
		.amdhsa_private_segment_fixed_size 0
		.amdhsa_kernarg_size 344
		.amdhsa_user_sgpr_count 13
		.amdhsa_user_sgpr_dispatch_ptr 0
		.amdhsa_user_sgpr_queue_ptr 0
		.amdhsa_user_sgpr_kernarg_segment_ptr 1
		.amdhsa_user_sgpr_dispatch_id 0
		.amdhsa_user_sgpr_private_segment_size 0
		.amdhsa_wavefront_size32 1
		.amdhsa_uses_dynamic_stack 0
		.amdhsa_enable_private_segment 0
		.amdhsa_system_sgpr_workgroup_id_x 1
		.amdhsa_system_sgpr_workgroup_id_y 1
		.amdhsa_system_sgpr_workgroup_id_z 1
		.amdhsa_system_sgpr_workgroup_info 0
		.amdhsa_system_vgpr_workitem_id 1
		.amdhsa_next_free_vgpr 11
		.amdhsa_next_free_sgpr 19
		.amdhsa_reserve_vcc 1
		.amdhsa_float_round_mode_32 0
		.amdhsa_float_round_mode_16_64 0
		.amdhsa_float_denorm_mode_32 3
		.amdhsa_float_denorm_mode_16_64 3
		.amdhsa_dx10_clamp 1
		.amdhsa_ieee_mode 1
		.amdhsa_fp16_overflow 0
		.amdhsa_workgroup_processor_mode 1
		.amdhsa_memory_ordered 1
		.amdhsa_forward_progress 0
		.amdhsa_shared_vgpr_count 0
		.amdhsa_exception_fp_ieee_invalid_op 0
		.amdhsa_exception_fp_denorm_src 0
		.amdhsa_exception_fp_ieee_div_zero 0
		.amdhsa_exception_fp_ieee_overflow 0
		.amdhsa_exception_fp_ieee_underflow 0
		.amdhsa_exception_fp_ieee_inexact 0
		.amdhsa_exception_int_div_zero 0
	.end_amdhsa_kernel
	.section	.text._ZL24rocblas_copy_matrix_trsmILi128ELi8E19rocblas_complex_numIdEPKPKS1_PKPS1_EviiiT2_ilT3_illli,"axG",@progbits,_ZL24rocblas_copy_matrix_trsmILi128ELi8E19rocblas_complex_numIdEPKPKS1_PKPS1_EviiiT2_ilT3_illli,comdat
.Lfunc_end260:
	.size	_ZL24rocblas_copy_matrix_trsmILi128ELi8E19rocblas_complex_numIdEPKPKS1_PKPS1_EviiiT2_ilT3_illli, .Lfunc_end260-_ZL24rocblas_copy_matrix_trsmILi128ELi8E19rocblas_complex_numIdEPKPKS1_PKPS1_EviiiT2_ilT3_illli
                                        ; -- End function
	.section	.AMDGPU.csdata,"",@progbits
; Kernel info:
; codeLenInByte = 520
; NumSgprs: 21
; NumVgprs: 11
; ScratchSize: 0
; MemoryBound: 0
; FloatMode: 240
; IeeeMode: 1
; LDSByteSize: 0 bytes/workgroup (compile time only)
; SGPRBlocks: 2
; VGPRBlocks: 1
; NumSGPRsForWavesPerEU: 21
; NumVGPRsForWavesPerEU: 11
; Occupancy: 16
; WaveLimiterHint : 0
; COMPUTE_PGM_RSRC2:SCRATCH_EN: 0
; COMPUTE_PGM_RSRC2:USER_SGPR: 13
; COMPUTE_PGM_RSRC2:TRAP_HANDLER: 0
; COMPUTE_PGM_RSRC2:TGID_X_EN: 1
; COMPUTE_PGM_RSRC2:TGID_Y_EN: 1
; COMPUTE_PGM_RSRC2:TGID_Z_EN: 1
; COMPUTE_PGM_RSRC2:TIDIG_COMP_CNT: 1
	.text
	.p2alignl 7, 3214868480
	.fill 96, 4, 3214868480
	.type	__const._ZL38rocblas_trsm_small_left_device_sharedBILi4ELi4ELb0E19rocblas_complex_numIfES1_PKPKS1_PKPS1_Ev13rocblas_fill_18rocblas_operation_17rocblas_diagonal_iiT3_T4_lilT5_lili.step_sizes,@object ; @__const._ZL38rocblas_trsm_small_left_device_sharedBILi4ELi4ELb0E19rocblas_complex_numIfES1_PKPKS1_PKPS1_Ev13rocblas_fill_18rocblas_operation_17rocblas_diagonal_iiT3_T4_lilT5_lili.step_sizes
	.section	.rodata,"a",@progbits
	.p2align	2, 0x0
__const._ZL38rocblas_trsm_small_left_device_sharedBILi4ELi4ELb0E19rocblas_complex_numIfES1_PKPKS1_PKPS1_Ev13rocblas_fill_18rocblas_operation_17rocblas_diagonal_iiT3_T4_lilT5_lili.step_sizes:
	.long	4                               ; 0x4
	.long	1                               ; 0x1
	;; [unrolled: 1-line block ×3, first 2 shown]
	.size	__const._ZL38rocblas_trsm_small_left_device_sharedBILi4ELi4ELb0E19rocblas_complex_numIfES1_PKPKS1_PKPS1_Ev13rocblas_fill_18rocblas_operation_17rocblas_diagonal_iiT3_T4_lilT5_lili.step_sizes, 12

	.type	__const._ZL30rocblas_trsm_small_left_deviceILi4ELi4ELb0E19rocblas_complex_numIfES1_PKPKS1_PKPS1_Ev13rocblas_fill_18rocblas_operation_17rocblas_diagonal_iiT3_T4_lilT5_lili.step_sizes,@object ; @__const._ZL30rocblas_trsm_small_left_deviceILi4ELi4ELb0E19rocblas_complex_numIfES1_PKPKS1_PKPS1_Ev13rocblas_fill_18rocblas_operation_17rocblas_diagonal_iiT3_T4_lilT5_lili.step_sizes
	.p2align	2, 0x0
__const._ZL30rocblas_trsm_small_left_deviceILi4ELi4ELb0E19rocblas_complex_numIfES1_PKPKS1_PKPS1_Ev13rocblas_fill_18rocblas_operation_17rocblas_diagonal_iiT3_T4_lilT5_lili.step_sizes:
	.long	4                               ; 0x4
	.long	1                               ; 0x1
	;; [unrolled: 1-line block ×3, first 2 shown]
	.size	__const._ZL30rocblas_trsm_small_left_deviceILi4ELi4ELb0E19rocblas_complex_numIfES1_PKPKS1_PKPS1_Ev13rocblas_fill_18rocblas_operation_17rocblas_diagonal_iiT3_T4_lilT5_lili.step_sizes, 12

	.type	__const._ZL38rocblas_trsm_small_left_device_sharedBILi4ELi4ELb1E19rocblas_complex_numIfES1_PKPKS1_PKPS1_Ev13rocblas_fill_18rocblas_operation_17rocblas_diagonal_iiT3_T4_lilT5_lili.step_sizes,@object ; @__const._ZL38rocblas_trsm_small_left_device_sharedBILi4ELi4ELb1E19rocblas_complex_numIfES1_PKPKS1_PKPS1_Ev13rocblas_fill_18rocblas_operation_17rocblas_diagonal_iiT3_T4_lilT5_lili.step_sizes
	.p2align	2, 0x0
__const._ZL38rocblas_trsm_small_left_device_sharedBILi4ELi4ELb1E19rocblas_complex_numIfES1_PKPKS1_PKPS1_Ev13rocblas_fill_18rocblas_operation_17rocblas_diagonal_iiT3_T4_lilT5_lili.step_sizes:
	.long	4                               ; 0x4
	.long	1                               ; 0x1
	;; [unrolled: 1-line block ×3, first 2 shown]
	.size	__const._ZL38rocblas_trsm_small_left_device_sharedBILi4ELi4ELb1E19rocblas_complex_numIfES1_PKPKS1_PKPS1_Ev13rocblas_fill_18rocblas_operation_17rocblas_diagonal_iiT3_T4_lilT5_lili.step_sizes, 12

	.type	__const._ZL30rocblas_trsm_small_left_deviceILi4ELi4ELb1E19rocblas_complex_numIfES1_PKPKS1_PKPS1_Ev13rocblas_fill_18rocblas_operation_17rocblas_diagonal_iiT3_T4_lilT5_lili.step_sizes,@object ; @__const._ZL30rocblas_trsm_small_left_deviceILi4ELi4ELb1E19rocblas_complex_numIfES1_PKPKS1_PKPS1_Ev13rocblas_fill_18rocblas_operation_17rocblas_diagonal_iiT3_T4_lilT5_lili.step_sizes
	.p2align	2, 0x0
__const._ZL30rocblas_trsm_small_left_deviceILi4ELi4ELb1E19rocblas_complex_numIfES1_PKPKS1_PKPS1_Ev13rocblas_fill_18rocblas_operation_17rocblas_diagonal_iiT3_T4_lilT5_lili.step_sizes:
	.long	4                               ; 0x4
	.long	1                               ; 0x1
	;; [unrolled: 1-line block ×3, first 2 shown]
	.size	__const._ZL30rocblas_trsm_small_left_deviceILi4ELi4ELb1E19rocblas_complex_numIfES1_PKPKS1_PKPS1_Ev13rocblas_fill_18rocblas_operation_17rocblas_diagonal_iiT3_T4_lilT5_lili.step_sizes, 12

	.type	__const._ZL38rocblas_trsm_small_left_device_sharedBILi8ELi8ELb0E19rocblas_complex_numIfES1_PKPKS1_PKPS1_Ev13rocblas_fill_18rocblas_operation_17rocblas_diagonal_iiT3_T4_lilT5_lili.step_sizes,@object ; @__const._ZL38rocblas_trsm_small_left_device_sharedBILi8ELi8ELb0E19rocblas_complex_numIfES1_PKPKS1_PKPS1_Ev13rocblas_fill_18rocblas_operation_17rocblas_diagonal_iiT3_T4_lilT5_lili.step_sizes
	.p2align	2, 0x0
__const._ZL38rocblas_trsm_small_left_device_sharedBILi8ELi8ELb0E19rocblas_complex_numIfES1_PKPKS1_PKPS1_Ev13rocblas_fill_18rocblas_operation_17rocblas_diagonal_iiT3_T4_lilT5_lili.step_sizes:
	.long	8                               ; 0x8
	.long	4                               ; 0x4
	;; [unrolled: 1-line block ×3, first 2 shown]
	.size	__const._ZL38rocblas_trsm_small_left_device_sharedBILi8ELi8ELb0E19rocblas_complex_numIfES1_PKPKS1_PKPS1_Ev13rocblas_fill_18rocblas_operation_17rocblas_diagonal_iiT3_T4_lilT5_lili.step_sizes, 12

	.type	__const._ZL30rocblas_trsm_small_left_deviceILi8ELi8ELb0E19rocblas_complex_numIfES1_PKPKS1_PKPS1_Ev13rocblas_fill_18rocblas_operation_17rocblas_diagonal_iiT3_T4_lilT5_lili.step_sizes,@object ; @__const._ZL30rocblas_trsm_small_left_deviceILi8ELi8ELb0E19rocblas_complex_numIfES1_PKPKS1_PKPS1_Ev13rocblas_fill_18rocblas_operation_17rocblas_diagonal_iiT3_T4_lilT5_lili.step_sizes
	.p2align	2, 0x0
__const._ZL30rocblas_trsm_small_left_deviceILi8ELi8ELb0E19rocblas_complex_numIfES1_PKPKS1_PKPS1_Ev13rocblas_fill_18rocblas_operation_17rocblas_diagonal_iiT3_T4_lilT5_lili.step_sizes:
	.long	8                               ; 0x8
	.long	4                               ; 0x4
	;; [unrolled: 1-line block ×3, first 2 shown]
	.size	__const._ZL30rocblas_trsm_small_left_deviceILi8ELi8ELb0E19rocblas_complex_numIfES1_PKPKS1_PKPS1_Ev13rocblas_fill_18rocblas_operation_17rocblas_diagonal_iiT3_T4_lilT5_lili.step_sizes, 12

	.type	__const._ZL38rocblas_trsm_small_left_device_sharedBILi8ELi8ELb1E19rocblas_complex_numIfES1_PKPKS1_PKPS1_Ev13rocblas_fill_18rocblas_operation_17rocblas_diagonal_iiT3_T4_lilT5_lili.step_sizes,@object ; @__const._ZL38rocblas_trsm_small_left_device_sharedBILi8ELi8ELb1E19rocblas_complex_numIfES1_PKPKS1_PKPS1_Ev13rocblas_fill_18rocblas_operation_17rocblas_diagonal_iiT3_T4_lilT5_lili.step_sizes
	.p2align	2, 0x0
__const._ZL38rocblas_trsm_small_left_device_sharedBILi8ELi8ELb1E19rocblas_complex_numIfES1_PKPKS1_PKPS1_Ev13rocblas_fill_18rocblas_operation_17rocblas_diagonal_iiT3_T4_lilT5_lili.step_sizes:
	.long	8                               ; 0x8
	.long	4                               ; 0x4
	;; [unrolled: 1-line block ×3, first 2 shown]
	.size	__const._ZL38rocblas_trsm_small_left_device_sharedBILi8ELi8ELb1E19rocblas_complex_numIfES1_PKPKS1_PKPS1_Ev13rocblas_fill_18rocblas_operation_17rocblas_diagonal_iiT3_T4_lilT5_lili.step_sizes, 12

	.type	__const._ZL30rocblas_trsm_small_left_deviceILi8ELi8ELb1E19rocblas_complex_numIfES1_PKPKS1_PKPS1_Ev13rocblas_fill_18rocblas_operation_17rocblas_diagonal_iiT3_T4_lilT5_lili.step_sizes,@object ; @__const._ZL30rocblas_trsm_small_left_deviceILi8ELi8ELb1E19rocblas_complex_numIfES1_PKPKS1_PKPS1_Ev13rocblas_fill_18rocblas_operation_17rocblas_diagonal_iiT3_T4_lilT5_lili.step_sizes
	.p2align	2, 0x0
__const._ZL30rocblas_trsm_small_left_deviceILi8ELi8ELb1E19rocblas_complex_numIfES1_PKPKS1_PKPS1_Ev13rocblas_fill_18rocblas_operation_17rocblas_diagonal_iiT3_T4_lilT5_lili.step_sizes:
	.long	8                               ; 0x8
	.long	4                               ; 0x4
	;; [unrolled: 1-line block ×3, first 2 shown]
	.size	__const._ZL30rocblas_trsm_small_left_deviceILi8ELi8ELb1E19rocblas_complex_numIfES1_PKPKS1_PKPS1_Ev13rocblas_fill_18rocblas_operation_17rocblas_diagonal_iiT3_T4_lilT5_lili.step_sizes, 12

	.type	__const._ZL38rocblas_trsm_small_left_device_sharedBILi12ELi12ELb0E19rocblas_complex_numIfES1_PKPKS1_PKPS1_Ev13rocblas_fill_18rocblas_operation_17rocblas_diagonal_iiT3_T4_lilT5_lili.step_sizes,@object ; @__const._ZL38rocblas_trsm_small_left_device_sharedBILi12ELi12ELb0E19rocblas_complex_numIfES1_PKPKS1_PKPS1_Ev13rocblas_fill_18rocblas_operation_17rocblas_diagonal_iiT3_T4_lilT5_lili.step_sizes
	.p2align	2, 0x0
__const._ZL38rocblas_trsm_small_left_device_sharedBILi12ELi12ELb0E19rocblas_complex_numIfES1_PKPKS1_PKPS1_Ev13rocblas_fill_18rocblas_operation_17rocblas_diagonal_iiT3_T4_lilT5_lili.step_sizes:
	.long	12                              ; 0xc
	.long	8                               ; 0x8
	.long	1                               ; 0x1
	.size	__const._ZL38rocblas_trsm_small_left_device_sharedBILi12ELi12ELb0E19rocblas_complex_numIfES1_PKPKS1_PKPS1_Ev13rocblas_fill_18rocblas_operation_17rocblas_diagonal_iiT3_T4_lilT5_lili.step_sizes, 12

	.type	__const._ZL30rocblas_trsm_small_left_deviceILi12ELi12ELb0E19rocblas_complex_numIfES1_PKPKS1_PKPS1_Ev13rocblas_fill_18rocblas_operation_17rocblas_diagonal_iiT3_T4_lilT5_lili.step_sizes,@object ; @__const._ZL30rocblas_trsm_small_left_deviceILi12ELi12ELb0E19rocblas_complex_numIfES1_PKPKS1_PKPS1_Ev13rocblas_fill_18rocblas_operation_17rocblas_diagonal_iiT3_T4_lilT5_lili.step_sizes
	.p2align	2, 0x0
__const._ZL30rocblas_trsm_small_left_deviceILi12ELi12ELb0E19rocblas_complex_numIfES1_PKPKS1_PKPS1_Ev13rocblas_fill_18rocblas_operation_17rocblas_diagonal_iiT3_T4_lilT5_lili.step_sizes:
	.long	12                              ; 0xc
	.long	8                               ; 0x8
	.long	1                               ; 0x1
	.size	__const._ZL30rocblas_trsm_small_left_deviceILi12ELi12ELb0E19rocblas_complex_numIfES1_PKPKS1_PKPS1_Ev13rocblas_fill_18rocblas_operation_17rocblas_diagonal_iiT3_T4_lilT5_lili.step_sizes, 12

	.type	__const._ZL38rocblas_trsm_small_left_device_sharedBILi12ELi12ELb1E19rocblas_complex_numIfES1_PKPKS1_PKPS1_Ev13rocblas_fill_18rocblas_operation_17rocblas_diagonal_iiT3_T4_lilT5_lili.step_sizes,@object ; @__const._ZL38rocblas_trsm_small_left_device_sharedBILi12ELi12ELb1E19rocblas_complex_numIfES1_PKPKS1_PKPS1_Ev13rocblas_fill_18rocblas_operation_17rocblas_diagonal_iiT3_T4_lilT5_lili.step_sizes
	.p2align	2, 0x0
__const._ZL38rocblas_trsm_small_left_device_sharedBILi12ELi12ELb1E19rocblas_complex_numIfES1_PKPKS1_PKPS1_Ev13rocblas_fill_18rocblas_operation_17rocblas_diagonal_iiT3_T4_lilT5_lili.step_sizes:
	.long	12                              ; 0xc
	.long	8                               ; 0x8
	.long	1                               ; 0x1
	.size	__const._ZL38rocblas_trsm_small_left_device_sharedBILi12ELi12ELb1E19rocblas_complex_numIfES1_PKPKS1_PKPS1_Ev13rocblas_fill_18rocblas_operation_17rocblas_diagonal_iiT3_T4_lilT5_lili.step_sizes, 12

	.type	__const._ZL30rocblas_trsm_small_left_deviceILi12ELi12ELb1E19rocblas_complex_numIfES1_PKPKS1_PKPS1_Ev13rocblas_fill_18rocblas_operation_17rocblas_diagonal_iiT3_T4_lilT5_lili.step_sizes,@object ; @__const._ZL30rocblas_trsm_small_left_deviceILi12ELi12ELb1E19rocblas_complex_numIfES1_PKPKS1_PKPS1_Ev13rocblas_fill_18rocblas_operation_17rocblas_diagonal_iiT3_T4_lilT5_lili.step_sizes
	.p2align	2, 0x0
__const._ZL30rocblas_trsm_small_left_deviceILi12ELi12ELb1E19rocblas_complex_numIfES1_PKPKS1_PKPS1_Ev13rocblas_fill_18rocblas_operation_17rocblas_diagonal_iiT3_T4_lilT5_lili.step_sizes:
	.long	12                              ; 0xc
	.long	8                               ; 0x8
	.long	1                               ; 0x1
	.size	__const._ZL30rocblas_trsm_small_left_deviceILi12ELi12ELb1E19rocblas_complex_numIfES1_PKPKS1_PKPS1_Ev13rocblas_fill_18rocblas_operation_17rocblas_diagonal_iiT3_T4_lilT5_lili.step_sizes, 12

	.type	__const._ZL38rocblas_trsm_small_left_device_sharedBILi16ELi16ELb0E19rocblas_complex_numIfES1_PKPKS1_PKPS1_Ev13rocblas_fill_18rocblas_operation_17rocblas_diagonal_iiT3_T4_lilT5_lili.step_sizes,@object ; @__const._ZL38rocblas_trsm_small_left_device_sharedBILi16ELi16ELb0E19rocblas_complex_numIfES1_PKPKS1_PKPS1_Ev13rocblas_fill_18rocblas_operation_17rocblas_diagonal_iiT3_T4_lilT5_lili.step_sizes
	.p2align	2, 0x0
__const._ZL38rocblas_trsm_small_left_device_sharedBILi16ELi16ELb0E19rocblas_complex_numIfES1_PKPKS1_PKPS1_Ev13rocblas_fill_18rocblas_operation_17rocblas_diagonal_iiT3_T4_lilT5_lili.step_sizes:
	.long	16                              ; 0x10
	.long	12                              ; 0xc
	.long	1                               ; 0x1
	.size	__const._ZL38rocblas_trsm_small_left_device_sharedBILi16ELi16ELb0E19rocblas_complex_numIfES1_PKPKS1_PKPS1_Ev13rocblas_fill_18rocblas_operation_17rocblas_diagonal_iiT3_T4_lilT5_lili.step_sizes, 12

	.type	__const._ZL30rocblas_trsm_small_left_deviceILi16ELi16ELb0E19rocblas_complex_numIfES1_PKPKS1_PKPS1_Ev13rocblas_fill_18rocblas_operation_17rocblas_diagonal_iiT3_T4_lilT5_lili.step_sizes,@object ; @__const._ZL30rocblas_trsm_small_left_deviceILi16ELi16ELb0E19rocblas_complex_numIfES1_PKPKS1_PKPS1_Ev13rocblas_fill_18rocblas_operation_17rocblas_diagonal_iiT3_T4_lilT5_lili.step_sizes
	.p2align	2, 0x0
__const._ZL30rocblas_trsm_small_left_deviceILi16ELi16ELb0E19rocblas_complex_numIfES1_PKPKS1_PKPS1_Ev13rocblas_fill_18rocblas_operation_17rocblas_diagonal_iiT3_T4_lilT5_lili.step_sizes:
	.long	16                              ; 0x10
	.long	12                              ; 0xc
	.long	1                               ; 0x1
	.size	__const._ZL30rocblas_trsm_small_left_deviceILi16ELi16ELb0E19rocblas_complex_numIfES1_PKPKS1_PKPS1_Ev13rocblas_fill_18rocblas_operation_17rocblas_diagonal_iiT3_T4_lilT5_lili.step_sizes, 12

	.type	__const._ZL38rocblas_trsm_small_left_device_sharedBILi16ELi16ELb1E19rocblas_complex_numIfES1_PKPKS1_PKPS1_Ev13rocblas_fill_18rocblas_operation_17rocblas_diagonal_iiT3_T4_lilT5_lili.step_sizes,@object ; @__const._ZL38rocblas_trsm_small_left_device_sharedBILi16ELi16ELb1E19rocblas_complex_numIfES1_PKPKS1_PKPS1_Ev13rocblas_fill_18rocblas_operation_17rocblas_diagonal_iiT3_T4_lilT5_lili.step_sizes
	.p2align	2, 0x0
__const._ZL38rocblas_trsm_small_left_device_sharedBILi16ELi16ELb1E19rocblas_complex_numIfES1_PKPKS1_PKPS1_Ev13rocblas_fill_18rocblas_operation_17rocblas_diagonal_iiT3_T4_lilT5_lili.step_sizes:
	.long	16                              ; 0x10
	.long	12                              ; 0xc
	.long	1                               ; 0x1
	.size	__const._ZL38rocblas_trsm_small_left_device_sharedBILi16ELi16ELb1E19rocblas_complex_numIfES1_PKPKS1_PKPS1_Ev13rocblas_fill_18rocblas_operation_17rocblas_diagonal_iiT3_T4_lilT5_lili.step_sizes, 12

	.type	__const._ZL30rocblas_trsm_small_left_deviceILi16ELi16ELb1E19rocblas_complex_numIfES1_PKPKS1_PKPS1_Ev13rocblas_fill_18rocblas_operation_17rocblas_diagonal_iiT3_T4_lilT5_lili.step_sizes,@object ; @__const._ZL30rocblas_trsm_small_left_deviceILi16ELi16ELb1E19rocblas_complex_numIfES1_PKPKS1_PKPS1_Ev13rocblas_fill_18rocblas_operation_17rocblas_diagonal_iiT3_T4_lilT5_lili.step_sizes
	.p2align	2, 0x0
__const._ZL30rocblas_trsm_small_left_deviceILi16ELi16ELb1E19rocblas_complex_numIfES1_PKPKS1_PKPS1_Ev13rocblas_fill_18rocblas_operation_17rocblas_diagonal_iiT3_T4_lilT5_lili.step_sizes:
	.long	16                              ; 0x10
	.long	12                              ; 0xc
	.long	1                               ; 0x1
	.size	__const._ZL30rocblas_trsm_small_left_deviceILi16ELi16ELb1E19rocblas_complex_numIfES1_PKPKS1_PKPS1_Ev13rocblas_fill_18rocblas_operation_17rocblas_diagonal_iiT3_T4_lilT5_lili.step_sizes, 12

	.type	__const._ZL38rocblas_trsm_small_left_device_sharedBILi20ELi20ELb0E19rocblas_complex_numIfES1_PKPKS1_PKPS1_Ev13rocblas_fill_18rocblas_operation_17rocblas_diagonal_iiT3_T4_lilT5_lili.step_sizes,@object ; @__const._ZL38rocblas_trsm_small_left_device_sharedBILi20ELi20ELb0E19rocblas_complex_numIfES1_PKPKS1_PKPS1_Ev13rocblas_fill_18rocblas_operation_17rocblas_diagonal_iiT3_T4_lilT5_lili.step_sizes
	.p2align	2, 0x0
__const._ZL38rocblas_trsm_small_left_device_sharedBILi20ELi20ELb0E19rocblas_complex_numIfES1_PKPKS1_PKPS1_Ev13rocblas_fill_18rocblas_operation_17rocblas_diagonal_iiT3_T4_lilT5_lili.step_sizes:
	.long	20                              ; 0x14
	.long	16                              ; 0x10
	.long	1                               ; 0x1
	.size	__const._ZL38rocblas_trsm_small_left_device_sharedBILi20ELi20ELb0E19rocblas_complex_numIfES1_PKPKS1_PKPS1_Ev13rocblas_fill_18rocblas_operation_17rocblas_diagonal_iiT3_T4_lilT5_lili.step_sizes, 12

	.type	__const._ZL30rocblas_trsm_small_left_deviceILi20ELi20ELb0E19rocblas_complex_numIfES1_PKPKS1_PKPS1_Ev13rocblas_fill_18rocblas_operation_17rocblas_diagonal_iiT3_T4_lilT5_lili.step_sizes,@object ; @__const._ZL30rocblas_trsm_small_left_deviceILi20ELi20ELb0E19rocblas_complex_numIfES1_PKPKS1_PKPS1_Ev13rocblas_fill_18rocblas_operation_17rocblas_diagonal_iiT3_T4_lilT5_lili.step_sizes
	.p2align	2, 0x0
__const._ZL30rocblas_trsm_small_left_deviceILi20ELi20ELb0E19rocblas_complex_numIfES1_PKPKS1_PKPS1_Ev13rocblas_fill_18rocblas_operation_17rocblas_diagonal_iiT3_T4_lilT5_lili.step_sizes:
	.long	20                              ; 0x14
	.long	16                              ; 0x10
	.long	1                               ; 0x1
	.size	__const._ZL30rocblas_trsm_small_left_deviceILi20ELi20ELb0E19rocblas_complex_numIfES1_PKPKS1_PKPS1_Ev13rocblas_fill_18rocblas_operation_17rocblas_diagonal_iiT3_T4_lilT5_lili.step_sizes, 12

	.type	__const._ZL38rocblas_trsm_small_left_device_sharedBILi20ELi20ELb1E19rocblas_complex_numIfES1_PKPKS1_PKPS1_Ev13rocblas_fill_18rocblas_operation_17rocblas_diagonal_iiT3_T4_lilT5_lili.step_sizes,@object ; @__const._ZL38rocblas_trsm_small_left_device_sharedBILi20ELi20ELb1E19rocblas_complex_numIfES1_PKPKS1_PKPS1_Ev13rocblas_fill_18rocblas_operation_17rocblas_diagonal_iiT3_T4_lilT5_lili.step_sizes
	.p2align	2, 0x0
__const._ZL38rocblas_trsm_small_left_device_sharedBILi20ELi20ELb1E19rocblas_complex_numIfES1_PKPKS1_PKPS1_Ev13rocblas_fill_18rocblas_operation_17rocblas_diagonal_iiT3_T4_lilT5_lili.step_sizes:
	.long	20                              ; 0x14
	.long	16                              ; 0x10
	.long	1                               ; 0x1
	.size	__const._ZL38rocblas_trsm_small_left_device_sharedBILi20ELi20ELb1E19rocblas_complex_numIfES1_PKPKS1_PKPS1_Ev13rocblas_fill_18rocblas_operation_17rocblas_diagonal_iiT3_T4_lilT5_lili.step_sizes, 12

	.type	__const._ZL30rocblas_trsm_small_left_deviceILi20ELi20ELb1E19rocblas_complex_numIfES1_PKPKS1_PKPS1_Ev13rocblas_fill_18rocblas_operation_17rocblas_diagonal_iiT3_T4_lilT5_lili.step_sizes,@object ; @__const._ZL30rocblas_trsm_small_left_deviceILi20ELi20ELb1E19rocblas_complex_numIfES1_PKPKS1_PKPS1_Ev13rocblas_fill_18rocblas_operation_17rocblas_diagonal_iiT3_T4_lilT5_lili.step_sizes
	.p2align	2, 0x0
__const._ZL30rocblas_trsm_small_left_deviceILi20ELi20ELb1E19rocblas_complex_numIfES1_PKPKS1_PKPS1_Ev13rocblas_fill_18rocblas_operation_17rocblas_diagonal_iiT3_T4_lilT5_lili.step_sizes:
	.long	20                              ; 0x14
	.long	16                              ; 0x10
	.long	1                               ; 0x1
	.size	__const._ZL30rocblas_trsm_small_left_deviceILi20ELi20ELb1E19rocblas_complex_numIfES1_PKPKS1_PKPS1_Ev13rocblas_fill_18rocblas_operation_17rocblas_diagonal_iiT3_T4_lilT5_lili.step_sizes, 12

	.type	__const._ZL38rocblas_trsm_small_left_device_sharedBILi24ELi24ELb0E19rocblas_complex_numIfES1_PKPKS1_PKPS1_Ev13rocblas_fill_18rocblas_operation_17rocblas_diagonal_iiT3_T4_lilT5_lili.step_sizes,@object ; @__const._ZL38rocblas_trsm_small_left_device_sharedBILi24ELi24ELb0E19rocblas_complex_numIfES1_PKPKS1_PKPS1_Ev13rocblas_fill_18rocblas_operation_17rocblas_diagonal_iiT3_T4_lilT5_lili.step_sizes
	.p2align	2, 0x0
__const._ZL38rocblas_trsm_small_left_device_sharedBILi24ELi24ELb0E19rocblas_complex_numIfES1_PKPKS1_PKPS1_Ev13rocblas_fill_18rocblas_operation_17rocblas_diagonal_iiT3_T4_lilT5_lili.step_sizes:
	.long	24                              ; 0x18
	.long	20                              ; 0x14
	.long	1                               ; 0x1
	.size	__const._ZL38rocblas_trsm_small_left_device_sharedBILi24ELi24ELb0E19rocblas_complex_numIfES1_PKPKS1_PKPS1_Ev13rocblas_fill_18rocblas_operation_17rocblas_diagonal_iiT3_T4_lilT5_lili.step_sizes, 12

	.type	__const._ZL30rocblas_trsm_small_left_deviceILi24ELi24ELb0E19rocblas_complex_numIfES1_PKPKS1_PKPS1_Ev13rocblas_fill_18rocblas_operation_17rocblas_diagonal_iiT3_T4_lilT5_lili.step_sizes,@object ; @__const._ZL30rocblas_trsm_small_left_deviceILi24ELi24ELb0E19rocblas_complex_numIfES1_PKPKS1_PKPS1_Ev13rocblas_fill_18rocblas_operation_17rocblas_diagonal_iiT3_T4_lilT5_lili.step_sizes
	.p2align	2, 0x0
__const._ZL30rocblas_trsm_small_left_deviceILi24ELi24ELb0E19rocblas_complex_numIfES1_PKPKS1_PKPS1_Ev13rocblas_fill_18rocblas_operation_17rocblas_diagonal_iiT3_T4_lilT5_lili.step_sizes:
	.long	24                              ; 0x18
	.long	20                              ; 0x14
	.long	1                               ; 0x1
	.size	__const._ZL30rocblas_trsm_small_left_deviceILi24ELi24ELb0E19rocblas_complex_numIfES1_PKPKS1_PKPS1_Ev13rocblas_fill_18rocblas_operation_17rocblas_diagonal_iiT3_T4_lilT5_lili.step_sizes, 12

	.type	__const._ZL38rocblas_trsm_small_left_device_sharedBILi24ELi24ELb1E19rocblas_complex_numIfES1_PKPKS1_PKPS1_Ev13rocblas_fill_18rocblas_operation_17rocblas_diagonal_iiT3_T4_lilT5_lili.step_sizes,@object ; @__const._ZL38rocblas_trsm_small_left_device_sharedBILi24ELi24ELb1E19rocblas_complex_numIfES1_PKPKS1_PKPS1_Ev13rocblas_fill_18rocblas_operation_17rocblas_diagonal_iiT3_T4_lilT5_lili.step_sizes
	.p2align	2, 0x0
__const._ZL38rocblas_trsm_small_left_device_sharedBILi24ELi24ELb1E19rocblas_complex_numIfES1_PKPKS1_PKPS1_Ev13rocblas_fill_18rocblas_operation_17rocblas_diagonal_iiT3_T4_lilT5_lili.step_sizes:
	.long	24                              ; 0x18
	.long	20                              ; 0x14
	.long	1                               ; 0x1
	.size	__const._ZL38rocblas_trsm_small_left_device_sharedBILi24ELi24ELb1E19rocblas_complex_numIfES1_PKPKS1_PKPS1_Ev13rocblas_fill_18rocblas_operation_17rocblas_diagonal_iiT3_T4_lilT5_lili.step_sizes, 12

	.type	__const._ZL30rocblas_trsm_small_left_deviceILi24ELi24ELb1E19rocblas_complex_numIfES1_PKPKS1_PKPS1_Ev13rocblas_fill_18rocblas_operation_17rocblas_diagonal_iiT3_T4_lilT5_lili.step_sizes,@object ; @__const._ZL30rocblas_trsm_small_left_deviceILi24ELi24ELb1E19rocblas_complex_numIfES1_PKPKS1_PKPS1_Ev13rocblas_fill_18rocblas_operation_17rocblas_diagonal_iiT3_T4_lilT5_lili.step_sizes
	.p2align	2, 0x0
__const._ZL30rocblas_trsm_small_left_deviceILi24ELi24ELb1E19rocblas_complex_numIfES1_PKPKS1_PKPS1_Ev13rocblas_fill_18rocblas_operation_17rocblas_diagonal_iiT3_T4_lilT5_lili.step_sizes:
	.long	24                              ; 0x18
	.long	20                              ; 0x14
	.long	1                               ; 0x1
	.size	__const._ZL30rocblas_trsm_small_left_deviceILi24ELi24ELb1E19rocblas_complex_numIfES1_PKPKS1_PKPS1_Ev13rocblas_fill_18rocblas_operation_17rocblas_diagonal_iiT3_T4_lilT5_lili.step_sizes, 12

	.type	__const._ZL38rocblas_trsm_small_left_device_sharedBILi28ELi28ELb0E19rocblas_complex_numIfES1_PKPKS1_PKPS1_Ev13rocblas_fill_18rocblas_operation_17rocblas_diagonal_iiT3_T4_lilT5_lili.step_sizes,@object ; @__const._ZL38rocblas_trsm_small_left_device_sharedBILi28ELi28ELb0E19rocblas_complex_numIfES1_PKPKS1_PKPS1_Ev13rocblas_fill_18rocblas_operation_17rocblas_diagonal_iiT3_T4_lilT5_lili.step_sizes
	.p2align	2, 0x0
__const._ZL38rocblas_trsm_small_left_device_sharedBILi28ELi28ELb0E19rocblas_complex_numIfES1_PKPKS1_PKPS1_Ev13rocblas_fill_18rocblas_operation_17rocblas_diagonal_iiT3_T4_lilT5_lili.step_sizes:
	.long	28                              ; 0x1c
	.long	24                              ; 0x18
	.long	1                               ; 0x1
	.size	__const._ZL38rocblas_trsm_small_left_device_sharedBILi28ELi28ELb0E19rocblas_complex_numIfES1_PKPKS1_PKPS1_Ev13rocblas_fill_18rocblas_operation_17rocblas_diagonal_iiT3_T4_lilT5_lili.step_sizes, 12

	.type	__const._ZL30rocblas_trsm_small_left_deviceILi28ELi28ELb0E19rocblas_complex_numIfES1_PKPKS1_PKPS1_Ev13rocblas_fill_18rocblas_operation_17rocblas_diagonal_iiT3_T4_lilT5_lili.step_sizes,@object ; @__const._ZL30rocblas_trsm_small_left_deviceILi28ELi28ELb0E19rocblas_complex_numIfES1_PKPKS1_PKPS1_Ev13rocblas_fill_18rocblas_operation_17rocblas_diagonal_iiT3_T4_lilT5_lili.step_sizes
	.p2align	2, 0x0
__const._ZL30rocblas_trsm_small_left_deviceILi28ELi28ELb0E19rocblas_complex_numIfES1_PKPKS1_PKPS1_Ev13rocblas_fill_18rocblas_operation_17rocblas_diagonal_iiT3_T4_lilT5_lili.step_sizes:
	.long	28                              ; 0x1c
	.long	24                              ; 0x18
	.long	1                               ; 0x1
	.size	__const._ZL30rocblas_trsm_small_left_deviceILi28ELi28ELb0E19rocblas_complex_numIfES1_PKPKS1_PKPS1_Ev13rocblas_fill_18rocblas_operation_17rocblas_diagonal_iiT3_T4_lilT5_lili.step_sizes, 12

	.type	__const._ZL38rocblas_trsm_small_left_device_sharedBILi28ELi28ELb1E19rocblas_complex_numIfES1_PKPKS1_PKPS1_Ev13rocblas_fill_18rocblas_operation_17rocblas_diagonal_iiT3_T4_lilT5_lili.step_sizes,@object ; @__const._ZL38rocblas_trsm_small_left_device_sharedBILi28ELi28ELb1E19rocblas_complex_numIfES1_PKPKS1_PKPS1_Ev13rocblas_fill_18rocblas_operation_17rocblas_diagonal_iiT3_T4_lilT5_lili.step_sizes
	.p2align	2, 0x0
__const._ZL38rocblas_trsm_small_left_device_sharedBILi28ELi28ELb1E19rocblas_complex_numIfES1_PKPKS1_PKPS1_Ev13rocblas_fill_18rocblas_operation_17rocblas_diagonal_iiT3_T4_lilT5_lili.step_sizes:
	.long	28                              ; 0x1c
	.long	24                              ; 0x18
	.long	1                               ; 0x1
	.size	__const._ZL38rocblas_trsm_small_left_device_sharedBILi28ELi28ELb1E19rocblas_complex_numIfES1_PKPKS1_PKPS1_Ev13rocblas_fill_18rocblas_operation_17rocblas_diagonal_iiT3_T4_lilT5_lili.step_sizes, 12

	.type	__const._ZL30rocblas_trsm_small_left_deviceILi28ELi28ELb1E19rocblas_complex_numIfES1_PKPKS1_PKPS1_Ev13rocblas_fill_18rocblas_operation_17rocblas_diagonal_iiT3_T4_lilT5_lili.step_sizes,@object ; @__const._ZL30rocblas_trsm_small_left_deviceILi28ELi28ELb1E19rocblas_complex_numIfES1_PKPKS1_PKPS1_Ev13rocblas_fill_18rocblas_operation_17rocblas_diagonal_iiT3_T4_lilT5_lili.step_sizes
	.p2align	2, 0x0
__const._ZL30rocblas_trsm_small_left_deviceILi28ELi28ELb1E19rocblas_complex_numIfES1_PKPKS1_PKPS1_Ev13rocblas_fill_18rocblas_operation_17rocblas_diagonal_iiT3_T4_lilT5_lili.step_sizes:
	.long	28                              ; 0x1c
	.long	24                              ; 0x18
	.long	1                               ; 0x1
	.size	__const._ZL30rocblas_trsm_small_left_deviceILi28ELi28ELb1E19rocblas_complex_numIfES1_PKPKS1_PKPS1_Ev13rocblas_fill_18rocblas_operation_17rocblas_diagonal_iiT3_T4_lilT5_lili.step_sizes, 12

	.type	__const._ZL38rocblas_trsm_small_left_device_sharedBILi32ELi32ELb0E19rocblas_complex_numIfES1_PKPKS1_PKPS1_Ev13rocblas_fill_18rocblas_operation_17rocblas_diagonal_iiT3_T4_lilT5_lili.step_sizes,@object ; @__const._ZL38rocblas_trsm_small_left_device_sharedBILi32ELi32ELb0E19rocblas_complex_numIfES1_PKPKS1_PKPS1_Ev13rocblas_fill_18rocblas_operation_17rocblas_diagonal_iiT3_T4_lilT5_lili.step_sizes
	.p2align	2, 0x0
__const._ZL38rocblas_trsm_small_left_device_sharedBILi32ELi32ELb0E19rocblas_complex_numIfES1_PKPKS1_PKPS1_Ev13rocblas_fill_18rocblas_operation_17rocblas_diagonal_iiT3_T4_lilT5_lili.step_sizes:
	.long	32                              ; 0x20
	.long	28                              ; 0x1c
	.long	1                               ; 0x1
	.size	__const._ZL38rocblas_trsm_small_left_device_sharedBILi32ELi32ELb0E19rocblas_complex_numIfES1_PKPKS1_PKPS1_Ev13rocblas_fill_18rocblas_operation_17rocblas_diagonal_iiT3_T4_lilT5_lili.step_sizes, 12

	.type	__const._ZL30rocblas_trsm_small_left_deviceILi32ELi32ELb0E19rocblas_complex_numIfES1_PKPKS1_PKPS1_Ev13rocblas_fill_18rocblas_operation_17rocblas_diagonal_iiT3_T4_lilT5_lili.step_sizes,@object ; @__const._ZL30rocblas_trsm_small_left_deviceILi32ELi32ELb0E19rocblas_complex_numIfES1_PKPKS1_PKPS1_Ev13rocblas_fill_18rocblas_operation_17rocblas_diagonal_iiT3_T4_lilT5_lili.step_sizes
	.p2align	2, 0x0
__const._ZL30rocblas_trsm_small_left_deviceILi32ELi32ELb0E19rocblas_complex_numIfES1_PKPKS1_PKPS1_Ev13rocblas_fill_18rocblas_operation_17rocblas_diagonal_iiT3_T4_lilT5_lili.step_sizes:
	.long	32                              ; 0x20
	.long	28                              ; 0x1c
	.long	1                               ; 0x1
	.size	__const._ZL30rocblas_trsm_small_left_deviceILi32ELi32ELb0E19rocblas_complex_numIfES1_PKPKS1_PKPS1_Ev13rocblas_fill_18rocblas_operation_17rocblas_diagonal_iiT3_T4_lilT5_lili.step_sizes, 12

	.type	__const._ZL38rocblas_trsm_small_left_device_sharedBILi32ELi32ELb1E19rocblas_complex_numIfES1_PKPKS1_PKPS1_Ev13rocblas_fill_18rocblas_operation_17rocblas_diagonal_iiT3_T4_lilT5_lili.step_sizes,@object ; @__const._ZL38rocblas_trsm_small_left_device_sharedBILi32ELi32ELb1E19rocblas_complex_numIfES1_PKPKS1_PKPS1_Ev13rocblas_fill_18rocblas_operation_17rocblas_diagonal_iiT3_T4_lilT5_lili.step_sizes
	.p2align	2, 0x0
__const._ZL38rocblas_trsm_small_left_device_sharedBILi32ELi32ELb1E19rocblas_complex_numIfES1_PKPKS1_PKPS1_Ev13rocblas_fill_18rocblas_operation_17rocblas_diagonal_iiT3_T4_lilT5_lili.step_sizes:
	.long	32                              ; 0x20
	.long	28                              ; 0x1c
	.long	1                               ; 0x1
	.size	__const._ZL38rocblas_trsm_small_left_device_sharedBILi32ELi32ELb1E19rocblas_complex_numIfES1_PKPKS1_PKPS1_Ev13rocblas_fill_18rocblas_operation_17rocblas_diagonal_iiT3_T4_lilT5_lili.step_sizes, 12

	.type	__const._ZL30rocblas_trsm_small_left_deviceILi32ELi32ELb1E19rocblas_complex_numIfES1_PKPKS1_PKPS1_Ev13rocblas_fill_18rocblas_operation_17rocblas_diagonal_iiT3_T4_lilT5_lili.step_sizes,@object ; @__const._ZL30rocblas_trsm_small_left_deviceILi32ELi32ELb1E19rocblas_complex_numIfES1_PKPKS1_PKPS1_Ev13rocblas_fill_18rocblas_operation_17rocblas_diagonal_iiT3_T4_lilT5_lili.step_sizes
	.p2align	2, 0x0
__const._ZL30rocblas_trsm_small_left_deviceILi32ELi32ELb1E19rocblas_complex_numIfES1_PKPKS1_PKPS1_Ev13rocblas_fill_18rocblas_operation_17rocblas_diagonal_iiT3_T4_lilT5_lili.step_sizes:
	.long	32                              ; 0x20
	.long	28                              ; 0x1c
	.long	1                               ; 0x1
	.size	__const._ZL30rocblas_trsm_small_left_deviceILi32ELi32ELb1E19rocblas_complex_numIfES1_PKPKS1_PKPS1_Ev13rocblas_fill_18rocblas_operation_17rocblas_diagonal_iiT3_T4_lilT5_lili.step_sizes, 12

	.type	__const._ZL38rocblas_trsm_small_left_device_sharedBILi64ELi32ELb0E19rocblas_complex_numIfES1_PKPKS1_PKPS1_Ev13rocblas_fill_18rocblas_operation_17rocblas_diagonal_iiT3_T4_lilT5_lili.step_sizes,@object ; @__const._ZL38rocblas_trsm_small_left_device_sharedBILi64ELi32ELb0E19rocblas_complex_numIfES1_PKPKS1_PKPS1_Ev13rocblas_fill_18rocblas_operation_17rocblas_diagonal_iiT3_T4_lilT5_lili.step_sizes
	.p2align	2, 0x0
__const._ZL38rocblas_trsm_small_left_device_sharedBILi64ELi32ELb0E19rocblas_complex_numIfES1_PKPKS1_PKPS1_Ev13rocblas_fill_18rocblas_operation_17rocblas_diagonal_iiT3_T4_lilT5_lili.step_sizes:
	.long	32                              ; 0x20
	.long	4                               ; 0x4
	.long	1                               ; 0x1
	.size	__const._ZL38rocblas_trsm_small_left_device_sharedBILi64ELi32ELb0E19rocblas_complex_numIfES1_PKPKS1_PKPS1_Ev13rocblas_fill_18rocblas_operation_17rocblas_diagonal_iiT3_T4_lilT5_lili.step_sizes, 12

	.type	__const._ZL30rocblas_trsm_small_left_deviceILi64ELi32ELb0E19rocblas_complex_numIfES1_PKPKS1_PKPS1_Ev13rocblas_fill_18rocblas_operation_17rocblas_diagonal_iiT3_T4_lilT5_lili.step_sizes,@object ; @__const._ZL30rocblas_trsm_small_left_deviceILi64ELi32ELb0E19rocblas_complex_numIfES1_PKPKS1_PKPS1_Ev13rocblas_fill_18rocblas_operation_17rocblas_diagonal_iiT3_T4_lilT5_lili.step_sizes
	.p2align	2, 0x0
__const._ZL30rocblas_trsm_small_left_deviceILi64ELi32ELb0E19rocblas_complex_numIfES1_PKPKS1_PKPS1_Ev13rocblas_fill_18rocblas_operation_17rocblas_diagonal_iiT3_T4_lilT5_lili.step_sizes:
	.long	32                              ; 0x20
	.long	4                               ; 0x4
	.long	1                               ; 0x1
	.size	__const._ZL30rocblas_trsm_small_left_deviceILi64ELi32ELb0E19rocblas_complex_numIfES1_PKPKS1_PKPS1_Ev13rocblas_fill_18rocblas_operation_17rocblas_diagonal_iiT3_T4_lilT5_lili.step_sizes, 12

	.type	__const._ZL38rocblas_trsm_small_left_device_sharedBILi64ELi32ELb1E19rocblas_complex_numIfES1_PKPKS1_PKPS1_Ev13rocblas_fill_18rocblas_operation_17rocblas_diagonal_iiT3_T4_lilT5_lili.step_sizes,@object ; @__const._ZL38rocblas_trsm_small_left_device_sharedBILi64ELi32ELb1E19rocblas_complex_numIfES1_PKPKS1_PKPS1_Ev13rocblas_fill_18rocblas_operation_17rocblas_diagonal_iiT3_T4_lilT5_lili.step_sizes
	.p2align	2, 0x0
__const._ZL38rocblas_trsm_small_left_device_sharedBILi64ELi32ELb1E19rocblas_complex_numIfES1_PKPKS1_PKPS1_Ev13rocblas_fill_18rocblas_operation_17rocblas_diagonal_iiT3_T4_lilT5_lili.step_sizes:
	.long	32                              ; 0x20
	.long	4                               ; 0x4
	.long	1                               ; 0x1
	.size	__const._ZL38rocblas_trsm_small_left_device_sharedBILi64ELi32ELb1E19rocblas_complex_numIfES1_PKPKS1_PKPS1_Ev13rocblas_fill_18rocblas_operation_17rocblas_diagonal_iiT3_T4_lilT5_lili.step_sizes, 12

	.type	__const._ZL30rocblas_trsm_small_left_deviceILi64ELi32ELb1E19rocblas_complex_numIfES1_PKPKS1_PKPS1_Ev13rocblas_fill_18rocblas_operation_17rocblas_diagonal_iiT3_T4_lilT5_lili.step_sizes,@object ; @__const._ZL30rocblas_trsm_small_left_deviceILi64ELi32ELb1E19rocblas_complex_numIfES1_PKPKS1_PKPS1_Ev13rocblas_fill_18rocblas_operation_17rocblas_diagonal_iiT3_T4_lilT5_lili.step_sizes
	.p2align	2, 0x0
__const._ZL30rocblas_trsm_small_left_deviceILi64ELi32ELb1E19rocblas_complex_numIfES1_PKPKS1_PKPS1_Ev13rocblas_fill_18rocblas_operation_17rocblas_diagonal_iiT3_T4_lilT5_lili.step_sizes:
	.long	32                              ; 0x20
	.long	4                               ; 0x4
	.long	1                               ; 0x1
	.size	__const._ZL30rocblas_trsm_small_left_deviceILi64ELi32ELb1E19rocblas_complex_numIfES1_PKPKS1_PKPS1_Ev13rocblas_fill_18rocblas_operation_17rocblas_diagonal_iiT3_T4_lilT5_lili.step_sizes, 12

	.type	__const._ZL38rocblas_trsm_small_left_device_sharedBILi4ELi4ELb0E19rocblas_complex_numIdES1_PKPKS1_PKPS1_Ev13rocblas_fill_18rocblas_operation_17rocblas_diagonal_iiT3_T4_lilT5_lili.step_sizes,@object ; @__const._ZL38rocblas_trsm_small_left_device_sharedBILi4ELi4ELb0E19rocblas_complex_numIdES1_PKPKS1_PKPS1_Ev13rocblas_fill_18rocblas_operation_17rocblas_diagonal_iiT3_T4_lilT5_lili.step_sizes
	.p2align	2, 0x0
__const._ZL38rocblas_trsm_small_left_device_sharedBILi4ELi4ELb0E19rocblas_complex_numIdES1_PKPKS1_PKPS1_Ev13rocblas_fill_18rocblas_operation_17rocblas_diagonal_iiT3_T4_lilT5_lili.step_sizes:
	.long	4                               ; 0x4
	.long	1                               ; 0x1
	;; [unrolled: 1-line block ×3, first 2 shown]
	.size	__const._ZL38rocblas_trsm_small_left_device_sharedBILi4ELi4ELb0E19rocblas_complex_numIdES1_PKPKS1_PKPS1_Ev13rocblas_fill_18rocblas_operation_17rocblas_diagonal_iiT3_T4_lilT5_lili.step_sizes, 12

	.type	__const._ZL30rocblas_trsm_small_left_deviceILi4ELi4ELb0E19rocblas_complex_numIdES1_PKPKS1_PKPS1_Ev13rocblas_fill_18rocblas_operation_17rocblas_diagonal_iiT3_T4_lilT5_lili.step_sizes,@object ; @__const._ZL30rocblas_trsm_small_left_deviceILi4ELi4ELb0E19rocblas_complex_numIdES1_PKPKS1_PKPS1_Ev13rocblas_fill_18rocblas_operation_17rocblas_diagonal_iiT3_T4_lilT5_lili.step_sizes
	.p2align	2, 0x0
__const._ZL30rocblas_trsm_small_left_deviceILi4ELi4ELb0E19rocblas_complex_numIdES1_PKPKS1_PKPS1_Ev13rocblas_fill_18rocblas_operation_17rocblas_diagonal_iiT3_T4_lilT5_lili.step_sizes:
	.long	4                               ; 0x4
	.long	1                               ; 0x1
	;; [unrolled: 1-line block ×3, first 2 shown]
	.size	__const._ZL30rocblas_trsm_small_left_deviceILi4ELi4ELb0E19rocblas_complex_numIdES1_PKPKS1_PKPS1_Ev13rocblas_fill_18rocblas_operation_17rocblas_diagonal_iiT3_T4_lilT5_lili.step_sizes, 12

	.type	__const._ZL38rocblas_trsm_small_left_device_sharedBILi4ELi4ELb1E19rocblas_complex_numIdES1_PKPKS1_PKPS1_Ev13rocblas_fill_18rocblas_operation_17rocblas_diagonal_iiT3_T4_lilT5_lili.step_sizes,@object ; @__const._ZL38rocblas_trsm_small_left_device_sharedBILi4ELi4ELb1E19rocblas_complex_numIdES1_PKPKS1_PKPS1_Ev13rocblas_fill_18rocblas_operation_17rocblas_diagonal_iiT3_T4_lilT5_lili.step_sizes
	.p2align	2, 0x0
__const._ZL38rocblas_trsm_small_left_device_sharedBILi4ELi4ELb1E19rocblas_complex_numIdES1_PKPKS1_PKPS1_Ev13rocblas_fill_18rocblas_operation_17rocblas_diagonal_iiT3_T4_lilT5_lili.step_sizes:
	.long	4                               ; 0x4
	.long	1                               ; 0x1
	;; [unrolled: 1-line block ×3, first 2 shown]
	.size	__const._ZL38rocblas_trsm_small_left_device_sharedBILi4ELi4ELb1E19rocblas_complex_numIdES1_PKPKS1_PKPS1_Ev13rocblas_fill_18rocblas_operation_17rocblas_diagonal_iiT3_T4_lilT5_lili.step_sizes, 12

	.type	__const._ZL30rocblas_trsm_small_left_deviceILi4ELi4ELb1E19rocblas_complex_numIdES1_PKPKS1_PKPS1_Ev13rocblas_fill_18rocblas_operation_17rocblas_diagonal_iiT3_T4_lilT5_lili.step_sizes,@object ; @__const._ZL30rocblas_trsm_small_left_deviceILi4ELi4ELb1E19rocblas_complex_numIdES1_PKPKS1_PKPS1_Ev13rocblas_fill_18rocblas_operation_17rocblas_diagonal_iiT3_T4_lilT5_lili.step_sizes
	.p2align	2, 0x0
__const._ZL30rocblas_trsm_small_left_deviceILi4ELi4ELb1E19rocblas_complex_numIdES1_PKPKS1_PKPS1_Ev13rocblas_fill_18rocblas_operation_17rocblas_diagonal_iiT3_T4_lilT5_lili.step_sizes:
	.long	4                               ; 0x4
	.long	1                               ; 0x1
	;; [unrolled: 1-line block ×3, first 2 shown]
	.size	__const._ZL30rocblas_trsm_small_left_deviceILi4ELi4ELb1E19rocblas_complex_numIdES1_PKPKS1_PKPS1_Ev13rocblas_fill_18rocblas_operation_17rocblas_diagonal_iiT3_T4_lilT5_lili.step_sizes, 12

	.type	__const._ZL38rocblas_trsm_small_left_device_sharedBILi8ELi8ELb0E19rocblas_complex_numIdES1_PKPKS1_PKPS1_Ev13rocblas_fill_18rocblas_operation_17rocblas_diagonal_iiT3_T4_lilT5_lili.step_sizes,@object ; @__const._ZL38rocblas_trsm_small_left_device_sharedBILi8ELi8ELb0E19rocblas_complex_numIdES1_PKPKS1_PKPS1_Ev13rocblas_fill_18rocblas_operation_17rocblas_diagonal_iiT3_T4_lilT5_lili.step_sizes
	.p2align	2, 0x0
__const._ZL38rocblas_trsm_small_left_device_sharedBILi8ELi8ELb0E19rocblas_complex_numIdES1_PKPKS1_PKPS1_Ev13rocblas_fill_18rocblas_operation_17rocblas_diagonal_iiT3_T4_lilT5_lili.step_sizes:
	.long	8                               ; 0x8
	.long	4                               ; 0x4
	;; [unrolled: 1-line block ×3, first 2 shown]
	.size	__const._ZL38rocblas_trsm_small_left_device_sharedBILi8ELi8ELb0E19rocblas_complex_numIdES1_PKPKS1_PKPS1_Ev13rocblas_fill_18rocblas_operation_17rocblas_diagonal_iiT3_T4_lilT5_lili.step_sizes, 12

	.type	__const._ZL30rocblas_trsm_small_left_deviceILi8ELi8ELb0E19rocblas_complex_numIdES1_PKPKS1_PKPS1_Ev13rocblas_fill_18rocblas_operation_17rocblas_diagonal_iiT3_T4_lilT5_lili.step_sizes,@object ; @__const._ZL30rocblas_trsm_small_left_deviceILi8ELi8ELb0E19rocblas_complex_numIdES1_PKPKS1_PKPS1_Ev13rocblas_fill_18rocblas_operation_17rocblas_diagonal_iiT3_T4_lilT5_lili.step_sizes
	.p2align	2, 0x0
__const._ZL30rocblas_trsm_small_left_deviceILi8ELi8ELb0E19rocblas_complex_numIdES1_PKPKS1_PKPS1_Ev13rocblas_fill_18rocblas_operation_17rocblas_diagonal_iiT3_T4_lilT5_lili.step_sizes:
	.long	8                               ; 0x8
	.long	4                               ; 0x4
	;; [unrolled: 1-line block ×3, first 2 shown]
	.size	__const._ZL30rocblas_trsm_small_left_deviceILi8ELi8ELb0E19rocblas_complex_numIdES1_PKPKS1_PKPS1_Ev13rocblas_fill_18rocblas_operation_17rocblas_diagonal_iiT3_T4_lilT5_lili.step_sizes, 12

	.type	__const._ZL38rocblas_trsm_small_left_device_sharedBILi8ELi8ELb1E19rocblas_complex_numIdES1_PKPKS1_PKPS1_Ev13rocblas_fill_18rocblas_operation_17rocblas_diagonal_iiT3_T4_lilT5_lili.step_sizes,@object ; @__const._ZL38rocblas_trsm_small_left_device_sharedBILi8ELi8ELb1E19rocblas_complex_numIdES1_PKPKS1_PKPS1_Ev13rocblas_fill_18rocblas_operation_17rocblas_diagonal_iiT3_T4_lilT5_lili.step_sizes
	.p2align	2, 0x0
__const._ZL38rocblas_trsm_small_left_device_sharedBILi8ELi8ELb1E19rocblas_complex_numIdES1_PKPKS1_PKPS1_Ev13rocblas_fill_18rocblas_operation_17rocblas_diagonal_iiT3_T4_lilT5_lili.step_sizes:
	.long	8                               ; 0x8
	.long	4                               ; 0x4
	.long	1                               ; 0x1
	.size	__const._ZL38rocblas_trsm_small_left_device_sharedBILi8ELi8ELb1E19rocblas_complex_numIdES1_PKPKS1_PKPS1_Ev13rocblas_fill_18rocblas_operation_17rocblas_diagonal_iiT3_T4_lilT5_lili.step_sizes, 12

	.type	__const._ZL30rocblas_trsm_small_left_deviceILi8ELi8ELb1E19rocblas_complex_numIdES1_PKPKS1_PKPS1_Ev13rocblas_fill_18rocblas_operation_17rocblas_diagonal_iiT3_T4_lilT5_lili.step_sizes,@object ; @__const._ZL30rocblas_trsm_small_left_deviceILi8ELi8ELb1E19rocblas_complex_numIdES1_PKPKS1_PKPS1_Ev13rocblas_fill_18rocblas_operation_17rocblas_diagonal_iiT3_T4_lilT5_lili.step_sizes
	.p2align	2, 0x0
__const._ZL30rocblas_trsm_small_left_deviceILi8ELi8ELb1E19rocblas_complex_numIdES1_PKPKS1_PKPS1_Ev13rocblas_fill_18rocblas_operation_17rocblas_diagonal_iiT3_T4_lilT5_lili.step_sizes:
	.long	8                               ; 0x8
	.long	4                               ; 0x4
	;; [unrolled: 1-line block ×3, first 2 shown]
	.size	__const._ZL30rocblas_trsm_small_left_deviceILi8ELi8ELb1E19rocblas_complex_numIdES1_PKPKS1_PKPS1_Ev13rocblas_fill_18rocblas_operation_17rocblas_diagonal_iiT3_T4_lilT5_lili.step_sizes, 12

	.type	__const._ZL38rocblas_trsm_small_left_device_sharedBILi12ELi12ELb0E19rocblas_complex_numIdES1_PKPKS1_PKPS1_Ev13rocblas_fill_18rocblas_operation_17rocblas_diagonal_iiT3_T4_lilT5_lili.step_sizes,@object ; @__const._ZL38rocblas_trsm_small_left_device_sharedBILi12ELi12ELb0E19rocblas_complex_numIdES1_PKPKS1_PKPS1_Ev13rocblas_fill_18rocblas_operation_17rocblas_diagonal_iiT3_T4_lilT5_lili.step_sizes
	.p2align	2, 0x0
__const._ZL38rocblas_trsm_small_left_device_sharedBILi12ELi12ELb0E19rocblas_complex_numIdES1_PKPKS1_PKPS1_Ev13rocblas_fill_18rocblas_operation_17rocblas_diagonal_iiT3_T4_lilT5_lili.step_sizes:
	.long	12                              ; 0xc
	.long	8                               ; 0x8
	.long	1                               ; 0x1
	.size	__const._ZL38rocblas_trsm_small_left_device_sharedBILi12ELi12ELb0E19rocblas_complex_numIdES1_PKPKS1_PKPS1_Ev13rocblas_fill_18rocblas_operation_17rocblas_diagonal_iiT3_T4_lilT5_lili.step_sizes, 12

	.type	__const._ZL30rocblas_trsm_small_left_deviceILi12ELi12ELb0E19rocblas_complex_numIdES1_PKPKS1_PKPS1_Ev13rocblas_fill_18rocblas_operation_17rocblas_diagonal_iiT3_T4_lilT5_lili.step_sizes,@object ; @__const._ZL30rocblas_trsm_small_left_deviceILi12ELi12ELb0E19rocblas_complex_numIdES1_PKPKS1_PKPS1_Ev13rocblas_fill_18rocblas_operation_17rocblas_diagonal_iiT3_T4_lilT5_lili.step_sizes
	.p2align	2, 0x0
__const._ZL30rocblas_trsm_small_left_deviceILi12ELi12ELb0E19rocblas_complex_numIdES1_PKPKS1_PKPS1_Ev13rocblas_fill_18rocblas_operation_17rocblas_diagonal_iiT3_T4_lilT5_lili.step_sizes:
	.long	12                              ; 0xc
	.long	8                               ; 0x8
	.long	1                               ; 0x1
	.size	__const._ZL30rocblas_trsm_small_left_deviceILi12ELi12ELb0E19rocblas_complex_numIdES1_PKPKS1_PKPS1_Ev13rocblas_fill_18rocblas_operation_17rocblas_diagonal_iiT3_T4_lilT5_lili.step_sizes, 12

	.type	__const._ZL38rocblas_trsm_small_left_device_sharedBILi12ELi12ELb1E19rocblas_complex_numIdES1_PKPKS1_PKPS1_Ev13rocblas_fill_18rocblas_operation_17rocblas_diagonal_iiT3_T4_lilT5_lili.step_sizes,@object ; @__const._ZL38rocblas_trsm_small_left_device_sharedBILi12ELi12ELb1E19rocblas_complex_numIdES1_PKPKS1_PKPS1_Ev13rocblas_fill_18rocblas_operation_17rocblas_diagonal_iiT3_T4_lilT5_lili.step_sizes
	.p2align	2, 0x0
__const._ZL38rocblas_trsm_small_left_device_sharedBILi12ELi12ELb1E19rocblas_complex_numIdES1_PKPKS1_PKPS1_Ev13rocblas_fill_18rocblas_operation_17rocblas_diagonal_iiT3_T4_lilT5_lili.step_sizes:
	.long	12                              ; 0xc
	.long	8                               ; 0x8
	.long	1                               ; 0x1
	.size	__const._ZL38rocblas_trsm_small_left_device_sharedBILi12ELi12ELb1E19rocblas_complex_numIdES1_PKPKS1_PKPS1_Ev13rocblas_fill_18rocblas_operation_17rocblas_diagonal_iiT3_T4_lilT5_lili.step_sizes, 12

	.type	__const._ZL30rocblas_trsm_small_left_deviceILi12ELi12ELb1E19rocblas_complex_numIdES1_PKPKS1_PKPS1_Ev13rocblas_fill_18rocblas_operation_17rocblas_diagonal_iiT3_T4_lilT5_lili.step_sizes,@object ; @__const._ZL30rocblas_trsm_small_left_deviceILi12ELi12ELb1E19rocblas_complex_numIdES1_PKPKS1_PKPS1_Ev13rocblas_fill_18rocblas_operation_17rocblas_diagonal_iiT3_T4_lilT5_lili.step_sizes
	.p2align	2, 0x0
__const._ZL30rocblas_trsm_small_left_deviceILi12ELi12ELb1E19rocblas_complex_numIdES1_PKPKS1_PKPS1_Ev13rocblas_fill_18rocblas_operation_17rocblas_diagonal_iiT3_T4_lilT5_lili.step_sizes:
	.long	12                              ; 0xc
	.long	8                               ; 0x8
	.long	1                               ; 0x1
	.size	__const._ZL30rocblas_trsm_small_left_deviceILi12ELi12ELb1E19rocblas_complex_numIdES1_PKPKS1_PKPS1_Ev13rocblas_fill_18rocblas_operation_17rocblas_diagonal_iiT3_T4_lilT5_lili.step_sizes, 12

	.type	__const._ZL38rocblas_trsm_small_left_device_sharedBILi16ELi16ELb0E19rocblas_complex_numIdES1_PKPKS1_PKPS1_Ev13rocblas_fill_18rocblas_operation_17rocblas_diagonal_iiT3_T4_lilT5_lili.step_sizes,@object ; @__const._ZL38rocblas_trsm_small_left_device_sharedBILi16ELi16ELb0E19rocblas_complex_numIdES1_PKPKS1_PKPS1_Ev13rocblas_fill_18rocblas_operation_17rocblas_diagonal_iiT3_T4_lilT5_lili.step_sizes
	.p2align	2, 0x0
__const._ZL38rocblas_trsm_small_left_device_sharedBILi16ELi16ELb0E19rocblas_complex_numIdES1_PKPKS1_PKPS1_Ev13rocblas_fill_18rocblas_operation_17rocblas_diagonal_iiT3_T4_lilT5_lili.step_sizes:
	.long	16                              ; 0x10
	.long	12                              ; 0xc
	.long	1                               ; 0x1
	.size	__const._ZL38rocblas_trsm_small_left_device_sharedBILi16ELi16ELb0E19rocblas_complex_numIdES1_PKPKS1_PKPS1_Ev13rocblas_fill_18rocblas_operation_17rocblas_diagonal_iiT3_T4_lilT5_lili.step_sizes, 12

	.type	__const._ZL30rocblas_trsm_small_left_deviceILi16ELi16ELb0E19rocblas_complex_numIdES1_PKPKS1_PKPS1_Ev13rocblas_fill_18rocblas_operation_17rocblas_diagonal_iiT3_T4_lilT5_lili.step_sizes,@object ; @__const._ZL30rocblas_trsm_small_left_deviceILi16ELi16ELb0E19rocblas_complex_numIdES1_PKPKS1_PKPS1_Ev13rocblas_fill_18rocblas_operation_17rocblas_diagonal_iiT3_T4_lilT5_lili.step_sizes
	.p2align	2, 0x0
__const._ZL30rocblas_trsm_small_left_deviceILi16ELi16ELb0E19rocblas_complex_numIdES1_PKPKS1_PKPS1_Ev13rocblas_fill_18rocblas_operation_17rocblas_diagonal_iiT3_T4_lilT5_lili.step_sizes:
	.long	16                              ; 0x10
	.long	12                              ; 0xc
	.long	1                               ; 0x1
	.size	__const._ZL30rocblas_trsm_small_left_deviceILi16ELi16ELb0E19rocblas_complex_numIdES1_PKPKS1_PKPS1_Ev13rocblas_fill_18rocblas_operation_17rocblas_diagonal_iiT3_T4_lilT5_lili.step_sizes, 12

	.type	__const._ZL38rocblas_trsm_small_left_device_sharedBILi16ELi16ELb1E19rocblas_complex_numIdES1_PKPKS1_PKPS1_Ev13rocblas_fill_18rocblas_operation_17rocblas_diagonal_iiT3_T4_lilT5_lili.step_sizes,@object ; @__const._ZL38rocblas_trsm_small_left_device_sharedBILi16ELi16ELb1E19rocblas_complex_numIdES1_PKPKS1_PKPS1_Ev13rocblas_fill_18rocblas_operation_17rocblas_diagonal_iiT3_T4_lilT5_lili.step_sizes
	.p2align	2, 0x0
__const._ZL38rocblas_trsm_small_left_device_sharedBILi16ELi16ELb1E19rocblas_complex_numIdES1_PKPKS1_PKPS1_Ev13rocblas_fill_18rocblas_operation_17rocblas_diagonal_iiT3_T4_lilT5_lili.step_sizes:
	.long	16                              ; 0x10
	.long	12                              ; 0xc
	.long	1                               ; 0x1
	.size	__const._ZL38rocblas_trsm_small_left_device_sharedBILi16ELi16ELb1E19rocblas_complex_numIdES1_PKPKS1_PKPS1_Ev13rocblas_fill_18rocblas_operation_17rocblas_diagonal_iiT3_T4_lilT5_lili.step_sizes, 12

	.type	__const._ZL30rocblas_trsm_small_left_deviceILi16ELi16ELb1E19rocblas_complex_numIdES1_PKPKS1_PKPS1_Ev13rocblas_fill_18rocblas_operation_17rocblas_diagonal_iiT3_T4_lilT5_lili.step_sizes,@object ; @__const._ZL30rocblas_trsm_small_left_deviceILi16ELi16ELb1E19rocblas_complex_numIdES1_PKPKS1_PKPS1_Ev13rocblas_fill_18rocblas_operation_17rocblas_diagonal_iiT3_T4_lilT5_lili.step_sizes
	.p2align	2, 0x0
__const._ZL30rocblas_trsm_small_left_deviceILi16ELi16ELb1E19rocblas_complex_numIdES1_PKPKS1_PKPS1_Ev13rocblas_fill_18rocblas_operation_17rocblas_diagonal_iiT3_T4_lilT5_lili.step_sizes:
	.long	16                              ; 0x10
	.long	12                              ; 0xc
	.long	1                               ; 0x1
	.size	__const._ZL30rocblas_trsm_small_left_deviceILi16ELi16ELb1E19rocblas_complex_numIdES1_PKPKS1_PKPS1_Ev13rocblas_fill_18rocblas_operation_17rocblas_diagonal_iiT3_T4_lilT5_lili.step_sizes, 12

	.type	__const._ZL38rocblas_trsm_small_left_device_sharedBILi20ELi20ELb0E19rocblas_complex_numIdES1_PKPKS1_PKPS1_Ev13rocblas_fill_18rocblas_operation_17rocblas_diagonal_iiT3_T4_lilT5_lili.step_sizes,@object ; @__const._ZL38rocblas_trsm_small_left_device_sharedBILi20ELi20ELb0E19rocblas_complex_numIdES1_PKPKS1_PKPS1_Ev13rocblas_fill_18rocblas_operation_17rocblas_diagonal_iiT3_T4_lilT5_lili.step_sizes
	.p2align	2, 0x0
__const._ZL38rocblas_trsm_small_left_device_sharedBILi20ELi20ELb0E19rocblas_complex_numIdES1_PKPKS1_PKPS1_Ev13rocblas_fill_18rocblas_operation_17rocblas_diagonal_iiT3_T4_lilT5_lili.step_sizes:
	.long	20                              ; 0x14
	.long	16                              ; 0x10
	.long	1                               ; 0x1
	.size	__const._ZL38rocblas_trsm_small_left_device_sharedBILi20ELi20ELb0E19rocblas_complex_numIdES1_PKPKS1_PKPS1_Ev13rocblas_fill_18rocblas_operation_17rocblas_diagonal_iiT3_T4_lilT5_lili.step_sizes, 12

	.type	__const._ZL30rocblas_trsm_small_left_deviceILi20ELi20ELb0E19rocblas_complex_numIdES1_PKPKS1_PKPS1_Ev13rocblas_fill_18rocblas_operation_17rocblas_diagonal_iiT3_T4_lilT5_lili.step_sizes,@object ; @__const._ZL30rocblas_trsm_small_left_deviceILi20ELi20ELb0E19rocblas_complex_numIdES1_PKPKS1_PKPS1_Ev13rocblas_fill_18rocblas_operation_17rocblas_diagonal_iiT3_T4_lilT5_lili.step_sizes
	.p2align	2, 0x0
__const._ZL30rocblas_trsm_small_left_deviceILi20ELi20ELb0E19rocblas_complex_numIdES1_PKPKS1_PKPS1_Ev13rocblas_fill_18rocblas_operation_17rocblas_diagonal_iiT3_T4_lilT5_lili.step_sizes:
	.long	20                              ; 0x14
	.long	16                              ; 0x10
	.long	1                               ; 0x1
	.size	__const._ZL30rocblas_trsm_small_left_deviceILi20ELi20ELb0E19rocblas_complex_numIdES1_PKPKS1_PKPS1_Ev13rocblas_fill_18rocblas_operation_17rocblas_diagonal_iiT3_T4_lilT5_lili.step_sizes, 12

	.type	__const._ZL38rocblas_trsm_small_left_device_sharedBILi20ELi20ELb1E19rocblas_complex_numIdES1_PKPKS1_PKPS1_Ev13rocblas_fill_18rocblas_operation_17rocblas_diagonal_iiT3_T4_lilT5_lili.step_sizes,@object ; @__const._ZL38rocblas_trsm_small_left_device_sharedBILi20ELi20ELb1E19rocblas_complex_numIdES1_PKPKS1_PKPS1_Ev13rocblas_fill_18rocblas_operation_17rocblas_diagonal_iiT3_T4_lilT5_lili.step_sizes
	.p2align	2, 0x0
__const._ZL38rocblas_trsm_small_left_device_sharedBILi20ELi20ELb1E19rocblas_complex_numIdES1_PKPKS1_PKPS1_Ev13rocblas_fill_18rocblas_operation_17rocblas_diagonal_iiT3_T4_lilT5_lili.step_sizes:
	.long	20                              ; 0x14
	.long	16                              ; 0x10
	.long	1                               ; 0x1
	.size	__const._ZL38rocblas_trsm_small_left_device_sharedBILi20ELi20ELb1E19rocblas_complex_numIdES1_PKPKS1_PKPS1_Ev13rocblas_fill_18rocblas_operation_17rocblas_diagonal_iiT3_T4_lilT5_lili.step_sizes, 12

	.type	__const._ZL30rocblas_trsm_small_left_deviceILi20ELi20ELb1E19rocblas_complex_numIdES1_PKPKS1_PKPS1_Ev13rocblas_fill_18rocblas_operation_17rocblas_diagonal_iiT3_T4_lilT5_lili.step_sizes,@object ; @__const._ZL30rocblas_trsm_small_left_deviceILi20ELi20ELb1E19rocblas_complex_numIdES1_PKPKS1_PKPS1_Ev13rocblas_fill_18rocblas_operation_17rocblas_diagonal_iiT3_T4_lilT5_lili.step_sizes
	.p2align	2, 0x0
__const._ZL30rocblas_trsm_small_left_deviceILi20ELi20ELb1E19rocblas_complex_numIdES1_PKPKS1_PKPS1_Ev13rocblas_fill_18rocblas_operation_17rocblas_diagonal_iiT3_T4_lilT5_lili.step_sizes:
	.long	20                              ; 0x14
	.long	16                              ; 0x10
	.long	1                               ; 0x1
	.size	__const._ZL30rocblas_trsm_small_left_deviceILi20ELi20ELb1E19rocblas_complex_numIdES1_PKPKS1_PKPS1_Ev13rocblas_fill_18rocblas_operation_17rocblas_diagonal_iiT3_T4_lilT5_lili.step_sizes, 12

	.type	__const._ZL38rocblas_trsm_small_left_device_sharedBILi24ELi24ELb0E19rocblas_complex_numIdES1_PKPKS1_PKPS1_Ev13rocblas_fill_18rocblas_operation_17rocblas_diagonal_iiT3_T4_lilT5_lili.step_sizes,@object ; @__const._ZL38rocblas_trsm_small_left_device_sharedBILi24ELi24ELb0E19rocblas_complex_numIdES1_PKPKS1_PKPS1_Ev13rocblas_fill_18rocblas_operation_17rocblas_diagonal_iiT3_T4_lilT5_lili.step_sizes
	.p2align	2, 0x0
__const._ZL38rocblas_trsm_small_left_device_sharedBILi24ELi24ELb0E19rocblas_complex_numIdES1_PKPKS1_PKPS1_Ev13rocblas_fill_18rocblas_operation_17rocblas_diagonal_iiT3_T4_lilT5_lili.step_sizes:
	.long	24                              ; 0x18
	.long	20                              ; 0x14
	.long	1                               ; 0x1
	.size	__const._ZL38rocblas_trsm_small_left_device_sharedBILi24ELi24ELb0E19rocblas_complex_numIdES1_PKPKS1_PKPS1_Ev13rocblas_fill_18rocblas_operation_17rocblas_diagonal_iiT3_T4_lilT5_lili.step_sizes, 12

	.type	__const._ZL30rocblas_trsm_small_left_deviceILi24ELi24ELb0E19rocblas_complex_numIdES1_PKPKS1_PKPS1_Ev13rocblas_fill_18rocblas_operation_17rocblas_diagonal_iiT3_T4_lilT5_lili.step_sizes,@object ; @__const._ZL30rocblas_trsm_small_left_deviceILi24ELi24ELb0E19rocblas_complex_numIdES1_PKPKS1_PKPS1_Ev13rocblas_fill_18rocblas_operation_17rocblas_diagonal_iiT3_T4_lilT5_lili.step_sizes
	.p2align	2, 0x0
__const._ZL30rocblas_trsm_small_left_deviceILi24ELi24ELb0E19rocblas_complex_numIdES1_PKPKS1_PKPS1_Ev13rocblas_fill_18rocblas_operation_17rocblas_diagonal_iiT3_T4_lilT5_lili.step_sizes:
	.long	24                              ; 0x18
	.long	20                              ; 0x14
	.long	1                               ; 0x1
	.size	__const._ZL30rocblas_trsm_small_left_deviceILi24ELi24ELb0E19rocblas_complex_numIdES1_PKPKS1_PKPS1_Ev13rocblas_fill_18rocblas_operation_17rocblas_diagonal_iiT3_T4_lilT5_lili.step_sizes, 12

	.type	__const._ZL38rocblas_trsm_small_left_device_sharedBILi24ELi24ELb1E19rocblas_complex_numIdES1_PKPKS1_PKPS1_Ev13rocblas_fill_18rocblas_operation_17rocblas_diagonal_iiT3_T4_lilT5_lili.step_sizes,@object ; @__const._ZL38rocblas_trsm_small_left_device_sharedBILi24ELi24ELb1E19rocblas_complex_numIdES1_PKPKS1_PKPS1_Ev13rocblas_fill_18rocblas_operation_17rocblas_diagonal_iiT3_T4_lilT5_lili.step_sizes
	.p2align	2, 0x0
__const._ZL38rocblas_trsm_small_left_device_sharedBILi24ELi24ELb1E19rocblas_complex_numIdES1_PKPKS1_PKPS1_Ev13rocblas_fill_18rocblas_operation_17rocblas_diagonal_iiT3_T4_lilT5_lili.step_sizes:
	.long	24                              ; 0x18
	.long	20                              ; 0x14
	.long	1                               ; 0x1
	.size	__const._ZL38rocblas_trsm_small_left_device_sharedBILi24ELi24ELb1E19rocblas_complex_numIdES1_PKPKS1_PKPS1_Ev13rocblas_fill_18rocblas_operation_17rocblas_diagonal_iiT3_T4_lilT5_lili.step_sizes, 12

	.type	__const._ZL30rocblas_trsm_small_left_deviceILi24ELi24ELb1E19rocblas_complex_numIdES1_PKPKS1_PKPS1_Ev13rocblas_fill_18rocblas_operation_17rocblas_diagonal_iiT3_T4_lilT5_lili.step_sizes,@object ; @__const._ZL30rocblas_trsm_small_left_deviceILi24ELi24ELb1E19rocblas_complex_numIdES1_PKPKS1_PKPS1_Ev13rocblas_fill_18rocblas_operation_17rocblas_diagonal_iiT3_T4_lilT5_lili.step_sizes
	.p2align	2, 0x0
__const._ZL30rocblas_trsm_small_left_deviceILi24ELi24ELb1E19rocblas_complex_numIdES1_PKPKS1_PKPS1_Ev13rocblas_fill_18rocblas_operation_17rocblas_diagonal_iiT3_T4_lilT5_lili.step_sizes:
	.long	24                              ; 0x18
	.long	20                              ; 0x14
	.long	1                               ; 0x1
	.size	__const._ZL30rocblas_trsm_small_left_deviceILi24ELi24ELb1E19rocblas_complex_numIdES1_PKPKS1_PKPS1_Ev13rocblas_fill_18rocblas_operation_17rocblas_diagonal_iiT3_T4_lilT5_lili.step_sizes, 12

	.type	__const._ZL38rocblas_trsm_small_left_device_sharedBILi28ELi28ELb0E19rocblas_complex_numIdES1_PKPKS1_PKPS1_Ev13rocblas_fill_18rocblas_operation_17rocblas_diagonal_iiT3_T4_lilT5_lili.step_sizes,@object ; @__const._ZL38rocblas_trsm_small_left_device_sharedBILi28ELi28ELb0E19rocblas_complex_numIdES1_PKPKS1_PKPS1_Ev13rocblas_fill_18rocblas_operation_17rocblas_diagonal_iiT3_T4_lilT5_lili.step_sizes
	.p2align	2, 0x0
__const._ZL38rocblas_trsm_small_left_device_sharedBILi28ELi28ELb0E19rocblas_complex_numIdES1_PKPKS1_PKPS1_Ev13rocblas_fill_18rocblas_operation_17rocblas_diagonal_iiT3_T4_lilT5_lili.step_sizes:
	.long	28                              ; 0x1c
	.long	24                              ; 0x18
	.long	1                               ; 0x1
	.size	__const._ZL38rocblas_trsm_small_left_device_sharedBILi28ELi28ELb0E19rocblas_complex_numIdES1_PKPKS1_PKPS1_Ev13rocblas_fill_18rocblas_operation_17rocblas_diagonal_iiT3_T4_lilT5_lili.step_sizes, 12

	.type	__const._ZL30rocblas_trsm_small_left_deviceILi28ELi28ELb0E19rocblas_complex_numIdES1_PKPKS1_PKPS1_Ev13rocblas_fill_18rocblas_operation_17rocblas_diagonal_iiT3_T4_lilT5_lili.step_sizes,@object ; @__const._ZL30rocblas_trsm_small_left_deviceILi28ELi28ELb0E19rocblas_complex_numIdES1_PKPKS1_PKPS1_Ev13rocblas_fill_18rocblas_operation_17rocblas_diagonal_iiT3_T4_lilT5_lili.step_sizes
	.p2align	2, 0x0
__const._ZL30rocblas_trsm_small_left_deviceILi28ELi28ELb0E19rocblas_complex_numIdES1_PKPKS1_PKPS1_Ev13rocblas_fill_18rocblas_operation_17rocblas_diagonal_iiT3_T4_lilT5_lili.step_sizes:
	.long	28                              ; 0x1c
	.long	24                              ; 0x18
	.long	1                               ; 0x1
	.size	__const._ZL30rocblas_trsm_small_left_deviceILi28ELi28ELb0E19rocblas_complex_numIdES1_PKPKS1_PKPS1_Ev13rocblas_fill_18rocblas_operation_17rocblas_diagonal_iiT3_T4_lilT5_lili.step_sizes, 12

	.type	__const._ZL38rocblas_trsm_small_left_device_sharedBILi28ELi28ELb1E19rocblas_complex_numIdES1_PKPKS1_PKPS1_Ev13rocblas_fill_18rocblas_operation_17rocblas_diagonal_iiT3_T4_lilT5_lili.step_sizes,@object ; @__const._ZL38rocblas_trsm_small_left_device_sharedBILi28ELi28ELb1E19rocblas_complex_numIdES1_PKPKS1_PKPS1_Ev13rocblas_fill_18rocblas_operation_17rocblas_diagonal_iiT3_T4_lilT5_lili.step_sizes
	.p2align	2, 0x0
__const._ZL38rocblas_trsm_small_left_device_sharedBILi28ELi28ELb1E19rocblas_complex_numIdES1_PKPKS1_PKPS1_Ev13rocblas_fill_18rocblas_operation_17rocblas_diagonal_iiT3_T4_lilT5_lili.step_sizes:
	.long	28                              ; 0x1c
	.long	24                              ; 0x18
	.long	1                               ; 0x1
	.size	__const._ZL38rocblas_trsm_small_left_device_sharedBILi28ELi28ELb1E19rocblas_complex_numIdES1_PKPKS1_PKPS1_Ev13rocblas_fill_18rocblas_operation_17rocblas_diagonal_iiT3_T4_lilT5_lili.step_sizes, 12

	.type	__const._ZL30rocblas_trsm_small_left_deviceILi28ELi28ELb1E19rocblas_complex_numIdES1_PKPKS1_PKPS1_Ev13rocblas_fill_18rocblas_operation_17rocblas_diagonal_iiT3_T4_lilT5_lili.step_sizes,@object ; @__const._ZL30rocblas_trsm_small_left_deviceILi28ELi28ELb1E19rocblas_complex_numIdES1_PKPKS1_PKPS1_Ev13rocblas_fill_18rocblas_operation_17rocblas_diagonal_iiT3_T4_lilT5_lili.step_sizes
	.p2align	2, 0x0
__const._ZL30rocblas_trsm_small_left_deviceILi28ELi28ELb1E19rocblas_complex_numIdES1_PKPKS1_PKPS1_Ev13rocblas_fill_18rocblas_operation_17rocblas_diagonal_iiT3_T4_lilT5_lili.step_sizes:
	.long	28                              ; 0x1c
	.long	24                              ; 0x18
	.long	1                               ; 0x1
	.size	__const._ZL30rocblas_trsm_small_left_deviceILi28ELi28ELb1E19rocblas_complex_numIdES1_PKPKS1_PKPS1_Ev13rocblas_fill_18rocblas_operation_17rocblas_diagonal_iiT3_T4_lilT5_lili.step_sizes, 12

	.type	__const._ZL38rocblas_trsm_small_left_device_sharedBILi32ELi32ELb0E19rocblas_complex_numIdES1_PKPKS1_PKPS1_Ev13rocblas_fill_18rocblas_operation_17rocblas_diagonal_iiT3_T4_lilT5_lili.step_sizes,@object ; @__const._ZL38rocblas_trsm_small_left_device_sharedBILi32ELi32ELb0E19rocblas_complex_numIdES1_PKPKS1_PKPS1_Ev13rocblas_fill_18rocblas_operation_17rocblas_diagonal_iiT3_T4_lilT5_lili.step_sizes
	.p2align	2, 0x0
__const._ZL38rocblas_trsm_small_left_device_sharedBILi32ELi32ELb0E19rocblas_complex_numIdES1_PKPKS1_PKPS1_Ev13rocblas_fill_18rocblas_operation_17rocblas_diagonal_iiT3_T4_lilT5_lili.step_sizes:
	.long	32                              ; 0x20
	.long	28                              ; 0x1c
	.long	1                               ; 0x1
	.size	__const._ZL38rocblas_trsm_small_left_device_sharedBILi32ELi32ELb0E19rocblas_complex_numIdES1_PKPKS1_PKPS1_Ev13rocblas_fill_18rocblas_operation_17rocblas_diagonal_iiT3_T4_lilT5_lili.step_sizes, 12

	.type	__const._ZL30rocblas_trsm_small_left_deviceILi32ELi32ELb0E19rocblas_complex_numIdES1_PKPKS1_PKPS1_Ev13rocblas_fill_18rocblas_operation_17rocblas_diagonal_iiT3_T4_lilT5_lili.step_sizes,@object ; @__const._ZL30rocblas_trsm_small_left_deviceILi32ELi32ELb0E19rocblas_complex_numIdES1_PKPKS1_PKPS1_Ev13rocblas_fill_18rocblas_operation_17rocblas_diagonal_iiT3_T4_lilT5_lili.step_sizes
	.p2align	2, 0x0
__const._ZL30rocblas_trsm_small_left_deviceILi32ELi32ELb0E19rocblas_complex_numIdES1_PKPKS1_PKPS1_Ev13rocblas_fill_18rocblas_operation_17rocblas_diagonal_iiT3_T4_lilT5_lili.step_sizes:
	.long	32                              ; 0x20
	.long	28                              ; 0x1c
	.long	1                               ; 0x1
	.size	__const._ZL30rocblas_trsm_small_left_deviceILi32ELi32ELb0E19rocblas_complex_numIdES1_PKPKS1_PKPS1_Ev13rocblas_fill_18rocblas_operation_17rocblas_diagonal_iiT3_T4_lilT5_lili.step_sizes, 12

	.type	__const._ZL38rocblas_trsm_small_left_device_sharedBILi32ELi32ELb1E19rocblas_complex_numIdES1_PKPKS1_PKPS1_Ev13rocblas_fill_18rocblas_operation_17rocblas_diagonal_iiT3_T4_lilT5_lili.step_sizes,@object ; @__const._ZL38rocblas_trsm_small_left_device_sharedBILi32ELi32ELb1E19rocblas_complex_numIdES1_PKPKS1_PKPS1_Ev13rocblas_fill_18rocblas_operation_17rocblas_diagonal_iiT3_T4_lilT5_lili.step_sizes
	.p2align	2, 0x0
__const._ZL38rocblas_trsm_small_left_device_sharedBILi32ELi32ELb1E19rocblas_complex_numIdES1_PKPKS1_PKPS1_Ev13rocblas_fill_18rocblas_operation_17rocblas_diagonal_iiT3_T4_lilT5_lili.step_sizes:
	.long	32                              ; 0x20
	.long	28                              ; 0x1c
	.long	1                               ; 0x1
	.size	__const._ZL38rocblas_trsm_small_left_device_sharedBILi32ELi32ELb1E19rocblas_complex_numIdES1_PKPKS1_PKPS1_Ev13rocblas_fill_18rocblas_operation_17rocblas_diagonal_iiT3_T4_lilT5_lili.step_sizes, 12

	.type	__const._ZL30rocblas_trsm_small_left_deviceILi32ELi32ELb1E19rocblas_complex_numIdES1_PKPKS1_PKPS1_Ev13rocblas_fill_18rocblas_operation_17rocblas_diagonal_iiT3_T4_lilT5_lili.step_sizes,@object ; @__const._ZL30rocblas_trsm_small_left_deviceILi32ELi32ELb1E19rocblas_complex_numIdES1_PKPKS1_PKPS1_Ev13rocblas_fill_18rocblas_operation_17rocblas_diagonal_iiT3_T4_lilT5_lili.step_sizes
	.p2align	2, 0x0
__const._ZL30rocblas_trsm_small_left_deviceILi32ELi32ELb1E19rocblas_complex_numIdES1_PKPKS1_PKPS1_Ev13rocblas_fill_18rocblas_operation_17rocblas_diagonal_iiT3_T4_lilT5_lili.step_sizes:
	.long	32                              ; 0x20
	.long	28                              ; 0x1c
	.long	1                               ; 0x1
	.size	__const._ZL30rocblas_trsm_small_left_deviceILi32ELi32ELb1E19rocblas_complex_numIdES1_PKPKS1_PKPS1_Ev13rocblas_fill_18rocblas_operation_17rocblas_diagonal_iiT3_T4_lilT5_lili.step_sizes, 12

	.type	__hip_cuid_4c21fd178a99b077,@object ; @__hip_cuid_4c21fd178a99b077
	.section	.bss,"aw",@nobits
	.globl	__hip_cuid_4c21fd178a99b077
__hip_cuid_4c21fd178a99b077:
	.byte	0                               ; 0x0
	.size	__hip_cuid_4c21fd178a99b077, 1

	.ident	"AMD clang version 19.0.0git (https://github.com/RadeonOpenCompute/llvm-project roc-6.4.0 25133 c7fe45cf4b819c5991fe208aaa96edf142730f1d)"
	.section	".note.GNU-stack","",@progbits
	.addrsig
	.addrsig_sym __hip_cuid_4c21fd178a99b077
	.amdgpu_metadata
---
amdhsa.kernels:
  - .args:
      - .offset:         0
        .size:           8
        .value_kind:     by_value
      - .offset:         8
        .size:           8
        .value_kind:     by_value
      - .offset:         16
        .size:           4
        .value_kind:     by_value
      - .address_space:  global
        .offset:         24
        .size:           8
        .value_kind:     global_buffer
      - .offset:         32
        .size:           8
        .value_kind:     by_value
      - .offset:         40
        .size:           8
        .value_kind:     by_value
      - .offset:         48
        .size:           4
        .value_kind:     by_value
      - .offset:         56
        .size:           8
        .value_kind:     by_value
      - .offset:         64
        .size:           4
        .value_kind:     by_value
    .group_segment_fixed_size: 0
    .kernarg_segment_align: 8
    .kernarg_segment_size: 68
    .language:       OpenCL C
    .language_version:
      - 2
      - 0
    .max_flat_workgroup_size: 1024
    .name:           _ZL23rocblas_set_matrix_trsmILi128ELi8EfPKPfEvlliT2_llT1_li
    .private_segment_fixed_size: 0
    .sgpr_count:     18
    .sgpr_spill_count: 0
    .symbol:         _ZL23rocblas_set_matrix_trsmILi128ELi8EfPKPfEvlliT2_llT1_li.kd
    .uniform_work_group_size: 1
    .uses_dynamic_stack: false
    .vgpr_count:     7
    .vgpr_spill_count: 0
    .wavefront_size: 32
    .workgroup_processor_mode: 1
  - .args:
      - .offset:         0
        .size:           4
        .value_kind:     by_value
      - .offset:         4
        .size:           4
        .value_kind:     by_value
      - .offset:         8
        .size:           4
        .value_kind:     by_value
      - .offset:         12
        .size:           4
        .value_kind:     by_value
      - .offset:         16
        .size:           4
        .value_kind:     by_value
      - .offset:         20
        .size:           4
        .value_kind:     by_value
      - .address_space:  global
        .offset:         24
        .size:           8
        .value_kind:     global_buffer
      - .offset:         32
        .size:           8
        .value_kind:     by_value
      - .offset:         40
        .size:           4
        .value_kind:     by_value
      - .offset:         48
        .size:           8
        .value_kind:     by_value
      - .address_space:  global
        .offset:         56
        .size:           8
        .value_kind:     global_buffer
      - .offset:         64
        .size:           8
        .value_kind:     by_value
      - .offset:         72
        .size:           4
        .value_kind:     by_value
      - .offset:         80
        .size:           8
        .value_kind:     by_value
      - .offset:         88
        .size:           4
        .value_kind:     by_value
      - .offset:         96
        .size:           4
        .value_kind:     hidden_block_count_x
      - .offset:         100
        .size:           4
        .value_kind:     hidden_block_count_y
      - .offset:         104
        .size:           4
        .value_kind:     hidden_block_count_z
      - .offset:         108
        .size:           2
        .value_kind:     hidden_group_size_x
      - .offset:         110
        .size:           2
        .value_kind:     hidden_group_size_y
      - .offset:         112
        .size:           2
        .value_kind:     hidden_group_size_z
      - .offset:         114
        .size:           2
        .value_kind:     hidden_remainder_x
      - .offset:         116
        .size:           2
        .value_kind:     hidden_remainder_y
      - .offset:         118
        .size:           2
        .value_kind:     hidden_remainder_z
      - .offset:         136
        .size:           8
        .value_kind:     hidden_global_offset_x
      - .offset:         144
        .size:           8
        .value_kind:     hidden_global_offset_y
      - .offset:         152
        .size:           8
        .value_kind:     hidden_global_offset_z
      - .offset:         160
        .size:           2
        .value_kind:     hidden_grid_dims
    .group_segment_fixed_size: 128
    .kernarg_segment_align: 8
    .kernarg_segment_size: 352
    .language:       OpenCL C
    .language_version:
      - 2
      - 0
    .max_flat_workgroup_size: 4
    .name:           _ZL38rocblas_trsm_small_left_device_sharedBILi4ELi4ELb0EffPKPKfPKPfEv13rocblas_fill_18rocblas_operation_17rocblas_diagonal_iiT3_T4_lilT5_lili
    .private_segment_fixed_size: 0
    .sgpr_count:     33
    .sgpr_spill_count: 0
    .symbol:         _ZL38rocblas_trsm_small_left_device_sharedBILi4ELi4ELb0EffPKPKfPKPfEv13rocblas_fill_18rocblas_operation_17rocblas_diagonal_iiT3_T4_lilT5_lili.kd
    .uniform_work_group_size: 1
    .uses_dynamic_stack: false
    .vgpr_count:     18
    .vgpr_spill_count: 0
    .wavefront_size: 32
    .workgroup_processor_mode: 1
  - .args:
      - .offset:         0
        .size:           4
        .value_kind:     by_value
      - .offset:         4
        .size:           4
        .value_kind:     by_value
      - .offset:         8
        .size:           4
        .value_kind:     by_value
      - .offset:         12
        .size:           4
        .value_kind:     by_value
      - .offset:         16
        .size:           4
        .value_kind:     by_value
      - .offset:         20
        .size:           4
        .value_kind:     by_value
      - .address_space:  global
        .offset:         24
        .size:           8
        .value_kind:     global_buffer
      - .offset:         32
        .size:           8
        .value_kind:     by_value
      - .offset:         40
        .size:           4
        .value_kind:     by_value
      - .offset:         48
        .size:           8
        .value_kind:     by_value
      - .address_space:  global
        .offset:         56
        .size:           8
        .value_kind:     global_buffer
      - .offset:         64
        .size:           8
        .value_kind:     by_value
      - .offset:         72
        .size:           4
        .value_kind:     by_value
      - .offset:         80
        .size:           8
        .value_kind:     by_value
      - .offset:         88
        .size:           4
        .value_kind:     by_value
      - .offset:         96
        .size:           4
        .value_kind:     hidden_block_count_x
      - .offset:         100
        .size:           4
        .value_kind:     hidden_block_count_y
      - .offset:         104
        .size:           4
        .value_kind:     hidden_block_count_z
      - .offset:         108
        .size:           2
        .value_kind:     hidden_group_size_x
      - .offset:         110
        .size:           2
        .value_kind:     hidden_group_size_y
      - .offset:         112
        .size:           2
        .value_kind:     hidden_group_size_z
      - .offset:         114
        .size:           2
        .value_kind:     hidden_remainder_x
      - .offset:         116
        .size:           2
        .value_kind:     hidden_remainder_y
      - .offset:         118
        .size:           2
        .value_kind:     hidden_remainder_z
      - .offset:         136
        .size:           8
        .value_kind:     hidden_global_offset_x
      - .offset:         144
        .size:           8
        .value_kind:     hidden_global_offset_y
      - .offset:         152
        .size:           8
        .value_kind:     hidden_global_offset_z
      - .offset:         160
        .size:           2
        .value_kind:     hidden_grid_dims
    .group_segment_fixed_size: 64
    .kernarg_segment_align: 8
    .kernarg_segment_size: 352
    .language:       OpenCL C
    .language_version:
      - 2
      - 0
    .max_flat_workgroup_size: 4
    .name:           _ZL30rocblas_trsm_small_left_deviceILi4ELi4ELb0EffPKPKfPKPfEv13rocblas_fill_18rocblas_operation_17rocblas_diagonal_iiT3_T4_lilT5_lili
    .private_segment_fixed_size: 0
    .sgpr_count:     33
    .sgpr_spill_count: 0
    .symbol:         _ZL30rocblas_trsm_small_left_deviceILi4ELi4ELb0EffPKPKfPKPfEv13rocblas_fill_18rocblas_operation_17rocblas_diagonal_iiT3_T4_lilT5_lili.kd
    .uniform_work_group_size: 1
    .uses_dynamic_stack: false
    .vgpr_count:     19
    .vgpr_spill_count: 0
    .wavefront_size: 32
    .workgroup_processor_mode: 1
  - .args:
      - .offset:         0
        .size:           4
        .value_kind:     by_value
      - .offset:         4
        .size:           4
        .value_kind:     by_value
      - .offset:         8
        .size:           4
        .value_kind:     by_value
      - .offset:         12
        .size:           4
        .value_kind:     by_value
      - .offset:         16
        .size:           4
        .value_kind:     by_value
      - .offset:         20
        .size:           4
        .value_kind:     by_value
      - .address_space:  global
        .offset:         24
        .size:           8
        .value_kind:     global_buffer
      - .offset:         32
        .size:           8
        .value_kind:     by_value
      - .offset:         40
        .size:           4
        .value_kind:     by_value
      - .offset:         48
        .size:           8
        .value_kind:     by_value
      - .address_space:  global
        .offset:         56
        .size:           8
        .value_kind:     global_buffer
      - .offset:         64
        .size:           8
        .value_kind:     by_value
      - .offset:         72
        .size:           4
        .value_kind:     by_value
      - .offset:         80
        .size:           8
        .value_kind:     by_value
      - .offset:         88
        .size:           4
        .value_kind:     by_value
      - .offset:         96
        .size:           4
        .value_kind:     hidden_block_count_x
      - .offset:         100
        .size:           4
        .value_kind:     hidden_block_count_y
      - .offset:         104
        .size:           4
        .value_kind:     hidden_block_count_z
      - .offset:         108
        .size:           2
        .value_kind:     hidden_group_size_x
      - .offset:         110
        .size:           2
        .value_kind:     hidden_group_size_y
      - .offset:         112
        .size:           2
        .value_kind:     hidden_group_size_z
      - .offset:         114
        .size:           2
        .value_kind:     hidden_remainder_x
      - .offset:         116
        .size:           2
        .value_kind:     hidden_remainder_y
      - .offset:         118
        .size:           2
        .value_kind:     hidden_remainder_z
      - .offset:         136
        .size:           8
        .value_kind:     hidden_global_offset_x
      - .offset:         144
        .size:           8
        .value_kind:     hidden_global_offset_y
      - .offset:         152
        .size:           8
        .value_kind:     hidden_global_offset_z
      - .offset:         160
        .size:           2
        .value_kind:     hidden_grid_dims
    .group_segment_fixed_size: 128
    .kernarg_segment_align: 8
    .kernarg_segment_size: 352
    .language:       OpenCL C
    .language_version:
      - 2
      - 0
    .max_flat_workgroup_size: 4
    .name:           _ZL38rocblas_trsm_small_left_device_sharedBILi4ELi4ELb1EffPKPKfPKPfEv13rocblas_fill_18rocblas_operation_17rocblas_diagonal_iiT3_T4_lilT5_lili
    .private_segment_fixed_size: 0
    .sgpr_count:     33
    .sgpr_spill_count: 0
    .symbol:         _ZL38rocblas_trsm_small_left_device_sharedBILi4ELi4ELb1EffPKPKfPKPfEv13rocblas_fill_18rocblas_operation_17rocblas_diagonal_iiT3_T4_lilT5_lili.kd
    .uniform_work_group_size: 1
    .uses_dynamic_stack: false
    .vgpr_count:     19
    .vgpr_spill_count: 0
    .wavefront_size: 32
    .workgroup_processor_mode: 1
  - .args:
      - .offset:         0
        .size:           4
        .value_kind:     by_value
      - .offset:         4
        .size:           4
        .value_kind:     by_value
      - .offset:         8
        .size:           4
        .value_kind:     by_value
      - .offset:         12
        .size:           4
        .value_kind:     by_value
      - .offset:         16
        .size:           4
        .value_kind:     by_value
      - .offset:         20
        .size:           4
        .value_kind:     by_value
      - .address_space:  global
        .offset:         24
        .size:           8
        .value_kind:     global_buffer
      - .offset:         32
        .size:           8
        .value_kind:     by_value
      - .offset:         40
        .size:           4
        .value_kind:     by_value
      - .offset:         48
        .size:           8
        .value_kind:     by_value
      - .address_space:  global
        .offset:         56
        .size:           8
        .value_kind:     global_buffer
      - .offset:         64
        .size:           8
        .value_kind:     by_value
      - .offset:         72
        .size:           4
        .value_kind:     by_value
      - .offset:         80
        .size:           8
        .value_kind:     by_value
      - .offset:         88
        .size:           4
        .value_kind:     by_value
      - .offset:         96
        .size:           4
        .value_kind:     hidden_block_count_x
      - .offset:         100
        .size:           4
        .value_kind:     hidden_block_count_y
      - .offset:         104
        .size:           4
        .value_kind:     hidden_block_count_z
      - .offset:         108
        .size:           2
        .value_kind:     hidden_group_size_x
      - .offset:         110
        .size:           2
        .value_kind:     hidden_group_size_y
      - .offset:         112
        .size:           2
        .value_kind:     hidden_group_size_z
      - .offset:         114
        .size:           2
        .value_kind:     hidden_remainder_x
      - .offset:         116
        .size:           2
        .value_kind:     hidden_remainder_y
      - .offset:         118
        .size:           2
        .value_kind:     hidden_remainder_z
      - .offset:         136
        .size:           8
        .value_kind:     hidden_global_offset_x
      - .offset:         144
        .size:           8
        .value_kind:     hidden_global_offset_y
      - .offset:         152
        .size:           8
        .value_kind:     hidden_global_offset_z
      - .offset:         160
        .size:           2
        .value_kind:     hidden_grid_dims
    .group_segment_fixed_size: 64
    .kernarg_segment_align: 8
    .kernarg_segment_size: 352
    .language:       OpenCL C
    .language_version:
      - 2
      - 0
    .max_flat_workgroup_size: 4
    .name:           _ZL30rocblas_trsm_small_left_deviceILi4ELi4ELb1EffPKPKfPKPfEv13rocblas_fill_18rocblas_operation_17rocblas_diagonal_iiT3_T4_lilT5_lili
    .private_segment_fixed_size: 0
    .sgpr_count:     33
    .sgpr_spill_count: 0
    .symbol:         _ZL30rocblas_trsm_small_left_deviceILi4ELi4ELb1EffPKPKfPKPfEv13rocblas_fill_18rocblas_operation_17rocblas_diagonal_iiT3_T4_lilT5_lili.kd
    .uniform_work_group_size: 1
    .uses_dynamic_stack: false
    .vgpr_count:     19
    .vgpr_spill_count: 0
    .wavefront_size: 32
    .workgroup_processor_mode: 1
  - .args:
      - .offset:         0
        .size:           4
        .value_kind:     by_value
      - .offset:         4
        .size:           4
        .value_kind:     by_value
      - .offset:         8
        .size:           4
        .value_kind:     by_value
      - .offset:         12
        .size:           4
        .value_kind:     by_value
      - .offset:         16
        .size:           4
        .value_kind:     by_value
      - .offset:         20
        .size:           4
        .value_kind:     by_value
      - .address_space:  global
        .offset:         24
        .size:           8
        .value_kind:     global_buffer
      - .offset:         32
        .size:           8
        .value_kind:     by_value
      - .offset:         40
        .size:           4
        .value_kind:     by_value
      - .offset:         48
        .size:           8
        .value_kind:     by_value
      - .address_space:  global
        .offset:         56
        .size:           8
        .value_kind:     global_buffer
      - .offset:         64
        .size:           8
        .value_kind:     by_value
      - .offset:         72
        .size:           4
        .value_kind:     by_value
      - .offset:         80
        .size:           8
        .value_kind:     by_value
      - .offset:         88
        .size:           4
        .value_kind:     by_value
      - .offset:         96
        .size:           4
        .value_kind:     hidden_block_count_x
      - .offset:         100
        .size:           4
        .value_kind:     hidden_block_count_y
      - .offset:         104
        .size:           4
        .value_kind:     hidden_block_count_z
      - .offset:         108
        .size:           2
        .value_kind:     hidden_group_size_x
      - .offset:         110
        .size:           2
        .value_kind:     hidden_group_size_y
      - .offset:         112
        .size:           2
        .value_kind:     hidden_group_size_z
      - .offset:         114
        .size:           2
        .value_kind:     hidden_remainder_x
      - .offset:         116
        .size:           2
        .value_kind:     hidden_remainder_y
      - .offset:         118
        .size:           2
        .value_kind:     hidden_remainder_z
      - .offset:         136
        .size:           8
        .value_kind:     hidden_global_offset_x
      - .offset:         144
        .size:           8
        .value_kind:     hidden_global_offset_y
      - .offset:         152
        .size:           8
        .value_kind:     hidden_global_offset_z
      - .offset:         160
        .size:           2
        .value_kind:     hidden_grid_dims
    .group_segment_fixed_size: 128
    .kernarg_segment_align: 8
    .kernarg_segment_size: 352
    .language:       OpenCL C
    .language_version:
      - 2
      - 0
    .max_flat_workgroup_size: 4
    .name:           _ZL31rocblas_trsm_small_right_deviceIffPKPKfPKPfLi4EEv13rocblas_fill_18rocblas_operation_17rocblas_diagonal_iiT0_T1_lilT2_lili
    .private_segment_fixed_size: 0
    .sgpr_count:     34
    .sgpr_spill_count: 0
    .symbol:         _ZL31rocblas_trsm_small_right_deviceIffPKPKfPKPfLi4EEv13rocblas_fill_18rocblas_operation_17rocblas_diagonal_iiT0_T1_lilT2_lili.kd
    .uniform_work_group_size: 1
    .uses_dynamic_stack: false
    .vgpr_count:     20
    .vgpr_spill_count: 0
    .wavefront_size: 32
    .workgroup_processor_mode: 1
  - .args:
      - .offset:         0
        .size:           4
        .value_kind:     by_value
      - .offset:         4
        .size:           4
        .value_kind:     by_value
      - .offset:         8
        .size:           4
        .value_kind:     by_value
      - .offset:         12
        .size:           4
        .value_kind:     by_value
      - .offset:         16
        .size:           4
        .value_kind:     by_value
      - .offset:         20
        .size:           4
        .value_kind:     by_value
      - .address_space:  global
        .offset:         24
        .size:           8
        .value_kind:     global_buffer
      - .offset:         32
        .size:           8
        .value_kind:     by_value
      - .offset:         40
        .size:           4
        .value_kind:     by_value
      - .offset:         48
        .size:           8
        .value_kind:     by_value
      - .address_space:  global
        .offset:         56
        .size:           8
        .value_kind:     global_buffer
      - .offset:         64
        .size:           8
        .value_kind:     by_value
      - .offset:         72
        .size:           4
        .value_kind:     by_value
      - .offset:         80
        .size:           8
        .value_kind:     by_value
      - .offset:         88
        .size:           4
        .value_kind:     by_value
      - .offset:         96
        .size:           4
        .value_kind:     hidden_block_count_x
      - .offset:         100
        .size:           4
        .value_kind:     hidden_block_count_y
      - .offset:         104
        .size:           4
        .value_kind:     hidden_block_count_z
      - .offset:         108
        .size:           2
        .value_kind:     hidden_group_size_x
      - .offset:         110
        .size:           2
        .value_kind:     hidden_group_size_y
      - .offset:         112
        .size:           2
        .value_kind:     hidden_group_size_z
      - .offset:         114
        .size:           2
        .value_kind:     hidden_remainder_x
      - .offset:         116
        .size:           2
        .value_kind:     hidden_remainder_y
      - .offset:         118
        .size:           2
        .value_kind:     hidden_remainder_z
      - .offset:         136
        .size:           8
        .value_kind:     hidden_global_offset_x
      - .offset:         144
        .size:           8
        .value_kind:     hidden_global_offset_y
      - .offset:         152
        .size:           8
        .value_kind:     hidden_global_offset_z
      - .offset:         160
        .size:           2
        .value_kind:     hidden_grid_dims
    .group_segment_fixed_size: 512
    .kernarg_segment_align: 8
    .kernarg_segment_size: 352
    .language:       OpenCL C
    .language_version:
      - 2
      - 0
    .max_flat_workgroup_size: 8
    .name:           _ZL38rocblas_trsm_small_left_device_sharedBILi8ELi8ELb0EffPKPKfPKPfEv13rocblas_fill_18rocblas_operation_17rocblas_diagonal_iiT3_T4_lilT5_lili
    .private_segment_fixed_size: 0
    .sgpr_count:     33
    .sgpr_spill_count: 0
    .symbol:         _ZL38rocblas_trsm_small_left_device_sharedBILi8ELi8ELb0EffPKPKfPKPfEv13rocblas_fill_18rocblas_operation_17rocblas_diagonal_iiT3_T4_lilT5_lili.kd
    .uniform_work_group_size: 1
    .uses_dynamic_stack: false
    .vgpr_count:     35
    .vgpr_spill_count: 0
    .wavefront_size: 32
    .workgroup_processor_mode: 1
  - .args:
      - .offset:         0
        .size:           4
        .value_kind:     by_value
      - .offset:         4
        .size:           4
        .value_kind:     by_value
      - .offset:         8
        .size:           4
        .value_kind:     by_value
      - .offset:         12
        .size:           4
        .value_kind:     by_value
      - .offset:         16
        .size:           4
        .value_kind:     by_value
      - .offset:         20
        .size:           4
        .value_kind:     by_value
      - .address_space:  global
        .offset:         24
        .size:           8
        .value_kind:     global_buffer
      - .offset:         32
        .size:           8
        .value_kind:     by_value
      - .offset:         40
        .size:           4
        .value_kind:     by_value
      - .offset:         48
        .size:           8
        .value_kind:     by_value
      - .address_space:  global
        .offset:         56
        .size:           8
        .value_kind:     global_buffer
      - .offset:         64
        .size:           8
        .value_kind:     by_value
      - .offset:         72
        .size:           4
        .value_kind:     by_value
      - .offset:         80
        .size:           8
        .value_kind:     by_value
      - .offset:         88
        .size:           4
        .value_kind:     by_value
      - .offset:         96
        .size:           4
        .value_kind:     hidden_block_count_x
      - .offset:         100
        .size:           4
        .value_kind:     hidden_block_count_y
      - .offset:         104
        .size:           4
        .value_kind:     hidden_block_count_z
      - .offset:         108
        .size:           2
        .value_kind:     hidden_group_size_x
      - .offset:         110
        .size:           2
        .value_kind:     hidden_group_size_y
      - .offset:         112
        .size:           2
        .value_kind:     hidden_group_size_z
      - .offset:         114
        .size:           2
        .value_kind:     hidden_remainder_x
      - .offset:         116
        .size:           2
        .value_kind:     hidden_remainder_y
      - .offset:         118
        .size:           2
        .value_kind:     hidden_remainder_z
      - .offset:         136
        .size:           8
        .value_kind:     hidden_global_offset_x
      - .offset:         144
        .size:           8
        .value_kind:     hidden_global_offset_y
      - .offset:         152
        .size:           8
        .value_kind:     hidden_global_offset_z
      - .offset:         160
        .size:           2
        .value_kind:     hidden_grid_dims
    .group_segment_fixed_size: 256
    .kernarg_segment_align: 8
    .kernarg_segment_size: 352
    .language:       OpenCL C
    .language_version:
      - 2
      - 0
    .max_flat_workgroup_size: 8
    .name:           _ZL30rocblas_trsm_small_left_deviceILi8ELi8ELb0EffPKPKfPKPfEv13rocblas_fill_18rocblas_operation_17rocblas_diagonal_iiT3_T4_lilT5_lili
    .private_segment_fixed_size: 0
    .sgpr_count:     33
    .sgpr_spill_count: 0
    .symbol:         _ZL30rocblas_trsm_small_left_deviceILi8ELi8ELb0EffPKPKfPKPfEv13rocblas_fill_18rocblas_operation_17rocblas_diagonal_iiT3_T4_lilT5_lili.kd
    .uniform_work_group_size: 1
    .uses_dynamic_stack: false
    .vgpr_count:     41
    .vgpr_spill_count: 0
    .wavefront_size: 32
    .workgroup_processor_mode: 1
  - .args:
      - .offset:         0
        .size:           4
        .value_kind:     by_value
      - .offset:         4
        .size:           4
        .value_kind:     by_value
      - .offset:         8
        .size:           4
        .value_kind:     by_value
      - .offset:         12
        .size:           4
        .value_kind:     by_value
      - .offset:         16
        .size:           4
        .value_kind:     by_value
      - .offset:         20
        .size:           4
        .value_kind:     by_value
      - .address_space:  global
        .offset:         24
        .size:           8
        .value_kind:     global_buffer
      - .offset:         32
        .size:           8
        .value_kind:     by_value
      - .offset:         40
        .size:           4
        .value_kind:     by_value
      - .offset:         48
        .size:           8
        .value_kind:     by_value
      - .address_space:  global
        .offset:         56
        .size:           8
        .value_kind:     global_buffer
      - .offset:         64
        .size:           8
        .value_kind:     by_value
      - .offset:         72
        .size:           4
        .value_kind:     by_value
      - .offset:         80
        .size:           8
        .value_kind:     by_value
      - .offset:         88
        .size:           4
        .value_kind:     by_value
      - .offset:         96
        .size:           4
        .value_kind:     hidden_block_count_x
      - .offset:         100
        .size:           4
        .value_kind:     hidden_block_count_y
      - .offset:         104
        .size:           4
        .value_kind:     hidden_block_count_z
      - .offset:         108
        .size:           2
        .value_kind:     hidden_group_size_x
      - .offset:         110
        .size:           2
        .value_kind:     hidden_group_size_y
      - .offset:         112
        .size:           2
        .value_kind:     hidden_group_size_z
      - .offset:         114
        .size:           2
        .value_kind:     hidden_remainder_x
      - .offset:         116
        .size:           2
        .value_kind:     hidden_remainder_y
      - .offset:         118
        .size:           2
        .value_kind:     hidden_remainder_z
      - .offset:         136
        .size:           8
        .value_kind:     hidden_global_offset_x
      - .offset:         144
        .size:           8
        .value_kind:     hidden_global_offset_y
      - .offset:         152
        .size:           8
        .value_kind:     hidden_global_offset_z
      - .offset:         160
        .size:           2
        .value_kind:     hidden_grid_dims
    .group_segment_fixed_size: 512
    .kernarg_segment_align: 8
    .kernarg_segment_size: 352
    .language:       OpenCL C
    .language_version:
      - 2
      - 0
    .max_flat_workgroup_size: 8
    .name:           _ZL38rocblas_trsm_small_left_device_sharedBILi8ELi8ELb1EffPKPKfPKPfEv13rocblas_fill_18rocblas_operation_17rocblas_diagonal_iiT3_T4_lilT5_lili
    .private_segment_fixed_size: 0
    .sgpr_count:     33
    .sgpr_spill_count: 0
    .symbol:         _ZL38rocblas_trsm_small_left_device_sharedBILi8ELi8ELb1EffPKPKfPKPfEv13rocblas_fill_18rocblas_operation_17rocblas_diagonal_iiT3_T4_lilT5_lili.kd
    .uniform_work_group_size: 1
    .uses_dynamic_stack: false
    .vgpr_count:     34
    .vgpr_spill_count: 0
    .wavefront_size: 32
    .workgroup_processor_mode: 1
  - .args:
      - .offset:         0
        .size:           4
        .value_kind:     by_value
      - .offset:         4
        .size:           4
        .value_kind:     by_value
      - .offset:         8
        .size:           4
        .value_kind:     by_value
      - .offset:         12
        .size:           4
        .value_kind:     by_value
      - .offset:         16
        .size:           4
        .value_kind:     by_value
      - .offset:         20
        .size:           4
        .value_kind:     by_value
      - .address_space:  global
        .offset:         24
        .size:           8
        .value_kind:     global_buffer
      - .offset:         32
        .size:           8
        .value_kind:     by_value
      - .offset:         40
        .size:           4
        .value_kind:     by_value
      - .offset:         48
        .size:           8
        .value_kind:     by_value
      - .address_space:  global
        .offset:         56
        .size:           8
        .value_kind:     global_buffer
      - .offset:         64
        .size:           8
        .value_kind:     by_value
      - .offset:         72
        .size:           4
        .value_kind:     by_value
      - .offset:         80
        .size:           8
        .value_kind:     by_value
      - .offset:         88
        .size:           4
        .value_kind:     by_value
      - .offset:         96
        .size:           4
        .value_kind:     hidden_block_count_x
      - .offset:         100
        .size:           4
        .value_kind:     hidden_block_count_y
      - .offset:         104
        .size:           4
        .value_kind:     hidden_block_count_z
      - .offset:         108
        .size:           2
        .value_kind:     hidden_group_size_x
      - .offset:         110
        .size:           2
        .value_kind:     hidden_group_size_y
      - .offset:         112
        .size:           2
        .value_kind:     hidden_group_size_z
      - .offset:         114
        .size:           2
        .value_kind:     hidden_remainder_x
      - .offset:         116
        .size:           2
        .value_kind:     hidden_remainder_y
      - .offset:         118
        .size:           2
        .value_kind:     hidden_remainder_z
      - .offset:         136
        .size:           8
        .value_kind:     hidden_global_offset_x
      - .offset:         144
        .size:           8
        .value_kind:     hidden_global_offset_y
      - .offset:         152
        .size:           8
        .value_kind:     hidden_global_offset_z
      - .offset:         160
        .size:           2
        .value_kind:     hidden_grid_dims
    .group_segment_fixed_size: 256
    .kernarg_segment_align: 8
    .kernarg_segment_size: 352
    .language:       OpenCL C
    .language_version:
      - 2
      - 0
    .max_flat_workgroup_size: 8
    .name:           _ZL30rocblas_trsm_small_left_deviceILi8ELi8ELb1EffPKPKfPKPfEv13rocblas_fill_18rocblas_operation_17rocblas_diagonal_iiT3_T4_lilT5_lili
    .private_segment_fixed_size: 0
    .sgpr_count:     33
    .sgpr_spill_count: 0
    .symbol:         _ZL30rocblas_trsm_small_left_deviceILi8ELi8ELb1EffPKPKfPKPfEv13rocblas_fill_18rocblas_operation_17rocblas_diagonal_iiT3_T4_lilT5_lili.kd
    .uniform_work_group_size: 1
    .uses_dynamic_stack: false
    .vgpr_count:     43
    .vgpr_spill_count: 0
    .wavefront_size: 32
    .workgroup_processor_mode: 1
  - .args:
      - .offset:         0
        .size:           4
        .value_kind:     by_value
      - .offset:         4
        .size:           4
        .value_kind:     by_value
      - .offset:         8
        .size:           4
        .value_kind:     by_value
      - .offset:         12
        .size:           4
        .value_kind:     by_value
      - .offset:         16
        .size:           4
        .value_kind:     by_value
      - .offset:         20
        .size:           4
        .value_kind:     by_value
      - .address_space:  global
        .offset:         24
        .size:           8
        .value_kind:     global_buffer
      - .offset:         32
        .size:           8
        .value_kind:     by_value
      - .offset:         40
        .size:           4
        .value_kind:     by_value
      - .offset:         48
        .size:           8
        .value_kind:     by_value
      - .address_space:  global
        .offset:         56
        .size:           8
        .value_kind:     global_buffer
      - .offset:         64
        .size:           8
        .value_kind:     by_value
      - .offset:         72
        .size:           4
        .value_kind:     by_value
      - .offset:         80
        .size:           8
        .value_kind:     by_value
      - .offset:         88
        .size:           4
        .value_kind:     by_value
      - .offset:         96
        .size:           4
        .value_kind:     hidden_block_count_x
      - .offset:         100
        .size:           4
        .value_kind:     hidden_block_count_y
      - .offset:         104
        .size:           4
        .value_kind:     hidden_block_count_z
      - .offset:         108
        .size:           2
        .value_kind:     hidden_group_size_x
      - .offset:         110
        .size:           2
        .value_kind:     hidden_group_size_y
      - .offset:         112
        .size:           2
        .value_kind:     hidden_group_size_z
      - .offset:         114
        .size:           2
        .value_kind:     hidden_remainder_x
      - .offset:         116
        .size:           2
        .value_kind:     hidden_remainder_y
      - .offset:         118
        .size:           2
        .value_kind:     hidden_remainder_z
      - .offset:         136
        .size:           8
        .value_kind:     hidden_global_offset_x
      - .offset:         144
        .size:           8
        .value_kind:     hidden_global_offset_y
      - .offset:         152
        .size:           8
        .value_kind:     hidden_global_offset_z
      - .offset:         160
        .size:           2
        .value_kind:     hidden_grid_dims
    .group_segment_fixed_size: 512
    .kernarg_segment_align: 8
    .kernarg_segment_size: 352
    .language:       OpenCL C
    .language_version:
      - 2
      - 0
    .max_flat_workgroup_size: 8
    .name:           _ZL31rocblas_trsm_small_right_deviceIffPKPKfPKPfLi8EEv13rocblas_fill_18rocblas_operation_17rocblas_diagonal_iiT0_T1_lilT2_lili
    .private_segment_fixed_size: 0
    .sgpr_count:     34
    .sgpr_spill_count: 0
    .symbol:         _ZL31rocblas_trsm_small_right_deviceIffPKPKfPKPfLi8EEv13rocblas_fill_18rocblas_operation_17rocblas_diagonal_iiT0_T1_lilT2_lili.kd
    .uniform_work_group_size: 1
    .uses_dynamic_stack: false
    .vgpr_count:     32
    .vgpr_spill_count: 0
    .wavefront_size: 32
    .workgroup_processor_mode: 1
  - .args:
      - .offset:         0
        .size:           4
        .value_kind:     by_value
      - .offset:         4
        .size:           4
        .value_kind:     by_value
      - .offset:         8
        .size:           4
        .value_kind:     by_value
      - .offset:         12
        .size:           4
        .value_kind:     by_value
      - .offset:         16
        .size:           4
        .value_kind:     by_value
      - .offset:         20
        .size:           4
        .value_kind:     by_value
      - .address_space:  global
        .offset:         24
        .size:           8
        .value_kind:     global_buffer
      - .offset:         32
        .size:           8
        .value_kind:     by_value
      - .offset:         40
        .size:           4
        .value_kind:     by_value
      - .offset:         48
        .size:           8
        .value_kind:     by_value
      - .address_space:  global
        .offset:         56
        .size:           8
        .value_kind:     global_buffer
      - .offset:         64
        .size:           8
        .value_kind:     by_value
      - .offset:         72
        .size:           4
        .value_kind:     by_value
      - .offset:         80
        .size:           8
        .value_kind:     by_value
      - .offset:         88
        .size:           4
        .value_kind:     by_value
      - .offset:         96
        .size:           4
        .value_kind:     hidden_block_count_x
      - .offset:         100
        .size:           4
        .value_kind:     hidden_block_count_y
      - .offset:         104
        .size:           4
        .value_kind:     hidden_block_count_z
      - .offset:         108
        .size:           2
        .value_kind:     hidden_group_size_x
      - .offset:         110
        .size:           2
        .value_kind:     hidden_group_size_y
      - .offset:         112
        .size:           2
        .value_kind:     hidden_group_size_z
      - .offset:         114
        .size:           2
        .value_kind:     hidden_remainder_x
      - .offset:         116
        .size:           2
        .value_kind:     hidden_remainder_y
      - .offset:         118
        .size:           2
        .value_kind:     hidden_remainder_z
      - .offset:         136
        .size:           8
        .value_kind:     hidden_global_offset_x
      - .offset:         144
        .size:           8
        .value_kind:     hidden_global_offset_y
      - .offset:         152
        .size:           8
        .value_kind:     hidden_global_offset_z
      - .offset:         160
        .size:           2
        .value_kind:     hidden_grid_dims
    .group_segment_fixed_size: 1152
    .kernarg_segment_align: 8
    .kernarg_segment_size: 352
    .language:       OpenCL C
    .language_version:
      - 2
      - 0
    .max_flat_workgroup_size: 12
    .name:           _ZL38rocblas_trsm_small_left_device_sharedBILi12ELi12ELb0EffPKPKfPKPfEv13rocblas_fill_18rocblas_operation_17rocblas_diagonal_iiT3_T4_lilT5_lili
    .private_segment_fixed_size: 0
    .sgpr_count:     33
    .sgpr_spill_count: 0
    .symbol:         _ZL38rocblas_trsm_small_left_device_sharedBILi12ELi12ELb0EffPKPKfPKPfEv13rocblas_fill_18rocblas_operation_17rocblas_diagonal_iiT3_T4_lilT5_lili.kd
    .uniform_work_group_size: 1
    .uses_dynamic_stack: false
    .vgpr_count:     82
    .vgpr_spill_count: 0
    .wavefront_size: 32
    .workgroup_processor_mode: 1
  - .args:
      - .offset:         0
        .size:           4
        .value_kind:     by_value
      - .offset:         4
        .size:           4
        .value_kind:     by_value
      - .offset:         8
        .size:           4
        .value_kind:     by_value
      - .offset:         12
        .size:           4
        .value_kind:     by_value
      - .offset:         16
        .size:           4
        .value_kind:     by_value
      - .offset:         20
        .size:           4
        .value_kind:     by_value
      - .address_space:  global
        .offset:         24
        .size:           8
        .value_kind:     global_buffer
      - .offset:         32
        .size:           8
        .value_kind:     by_value
      - .offset:         40
        .size:           4
        .value_kind:     by_value
      - .offset:         48
        .size:           8
        .value_kind:     by_value
      - .address_space:  global
        .offset:         56
        .size:           8
        .value_kind:     global_buffer
      - .offset:         64
        .size:           8
        .value_kind:     by_value
      - .offset:         72
        .size:           4
        .value_kind:     by_value
      - .offset:         80
        .size:           8
        .value_kind:     by_value
      - .offset:         88
        .size:           4
        .value_kind:     by_value
      - .offset:         96
        .size:           4
        .value_kind:     hidden_block_count_x
      - .offset:         100
        .size:           4
        .value_kind:     hidden_block_count_y
      - .offset:         104
        .size:           4
        .value_kind:     hidden_block_count_z
      - .offset:         108
        .size:           2
        .value_kind:     hidden_group_size_x
      - .offset:         110
        .size:           2
        .value_kind:     hidden_group_size_y
      - .offset:         112
        .size:           2
        .value_kind:     hidden_group_size_z
      - .offset:         114
        .size:           2
        .value_kind:     hidden_remainder_x
      - .offset:         116
        .size:           2
        .value_kind:     hidden_remainder_y
      - .offset:         118
        .size:           2
        .value_kind:     hidden_remainder_z
      - .offset:         136
        .size:           8
        .value_kind:     hidden_global_offset_x
      - .offset:         144
        .size:           8
        .value_kind:     hidden_global_offset_y
      - .offset:         152
        .size:           8
        .value_kind:     hidden_global_offset_z
      - .offset:         160
        .size:           2
        .value_kind:     hidden_grid_dims
    .group_segment_fixed_size: 576
    .kernarg_segment_align: 8
    .kernarg_segment_size: 352
    .language:       OpenCL C
    .language_version:
      - 2
      - 0
    .max_flat_workgroup_size: 12
    .name:           _ZL30rocblas_trsm_small_left_deviceILi12ELi12ELb0EffPKPKfPKPfEv13rocblas_fill_18rocblas_operation_17rocblas_diagonal_iiT3_T4_lilT5_lili
    .private_segment_fixed_size: 0
    .sgpr_count:     33
    .sgpr_spill_count: 0
    .symbol:         _ZL30rocblas_trsm_small_left_deviceILi12ELi12ELb0EffPKPKfPKPfEv13rocblas_fill_18rocblas_operation_17rocblas_diagonal_iiT3_T4_lilT5_lili.kd
    .uniform_work_group_size: 1
    .uses_dynamic_stack: false
    .vgpr_count:     92
    .vgpr_spill_count: 0
    .wavefront_size: 32
    .workgroup_processor_mode: 1
  - .args:
      - .offset:         0
        .size:           4
        .value_kind:     by_value
      - .offset:         4
        .size:           4
        .value_kind:     by_value
      - .offset:         8
        .size:           4
        .value_kind:     by_value
      - .offset:         12
        .size:           4
        .value_kind:     by_value
      - .offset:         16
        .size:           4
        .value_kind:     by_value
      - .offset:         20
        .size:           4
        .value_kind:     by_value
      - .address_space:  global
        .offset:         24
        .size:           8
        .value_kind:     global_buffer
      - .offset:         32
        .size:           8
        .value_kind:     by_value
      - .offset:         40
        .size:           4
        .value_kind:     by_value
      - .offset:         48
        .size:           8
        .value_kind:     by_value
      - .address_space:  global
        .offset:         56
        .size:           8
        .value_kind:     global_buffer
      - .offset:         64
        .size:           8
        .value_kind:     by_value
      - .offset:         72
        .size:           4
        .value_kind:     by_value
      - .offset:         80
        .size:           8
        .value_kind:     by_value
      - .offset:         88
        .size:           4
        .value_kind:     by_value
      - .offset:         96
        .size:           4
        .value_kind:     hidden_block_count_x
      - .offset:         100
        .size:           4
        .value_kind:     hidden_block_count_y
      - .offset:         104
        .size:           4
        .value_kind:     hidden_block_count_z
      - .offset:         108
        .size:           2
        .value_kind:     hidden_group_size_x
      - .offset:         110
        .size:           2
        .value_kind:     hidden_group_size_y
      - .offset:         112
        .size:           2
        .value_kind:     hidden_group_size_z
      - .offset:         114
        .size:           2
        .value_kind:     hidden_remainder_x
      - .offset:         116
        .size:           2
        .value_kind:     hidden_remainder_y
      - .offset:         118
        .size:           2
        .value_kind:     hidden_remainder_z
      - .offset:         136
        .size:           8
        .value_kind:     hidden_global_offset_x
      - .offset:         144
        .size:           8
        .value_kind:     hidden_global_offset_y
      - .offset:         152
        .size:           8
        .value_kind:     hidden_global_offset_z
      - .offset:         160
        .size:           2
        .value_kind:     hidden_grid_dims
    .group_segment_fixed_size: 1152
    .kernarg_segment_align: 8
    .kernarg_segment_size: 352
    .language:       OpenCL C
    .language_version:
      - 2
      - 0
    .max_flat_workgroup_size: 12
    .name:           _ZL38rocblas_trsm_small_left_device_sharedBILi12ELi12ELb1EffPKPKfPKPfEv13rocblas_fill_18rocblas_operation_17rocblas_diagonal_iiT3_T4_lilT5_lili
    .private_segment_fixed_size: 0
    .sgpr_count:     33
    .sgpr_spill_count: 0
    .symbol:         _ZL38rocblas_trsm_small_left_device_sharedBILi12ELi12ELb1EffPKPKfPKPfEv13rocblas_fill_18rocblas_operation_17rocblas_diagonal_iiT3_T4_lilT5_lili.kd
    .uniform_work_group_size: 1
    .uses_dynamic_stack: false
    .vgpr_count:     80
    .vgpr_spill_count: 0
    .wavefront_size: 32
    .workgroup_processor_mode: 1
  - .args:
      - .offset:         0
        .size:           4
        .value_kind:     by_value
      - .offset:         4
        .size:           4
        .value_kind:     by_value
      - .offset:         8
        .size:           4
        .value_kind:     by_value
      - .offset:         12
        .size:           4
        .value_kind:     by_value
      - .offset:         16
        .size:           4
        .value_kind:     by_value
      - .offset:         20
        .size:           4
        .value_kind:     by_value
      - .address_space:  global
        .offset:         24
        .size:           8
        .value_kind:     global_buffer
      - .offset:         32
        .size:           8
        .value_kind:     by_value
      - .offset:         40
        .size:           4
        .value_kind:     by_value
      - .offset:         48
        .size:           8
        .value_kind:     by_value
      - .address_space:  global
        .offset:         56
        .size:           8
        .value_kind:     global_buffer
      - .offset:         64
        .size:           8
        .value_kind:     by_value
      - .offset:         72
        .size:           4
        .value_kind:     by_value
      - .offset:         80
        .size:           8
        .value_kind:     by_value
      - .offset:         88
        .size:           4
        .value_kind:     by_value
      - .offset:         96
        .size:           4
        .value_kind:     hidden_block_count_x
      - .offset:         100
        .size:           4
        .value_kind:     hidden_block_count_y
      - .offset:         104
        .size:           4
        .value_kind:     hidden_block_count_z
      - .offset:         108
        .size:           2
        .value_kind:     hidden_group_size_x
      - .offset:         110
        .size:           2
        .value_kind:     hidden_group_size_y
      - .offset:         112
        .size:           2
        .value_kind:     hidden_group_size_z
      - .offset:         114
        .size:           2
        .value_kind:     hidden_remainder_x
      - .offset:         116
        .size:           2
        .value_kind:     hidden_remainder_y
      - .offset:         118
        .size:           2
        .value_kind:     hidden_remainder_z
      - .offset:         136
        .size:           8
        .value_kind:     hidden_global_offset_x
      - .offset:         144
        .size:           8
        .value_kind:     hidden_global_offset_y
      - .offset:         152
        .size:           8
        .value_kind:     hidden_global_offset_z
      - .offset:         160
        .size:           2
        .value_kind:     hidden_grid_dims
    .group_segment_fixed_size: 576
    .kernarg_segment_align: 8
    .kernarg_segment_size: 352
    .language:       OpenCL C
    .language_version:
      - 2
      - 0
    .max_flat_workgroup_size: 12
    .name:           _ZL30rocblas_trsm_small_left_deviceILi12ELi12ELb1EffPKPKfPKPfEv13rocblas_fill_18rocblas_operation_17rocblas_diagonal_iiT3_T4_lilT5_lili
    .private_segment_fixed_size: 0
    .sgpr_count:     47
    .sgpr_spill_count: 0
    .symbol:         _ZL30rocblas_trsm_small_left_deviceILi12ELi12ELb1EffPKPKfPKPfEv13rocblas_fill_18rocblas_operation_17rocblas_diagonal_iiT3_T4_lilT5_lili.kd
    .uniform_work_group_size: 1
    .uses_dynamic_stack: false
    .vgpr_count:     91
    .vgpr_spill_count: 0
    .wavefront_size: 32
    .workgroup_processor_mode: 1
  - .args:
      - .offset:         0
        .size:           4
        .value_kind:     by_value
      - .offset:         4
        .size:           4
        .value_kind:     by_value
      - .offset:         8
        .size:           4
        .value_kind:     by_value
      - .offset:         12
        .size:           4
        .value_kind:     by_value
      - .offset:         16
        .size:           4
        .value_kind:     by_value
      - .offset:         20
        .size:           4
        .value_kind:     by_value
      - .address_space:  global
        .offset:         24
        .size:           8
        .value_kind:     global_buffer
      - .offset:         32
        .size:           8
        .value_kind:     by_value
      - .offset:         40
        .size:           4
        .value_kind:     by_value
      - .offset:         48
        .size:           8
        .value_kind:     by_value
      - .address_space:  global
        .offset:         56
        .size:           8
        .value_kind:     global_buffer
      - .offset:         64
        .size:           8
        .value_kind:     by_value
      - .offset:         72
        .size:           4
        .value_kind:     by_value
      - .offset:         80
        .size:           8
        .value_kind:     by_value
      - .offset:         88
        .size:           4
        .value_kind:     by_value
      - .offset:         96
        .size:           4
        .value_kind:     hidden_block_count_x
      - .offset:         100
        .size:           4
        .value_kind:     hidden_block_count_y
      - .offset:         104
        .size:           4
        .value_kind:     hidden_block_count_z
      - .offset:         108
        .size:           2
        .value_kind:     hidden_group_size_x
      - .offset:         110
        .size:           2
        .value_kind:     hidden_group_size_y
      - .offset:         112
        .size:           2
        .value_kind:     hidden_group_size_z
      - .offset:         114
        .size:           2
        .value_kind:     hidden_remainder_x
      - .offset:         116
        .size:           2
        .value_kind:     hidden_remainder_y
      - .offset:         118
        .size:           2
        .value_kind:     hidden_remainder_z
      - .offset:         136
        .size:           8
        .value_kind:     hidden_global_offset_x
      - .offset:         144
        .size:           8
        .value_kind:     hidden_global_offset_y
      - .offset:         152
        .size:           8
        .value_kind:     hidden_global_offset_z
      - .offset:         160
        .size:           2
        .value_kind:     hidden_grid_dims
    .group_segment_fixed_size: 1152
    .kernarg_segment_align: 8
    .kernarg_segment_size: 352
    .language:       OpenCL C
    .language_version:
      - 2
      - 0
    .max_flat_workgroup_size: 12
    .name:           _ZL31rocblas_trsm_small_right_deviceIffPKPKfPKPfLi12EEv13rocblas_fill_18rocblas_operation_17rocblas_diagonal_iiT0_T1_lilT2_lili
    .private_segment_fixed_size: 0
    .sgpr_count:     34
    .sgpr_spill_count: 0
    .symbol:         _ZL31rocblas_trsm_small_right_deviceIffPKPKfPKPfLi12EEv13rocblas_fill_18rocblas_operation_17rocblas_diagonal_iiT0_T1_lilT2_lili.kd
    .uniform_work_group_size: 1
    .uses_dynamic_stack: false
    .vgpr_count:     31
    .vgpr_spill_count: 0
    .wavefront_size: 32
    .workgroup_processor_mode: 1
  - .args:
      - .offset:         0
        .size:           4
        .value_kind:     by_value
      - .offset:         4
        .size:           4
        .value_kind:     by_value
      - .offset:         8
        .size:           4
        .value_kind:     by_value
      - .offset:         12
        .size:           4
        .value_kind:     by_value
      - .offset:         16
        .size:           4
        .value_kind:     by_value
      - .offset:         20
        .size:           4
        .value_kind:     by_value
      - .address_space:  global
        .offset:         24
        .size:           8
        .value_kind:     global_buffer
      - .offset:         32
        .size:           8
        .value_kind:     by_value
      - .offset:         40
        .size:           4
        .value_kind:     by_value
      - .offset:         48
        .size:           8
        .value_kind:     by_value
      - .address_space:  global
        .offset:         56
        .size:           8
        .value_kind:     global_buffer
      - .offset:         64
        .size:           8
        .value_kind:     by_value
      - .offset:         72
        .size:           4
        .value_kind:     by_value
      - .offset:         80
        .size:           8
        .value_kind:     by_value
      - .offset:         88
        .size:           4
        .value_kind:     by_value
      - .offset:         96
        .size:           4
        .value_kind:     hidden_block_count_x
      - .offset:         100
        .size:           4
        .value_kind:     hidden_block_count_y
      - .offset:         104
        .size:           4
        .value_kind:     hidden_block_count_z
      - .offset:         108
        .size:           2
        .value_kind:     hidden_group_size_x
      - .offset:         110
        .size:           2
        .value_kind:     hidden_group_size_y
      - .offset:         112
        .size:           2
        .value_kind:     hidden_group_size_z
      - .offset:         114
        .size:           2
        .value_kind:     hidden_remainder_x
      - .offset:         116
        .size:           2
        .value_kind:     hidden_remainder_y
      - .offset:         118
        .size:           2
        .value_kind:     hidden_remainder_z
      - .offset:         136
        .size:           8
        .value_kind:     hidden_global_offset_x
      - .offset:         144
        .size:           8
        .value_kind:     hidden_global_offset_y
      - .offset:         152
        .size:           8
        .value_kind:     hidden_global_offset_z
      - .offset:         160
        .size:           2
        .value_kind:     hidden_grid_dims
    .group_segment_fixed_size: 2048
    .kernarg_segment_align: 8
    .kernarg_segment_size: 352
    .language:       OpenCL C
    .language_version:
      - 2
      - 0
    .max_flat_workgroup_size: 16
    .name:           _ZL38rocblas_trsm_small_left_device_sharedBILi16ELi16ELb0EffPKPKfPKPfEv13rocblas_fill_18rocblas_operation_17rocblas_diagonal_iiT3_T4_lilT5_lili
    .private_segment_fixed_size: 0
    .sgpr_count:     34
    .sgpr_spill_count: 0
    .symbol:         _ZL38rocblas_trsm_small_left_device_sharedBILi16ELi16ELb0EffPKPKfPKPfEv13rocblas_fill_18rocblas_operation_17rocblas_diagonal_iiT3_T4_lilT5_lili.kd
    .uniform_work_group_size: 1
    .uses_dynamic_stack: false
    .vgpr_count:     89
    .vgpr_spill_count: 0
    .wavefront_size: 32
    .workgroup_processor_mode: 1
  - .args:
      - .offset:         0
        .size:           4
        .value_kind:     by_value
      - .offset:         4
        .size:           4
        .value_kind:     by_value
      - .offset:         8
        .size:           4
        .value_kind:     by_value
      - .offset:         12
        .size:           4
        .value_kind:     by_value
      - .offset:         16
        .size:           4
        .value_kind:     by_value
      - .offset:         20
        .size:           4
        .value_kind:     by_value
      - .address_space:  global
        .offset:         24
        .size:           8
        .value_kind:     global_buffer
      - .offset:         32
        .size:           8
        .value_kind:     by_value
      - .offset:         40
        .size:           4
        .value_kind:     by_value
      - .offset:         48
        .size:           8
        .value_kind:     by_value
      - .address_space:  global
        .offset:         56
        .size:           8
        .value_kind:     global_buffer
      - .offset:         64
        .size:           8
        .value_kind:     by_value
      - .offset:         72
        .size:           4
        .value_kind:     by_value
      - .offset:         80
        .size:           8
        .value_kind:     by_value
      - .offset:         88
        .size:           4
        .value_kind:     by_value
      - .offset:         96
        .size:           4
        .value_kind:     hidden_block_count_x
      - .offset:         100
        .size:           4
        .value_kind:     hidden_block_count_y
      - .offset:         104
        .size:           4
        .value_kind:     hidden_block_count_z
      - .offset:         108
        .size:           2
        .value_kind:     hidden_group_size_x
      - .offset:         110
        .size:           2
        .value_kind:     hidden_group_size_y
      - .offset:         112
        .size:           2
        .value_kind:     hidden_group_size_z
      - .offset:         114
        .size:           2
        .value_kind:     hidden_remainder_x
      - .offset:         116
        .size:           2
        .value_kind:     hidden_remainder_y
      - .offset:         118
        .size:           2
        .value_kind:     hidden_remainder_z
      - .offset:         136
        .size:           8
        .value_kind:     hidden_global_offset_x
      - .offset:         144
        .size:           8
        .value_kind:     hidden_global_offset_y
      - .offset:         152
        .size:           8
        .value_kind:     hidden_global_offset_z
      - .offset:         160
        .size:           2
        .value_kind:     hidden_grid_dims
    .group_segment_fixed_size: 1024
    .kernarg_segment_align: 8
    .kernarg_segment_size: 352
    .language:       OpenCL C
    .language_version:
      - 2
      - 0
    .max_flat_workgroup_size: 16
    .name:           _ZL30rocblas_trsm_small_left_deviceILi16ELi16ELb0EffPKPKfPKPfEv13rocblas_fill_18rocblas_operation_17rocblas_diagonal_iiT3_T4_lilT5_lili
    .private_segment_fixed_size: 0
    .sgpr_count:     77
    .sgpr_spill_count: 0
    .symbol:         _ZL30rocblas_trsm_small_left_deviceILi16ELi16ELb0EffPKPKfPKPfEv13rocblas_fill_18rocblas_operation_17rocblas_diagonal_iiT3_T4_lilT5_lili.kd
    .uniform_work_group_size: 1
    .uses_dynamic_stack: false
    .vgpr_count:     109
    .vgpr_spill_count: 0
    .wavefront_size: 32
    .workgroup_processor_mode: 1
  - .args:
      - .offset:         0
        .size:           4
        .value_kind:     by_value
      - .offset:         4
        .size:           4
        .value_kind:     by_value
      - .offset:         8
        .size:           4
        .value_kind:     by_value
      - .offset:         12
        .size:           4
        .value_kind:     by_value
      - .offset:         16
        .size:           4
        .value_kind:     by_value
      - .offset:         20
        .size:           4
        .value_kind:     by_value
      - .address_space:  global
        .offset:         24
        .size:           8
        .value_kind:     global_buffer
      - .offset:         32
        .size:           8
        .value_kind:     by_value
      - .offset:         40
        .size:           4
        .value_kind:     by_value
      - .offset:         48
        .size:           8
        .value_kind:     by_value
      - .address_space:  global
        .offset:         56
        .size:           8
        .value_kind:     global_buffer
      - .offset:         64
        .size:           8
        .value_kind:     by_value
      - .offset:         72
        .size:           4
        .value_kind:     by_value
      - .offset:         80
        .size:           8
        .value_kind:     by_value
      - .offset:         88
        .size:           4
        .value_kind:     by_value
      - .offset:         96
        .size:           4
        .value_kind:     hidden_block_count_x
      - .offset:         100
        .size:           4
        .value_kind:     hidden_block_count_y
      - .offset:         104
        .size:           4
        .value_kind:     hidden_block_count_z
      - .offset:         108
        .size:           2
        .value_kind:     hidden_group_size_x
      - .offset:         110
        .size:           2
        .value_kind:     hidden_group_size_y
      - .offset:         112
        .size:           2
        .value_kind:     hidden_group_size_z
      - .offset:         114
        .size:           2
        .value_kind:     hidden_remainder_x
      - .offset:         116
        .size:           2
        .value_kind:     hidden_remainder_y
      - .offset:         118
        .size:           2
        .value_kind:     hidden_remainder_z
      - .offset:         136
        .size:           8
        .value_kind:     hidden_global_offset_x
      - .offset:         144
        .size:           8
        .value_kind:     hidden_global_offset_y
      - .offset:         152
        .size:           8
        .value_kind:     hidden_global_offset_z
      - .offset:         160
        .size:           2
        .value_kind:     hidden_grid_dims
    .group_segment_fixed_size: 2048
    .kernarg_segment_align: 8
    .kernarg_segment_size: 352
    .language:       OpenCL C
    .language_version:
      - 2
      - 0
    .max_flat_workgroup_size: 16
    .name:           _ZL38rocblas_trsm_small_left_device_sharedBILi16ELi16ELb1EffPKPKfPKPfEv13rocblas_fill_18rocblas_operation_17rocblas_diagonal_iiT3_T4_lilT5_lili
    .private_segment_fixed_size: 0
    .sgpr_count:     33
    .sgpr_spill_count: 0
    .symbol:         _ZL38rocblas_trsm_small_left_device_sharedBILi16ELi16ELb1EffPKPKfPKPfEv13rocblas_fill_18rocblas_operation_17rocblas_diagonal_iiT3_T4_lilT5_lili.kd
    .uniform_work_group_size: 1
    .uses_dynamic_stack: false
    .vgpr_count:     93
    .vgpr_spill_count: 0
    .wavefront_size: 32
    .workgroup_processor_mode: 1
  - .args:
      - .offset:         0
        .size:           4
        .value_kind:     by_value
      - .offset:         4
        .size:           4
        .value_kind:     by_value
      - .offset:         8
        .size:           4
        .value_kind:     by_value
      - .offset:         12
        .size:           4
        .value_kind:     by_value
      - .offset:         16
        .size:           4
        .value_kind:     by_value
      - .offset:         20
        .size:           4
        .value_kind:     by_value
      - .address_space:  global
        .offset:         24
        .size:           8
        .value_kind:     global_buffer
      - .offset:         32
        .size:           8
        .value_kind:     by_value
      - .offset:         40
        .size:           4
        .value_kind:     by_value
      - .offset:         48
        .size:           8
        .value_kind:     by_value
      - .address_space:  global
        .offset:         56
        .size:           8
        .value_kind:     global_buffer
      - .offset:         64
        .size:           8
        .value_kind:     by_value
      - .offset:         72
        .size:           4
        .value_kind:     by_value
      - .offset:         80
        .size:           8
        .value_kind:     by_value
      - .offset:         88
        .size:           4
        .value_kind:     by_value
      - .offset:         96
        .size:           4
        .value_kind:     hidden_block_count_x
      - .offset:         100
        .size:           4
        .value_kind:     hidden_block_count_y
      - .offset:         104
        .size:           4
        .value_kind:     hidden_block_count_z
      - .offset:         108
        .size:           2
        .value_kind:     hidden_group_size_x
      - .offset:         110
        .size:           2
        .value_kind:     hidden_group_size_y
      - .offset:         112
        .size:           2
        .value_kind:     hidden_group_size_z
      - .offset:         114
        .size:           2
        .value_kind:     hidden_remainder_x
      - .offset:         116
        .size:           2
        .value_kind:     hidden_remainder_y
      - .offset:         118
        .size:           2
        .value_kind:     hidden_remainder_z
      - .offset:         136
        .size:           8
        .value_kind:     hidden_global_offset_x
      - .offset:         144
        .size:           8
        .value_kind:     hidden_global_offset_y
      - .offset:         152
        .size:           8
        .value_kind:     hidden_global_offset_z
      - .offset:         160
        .size:           2
        .value_kind:     hidden_grid_dims
    .group_segment_fixed_size: 1024
    .kernarg_segment_align: 8
    .kernarg_segment_size: 352
    .language:       OpenCL C
    .language_version:
      - 2
      - 0
    .max_flat_workgroup_size: 16
    .name:           _ZL30rocblas_trsm_small_left_deviceILi16ELi16ELb1EffPKPKfPKPfEv13rocblas_fill_18rocblas_operation_17rocblas_diagonal_iiT3_T4_lilT5_lili
    .private_segment_fixed_size: 0
    .sgpr_count:     53
    .sgpr_spill_count: 0
    .symbol:         _ZL30rocblas_trsm_small_left_deviceILi16ELi16ELb1EffPKPKfPKPfEv13rocblas_fill_18rocblas_operation_17rocblas_diagonal_iiT3_T4_lilT5_lili.kd
    .uniform_work_group_size: 1
    .uses_dynamic_stack: false
    .vgpr_count:     101
    .vgpr_spill_count: 0
    .wavefront_size: 32
    .workgroup_processor_mode: 1
  - .args:
      - .offset:         0
        .size:           4
        .value_kind:     by_value
      - .offset:         4
        .size:           4
        .value_kind:     by_value
      - .offset:         8
        .size:           4
        .value_kind:     by_value
      - .offset:         12
        .size:           4
        .value_kind:     by_value
      - .offset:         16
        .size:           4
        .value_kind:     by_value
      - .offset:         20
        .size:           4
        .value_kind:     by_value
      - .address_space:  global
        .offset:         24
        .size:           8
        .value_kind:     global_buffer
      - .offset:         32
        .size:           8
        .value_kind:     by_value
      - .offset:         40
        .size:           4
        .value_kind:     by_value
      - .offset:         48
        .size:           8
        .value_kind:     by_value
      - .address_space:  global
        .offset:         56
        .size:           8
        .value_kind:     global_buffer
      - .offset:         64
        .size:           8
        .value_kind:     by_value
      - .offset:         72
        .size:           4
        .value_kind:     by_value
      - .offset:         80
        .size:           8
        .value_kind:     by_value
      - .offset:         88
        .size:           4
        .value_kind:     by_value
      - .offset:         96
        .size:           4
        .value_kind:     hidden_block_count_x
      - .offset:         100
        .size:           4
        .value_kind:     hidden_block_count_y
      - .offset:         104
        .size:           4
        .value_kind:     hidden_block_count_z
      - .offset:         108
        .size:           2
        .value_kind:     hidden_group_size_x
      - .offset:         110
        .size:           2
        .value_kind:     hidden_group_size_y
      - .offset:         112
        .size:           2
        .value_kind:     hidden_group_size_z
      - .offset:         114
        .size:           2
        .value_kind:     hidden_remainder_x
      - .offset:         116
        .size:           2
        .value_kind:     hidden_remainder_y
      - .offset:         118
        .size:           2
        .value_kind:     hidden_remainder_z
      - .offset:         136
        .size:           8
        .value_kind:     hidden_global_offset_x
      - .offset:         144
        .size:           8
        .value_kind:     hidden_global_offset_y
      - .offset:         152
        .size:           8
        .value_kind:     hidden_global_offset_z
      - .offset:         160
        .size:           2
        .value_kind:     hidden_grid_dims
    .group_segment_fixed_size: 2048
    .kernarg_segment_align: 8
    .kernarg_segment_size: 352
    .language:       OpenCL C
    .language_version:
      - 2
      - 0
    .max_flat_workgroup_size: 16
    .name:           _ZL31rocblas_trsm_small_right_deviceIffPKPKfPKPfLi16EEv13rocblas_fill_18rocblas_operation_17rocblas_diagonal_iiT0_T1_lilT2_lili
    .private_segment_fixed_size: 0
    .sgpr_count:     34
    .sgpr_spill_count: 0
    .symbol:         _ZL31rocblas_trsm_small_right_deviceIffPKPKfPKPfLi16EEv13rocblas_fill_18rocblas_operation_17rocblas_diagonal_iiT0_T1_lilT2_lili.kd
    .uniform_work_group_size: 1
    .uses_dynamic_stack: false
    .vgpr_count:     32
    .vgpr_spill_count: 0
    .wavefront_size: 32
    .workgroup_processor_mode: 1
  - .args:
      - .offset:         0
        .size:           4
        .value_kind:     by_value
      - .offset:         4
        .size:           4
        .value_kind:     by_value
      - .offset:         8
        .size:           4
        .value_kind:     by_value
      - .offset:         12
        .size:           4
        .value_kind:     by_value
      - .offset:         16
        .size:           4
        .value_kind:     by_value
      - .offset:         20
        .size:           4
        .value_kind:     by_value
      - .address_space:  global
        .offset:         24
        .size:           8
        .value_kind:     global_buffer
      - .offset:         32
        .size:           8
        .value_kind:     by_value
      - .offset:         40
        .size:           4
        .value_kind:     by_value
      - .offset:         48
        .size:           8
        .value_kind:     by_value
      - .address_space:  global
        .offset:         56
        .size:           8
        .value_kind:     global_buffer
      - .offset:         64
        .size:           8
        .value_kind:     by_value
      - .offset:         72
        .size:           4
        .value_kind:     by_value
      - .offset:         80
        .size:           8
        .value_kind:     by_value
      - .offset:         88
        .size:           4
        .value_kind:     by_value
      - .offset:         96
        .size:           4
        .value_kind:     hidden_block_count_x
      - .offset:         100
        .size:           4
        .value_kind:     hidden_block_count_y
      - .offset:         104
        .size:           4
        .value_kind:     hidden_block_count_z
      - .offset:         108
        .size:           2
        .value_kind:     hidden_group_size_x
      - .offset:         110
        .size:           2
        .value_kind:     hidden_group_size_y
      - .offset:         112
        .size:           2
        .value_kind:     hidden_group_size_z
      - .offset:         114
        .size:           2
        .value_kind:     hidden_remainder_x
      - .offset:         116
        .size:           2
        .value_kind:     hidden_remainder_y
      - .offset:         118
        .size:           2
        .value_kind:     hidden_remainder_z
      - .offset:         136
        .size:           8
        .value_kind:     hidden_global_offset_x
      - .offset:         144
        .size:           8
        .value_kind:     hidden_global_offset_y
      - .offset:         152
        .size:           8
        .value_kind:     hidden_global_offset_z
      - .offset:         160
        .size:           2
        .value_kind:     hidden_grid_dims
    .group_segment_fixed_size: 3200
    .kernarg_segment_align: 8
    .kernarg_segment_size: 352
    .language:       OpenCL C
    .language_version:
      - 2
      - 0
    .max_flat_workgroup_size: 20
    .name:           _ZL38rocblas_trsm_small_left_device_sharedBILi20ELi20ELb0EffPKPKfPKPfEv13rocblas_fill_18rocblas_operation_17rocblas_diagonal_iiT3_T4_lilT5_lili
    .private_segment_fixed_size: 0
    .sgpr_count:     41
    .sgpr_spill_count: 0
    .symbol:         _ZL38rocblas_trsm_small_left_device_sharedBILi20ELi20ELb0EffPKPKfPKPfEv13rocblas_fill_18rocblas_operation_17rocblas_diagonal_iiT3_T4_lilT5_lili.kd
    .uniform_work_group_size: 1
    .uses_dynamic_stack: false
    .vgpr_count:     116
    .vgpr_spill_count: 0
    .wavefront_size: 32
    .workgroup_processor_mode: 1
  - .args:
      - .offset:         0
        .size:           4
        .value_kind:     by_value
      - .offset:         4
        .size:           4
        .value_kind:     by_value
      - .offset:         8
        .size:           4
        .value_kind:     by_value
      - .offset:         12
        .size:           4
        .value_kind:     by_value
      - .offset:         16
        .size:           4
        .value_kind:     by_value
      - .offset:         20
        .size:           4
        .value_kind:     by_value
      - .address_space:  global
        .offset:         24
        .size:           8
        .value_kind:     global_buffer
      - .offset:         32
        .size:           8
        .value_kind:     by_value
      - .offset:         40
        .size:           4
        .value_kind:     by_value
      - .offset:         48
        .size:           8
        .value_kind:     by_value
      - .address_space:  global
        .offset:         56
        .size:           8
        .value_kind:     global_buffer
      - .offset:         64
        .size:           8
        .value_kind:     by_value
      - .offset:         72
        .size:           4
        .value_kind:     by_value
      - .offset:         80
        .size:           8
        .value_kind:     by_value
      - .offset:         88
        .size:           4
        .value_kind:     by_value
      - .offset:         96
        .size:           4
        .value_kind:     hidden_block_count_x
      - .offset:         100
        .size:           4
        .value_kind:     hidden_block_count_y
      - .offset:         104
        .size:           4
        .value_kind:     hidden_block_count_z
      - .offset:         108
        .size:           2
        .value_kind:     hidden_group_size_x
      - .offset:         110
        .size:           2
        .value_kind:     hidden_group_size_y
      - .offset:         112
        .size:           2
        .value_kind:     hidden_group_size_z
      - .offset:         114
        .size:           2
        .value_kind:     hidden_remainder_x
      - .offset:         116
        .size:           2
        .value_kind:     hidden_remainder_y
      - .offset:         118
        .size:           2
        .value_kind:     hidden_remainder_z
      - .offset:         136
        .size:           8
        .value_kind:     hidden_global_offset_x
      - .offset:         144
        .size:           8
        .value_kind:     hidden_global_offset_y
      - .offset:         152
        .size:           8
        .value_kind:     hidden_global_offset_z
      - .offset:         160
        .size:           2
        .value_kind:     hidden_grid_dims
    .group_segment_fixed_size: 1600
    .kernarg_segment_align: 8
    .kernarg_segment_size: 352
    .language:       OpenCL C
    .language_version:
      - 2
      - 0
    .max_flat_workgroup_size: 20
    .name:           _ZL30rocblas_trsm_small_left_deviceILi20ELi20ELb0EffPKPKfPKPfEv13rocblas_fill_18rocblas_operation_17rocblas_diagonal_iiT3_T4_lilT5_lili
    .private_segment_fixed_size: 0
    .sgpr_count:     54
    .sgpr_spill_count: 0
    .symbol:         _ZL30rocblas_trsm_small_left_deviceILi20ELi20ELb0EffPKPKfPKPfEv13rocblas_fill_18rocblas_operation_17rocblas_diagonal_iiT3_T4_lilT5_lili.kd
    .uniform_work_group_size: 1
    .uses_dynamic_stack: false
    .vgpr_count:     103
    .vgpr_spill_count: 0
    .wavefront_size: 32
    .workgroup_processor_mode: 1
  - .args:
      - .offset:         0
        .size:           4
        .value_kind:     by_value
      - .offset:         4
        .size:           4
        .value_kind:     by_value
      - .offset:         8
        .size:           4
        .value_kind:     by_value
      - .offset:         12
        .size:           4
        .value_kind:     by_value
      - .offset:         16
        .size:           4
        .value_kind:     by_value
      - .offset:         20
        .size:           4
        .value_kind:     by_value
      - .address_space:  global
        .offset:         24
        .size:           8
        .value_kind:     global_buffer
      - .offset:         32
        .size:           8
        .value_kind:     by_value
      - .offset:         40
        .size:           4
        .value_kind:     by_value
      - .offset:         48
        .size:           8
        .value_kind:     by_value
      - .address_space:  global
        .offset:         56
        .size:           8
        .value_kind:     global_buffer
      - .offset:         64
        .size:           8
        .value_kind:     by_value
      - .offset:         72
        .size:           4
        .value_kind:     by_value
      - .offset:         80
        .size:           8
        .value_kind:     by_value
      - .offset:         88
        .size:           4
        .value_kind:     by_value
      - .offset:         96
        .size:           4
        .value_kind:     hidden_block_count_x
      - .offset:         100
        .size:           4
        .value_kind:     hidden_block_count_y
      - .offset:         104
        .size:           4
        .value_kind:     hidden_block_count_z
      - .offset:         108
        .size:           2
        .value_kind:     hidden_group_size_x
      - .offset:         110
        .size:           2
        .value_kind:     hidden_group_size_y
      - .offset:         112
        .size:           2
        .value_kind:     hidden_group_size_z
      - .offset:         114
        .size:           2
        .value_kind:     hidden_remainder_x
      - .offset:         116
        .size:           2
        .value_kind:     hidden_remainder_y
      - .offset:         118
        .size:           2
        .value_kind:     hidden_remainder_z
      - .offset:         136
        .size:           8
        .value_kind:     hidden_global_offset_x
      - .offset:         144
        .size:           8
        .value_kind:     hidden_global_offset_y
      - .offset:         152
        .size:           8
        .value_kind:     hidden_global_offset_z
      - .offset:         160
        .size:           2
        .value_kind:     hidden_grid_dims
    .group_segment_fixed_size: 3200
    .kernarg_segment_align: 8
    .kernarg_segment_size: 352
    .language:       OpenCL C
    .language_version:
      - 2
      - 0
    .max_flat_workgroup_size: 20
    .name:           _ZL38rocblas_trsm_small_left_device_sharedBILi20ELi20ELb1EffPKPKfPKPfEv13rocblas_fill_18rocblas_operation_17rocblas_diagonal_iiT3_T4_lilT5_lili
    .private_segment_fixed_size: 0
    .sgpr_count:     36
    .sgpr_spill_count: 0
    .symbol:         _ZL38rocblas_trsm_small_left_device_sharedBILi20ELi20ELb1EffPKPKfPKPfEv13rocblas_fill_18rocblas_operation_17rocblas_diagonal_iiT3_T4_lilT5_lili.kd
    .uniform_work_group_size: 1
    .uses_dynamic_stack: false
    .vgpr_count:     96
    .vgpr_spill_count: 0
    .wavefront_size: 32
    .workgroup_processor_mode: 1
  - .args:
      - .offset:         0
        .size:           4
        .value_kind:     by_value
      - .offset:         4
        .size:           4
        .value_kind:     by_value
      - .offset:         8
        .size:           4
        .value_kind:     by_value
      - .offset:         12
        .size:           4
        .value_kind:     by_value
      - .offset:         16
        .size:           4
        .value_kind:     by_value
      - .offset:         20
        .size:           4
        .value_kind:     by_value
      - .address_space:  global
        .offset:         24
        .size:           8
        .value_kind:     global_buffer
      - .offset:         32
        .size:           8
        .value_kind:     by_value
      - .offset:         40
        .size:           4
        .value_kind:     by_value
      - .offset:         48
        .size:           8
        .value_kind:     by_value
      - .address_space:  global
        .offset:         56
        .size:           8
        .value_kind:     global_buffer
      - .offset:         64
        .size:           8
        .value_kind:     by_value
      - .offset:         72
        .size:           4
        .value_kind:     by_value
      - .offset:         80
        .size:           8
        .value_kind:     by_value
      - .offset:         88
        .size:           4
        .value_kind:     by_value
      - .offset:         96
        .size:           4
        .value_kind:     hidden_block_count_x
      - .offset:         100
        .size:           4
        .value_kind:     hidden_block_count_y
      - .offset:         104
        .size:           4
        .value_kind:     hidden_block_count_z
      - .offset:         108
        .size:           2
        .value_kind:     hidden_group_size_x
      - .offset:         110
        .size:           2
        .value_kind:     hidden_group_size_y
      - .offset:         112
        .size:           2
        .value_kind:     hidden_group_size_z
      - .offset:         114
        .size:           2
        .value_kind:     hidden_remainder_x
      - .offset:         116
        .size:           2
        .value_kind:     hidden_remainder_y
      - .offset:         118
        .size:           2
        .value_kind:     hidden_remainder_z
      - .offset:         136
        .size:           8
        .value_kind:     hidden_global_offset_x
      - .offset:         144
        .size:           8
        .value_kind:     hidden_global_offset_y
      - .offset:         152
        .size:           8
        .value_kind:     hidden_global_offset_z
      - .offset:         160
        .size:           2
        .value_kind:     hidden_grid_dims
    .group_segment_fixed_size: 1600
    .kernarg_segment_align: 8
    .kernarg_segment_size: 352
    .language:       OpenCL C
    .language_version:
      - 2
      - 0
    .max_flat_workgroup_size: 20
    .name:           _ZL30rocblas_trsm_small_left_deviceILi20ELi20ELb1EffPKPKfPKPfEv13rocblas_fill_18rocblas_operation_17rocblas_diagonal_iiT3_T4_lilT5_lili
    .private_segment_fixed_size: 0
    .sgpr_count:     62
    .sgpr_spill_count: 0
    .symbol:         _ZL30rocblas_trsm_small_left_deviceILi20ELi20ELb1EffPKPKfPKPfEv13rocblas_fill_18rocblas_operation_17rocblas_diagonal_iiT3_T4_lilT5_lili.kd
    .uniform_work_group_size: 1
    .uses_dynamic_stack: false
    .vgpr_count:     103
    .vgpr_spill_count: 0
    .wavefront_size: 32
    .workgroup_processor_mode: 1
  - .args:
      - .offset:         0
        .size:           4
        .value_kind:     by_value
      - .offset:         4
        .size:           4
        .value_kind:     by_value
      - .offset:         8
        .size:           4
        .value_kind:     by_value
      - .offset:         12
        .size:           4
        .value_kind:     by_value
      - .offset:         16
        .size:           4
        .value_kind:     by_value
      - .offset:         20
        .size:           4
        .value_kind:     by_value
      - .address_space:  global
        .offset:         24
        .size:           8
        .value_kind:     global_buffer
      - .offset:         32
        .size:           8
        .value_kind:     by_value
      - .offset:         40
        .size:           4
        .value_kind:     by_value
      - .offset:         48
        .size:           8
        .value_kind:     by_value
      - .address_space:  global
        .offset:         56
        .size:           8
        .value_kind:     global_buffer
      - .offset:         64
        .size:           8
        .value_kind:     by_value
      - .offset:         72
        .size:           4
        .value_kind:     by_value
      - .offset:         80
        .size:           8
        .value_kind:     by_value
      - .offset:         88
        .size:           4
        .value_kind:     by_value
      - .offset:         96
        .size:           4
        .value_kind:     hidden_block_count_x
      - .offset:         100
        .size:           4
        .value_kind:     hidden_block_count_y
      - .offset:         104
        .size:           4
        .value_kind:     hidden_block_count_z
      - .offset:         108
        .size:           2
        .value_kind:     hidden_group_size_x
      - .offset:         110
        .size:           2
        .value_kind:     hidden_group_size_y
      - .offset:         112
        .size:           2
        .value_kind:     hidden_group_size_z
      - .offset:         114
        .size:           2
        .value_kind:     hidden_remainder_x
      - .offset:         116
        .size:           2
        .value_kind:     hidden_remainder_y
      - .offset:         118
        .size:           2
        .value_kind:     hidden_remainder_z
      - .offset:         136
        .size:           8
        .value_kind:     hidden_global_offset_x
      - .offset:         144
        .size:           8
        .value_kind:     hidden_global_offset_y
      - .offset:         152
        .size:           8
        .value_kind:     hidden_global_offset_z
      - .offset:         160
        .size:           2
        .value_kind:     hidden_grid_dims
    .group_segment_fixed_size: 3200
    .kernarg_segment_align: 8
    .kernarg_segment_size: 352
    .language:       OpenCL C
    .language_version:
      - 2
      - 0
    .max_flat_workgroup_size: 20
    .name:           _ZL31rocblas_trsm_small_right_deviceIffPKPKfPKPfLi20EEv13rocblas_fill_18rocblas_operation_17rocblas_diagonal_iiT0_T1_lilT2_lili
    .private_segment_fixed_size: 0
    .sgpr_count:     34
    .sgpr_spill_count: 0
    .symbol:         _ZL31rocblas_trsm_small_right_deviceIffPKPKfPKPfLi20EEv13rocblas_fill_18rocblas_operation_17rocblas_diagonal_iiT0_T1_lilT2_lili.kd
    .uniform_work_group_size: 1
    .uses_dynamic_stack: false
    .vgpr_count:     31
    .vgpr_spill_count: 0
    .wavefront_size: 32
    .workgroup_processor_mode: 1
  - .args:
      - .offset:         0
        .size:           4
        .value_kind:     by_value
      - .offset:         4
        .size:           4
        .value_kind:     by_value
      - .offset:         8
        .size:           4
        .value_kind:     by_value
      - .offset:         12
        .size:           4
        .value_kind:     by_value
      - .offset:         16
        .size:           4
        .value_kind:     by_value
      - .offset:         20
        .size:           4
        .value_kind:     by_value
      - .address_space:  global
        .offset:         24
        .size:           8
        .value_kind:     global_buffer
      - .offset:         32
        .size:           8
        .value_kind:     by_value
      - .offset:         40
        .size:           4
        .value_kind:     by_value
      - .offset:         48
        .size:           8
        .value_kind:     by_value
      - .address_space:  global
        .offset:         56
        .size:           8
        .value_kind:     global_buffer
      - .offset:         64
        .size:           8
        .value_kind:     by_value
      - .offset:         72
        .size:           4
        .value_kind:     by_value
      - .offset:         80
        .size:           8
        .value_kind:     by_value
      - .offset:         88
        .size:           4
        .value_kind:     by_value
      - .offset:         96
        .size:           4
        .value_kind:     hidden_block_count_x
      - .offset:         100
        .size:           4
        .value_kind:     hidden_block_count_y
      - .offset:         104
        .size:           4
        .value_kind:     hidden_block_count_z
      - .offset:         108
        .size:           2
        .value_kind:     hidden_group_size_x
      - .offset:         110
        .size:           2
        .value_kind:     hidden_group_size_y
      - .offset:         112
        .size:           2
        .value_kind:     hidden_group_size_z
      - .offset:         114
        .size:           2
        .value_kind:     hidden_remainder_x
      - .offset:         116
        .size:           2
        .value_kind:     hidden_remainder_y
      - .offset:         118
        .size:           2
        .value_kind:     hidden_remainder_z
      - .offset:         136
        .size:           8
        .value_kind:     hidden_global_offset_x
      - .offset:         144
        .size:           8
        .value_kind:     hidden_global_offset_y
      - .offset:         152
        .size:           8
        .value_kind:     hidden_global_offset_z
      - .offset:         160
        .size:           2
        .value_kind:     hidden_grid_dims
    .group_segment_fixed_size: 4608
    .kernarg_segment_align: 8
    .kernarg_segment_size: 352
    .language:       OpenCL C
    .language_version:
      - 2
      - 0
    .max_flat_workgroup_size: 24
    .name:           _ZL38rocblas_trsm_small_left_device_sharedBILi24ELi24ELb0EffPKPKfPKPfEv13rocblas_fill_18rocblas_operation_17rocblas_diagonal_iiT3_T4_lilT5_lili
    .private_segment_fixed_size: 0
    .sgpr_count:     46
    .sgpr_spill_count: 0
    .symbol:         _ZL38rocblas_trsm_small_left_device_sharedBILi24ELi24ELb0EffPKPKfPKPfEv13rocblas_fill_18rocblas_operation_17rocblas_diagonal_iiT3_T4_lilT5_lili.kd
    .uniform_work_group_size: 1
    .uses_dynamic_stack: false
    .vgpr_count:     114
    .vgpr_spill_count: 0
    .wavefront_size: 32
    .workgroup_processor_mode: 1
  - .args:
      - .offset:         0
        .size:           4
        .value_kind:     by_value
      - .offset:         4
        .size:           4
        .value_kind:     by_value
      - .offset:         8
        .size:           4
        .value_kind:     by_value
      - .offset:         12
        .size:           4
        .value_kind:     by_value
      - .offset:         16
        .size:           4
        .value_kind:     by_value
      - .offset:         20
        .size:           4
        .value_kind:     by_value
      - .address_space:  global
        .offset:         24
        .size:           8
        .value_kind:     global_buffer
      - .offset:         32
        .size:           8
        .value_kind:     by_value
      - .offset:         40
        .size:           4
        .value_kind:     by_value
      - .offset:         48
        .size:           8
        .value_kind:     by_value
      - .address_space:  global
        .offset:         56
        .size:           8
        .value_kind:     global_buffer
      - .offset:         64
        .size:           8
        .value_kind:     by_value
      - .offset:         72
        .size:           4
        .value_kind:     by_value
      - .offset:         80
        .size:           8
        .value_kind:     by_value
      - .offset:         88
        .size:           4
        .value_kind:     by_value
      - .offset:         96
        .size:           4
        .value_kind:     hidden_block_count_x
      - .offset:         100
        .size:           4
        .value_kind:     hidden_block_count_y
      - .offset:         104
        .size:           4
        .value_kind:     hidden_block_count_z
      - .offset:         108
        .size:           2
        .value_kind:     hidden_group_size_x
      - .offset:         110
        .size:           2
        .value_kind:     hidden_group_size_y
      - .offset:         112
        .size:           2
        .value_kind:     hidden_group_size_z
      - .offset:         114
        .size:           2
        .value_kind:     hidden_remainder_x
      - .offset:         116
        .size:           2
        .value_kind:     hidden_remainder_y
      - .offset:         118
        .size:           2
        .value_kind:     hidden_remainder_z
      - .offset:         136
        .size:           8
        .value_kind:     hidden_global_offset_x
      - .offset:         144
        .size:           8
        .value_kind:     hidden_global_offset_y
      - .offset:         152
        .size:           8
        .value_kind:     hidden_global_offset_z
      - .offset:         160
        .size:           2
        .value_kind:     hidden_grid_dims
    .group_segment_fixed_size: 2304
    .kernarg_segment_align: 8
    .kernarg_segment_size: 352
    .language:       OpenCL C
    .language_version:
      - 2
      - 0
    .max_flat_workgroup_size: 24
    .name:           _ZL30rocblas_trsm_small_left_deviceILi24ELi24ELb0EffPKPKfPKPfEv13rocblas_fill_18rocblas_operation_17rocblas_diagonal_iiT3_T4_lilT5_lili
    .private_segment_fixed_size: 0
    .sgpr_count:     58
    .sgpr_spill_count: 0
    .symbol:         _ZL30rocblas_trsm_small_left_deviceILi24ELi24ELb0EffPKPKfPKPfEv13rocblas_fill_18rocblas_operation_17rocblas_diagonal_iiT3_T4_lilT5_lili.kd
    .uniform_work_group_size: 1
    .uses_dynamic_stack: false
    .vgpr_count:     144
    .vgpr_spill_count: 0
    .wavefront_size: 32
    .workgroup_processor_mode: 1
  - .args:
      - .offset:         0
        .size:           4
        .value_kind:     by_value
      - .offset:         4
        .size:           4
        .value_kind:     by_value
      - .offset:         8
        .size:           4
        .value_kind:     by_value
      - .offset:         12
        .size:           4
        .value_kind:     by_value
      - .offset:         16
        .size:           4
        .value_kind:     by_value
      - .offset:         20
        .size:           4
        .value_kind:     by_value
      - .address_space:  global
        .offset:         24
        .size:           8
        .value_kind:     global_buffer
      - .offset:         32
        .size:           8
        .value_kind:     by_value
      - .offset:         40
        .size:           4
        .value_kind:     by_value
      - .offset:         48
        .size:           8
        .value_kind:     by_value
      - .address_space:  global
        .offset:         56
        .size:           8
        .value_kind:     global_buffer
      - .offset:         64
        .size:           8
        .value_kind:     by_value
      - .offset:         72
        .size:           4
        .value_kind:     by_value
      - .offset:         80
        .size:           8
        .value_kind:     by_value
      - .offset:         88
        .size:           4
        .value_kind:     by_value
      - .offset:         96
        .size:           4
        .value_kind:     hidden_block_count_x
      - .offset:         100
        .size:           4
        .value_kind:     hidden_block_count_y
      - .offset:         104
        .size:           4
        .value_kind:     hidden_block_count_z
      - .offset:         108
        .size:           2
        .value_kind:     hidden_group_size_x
      - .offset:         110
        .size:           2
        .value_kind:     hidden_group_size_y
      - .offset:         112
        .size:           2
        .value_kind:     hidden_group_size_z
      - .offset:         114
        .size:           2
        .value_kind:     hidden_remainder_x
      - .offset:         116
        .size:           2
        .value_kind:     hidden_remainder_y
      - .offset:         118
        .size:           2
        .value_kind:     hidden_remainder_z
      - .offset:         136
        .size:           8
        .value_kind:     hidden_global_offset_x
      - .offset:         144
        .size:           8
        .value_kind:     hidden_global_offset_y
      - .offset:         152
        .size:           8
        .value_kind:     hidden_global_offset_z
      - .offset:         160
        .size:           2
        .value_kind:     hidden_grid_dims
    .group_segment_fixed_size: 4608
    .kernarg_segment_align: 8
    .kernarg_segment_size: 352
    .language:       OpenCL C
    .language_version:
      - 2
      - 0
    .max_flat_workgroup_size: 24
    .name:           _ZL38rocblas_trsm_small_left_device_sharedBILi24ELi24ELb1EffPKPKfPKPfEv13rocblas_fill_18rocblas_operation_17rocblas_diagonal_iiT3_T4_lilT5_lili
    .private_segment_fixed_size: 0
    .sgpr_count:     41
    .sgpr_spill_count: 0
    .symbol:         _ZL38rocblas_trsm_small_left_device_sharedBILi24ELi24ELb1EffPKPKfPKPfEv13rocblas_fill_18rocblas_operation_17rocblas_diagonal_iiT3_T4_lilT5_lili.kd
    .uniform_work_group_size: 1
    .uses_dynamic_stack: false
    .vgpr_count:     108
    .vgpr_spill_count: 0
    .wavefront_size: 32
    .workgroup_processor_mode: 1
  - .args:
      - .offset:         0
        .size:           4
        .value_kind:     by_value
      - .offset:         4
        .size:           4
        .value_kind:     by_value
      - .offset:         8
        .size:           4
        .value_kind:     by_value
      - .offset:         12
        .size:           4
        .value_kind:     by_value
      - .offset:         16
        .size:           4
        .value_kind:     by_value
      - .offset:         20
        .size:           4
        .value_kind:     by_value
      - .address_space:  global
        .offset:         24
        .size:           8
        .value_kind:     global_buffer
      - .offset:         32
        .size:           8
        .value_kind:     by_value
      - .offset:         40
        .size:           4
        .value_kind:     by_value
      - .offset:         48
        .size:           8
        .value_kind:     by_value
      - .address_space:  global
        .offset:         56
        .size:           8
        .value_kind:     global_buffer
      - .offset:         64
        .size:           8
        .value_kind:     by_value
      - .offset:         72
        .size:           4
        .value_kind:     by_value
      - .offset:         80
        .size:           8
        .value_kind:     by_value
      - .offset:         88
        .size:           4
        .value_kind:     by_value
      - .offset:         96
        .size:           4
        .value_kind:     hidden_block_count_x
      - .offset:         100
        .size:           4
        .value_kind:     hidden_block_count_y
      - .offset:         104
        .size:           4
        .value_kind:     hidden_block_count_z
      - .offset:         108
        .size:           2
        .value_kind:     hidden_group_size_x
      - .offset:         110
        .size:           2
        .value_kind:     hidden_group_size_y
      - .offset:         112
        .size:           2
        .value_kind:     hidden_group_size_z
      - .offset:         114
        .size:           2
        .value_kind:     hidden_remainder_x
      - .offset:         116
        .size:           2
        .value_kind:     hidden_remainder_y
      - .offset:         118
        .size:           2
        .value_kind:     hidden_remainder_z
      - .offset:         136
        .size:           8
        .value_kind:     hidden_global_offset_x
      - .offset:         144
        .size:           8
        .value_kind:     hidden_global_offset_y
      - .offset:         152
        .size:           8
        .value_kind:     hidden_global_offset_z
      - .offset:         160
        .size:           2
        .value_kind:     hidden_grid_dims
    .group_segment_fixed_size: 2304
    .kernarg_segment_align: 8
    .kernarg_segment_size: 352
    .language:       OpenCL C
    .language_version:
      - 2
      - 0
    .max_flat_workgroup_size: 24
    .name:           _ZL30rocblas_trsm_small_left_deviceILi24ELi24ELb1EffPKPKfPKPfEv13rocblas_fill_18rocblas_operation_17rocblas_diagonal_iiT3_T4_lilT5_lili
    .private_segment_fixed_size: 0
    .sgpr_count:     65
    .sgpr_spill_count: 0
    .symbol:         _ZL30rocblas_trsm_small_left_deviceILi24ELi24ELb1EffPKPKfPKPfEv13rocblas_fill_18rocblas_operation_17rocblas_diagonal_iiT3_T4_lilT5_lili.kd
    .uniform_work_group_size: 1
    .uses_dynamic_stack: false
    .vgpr_count:     101
    .vgpr_spill_count: 0
    .wavefront_size: 32
    .workgroup_processor_mode: 1
  - .args:
      - .offset:         0
        .size:           4
        .value_kind:     by_value
      - .offset:         4
        .size:           4
        .value_kind:     by_value
      - .offset:         8
        .size:           4
        .value_kind:     by_value
      - .offset:         12
        .size:           4
        .value_kind:     by_value
      - .offset:         16
        .size:           4
        .value_kind:     by_value
      - .offset:         20
        .size:           4
        .value_kind:     by_value
      - .address_space:  global
        .offset:         24
        .size:           8
        .value_kind:     global_buffer
      - .offset:         32
        .size:           8
        .value_kind:     by_value
      - .offset:         40
        .size:           4
        .value_kind:     by_value
      - .offset:         48
        .size:           8
        .value_kind:     by_value
      - .address_space:  global
        .offset:         56
        .size:           8
        .value_kind:     global_buffer
      - .offset:         64
        .size:           8
        .value_kind:     by_value
      - .offset:         72
        .size:           4
        .value_kind:     by_value
      - .offset:         80
        .size:           8
        .value_kind:     by_value
      - .offset:         88
        .size:           4
        .value_kind:     by_value
      - .offset:         96
        .size:           4
        .value_kind:     hidden_block_count_x
      - .offset:         100
        .size:           4
        .value_kind:     hidden_block_count_y
      - .offset:         104
        .size:           4
        .value_kind:     hidden_block_count_z
      - .offset:         108
        .size:           2
        .value_kind:     hidden_group_size_x
      - .offset:         110
        .size:           2
        .value_kind:     hidden_group_size_y
      - .offset:         112
        .size:           2
        .value_kind:     hidden_group_size_z
      - .offset:         114
        .size:           2
        .value_kind:     hidden_remainder_x
      - .offset:         116
        .size:           2
        .value_kind:     hidden_remainder_y
      - .offset:         118
        .size:           2
        .value_kind:     hidden_remainder_z
      - .offset:         136
        .size:           8
        .value_kind:     hidden_global_offset_x
      - .offset:         144
        .size:           8
        .value_kind:     hidden_global_offset_y
      - .offset:         152
        .size:           8
        .value_kind:     hidden_global_offset_z
      - .offset:         160
        .size:           2
        .value_kind:     hidden_grid_dims
    .group_segment_fixed_size: 4608
    .kernarg_segment_align: 8
    .kernarg_segment_size: 352
    .language:       OpenCL C
    .language_version:
      - 2
      - 0
    .max_flat_workgroup_size: 24
    .name:           _ZL31rocblas_trsm_small_right_deviceIffPKPKfPKPfLi24EEv13rocblas_fill_18rocblas_operation_17rocblas_diagonal_iiT0_T1_lilT2_lili
    .private_segment_fixed_size: 0
    .sgpr_count:     34
    .sgpr_spill_count: 0
    .symbol:         _ZL31rocblas_trsm_small_right_deviceIffPKPKfPKPfLi24EEv13rocblas_fill_18rocblas_operation_17rocblas_diagonal_iiT0_T1_lilT2_lili.kd
    .uniform_work_group_size: 1
    .uses_dynamic_stack: false
    .vgpr_count:     31
    .vgpr_spill_count: 0
    .wavefront_size: 32
    .workgroup_processor_mode: 1
  - .args:
      - .offset:         0
        .size:           4
        .value_kind:     by_value
      - .offset:         4
        .size:           4
        .value_kind:     by_value
      - .offset:         8
        .size:           4
        .value_kind:     by_value
      - .offset:         12
        .size:           4
        .value_kind:     by_value
      - .offset:         16
        .size:           4
        .value_kind:     by_value
      - .offset:         20
        .size:           4
        .value_kind:     by_value
      - .address_space:  global
        .offset:         24
        .size:           8
        .value_kind:     global_buffer
      - .offset:         32
        .size:           8
        .value_kind:     by_value
      - .offset:         40
        .size:           4
        .value_kind:     by_value
      - .offset:         48
        .size:           8
        .value_kind:     by_value
      - .address_space:  global
        .offset:         56
        .size:           8
        .value_kind:     global_buffer
      - .offset:         64
        .size:           8
        .value_kind:     by_value
      - .offset:         72
        .size:           4
        .value_kind:     by_value
      - .offset:         80
        .size:           8
        .value_kind:     by_value
      - .offset:         88
        .size:           4
        .value_kind:     by_value
      - .offset:         96
        .size:           4
        .value_kind:     hidden_block_count_x
      - .offset:         100
        .size:           4
        .value_kind:     hidden_block_count_y
      - .offset:         104
        .size:           4
        .value_kind:     hidden_block_count_z
      - .offset:         108
        .size:           2
        .value_kind:     hidden_group_size_x
      - .offset:         110
        .size:           2
        .value_kind:     hidden_group_size_y
      - .offset:         112
        .size:           2
        .value_kind:     hidden_group_size_z
      - .offset:         114
        .size:           2
        .value_kind:     hidden_remainder_x
      - .offset:         116
        .size:           2
        .value_kind:     hidden_remainder_y
      - .offset:         118
        .size:           2
        .value_kind:     hidden_remainder_z
      - .offset:         136
        .size:           8
        .value_kind:     hidden_global_offset_x
      - .offset:         144
        .size:           8
        .value_kind:     hidden_global_offset_y
      - .offset:         152
        .size:           8
        .value_kind:     hidden_global_offset_z
      - .offset:         160
        .size:           2
        .value_kind:     hidden_grid_dims
    .group_segment_fixed_size: 6272
    .kernarg_segment_align: 8
    .kernarg_segment_size: 352
    .language:       OpenCL C
    .language_version:
      - 2
      - 0
    .max_flat_workgroup_size: 28
    .name:           _ZL38rocblas_trsm_small_left_device_sharedBILi28ELi28ELb0EffPKPKfPKPfEv13rocblas_fill_18rocblas_operation_17rocblas_diagonal_iiT3_T4_lilT5_lili
    .private_segment_fixed_size: 0
    .sgpr_count:     50
    .sgpr_spill_count: 0
    .symbol:         _ZL38rocblas_trsm_small_left_device_sharedBILi28ELi28ELb0EffPKPKfPKPfEv13rocblas_fill_18rocblas_operation_17rocblas_diagonal_iiT3_T4_lilT5_lili.kd
    .uniform_work_group_size: 1
    .uses_dynamic_stack: false
    .vgpr_count:     113
    .vgpr_spill_count: 0
    .wavefront_size: 32
    .workgroup_processor_mode: 1
  - .args:
      - .offset:         0
        .size:           4
        .value_kind:     by_value
      - .offset:         4
        .size:           4
        .value_kind:     by_value
      - .offset:         8
        .size:           4
        .value_kind:     by_value
      - .offset:         12
        .size:           4
        .value_kind:     by_value
      - .offset:         16
        .size:           4
        .value_kind:     by_value
      - .offset:         20
        .size:           4
        .value_kind:     by_value
      - .address_space:  global
        .offset:         24
        .size:           8
        .value_kind:     global_buffer
      - .offset:         32
        .size:           8
        .value_kind:     by_value
      - .offset:         40
        .size:           4
        .value_kind:     by_value
      - .offset:         48
        .size:           8
        .value_kind:     by_value
      - .address_space:  global
        .offset:         56
        .size:           8
        .value_kind:     global_buffer
      - .offset:         64
        .size:           8
        .value_kind:     by_value
      - .offset:         72
        .size:           4
        .value_kind:     by_value
      - .offset:         80
        .size:           8
        .value_kind:     by_value
      - .offset:         88
        .size:           4
        .value_kind:     by_value
      - .offset:         96
        .size:           4
        .value_kind:     hidden_block_count_x
      - .offset:         100
        .size:           4
        .value_kind:     hidden_block_count_y
      - .offset:         104
        .size:           4
        .value_kind:     hidden_block_count_z
      - .offset:         108
        .size:           2
        .value_kind:     hidden_group_size_x
      - .offset:         110
        .size:           2
        .value_kind:     hidden_group_size_y
      - .offset:         112
        .size:           2
        .value_kind:     hidden_group_size_z
      - .offset:         114
        .size:           2
        .value_kind:     hidden_remainder_x
      - .offset:         116
        .size:           2
        .value_kind:     hidden_remainder_y
      - .offset:         118
        .size:           2
        .value_kind:     hidden_remainder_z
      - .offset:         136
        .size:           8
        .value_kind:     hidden_global_offset_x
      - .offset:         144
        .size:           8
        .value_kind:     hidden_global_offset_y
      - .offset:         152
        .size:           8
        .value_kind:     hidden_global_offset_z
      - .offset:         160
        .size:           2
        .value_kind:     hidden_grid_dims
    .group_segment_fixed_size: 3136
    .kernarg_segment_align: 8
    .kernarg_segment_size: 352
    .language:       OpenCL C
    .language_version:
      - 2
      - 0
    .max_flat_workgroup_size: 28
    .name:           _ZL30rocblas_trsm_small_left_deviceILi28ELi28ELb0EffPKPKfPKPfEv13rocblas_fill_18rocblas_operation_17rocblas_diagonal_iiT3_T4_lilT5_lili
    .private_segment_fixed_size: 0
    .sgpr_count:     57
    .sgpr_spill_count: 0
    .symbol:         _ZL30rocblas_trsm_small_left_deviceILi28ELi28ELb0EffPKPKfPKPfEv13rocblas_fill_18rocblas_operation_17rocblas_diagonal_iiT3_T4_lilT5_lili.kd
    .uniform_work_group_size: 1
    .uses_dynamic_stack: false
    .vgpr_count:     127
    .vgpr_spill_count: 0
    .wavefront_size: 32
    .workgroup_processor_mode: 1
  - .args:
      - .offset:         0
        .size:           4
        .value_kind:     by_value
      - .offset:         4
        .size:           4
        .value_kind:     by_value
      - .offset:         8
        .size:           4
        .value_kind:     by_value
      - .offset:         12
        .size:           4
        .value_kind:     by_value
      - .offset:         16
        .size:           4
        .value_kind:     by_value
      - .offset:         20
        .size:           4
        .value_kind:     by_value
      - .address_space:  global
        .offset:         24
        .size:           8
        .value_kind:     global_buffer
      - .offset:         32
        .size:           8
        .value_kind:     by_value
      - .offset:         40
        .size:           4
        .value_kind:     by_value
      - .offset:         48
        .size:           8
        .value_kind:     by_value
      - .address_space:  global
        .offset:         56
        .size:           8
        .value_kind:     global_buffer
      - .offset:         64
        .size:           8
        .value_kind:     by_value
      - .offset:         72
        .size:           4
        .value_kind:     by_value
      - .offset:         80
        .size:           8
        .value_kind:     by_value
      - .offset:         88
        .size:           4
        .value_kind:     by_value
      - .offset:         96
        .size:           4
        .value_kind:     hidden_block_count_x
      - .offset:         100
        .size:           4
        .value_kind:     hidden_block_count_y
      - .offset:         104
        .size:           4
        .value_kind:     hidden_block_count_z
      - .offset:         108
        .size:           2
        .value_kind:     hidden_group_size_x
      - .offset:         110
        .size:           2
        .value_kind:     hidden_group_size_y
      - .offset:         112
        .size:           2
        .value_kind:     hidden_group_size_z
      - .offset:         114
        .size:           2
        .value_kind:     hidden_remainder_x
      - .offset:         116
        .size:           2
        .value_kind:     hidden_remainder_y
      - .offset:         118
        .size:           2
        .value_kind:     hidden_remainder_z
      - .offset:         136
        .size:           8
        .value_kind:     hidden_global_offset_x
      - .offset:         144
        .size:           8
        .value_kind:     hidden_global_offset_y
      - .offset:         152
        .size:           8
        .value_kind:     hidden_global_offset_z
      - .offset:         160
        .size:           2
        .value_kind:     hidden_grid_dims
    .group_segment_fixed_size: 6272
    .kernarg_segment_align: 8
    .kernarg_segment_size: 352
    .language:       OpenCL C
    .language_version:
      - 2
      - 0
    .max_flat_workgroup_size: 28
    .name:           _ZL38rocblas_trsm_small_left_device_sharedBILi28ELi28ELb1EffPKPKfPKPfEv13rocblas_fill_18rocblas_operation_17rocblas_diagonal_iiT3_T4_lilT5_lili
    .private_segment_fixed_size: 0
    .sgpr_count:     46
    .sgpr_spill_count: 0
    .symbol:         _ZL38rocblas_trsm_small_left_device_sharedBILi28ELi28ELb1EffPKPKfPKPfEv13rocblas_fill_18rocblas_operation_17rocblas_diagonal_iiT3_T4_lilT5_lili.kd
    .uniform_work_group_size: 1
    .uses_dynamic_stack: false
    .vgpr_count:     119
    .vgpr_spill_count: 0
    .wavefront_size: 32
    .workgroup_processor_mode: 1
  - .args:
      - .offset:         0
        .size:           4
        .value_kind:     by_value
      - .offset:         4
        .size:           4
        .value_kind:     by_value
      - .offset:         8
        .size:           4
        .value_kind:     by_value
      - .offset:         12
        .size:           4
        .value_kind:     by_value
      - .offset:         16
        .size:           4
        .value_kind:     by_value
      - .offset:         20
        .size:           4
        .value_kind:     by_value
      - .address_space:  global
        .offset:         24
        .size:           8
        .value_kind:     global_buffer
      - .offset:         32
        .size:           8
        .value_kind:     by_value
      - .offset:         40
        .size:           4
        .value_kind:     by_value
      - .offset:         48
        .size:           8
        .value_kind:     by_value
      - .address_space:  global
        .offset:         56
        .size:           8
        .value_kind:     global_buffer
      - .offset:         64
        .size:           8
        .value_kind:     by_value
      - .offset:         72
        .size:           4
        .value_kind:     by_value
      - .offset:         80
        .size:           8
        .value_kind:     by_value
      - .offset:         88
        .size:           4
        .value_kind:     by_value
      - .offset:         96
        .size:           4
        .value_kind:     hidden_block_count_x
      - .offset:         100
        .size:           4
        .value_kind:     hidden_block_count_y
      - .offset:         104
        .size:           4
        .value_kind:     hidden_block_count_z
      - .offset:         108
        .size:           2
        .value_kind:     hidden_group_size_x
      - .offset:         110
        .size:           2
        .value_kind:     hidden_group_size_y
      - .offset:         112
        .size:           2
        .value_kind:     hidden_group_size_z
      - .offset:         114
        .size:           2
        .value_kind:     hidden_remainder_x
      - .offset:         116
        .size:           2
        .value_kind:     hidden_remainder_y
      - .offset:         118
        .size:           2
        .value_kind:     hidden_remainder_z
      - .offset:         136
        .size:           8
        .value_kind:     hidden_global_offset_x
      - .offset:         144
        .size:           8
        .value_kind:     hidden_global_offset_y
      - .offset:         152
        .size:           8
        .value_kind:     hidden_global_offset_z
      - .offset:         160
        .size:           2
        .value_kind:     hidden_grid_dims
    .group_segment_fixed_size: 3136
    .kernarg_segment_align: 8
    .kernarg_segment_size: 352
    .language:       OpenCL C
    .language_version:
      - 2
      - 0
    .max_flat_workgroup_size: 28
    .name:           _ZL30rocblas_trsm_small_left_deviceILi28ELi28ELb1EffPKPKfPKPfEv13rocblas_fill_18rocblas_operation_17rocblas_diagonal_iiT3_T4_lilT5_lili
    .private_segment_fixed_size: 0
    .sgpr_count:     93
    .sgpr_spill_count: 0
    .symbol:         _ZL30rocblas_trsm_small_left_deviceILi28ELi28ELb1EffPKPKfPKPfEv13rocblas_fill_18rocblas_operation_17rocblas_diagonal_iiT3_T4_lilT5_lili.kd
    .uniform_work_group_size: 1
    .uses_dynamic_stack: false
    .vgpr_count:     135
    .vgpr_spill_count: 0
    .wavefront_size: 32
    .workgroup_processor_mode: 1
  - .args:
      - .offset:         0
        .size:           4
        .value_kind:     by_value
      - .offset:         4
        .size:           4
        .value_kind:     by_value
      - .offset:         8
        .size:           4
        .value_kind:     by_value
      - .offset:         12
        .size:           4
        .value_kind:     by_value
      - .offset:         16
        .size:           4
        .value_kind:     by_value
      - .offset:         20
        .size:           4
        .value_kind:     by_value
      - .address_space:  global
        .offset:         24
        .size:           8
        .value_kind:     global_buffer
      - .offset:         32
        .size:           8
        .value_kind:     by_value
      - .offset:         40
        .size:           4
        .value_kind:     by_value
      - .offset:         48
        .size:           8
        .value_kind:     by_value
      - .address_space:  global
        .offset:         56
        .size:           8
        .value_kind:     global_buffer
      - .offset:         64
        .size:           8
        .value_kind:     by_value
      - .offset:         72
        .size:           4
        .value_kind:     by_value
      - .offset:         80
        .size:           8
        .value_kind:     by_value
      - .offset:         88
        .size:           4
        .value_kind:     by_value
      - .offset:         96
        .size:           4
        .value_kind:     hidden_block_count_x
      - .offset:         100
        .size:           4
        .value_kind:     hidden_block_count_y
      - .offset:         104
        .size:           4
        .value_kind:     hidden_block_count_z
      - .offset:         108
        .size:           2
        .value_kind:     hidden_group_size_x
      - .offset:         110
        .size:           2
        .value_kind:     hidden_group_size_y
      - .offset:         112
        .size:           2
        .value_kind:     hidden_group_size_z
      - .offset:         114
        .size:           2
        .value_kind:     hidden_remainder_x
      - .offset:         116
        .size:           2
        .value_kind:     hidden_remainder_y
      - .offset:         118
        .size:           2
        .value_kind:     hidden_remainder_z
      - .offset:         136
        .size:           8
        .value_kind:     hidden_global_offset_x
      - .offset:         144
        .size:           8
        .value_kind:     hidden_global_offset_y
      - .offset:         152
        .size:           8
        .value_kind:     hidden_global_offset_z
      - .offset:         160
        .size:           2
        .value_kind:     hidden_grid_dims
    .group_segment_fixed_size: 6272
    .kernarg_segment_align: 8
    .kernarg_segment_size: 352
    .language:       OpenCL C
    .language_version:
      - 2
      - 0
    .max_flat_workgroup_size: 28
    .name:           _ZL31rocblas_trsm_small_right_deviceIffPKPKfPKPfLi28EEv13rocblas_fill_18rocblas_operation_17rocblas_diagonal_iiT0_T1_lilT2_lili
    .private_segment_fixed_size: 0
    .sgpr_count:     34
    .sgpr_spill_count: 0
    .symbol:         _ZL31rocblas_trsm_small_right_deviceIffPKPKfPKPfLi28EEv13rocblas_fill_18rocblas_operation_17rocblas_diagonal_iiT0_T1_lilT2_lili.kd
    .uniform_work_group_size: 1
    .uses_dynamic_stack: false
    .vgpr_count:     31
    .vgpr_spill_count: 0
    .wavefront_size: 32
    .workgroup_processor_mode: 1
  - .args:
      - .offset:         0
        .size:           4
        .value_kind:     by_value
      - .offset:         4
        .size:           4
        .value_kind:     by_value
      - .offset:         8
        .size:           4
        .value_kind:     by_value
      - .offset:         12
        .size:           4
        .value_kind:     by_value
      - .offset:         16
        .size:           4
        .value_kind:     by_value
      - .offset:         20
        .size:           4
        .value_kind:     by_value
      - .address_space:  global
        .offset:         24
        .size:           8
        .value_kind:     global_buffer
      - .offset:         32
        .size:           8
        .value_kind:     by_value
      - .offset:         40
        .size:           4
        .value_kind:     by_value
      - .offset:         48
        .size:           8
        .value_kind:     by_value
      - .address_space:  global
        .offset:         56
        .size:           8
        .value_kind:     global_buffer
      - .offset:         64
        .size:           8
        .value_kind:     by_value
      - .offset:         72
        .size:           4
        .value_kind:     by_value
      - .offset:         80
        .size:           8
        .value_kind:     by_value
      - .offset:         88
        .size:           4
        .value_kind:     by_value
      - .offset:         96
        .size:           4
        .value_kind:     hidden_block_count_x
      - .offset:         100
        .size:           4
        .value_kind:     hidden_block_count_y
      - .offset:         104
        .size:           4
        .value_kind:     hidden_block_count_z
      - .offset:         108
        .size:           2
        .value_kind:     hidden_group_size_x
      - .offset:         110
        .size:           2
        .value_kind:     hidden_group_size_y
      - .offset:         112
        .size:           2
        .value_kind:     hidden_group_size_z
      - .offset:         114
        .size:           2
        .value_kind:     hidden_remainder_x
      - .offset:         116
        .size:           2
        .value_kind:     hidden_remainder_y
      - .offset:         118
        .size:           2
        .value_kind:     hidden_remainder_z
      - .offset:         136
        .size:           8
        .value_kind:     hidden_global_offset_x
      - .offset:         144
        .size:           8
        .value_kind:     hidden_global_offset_y
      - .offset:         152
        .size:           8
        .value_kind:     hidden_global_offset_z
      - .offset:         160
        .size:           2
        .value_kind:     hidden_grid_dims
    .group_segment_fixed_size: 8192
    .kernarg_segment_align: 8
    .kernarg_segment_size: 352
    .language:       OpenCL C
    .language_version:
      - 2
      - 0
    .max_flat_workgroup_size: 32
    .name:           _ZL38rocblas_trsm_small_left_device_sharedBILi32ELi32ELb0EffPKPKfPKPfEv13rocblas_fill_18rocblas_operation_17rocblas_diagonal_iiT3_T4_lilT5_lili
    .private_segment_fixed_size: 0
    .sgpr_count:     52
    .sgpr_spill_count: 0
    .symbol:         _ZL38rocblas_trsm_small_left_device_sharedBILi32ELi32ELb0EffPKPKfPKPfEv13rocblas_fill_18rocblas_operation_17rocblas_diagonal_iiT3_T4_lilT5_lili.kd
    .uniform_work_group_size: 1
    .uses_dynamic_stack: false
    .vgpr_count:     203
    .vgpr_spill_count: 0
    .wavefront_size: 32
    .workgroup_processor_mode: 1
  - .args:
      - .offset:         0
        .size:           4
        .value_kind:     by_value
      - .offset:         4
        .size:           4
        .value_kind:     by_value
      - .offset:         8
        .size:           4
        .value_kind:     by_value
      - .offset:         12
        .size:           4
        .value_kind:     by_value
      - .offset:         16
        .size:           4
        .value_kind:     by_value
      - .offset:         20
        .size:           4
        .value_kind:     by_value
      - .address_space:  global
        .offset:         24
        .size:           8
        .value_kind:     global_buffer
      - .offset:         32
        .size:           8
        .value_kind:     by_value
      - .offset:         40
        .size:           4
        .value_kind:     by_value
      - .offset:         48
        .size:           8
        .value_kind:     by_value
      - .address_space:  global
        .offset:         56
        .size:           8
        .value_kind:     global_buffer
      - .offset:         64
        .size:           8
        .value_kind:     by_value
      - .offset:         72
        .size:           4
        .value_kind:     by_value
      - .offset:         80
        .size:           8
        .value_kind:     by_value
      - .offset:         88
        .size:           4
        .value_kind:     by_value
      - .offset:         96
        .size:           4
        .value_kind:     hidden_block_count_x
      - .offset:         100
        .size:           4
        .value_kind:     hidden_block_count_y
      - .offset:         104
        .size:           4
        .value_kind:     hidden_block_count_z
      - .offset:         108
        .size:           2
        .value_kind:     hidden_group_size_x
      - .offset:         110
        .size:           2
        .value_kind:     hidden_group_size_y
      - .offset:         112
        .size:           2
        .value_kind:     hidden_group_size_z
      - .offset:         114
        .size:           2
        .value_kind:     hidden_remainder_x
      - .offset:         116
        .size:           2
        .value_kind:     hidden_remainder_y
      - .offset:         118
        .size:           2
        .value_kind:     hidden_remainder_z
      - .offset:         136
        .size:           8
        .value_kind:     hidden_global_offset_x
      - .offset:         144
        .size:           8
        .value_kind:     hidden_global_offset_y
      - .offset:         152
        .size:           8
        .value_kind:     hidden_global_offset_z
      - .offset:         160
        .size:           2
        .value_kind:     hidden_grid_dims
    .group_segment_fixed_size: 4096
    .kernarg_segment_align: 8
    .kernarg_segment_size: 352
    .language:       OpenCL C
    .language_version:
      - 2
      - 0
    .max_flat_workgroup_size: 32
    .name:           _ZL30rocblas_trsm_small_left_deviceILi32ELi32ELb0EffPKPKfPKPfEv13rocblas_fill_18rocblas_operation_17rocblas_diagonal_iiT3_T4_lilT5_lili
    .private_segment_fixed_size: 0
    .sgpr_count:     94
    .sgpr_spill_count: 0
    .symbol:         _ZL30rocblas_trsm_small_left_deviceILi32ELi32ELb0EffPKPKfPKPfEv13rocblas_fill_18rocblas_operation_17rocblas_diagonal_iiT3_T4_lilT5_lili.kd
    .uniform_work_group_size: 1
    .uses_dynamic_stack: false
    .vgpr_count:     195
    .vgpr_spill_count: 0
    .wavefront_size: 32
    .workgroup_processor_mode: 1
  - .args:
      - .offset:         0
        .size:           4
        .value_kind:     by_value
      - .offset:         4
        .size:           4
        .value_kind:     by_value
      - .offset:         8
        .size:           4
        .value_kind:     by_value
      - .offset:         12
        .size:           4
        .value_kind:     by_value
      - .offset:         16
        .size:           4
        .value_kind:     by_value
      - .offset:         20
        .size:           4
        .value_kind:     by_value
      - .address_space:  global
        .offset:         24
        .size:           8
        .value_kind:     global_buffer
      - .offset:         32
        .size:           8
        .value_kind:     by_value
      - .offset:         40
        .size:           4
        .value_kind:     by_value
      - .offset:         48
        .size:           8
        .value_kind:     by_value
      - .address_space:  global
        .offset:         56
        .size:           8
        .value_kind:     global_buffer
      - .offset:         64
        .size:           8
        .value_kind:     by_value
      - .offset:         72
        .size:           4
        .value_kind:     by_value
      - .offset:         80
        .size:           8
        .value_kind:     by_value
      - .offset:         88
        .size:           4
        .value_kind:     by_value
      - .offset:         96
        .size:           4
        .value_kind:     hidden_block_count_x
      - .offset:         100
        .size:           4
        .value_kind:     hidden_block_count_y
      - .offset:         104
        .size:           4
        .value_kind:     hidden_block_count_z
      - .offset:         108
        .size:           2
        .value_kind:     hidden_group_size_x
      - .offset:         110
        .size:           2
        .value_kind:     hidden_group_size_y
      - .offset:         112
        .size:           2
        .value_kind:     hidden_group_size_z
      - .offset:         114
        .size:           2
        .value_kind:     hidden_remainder_x
      - .offset:         116
        .size:           2
        .value_kind:     hidden_remainder_y
      - .offset:         118
        .size:           2
        .value_kind:     hidden_remainder_z
      - .offset:         136
        .size:           8
        .value_kind:     hidden_global_offset_x
      - .offset:         144
        .size:           8
        .value_kind:     hidden_global_offset_y
      - .offset:         152
        .size:           8
        .value_kind:     hidden_global_offset_z
      - .offset:         160
        .size:           2
        .value_kind:     hidden_grid_dims
    .group_segment_fixed_size: 8192
    .kernarg_segment_align: 8
    .kernarg_segment_size: 352
    .language:       OpenCL C
    .language_version:
      - 2
      - 0
    .max_flat_workgroup_size: 32
    .name:           _ZL38rocblas_trsm_small_left_device_sharedBILi32ELi32ELb1EffPKPKfPKPfEv13rocblas_fill_18rocblas_operation_17rocblas_diagonal_iiT3_T4_lilT5_lili
    .private_segment_fixed_size: 0
    .sgpr_count:     45
    .sgpr_spill_count: 0
    .symbol:         _ZL38rocblas_trsm_small_left_device_sharedBILi32ELi32ELb1EffPKPKfPKPfEv13rocblas_fill_18rocblas_operation_17rocblas_diagonal_iiT3_T4_lilT5_lili.kd
    .uniform_work_group_size: 1
    .uses_dynamic_stack: false
    .vgpr_count:     233
    .vgpr_spill_count: 0
    .wavefront_size: 32
    .workgroup_processor_mode: 1
  - .args:
      - .offset:         0
        .size:           4
        .value_kind:     by_value
      - .offset:         4
        .size:           4
        .value_kind:     by_value
      - .offset:         8
        .size:           4
        .value_kind:     by_value
      - .offset:         12
        .size:           4
        .value_kind:     by_value
      - .offset:         16
        .size:           4
        .value_kind:     by_value
      - .offset:         20
        .size:           4
        .value_kind:     by_value
      - .address_space:  global
        .offset:         24
        .size:           8
        .value_kind:     global_buffer
      - .offset:         32
        .size:           8
        .value_kind:     by_value
      - .offset:         40
        .size:           4
        .value_kind:     by_value
      - .offset:         48
        .size:           8
        .value_kind:     by_value
      - .address_space:  global
        .offset:         56
        .size:           8
        .value_kind:     global_buffer
      - .offset:         64
        .size:           8
        .value_kind:     by_value
      - .offset:         72
        .size:           4
        .value_kind:     by_value
      - .offset:         80
        .size:           8
        .value_kind:     by_value
      - .offset:         88
        .size:           4
        .value_kind:     by_value
      - .offset:         96
        .size:           4
        .value_kind:     hidden_block_count_x
      - .offset:         100
        .size:           4
        .value_kind:     hidden_block_count_y
      - .offset:         104
        .size:           4
        .value_kind:     hidden_block_count_z
      - .offset:         108
        .size:           2
        .value_kind:     hidden_group_size_x
      - .offset:         110
        .size:           2
        .value_kind:     hidden_group_size_y
      - .offset:         112
        .size:           2
        .value_kind:     hidden_group_size_z
      - .offset:         114
        .size:           2
        .value_kind:     hidden_remainder_x
      - .offset:         116
        .size:           2
        .value_kind:     hidden_remainder_y
      - .offset:         118
        .size:           2
        .value_kind:     hidden_remainder_z
      - .offset:         136
        .size:           8
        .value_kind:     hidden_global_offset_x
      - .offset:         144
        .size:           8
        .value_kind:     hidden_global_offset_y
      - .offset:         152
        .size:           8
        .value_kind:     hidden_global_offset_z
      - .offset:         160
        .size:           2
        .value_kind:     hidden_grid_dims
    .group_segment_fixed_size: 4096
    .kernarg_segment_align: 8
    .kernarg_segment_size: 352
    .language:       OpenCL C
    .language_version:
      - 2
      - 0
    .max_flat_workgroup_size: 32
    .name:           _ZL30rocblas_trsm_small_left_deviceILi32ELi32ELb1EffPKPKfPKPfEv13rocblas_fill_18rocblas_operation_17rocblas_diagonal_iiT3_T4_lilT5_lili
    .private_segment_fixed_size: 0
    .sgpr_count:     91
    .sgpr_spill_count: 0
    .symbol:         _ZL30rocblas_trsm_small_left_deviceILi32ELi32ELb1EffPKPKfPKPfEv13rocblas_fill_18rocblas_operation_17rocblas_diagonal_iiT3_T4_lilT5_lili.kd
    .uniform_work_group_size: 1
    .uses_dynamic_stack: false
    .vgpr_count:     197
    .vgpr_spill_count: 0
    .wavefront_size: 32
    .workgroup_processor_mode: 1
  - .args:
      - .offset:         0
        .size:           4
        .value_kind:     by_value
      - .offset:         4
        .size:           4
        .value_kind:     by_value
      - .offset:         8
        .size:           4
        .value_kind:     by_value
      - .offset:         12
        .size:           4
        .value_kind:     by_value
      - .offset:         16
        .size:           4
        .value_kind:     by_value
      - .offset:         20
        .size:           4
        .value_kind:     by_value
      - .address_space:  global
        .offset:         24
        .size:           8
        .value_kind:     global_buffer
      - .offset:         32
        .size:           8
        .value_kind:     by_value
      - .offset:         40
        .size:           4
        .value_kind:     by_value
      - .offset:         48
        .size:           8
        .value_kind:     by_value
      - .address_space:  global
        .offset:         56
        .size:           8
        .value_kind:     global_buffer
      - .offset:         64
        .size:           8
        .value_kind:     by_value
      - .offset:         72
        .size:           4
        .value_kind:     by_value
      - .offset:         80
        .size:           8
        .value_kind:     by_value
      - .offset:         88
        .size:           4
        .value_kind:     by_value
      - .offset:         96
        .size:           4
        .value_kind:     hidden_block_count_x
      - .offset:         100
        .size:           4
        .value_kind:     hidden_block_count_y
      - .offset:         104
        .size:           4
        .value_kind:     hidden_block_count_z
      - .offset:         108
        .size:           2
        .value_kind:     hidden_group_size_x
      - .offset:         110
        .size:           2
        .value_kind:     hidden_group_size_y
      - .offset:         112
        .size:           2
        .value_kind:     hidden_group_size_z
      - .offset:         114
        .size:           2
        .value_kind:     hidden_remainder_x
      - .offset:         116
        .size:           2
        .value_kind:     hidden_remainder_y
      - .offset:         118
        .size:           2
        .value_kind:     hidden_remainder_z
      - .offset:         136
        .size:           8
        .value_kind:     hidden_global_offset_x
      - .offset:         144
        .size:           8
        .value_kind:     hidden_global_offset_y
      - .offset:         152
        .size:           8
        .value_kind:     hidden_global_offset_z
      - .offset:         160
        .size:           2
        .value_kind:     hidden_grid_dims
    .group_segment_fixed_size: 8192
    .kernarg_segment_align: 8
    .kernarg_segment_size: 352
    .language:       OpenCL C
    .language_version:
      - 2
      - 0
    .max_flat_workgroup_size: 32
    .name:           _ZL31rocblas_trsm_small_right_deviceIffPKPKfPKPfLi32EEv13rocblas_fill_18rocblas_operation_17rocblas_diagonal_iiT0_T1_lilT2_lili
    .private_segment_fixed_size: 0
    .sgpr_count:     34
    .sgpr_spill_count: 0
    .symbol:         _ZL31rocblas_trsm_small_right_deviceIffPKPKfPKPfLi32EEv13rocblas_fill_18rocblas_operation_17rocblas_diagonal_iiT0_T1_lilT2_lili.kd
    .uniform_work_group_size: 1
    .uses_dynamic_stack: false
    .vgpr_count:     32
    .vgpr_spill_count: 0
    .wavefront_size: 32
    .workgroup_processor_mode: 1
  - .args:
      - .offset:         0
        .size:           4
        .value_kind:     by_value
      - .offset:         4
        .size:           4
        .value_kind:     by_value
      - .offset:         8
        .size:           4
        .value_kind:     by_value
      - .offset:         12
        .size:           4
        .value_kind:     by_value
      - .offset:         16
        .size:           4
        .value_kind:     by_value
      - .offset:         20
        .size:           4
        .value_kind:     by_value
      - .address_space:  global
        .offset:         24
        .size:           8
        .value_kind:     global_buffer
      - .offset:         32
        .size:           8
        .value_kind:     by_value
      - .offset:         40
        .size:           4
        .value_kind:     by_value
      - .offset:         48
        .size:           8
        .value_kind:     by_value
      - .address_space:  global
        .offset:         56
        .size:           8
        .value_kind:     global_buffer
      - .offset:         64
        .size:           8
        .value_kind:     by_value
      - .offset:         72
        .size:           4
        .value_kind:     by_value
      - .offset:         80
        .size:           8
        .value_kind:     by_value
      - .offset:         88
        .size:           4
        .value_kind:     by_value
      - .offset:         96
        .size:           4
        .value_kind:     hidden_block_count_x
      - .offset:         100
        .size:           4
        .value_kind:     hidden_block_count_y
      - .offset:         104
        .size:           4
        .value_kind:     hidden_block_count_z
      - .offset:         108
        .size:           2
        .value_kind:     hidden_group_size_x
      - .offset:         110
        .size:           2
        .value_kind:     hidden_group_size_y
      - .offset:         112
        .size:           2
        .value_kind:     hidden_group_size_z
      - .offset:         114
        .size:           2
        .value_kind:     hidden_remainder_x
      - .offset:         116
        .size:           2
        .value_kind:     hidden_remainder_y
      - .offset:         118
        .size:           2
        .value_kind:     hidden_remainder_z
      - .offset:         136
        .size:           8
        .value_kind:     hidden_global_offset_x
      - .offset:         144
        .size:           8
        .value_kind:     hidden_global_offset_y
      - .offset:         152
        .size:           8
        .value_kind:     hidden_global_offset_z
      - .offset:         160
        .size:           2
        .value_kind:     hidden_grid_dims
    .group_segment_fixed_size: 32768
    .kernarg_segment_align: 8
    .kernarg_segment_size: 352
    .language:       OpenCL C
    .language_version:
      - 2
      - 0
    .max_flat_workgroup_size: 64
    .name:           _ZL38rocblas_trsm_small_left_device_sharedBILi64ELi32ELb0EffPKPKfPKPfEv13rocblas_fill_18rocblas_operation_17rocblas_diagonal_iiT3_T4_lilT5_lili
    .private_segment_fixed_size: 0
    .sgpr_count:     54
    .sgpr_spill_count: 0
    .symbol:         _ZL38rocblas_trsm_small_left_device_sharedBILi64ELi32ELb0EffPKPKfPKPfEv13rocblas_fill_18rocblas_operation_17rocblas_diagonal_iiT3_T4_lilT5_lili.kd
    .uniform_work_group_size: 1
    .uses_dynamic_stack: false
    .vgpr_count:     91
    .vgpr_spill_count: 0
    .wavefront_size: 32
    .workgroup_processor_mode: 1
  - .args:
      - .offset:         0
        .size:           4
        .value_kind:     by_value
      - .offset:         4
        .size:           4
        .value_kind:     by_value
      - .offset:         8
        .size:           4
        .value_kind:     by_value
      - .offset:         12
        .size:           4
        .value_kind:     by_value
      - .offset:         16
        .size:           4
        .value_kind:     by_value
      - .offset:         20
        .size:           4
        .value_kind:     by_value
      - .address_space:  global
        .offset:         24
        .size:           8
        .value_kind:     global_buffer
      - .offset:         32
        .size:           8
        .value_kind:     by_value
      - .offset:         40
        .size:           4
        .value_kind:     by_value
      - .offset:         48
        .size:           8
        .value_kind:     by_value
      - .address_space:  global
        .offset:         56
        .size:           8
        .value_kind:     global_buffer
      - .offset:         64
        .size:           8
        .value_kind:     by_value
      - .offset:         72
        .size:           4
        .value_kind:     by_value
      - .offset:         80
        .size:           8
        .value_kind:     by_value
      - .offset:         88
        .size:           4
        .value_kind:     by_value
      - .offset:         96
        .size:           4
        .value_kind:     hidden_block_count_x
      - .offset:         100
        .size:           4
        .value_kind:     hidden_block_count_y
      - .offset:         104
        .size:           4
        .value_kind:     hidden_block_count_z
      - .offset:         108
        .size:           2
        .value_kind:     hidden_group_size_x
      - .offset:         110
        .size:           2
        .value_kind:     hidden_group_size_y
      - .offset:         112
        .size:           2
        .value_kind:     hidden_group_size_z
      - .offset:         114
        .size:           2
        .value_kind:     hidden_remainder_x
      - .offset:         116
        .size:           2
        .value_kind:     hidden_remainder_y
      - .offset:         118
        .size:           2
        .value_kind:     hidden_remainder_z
      - .offset:         136
        .size:           8
        .value_kind:     hidden_global_offset_x
      - .offset:         144
        .size:           8
        .value_kind:     hidden_global_offset_y
      - .offset:         152
        .size:           8
        .value_kind:     hidden_global_offset_z
      - .offset:         160
        .size:           2
        .value_kind:     hidden_grid_dims
    .group_segment_fixed_size: 16384
    .kernarg_segment_align: 8
    .kernarg_segment_size: 352
    .language:       OpenCL C
    .language_version:
      - 2
      - 0
    .max_flat_workgroup_size: 64
    .name:           _ZL30rocblas_trsm_small_left_deviceILi64ELi32ELb0EffPKPKfPKPfEv13rocblas_fill_18rocblas_operation_17rocblas_diagonal_iiT3_T4_lilT5_lili
    .private_segment_fixed_size: 0
    .sgpr_count:     45
    .sgpr_spill_count: 0
    .symbol:         _ZL30rocblas_trsm_small_left_deviceILi64ELi32ELb0EffPKPKfPKPfEv13rocblas_fill_18rocblas_operation_17rocblas_diagonal_iiT3_T4_lilT5_lili.kd
    .uniform_work_group_size: 1
    .uses_dynamic_stack: false
    .vgpr_count:     132
    .vgpr_spill_count: 0
    .wavefront_size: 32
    .workgroup_processor_mode: 1
  - .args:
      - .offset:         0
        .size:           4
        .value_kind:     by_value
      - .offset:         4
        .size:           4
        .value_kind:     by_value
      - .offset:         8
        .size:           4
        .value_kind:     by_value
      - .offset:         12
        .size:           4
        .value_kind:     by_value
      - .offset:         16
        .size:           4
        .value_kind:     by_value
      - .offset:         20
        .size:           4
        .value_kind:     by_value
      - .address_space:  global
        .offset:         24
        .size:           8
        .value_kind:     global_buffer
      - .offset:         32
        .size:           8
        .value_kind:     by_value
      - .offset:         40
        .size:           4
        .value_kind:     by_value
      - .offset:         48
        .size:           8
        .value_kind:     by_value
      - .address_space:  global
        .offset:         56
        .size:           8
        .value_kind:     global_buffer
      - .offset:         64
        .size:           8
        .value_kind:     by_value
      - .offset:         72
        .size:           4
        .value_kind:     by_value
      - .offset:         80
        .size:           8
        .value_kind:     by_value
      - .offset:         88
        .size:           4
        .value_kind:     by_value
      - .offset:         96
        .size:           4
        .value_kind:     hidden_block_count_x
      - .offset:         100
        .size:           4
        .value_kind:     hidden_block_count_y
      - .offset:         104
        .size:           4
        .value_kind:     hidden_block_count_z
      - .offset:         108
        .size:           2
        .value_kind:     hidden_group_size_x
      - .offset:         110
        .size:           2
        .value_kind:     hidden_group_size_y
      - .offset:         112
        .size:           2
        .value_kind:     hidden_group_size_z
      - .offset:         114
        .size:           2
        .value_kind:     hidden_remainder_x
      - .offset:         116
        .size:           2
        .value_kind:     hidden_remainder_y
      - .offset:         118
        .size:           2
        .value_kind:     hidden_remainder_z
      - .offset:         136
        .size:           8
        .value_kind:     hidden_global_offset_x
      - .offset:         144
        .size:           8
        .value_kind:     hidden_global_offset_y
      - .offset:         152
        .size:           8
        .value_kind:     hidden_global_offset_z
      - .offset:         160
        .size:           2
        .value_kind:     hidden_grid_dims
    .group_segment_fixed_size: 32768
    .kernarg_segment_align: 8
    .kernarg_segment_size: 352
    .language:       OpenCL C
    .language_version:
      - 2
      - 0
    .max_flat_workgroup_size: 64
    .name:           _ZL38rocblas_trsm_small_left_device_sharedBILi64ELi32ELb1EffPKPKfPKPfEv13rocblas_fill_18rocblas_operation_17rocblas_diagonal_iiT3_T4_lilT5_lili
    .private_segment_fixed_size: 0
    .sgpr_count:     50
    .sgpr_spill_count: 0
    .symbol:         _ZL38rocblas_trsm_small_left_device_sharedBILi64ELi32ELb1EffPKPKfPKPfEv13rocblas_fill_18rocblas_operation_17rocblas_diagonal_iiT3_T4_lilT5_lili.kd
    .uniform_work_group_size: 1
    .uses_dynamic_stack: false
    .vgpr_count:     195
    .vgpr_spill_count: 0
    .wavefront_size: 32
    .workgroup_processor_mode: 1
  - .args:
      - .offset:         0
        .size:           4
        .value_kind:     by_value
      - .offset:         4
        .size:           4
        .value_kind:     by_value
      - .offset:         8
        .size:           4
        .value_kind:     by_value
      - .offset:         12
        .size:           4
        .value_kind:     by_value
      - .offset:         16
        .size:           4
        .value_kind:     by_value
      - .offset:         20
        .size:           4
        .value_kind:     by_value
      - .address_space:  global
        .offset:         24
        .size:           8
        .value_kind:     global_buffer
      - .offset:         32
        .size:           8
        .value_kind:     by_value
      - .offset:         40
        .size:           4
        .value_kind:     by_value
      - .offset:         48
        .size:           8
        .value_kind:     by_value
      - .address_space:  global
        .offset:         56
        .size:           8
        .value_kind:     global_buffer
      - .offset:         64
        .size:           8
        .value_kind:     by_value
      - .offset:         72
        .size:           4
        .value_kind:     by_value
      - .offset:         80
        .size:           8
        .value_kind:     by_value
      - .offset:         88
        .size:           4
        .value_kind:     by_value
      - .offset:         96
        .size:           4
        .value_kind:     hidden_block_count_x
      - .offset:         100
        .size:           4
        .value_kind:     hidden_block_count_y
      - .offset:         104
        .size:           4
        .value_kind:     hidden_block_count_z
      - .offset:         108
        .size:           2
        .value_kind:     hidden_group_size_x
      - .offset:         110
        .size:           2
        .value_kind:     hidden_group_size_y
      - .offset:         112
        .size:           2
        .value_kind:     hidden_group_size_z
      - .offset:         114
        .size:           2
        .value_kind:     hidden_remainder_x
      - .offset:         116
        .size:           2
        .value_kind:     hidden_remainder_y
      - .offset:         118
        .size:           2
        .value_kind:     hidden_remainder_z
      - .offset:         136
        .size:           8
        .value_kind:     hidden_global_offset_x
      - .offset:         144
        .size:           8
        .value_kind:     hidden_global_offset_y
      - .offset:         152
        .size:           8
        .value_kind:     hidden_global_offset_z
      - .offset:         160
        .size:           2
        .value_kind:     hidden_grid_dims
    .group_segment_fixed_size: 16384
    .kernarg_segment_align: 8
    .kernarg_segment_size: 352
    .language:       OpenCL C
    .language_version:
      - 2
      - 0
    .max_flat_workgroup_size: 64
    .name:           _ZL30rocblas_trsm_small_left_deviceILi64ELi32ELb1EffPKPKfPKPfEv13rocblas_fill_18rocblas_operation_17rocblas_diagonal_iiT3_T4_lilT5_lili
    .private_segment_fixed_size: 0
    .sgpr_count:     33
    .sgpr_spill_count: 0
    .symbol:         _ZL30rocblas_trsm_small_left_deviceILi64ELi32ELb1EffPKPKfPKPfEv13rocblas_fill_18rocblas_operation_17rocblas_diagonal_iiT3_T4_lilT5_lili.kd
    .uniform_work_group_size: 1
    .uses_dynamic_stack: false
    .vgpr_count:     160
    .vgpr_spill_count: 0
    .wavefront_size: 32
    .workgroup_processor_mode: 1
  - .args:
      - .offset:         0
        .size:           4
        .value_kind:     by_value
      - .offset:         4
        .size:           4
        .value_kind:     by_value
      - .offset:         8
        .size:           4
        .value_kind:     by_value
      - .offset:         12
        .size:           4
        .value_kind:     by_value
      - .offset:         16
        .size:           4
        .value_kind:     by_value
      - .offset:         20
        .size:           4
        .value_kind:     by_value
      - .address_space:  global
        .offset:         24
        .size:           8
        .value_kind:     global_buffer
      - .offset:         32
        .size:           8
        .value_kind:     by_value
      - .offset:         40
        .size:           4
        .value_kind:     by_value
      - .offset:         48
        .size:           8
        .value_kind:     by_value
      - .address_space:  global
        .offset:         56
        .size:           8
        .value_kind:     global_buffer
      - .offset:         64
        .size:           8
        .value_kind:     by_value
      - .offset:         72
        .size:           4
        .value_kind:     by_value
      - .offset:         80
        .size:           8
        .value_kind:     by_value
      - .offset:         88
        .size:           4
        .value_kind:     by_value
      - .offset:         96
        .size:           4
        .value_kind:     hidden_block_count_x
      - .offset:         100
        .size:           4
        .value_kind:     hidden_block_count_y
      - .offset:         104
        .size:           4
        .value_kind:     hidden_block_count_z
      - .offset:         108
        .size:           2
        .value_kind:     hidden_group_size_x
      - .offset:         110
        .size:           2
        .value_kind:     hidden_group_size_y
      - .offset:         112
        .size:           2
        .value_kind:     hidden_group_size_z
      - .offset:         114
        .size:           2
        .value_kind:     hidden_remainder_x
      - .offset:         116
        .size:           2
        .value_kind:     hidden_remainder_y
      - .offset:         118
        .size:           2
        .value_kind:     hidden_remainder_z
      - .offset:         136
        .size:           8
        .value_kind:     hidden_global_offset_x
      - .offset:         144
        .size:           8
        .value_kind:     hidden_global_offset_y
      - .offset:         152
        .size:           8
        .value_kind:     hidden_global_offset_z
      - .offset:         160
        .size:           2
        .value_kind:     hidden_grid_dims
    .group_segment_fixed_size: 32768
    .kernarg_segment_align: 8
    .kernarg_segment_size: 352
    .language:       OpenCL C
    .language_version:
      - 2
      - 0
    .max_flat_workgroup_size: 64
    .name:           _ZL31rocblas_trsm_small_right_deviceIffPKPKfPKPfLi64EEv13rocblas_fill_18rocblas_operation_17rocblas_diagonal_iiT0_T1_lilT2_lili
    .private_segment_fixed_size: 0
    .sgpr_count:     34
    .sgpr_spill_count: 0
    .symbol:         _ZL31rocblas_trsm_small_right_deviceIffPKPKfPKPfLi64EEv13rocblas_fill_18rocblas_operation_17rocblas_diagonal_iiT0_T1_lilT2_lili.kd
    .uniform_work_group_size: 1
    .uses_dynamic_stack: false
    .vgpr_count:     32
    .vgpr_spill_count: 0
    .wavefront_size: 32
    .workgroup_processor_mode: 1
  - .args:
      - .offset:         0
        .size:           4
        .value_kind:     by_value
      - .offset:         8
        .size:           8
        .value_kind:     by_value
      - .offset:         16
        .size:           8
        .value_kind:     by_value
      - .offset:         24
        .size:           4
        .value_kind:     by_value
      - .address_space:  global
        .offset:         32
        .size:           8
        .value_kind:     global_buffer
      - .offset:         40
        .size:           8
        .value_kind:     by_value
      - .offset:         48
        .size:           8
        .value_kind:     by_value
      - .offset:         56
        .size:           8
        .value_kind:     by_value
      - .address_space:  global
        .offset:         64
        .size:           8
        .value_kind:     global_buffer
      - .offset:         72
        .size:           8
        .value_kind:     by_value
      - .offset:         80
        .size:           8
        .value_kind:     by_value
      - .offset:         88
        .size:           8
        .value_kind:     by_value
      - .offset:         96
        .size:           4
        .value_kind:     by_value
      - .offset:         100
        .size:           1
        .value_kind:     by_value
      - .offset:         104
        .size:           4
        .value_kind:     hidden_block_count_x
      - .offset:         108
        .size:           4
        .value_kind:     hidden_block_count_y
      - .offset:         112
        .size:           4
        .value_kind:     hidden_block_count_z
      - .offset:         116
        .size:           2
        .value_kind:     hidden_group_size_x
      - .offset:         118
        .size:           2
        .value_kind:     hidden_group_size_y
      - .offset:         120
        .size:           2
        .value_kind:     hidden_group_size_z
      - .offset:         122
        .size:           2
        .value_kind:     hidden_remainder_x
      - .offset:         124
        .size:           2
        .value_kind:     hidden_remainder_y
      - .offset:         126
        .size:           2
        .value_kind:     hidden_remainder_z
      - .offset:         144
        .size:           8
        .value_kind:     hidden_global_offset_x
      - .offset:         152
        .size:           8
        .value_kind:     hidden_global_offset_y
      - .offset:         160
        .size:           8
        .value_kind:     hidden_global_offset_z
      - .offset:         168
        .size:           2
        .value_kind:     hidden_grid_dims
      - .offset:         224
        .size:           4
        .value_kind:     hidden_dynamic_lds_size
    .group_segment_fixed_size: 0
    .kernarg_segment_align: 8
    .kernarg_segment_size: 360
    .language:       OpenCL C
    .language_version:
      - 2
      - 0
    .max_flat_workgroup_size: 1024
    .name:           _ZL39rocblas_trsm_block_forward_substitutionIffPKPKfPKPfLb0ELb0ELb0EEv18rocblas_operation_llT0_T1_lllT2_lllib
    .private_segment_fixed_size: 0
    .sgpr_count:     29
    .sgpr_spill_count: 0
    .symbol:         _ZL39rocblas_trsm_block_forward_substitutionIffPKPKfPKPfLb0ELb0ELb0EEv18rocblas_operation_llT0_T1_lllT2_lllib.kd
    .uniform_work_group_size: 1
    .uses_dynamic_stack: false
    .vgpr_count:     16
    .vgpr_spill_count: 0
    .wavefront_size: 32
    .workgroup_processor_mode: 1
  - .args:
      - .offset:         0
        .size:           4
        .value_kind:     by_value
      - .offset:         8
        .size:           8
        .value_kind:     by_value
      - .offset:         16
        .size:           8
        .value_kind:     by_value
      - .offset:         24
        .size:           4
        .value_kind:     by_value
      - .address_space:  global
        .offset:         32
        .size:           8
        .value_kind:     global_buffer
      - .offset:         40
        .size:           8
        .value_kind:     by_value
      - .offset:         48
        .size:           8
        .value_kind:     by_value
      - .offset:         56
        .size:           8
        .value_kind:     by_value
      - .address_space:  global
        .offset:         64
        .size:           8
        .value_kind:     global_buffer
      - .offset:         72
        .size:           8
        .value_kind:     by_value
      - .offset:         80
        .size:           8
        .value_kind:     by_value
      - .offset:         88
        .size:           8
        .value_kind:     by_value
      - .offset:         96
        .size:           4
        .value_kind:     by_value
      - .offset:         100
        .size:           1
        .value_kind:     by_value
      - .offset:         104
        .size:           4
        .value_kind:     hidden_block_count_x
      - .offset:         108
        .size:           4
        .value_kind:     hidden_block_count_y
      - .offset:         112
        .size:           4
        .value_kind:     hidden_block_count_z
      - .offset:         116
        .size:           2
        .value_kind:     hidden_group_size_x
      - .offset:         118
        .size:           2
        .value_kind:     hidden_group_size_y
      - .offset:         120
        .size:           2
        .value_kind:     hidden_group_size_z
      - .offset:         122
        .size:           2
        .value_kind:     hidden_remainder_x
      - .offset:         124
        .size:           2
        .value_kind:     hidden_remainder_y
      - .offset:         126
        .size:           2
        .value_kind:     hidden_remainder_z
      - .offset:         144
        .size:           8
        .value_kind:     hidden_global_offset_x
      - .offset:         152
        .size:           8
        .value_kind:     hidden_global_offset_y
      - .offset:         160
        .size:           8
        .value_kind:     hidden_global_offset_z
      - .offset:         168
        .size:           2
        .value_kind:     hidden_grid_dims
      - .offset:         224
        .size:           4
        .value_kind:     hidden_dynamic_lds_size
    .group_segment_fixed_size: 0
    .kernarg_segment_align: 8
    .kernarg_segment_size: 360
    .language:       OpenCL C
    .language_version:
      - 2
      - 0
    .max_flat_workgroup_size: 1024
    .name:           _ZL40rocblas_trsm_block_backward_substitutionIffPKPKfPKPfLb0ELb0ELb0EEv18rocblas_operation_llT0_T1_lllT2_lllib
    .private_segment_fixed_size: 0
    .sgpr_count:     31
    .sgpr_spill_count: 0
    .symbol:         _ZL40rocblas_trsm_block_backward_substitutionIffPKPKfPKPfLb0ELb0ELb0EEv18rocblas_operation_llT0_T1_lllT2_lllib.kd
    .uniform_work_group_size: 1
    .uses_dynamic_stack: false
    .vgpr_count:     16
    .vgpr_spill_count: 0
    .wavefront_size: 32
    .workgroup_processor_mode: 1
  - .args:
      - .offset:         0
        .size:           4
        .value_kind:     by_value
      - .offset:         8
        .size:           8
        .value_kind:     by_value
      - .offset:         16
        .size:           8
        .value_kind:     by_value
      - .offset:         24
        .size:           4
        .value_kind:     by_value
      - .address_space:  global
        .offset:         32
        .size:           8
        .value_kind:     global_buffer
      - .offset:         40
        .size:           8
        .value_kind:     by_value
      - .offset:         48
        .size:           8
        .value_kind:     by_value
      - .offset:         56
        .size:           8
        .value_kind:     by_value
      - .address_space:  global
        .offset:         64
        .size:           8
        .value_kind:     global_buffer
      - .offset:         72
        .size:           8
        .value_kind:     by_value
      - .offset:         80
        .size:           8
        .value_kind:     by_value
      - .offset:         88
        .size:           8
        .value_kind:     by_value
      - .offset:         96
        .size:           4
        .value_kind:     by_value
      - .offset:         100
        .size:           1
        .value_kind:     by_value
      - .offset:         104
        .size:           4
        .value_kind:     hidden_block_count_x
      - .offset:         108
        .size:           4
        .value_kind:     hidden_block_count_y
      - .offset:         112
        .size:           4
        .value_kind:     hidden_block_count_z
      - .offset:         116
        .size:           2
        .value_kind:     hidden_group_size_x
      - .offset:         118
        .size:           2
        .value_kind:     hidden_group_size_y
      - .offset:         120
        .size:           2
        .value_kind:     hidden_group_size_z
      - .offset:         122
        .size:           2
        .value_kind:     hidden_remainder_x
      - .offset:         124
        .size:           2
        .value_kind:     hidden_remainder_y
      - .offset:         126
        .size:           2
        .value_kind:     hidden_remainder_z
      - .offset:         144
        .size:           8
        .value_kind:     hidden_global_offset_x
      - .offset:         152
        .size:           8
        .value_kind:     hidden_global_offset_y
      - .offset:         160
        .size:           8
        .value_kind:     hidden_global_offset_z
      - .offset:         168
        .size:           2
        .value_kind:     hidden_grid_dims
      - .offset:         224
        .size:           4
        .value_kind:     hidden_dynamic_lds_size
    .group_segment_fixed_size: 0
    .kernarg_segment_align: 8
    .kernarg_segment_size: 360
    .language:       OpenCL C
    .language_version:
      - 2
      - 0
    .max_flat_workgroup_size: 1024
    .name:           _ZL39rocblas_trsm_block_forward_substitutionIffPKPKfPKPfLb0ELb0ELb1EEv18rocblas_operation_llT0_T1_lllT2_lllib
    .private_segment_fixed_size: 0
    .sgpr_count:     26
    .sgpr_spill_count: 0
    .symbol:         _ZL39rocblas_trsm_block_forward_substitutionIffPKPKfPKPfLb0ELb0ELb1EEv18rocblas_operation_llT0_T1_lllT2_lllib.kd
    .uniform_work_group_size: 1
    .uses_dynamic_stack: false
    .vgpr_count:     10
    .vgpr_spill_count: 0
    .wavefront_size: 32
    .workgroup_processor_mode: 1
  - .args:
      - .offset:         0
        .size:           4
        .value_kind:     by_value
      - .offset:         8
        .size:           8
        .value_kind:     by_value
      - .offset:         16
        .size:           8
        .value_kind:     by_value
      - .offset:         24
        .size:           4
        .value_kind:     by_value
      - .address_space:  global
        .offset:         32
        .size:           8
        .value_kind:     global_buffer
      - .offset:         40
        .size:           8
        .value_kind:     by_value
      - .offset:         48
        .size:           8
        .value_kind:     by_value
      - .offset:         56
        .size:           8
        .value_kind:     by_value
      - .address_space:  global
        .offset:         64
        .size:           8
        .value_kind:     global_buffer
      - .offset:         72
        .size:           8
        .value_kind:     by_value
      - .offset:         80
        .size:           8
        .value_kind:     by_value
      - .offset:         88
        .size:           8
        .value_kind:     by_value
      - .offset:         96
        .size:           4
        .value_kind:     by_value
      - .offset:         100
        .size:           1
        .value_kind:     by_value
      - .offset:         104
        .size:           4
        .value_kind:     hidden_block_count_x
      - .offset:         108
        .size:           4
        .value_kind:     hidden_block_count_y
      - .offset:         112
        .size:           4
        .value_kind:     hidden_block_count_z
      - .offset:         116
        .size:           2
        .value_kind:     hidden_group_size_x
      - .offset:         118
        .size:           2
        .value_kind:     hidden_group_size_y
      - .offset:         120
        .size:           2
        .value_kind:     hidden_group_size_z
      - .offset:         122
        .size:           2
        .value_kind:     hidden_remainder_x
      - .offset:         124
        .size:           2
        .value_kind:     hidden_remainder_y
      - .offset:         126
        .size:           2
        .value_kind:     hidden_remainder_z
      - .offset:         144
        .size:           8
        .value_kind:     hidden_global_offset_x
      - .offset:         152
        .size:           8
        .value_kind:     hidden_global_offset_y
      - .offset:         160
        .size:           8
        .value_kind:     hidden_global_offset_z
      - .offset:         168
        .size:           2
        .value_kind:     hidden_grid_dims
      - .offset:         224
        .size:           4
        .value_kind:     hidden_dynamic_lds_size
    .group_segment_fixed_size: 0
    .kernarg_segment_align: 8
    .kernarg_segment_size: 360
    .language:       OpenCL C
    .language_version:
      - 2
      - 0
    .max_flat_workgroup_size: 1024
    .name:           _ZL40rocblas_trsm_block_backward_substitutionIffPKPKfPKPfLb0ELb0ELb1EEv18rocblas_operation_llT0_T1_lllT2_lllib
    .private_segment_fixed_size: 0
    .sgpr_count:     28
    .sgpr_spill_count: 0
    .symbol:         _ZL40rocblas_trsm_block_backward_substitutionIffPKPKfPKPfLb0ELb0ELb1EEv18rocblas_operation_llT0_T1_lllT2_lllib.kd
    .uniform_work_group_size: 1
    .uses_dynamic_stack: false
    .vgpr_count:     10
    .vgpr_spill_count: 0
    .wavefront_size: 32
    .workgroup_processor_mode: 1
  - .args:
      - .offset:         0
        .size:           4
        .value_kind:     by_value
      - .offset:         8
        .size:           8
        .value_kind:     by_value
      - .offset:         16
        .size:           8
        .value_kind:     by_value
      - .offset:         24
        .size:           4
        .value_kind:     by_value
      - .address_space:  global
        .offset:         32
        .size:           8
        .value_kind:     global_buffer
      - .offset:         40
        .size:           8
        .value_kind:     by_value
      - .offset:         48
        .size:           8
        .value_kind:     by_value
      - .offset:         56
        .size:           8
        .value_kind:     by_value
      - .address_space:  global
        .offset:         64
        .size:           8
        .value_kind:     global_buffer
      - .offset:         72
        .size:           8
        .value_kind:     by_value
      - .offset:         80
        .size:           8
        .value_kind:     by_value
      - .offset:         88
        .size:           8
        .value_kind:     by_value
      - .offset:         96
        .size:           4
        .value_kind:     by_value
      - .offset:         100
        .size:           1
        .value_kind:     by_value
      - .offset:         104
        .size:           4
        .value_kind:     hidden_block_count_x
      - .offset:         108
        .size:           4
        .value_kind:     hidden_block_count_y
      - .offset:         112
        .size:           4
        .value_kind:     hidden_block_count_z
      - .offset:         116
        .size:           2
        .value_kind:     hidden_group_size_x
      - .offset:         118
        .size:           2
        .value_kind:     hidden_group_size_y
      - .offset:         120
        .size:           2
        .value_kind:     hidden_group_size_z
      - .offset:         122
        .size:           2
        .value_kind:     hidden_remainder_x
      - .offset:         124
        .size:           2
        .value_kind:     hidden_remainder_y
      - .offset:         126
        .size:           2
        .value_kind:     hidden_remainder_z
      - .offset:         144
        .size:           8
        .value_kind:     hidden_global_offset_x
      - .offset:         152
        .size:           8
        .value_kind:     hidden_global_offset_y
      - .offset:         160
        .size:           8
        .value_kind:     hidden_global_offset_z
      - .offset:         168
        .size:           2
        .value_kind:     hidden_grid_dims
      - .offset:         224
        .size:           4
        .value_kind:     hidden_dynamic_lds_size
    .group_segment_fixed_size: 0
    .kernarg_segment_align: 8
    .kernarg_segment_size: 360
    .language:       OpenCL C
    .language_version:
      - 2
      - 0
    .max_flat_workgroup_size: 1024
    .name:           _ZL39rocblas_trsm_block_forward_substitutionIffPKPKfPKPfLb0ELb1ELb0EEv18rocblas_operation_llT0_T1_lllT2_lllib
    .private_segment_fixed_size: 0
    .sgpr_count:     29
    .sgpr_spill_count: 0
    .symbol:         _ZL39rocblas_trsm_block_forward_substitutionIffPKPKfPKPfLb0ELb1ELb0EEv18rocblas_operation_llT0_T1_lllT2_lllib.kd
    .uniform_work_group_size: 1
    .uses_dynamic_stack: false
    .vgpr_count:     16
    .vgpr_spill_count: 0
    .wavefront_size: 32
    .workgroup_processor_mode: 1
  - .args:
      - .offset:         0
        .size:           4
        .value_kind:     by_value
      - .offset:         8
        .size:           8
        .value_kind:     by_value
      - .offset:         16
        .size:           8
        .value_kind:     by_value
      - .offset:         24
        .size:           4
        .value_kind:     by_value
      - .address_space:  global
        .offset:         32
        .size:           8
        .value_kind:     global_buffer
      - .offset:         40
        .size:           8
        .value_kind:     by_value
      - .offset:         48
        .size:           8
        .value_kind:     by_value
      - .offset:         56
        .size:           8
        .value_kind:     by_value
      - .address_space:  global
        .offset:         64
        .size:           8
        .value_kind:     global_buffer
      - .offset:         72
        .size:           8
        .value_kind:     by_value
      - .offset:         80
        .size:           8
        .value_kind:     by_value
      - .offset:         88
        .size:           8
        .value_kind:     by_value
      - .offset:         96
        .size:           4
        .value_kind:     by_value
      - .offset:         100
        .size:           1
        .value_kind:     by_value
      - .offset:         104
        .size:           4
        .value_kind:     hidden_block_count_x
      - .offset:         108
        .size:           4
        .value_kind:     hidden_block_count_y
      - .offset:         112
        .size:           4
        .value_kind:     hidden_block_count_z
      - .offset:         116
        .size:           2
        .value_kind:     hidden_group_size_x
      - .offset:         118
        .size:           2
        .value_kind:     hidden_group_size_y
      - .offset:         120
        .size:           2
        .value_kind:     hidden_group_size_z
      - .offset:         122
        .size:           2
        .value_kind:     hidden_remainder_x
      - .offset:         124
        .size:           2
        .value_kind:     hidden_remainder_y
      - .offset:         126
        .size:           2
        .value_kind:     hidden_remainder_z
      - .offset:         144
        .size:           8
        .value_kind:     hidden_global_offset_x
      - .offset:         152
        .size:           8
        .value_kind:     hidden_global_offset_y
      - .offset:         160
        .size:           8
        .value_kind:     hidden_global_offset_z
      - .offset:         168
        .size:           2
        .value_kind:     hidden_grid_dims
      - .offset:         224
        .size:           4
        .value_kind:     hidden_dynamic_lds_size
    .group_segment_fixed_size: 0
    .kernarg_segment_align: 8
    .kernarg_segment_size: 360
    .language:       OpenCL C
    .language_version:
      - 2
      - 0
    .max_flat_workgroup_size: 1024
    .name:           _ZL40rocblas_trsm_block_backward_substitutionIffPKPKfPKPfLb0ELb1ELb0EEv18rocblas_operation_llT0_T1_lllT2_lllib
    .private_segment_fixed_size: 0
    .sgpr_count:     31
    .sgpr_spill_count: 0
    .symbol:         _ZL40rocblas_trsm_block_backward_substitutionIffPKPKfPKPfLb0ELb1ELb0EEv18rocblas_operation_llT0_T1_lllT2_lllib.kd
    .uniform_work_group_size: 1
    .uses_dynamic_stack: false
    .vgpr_count:     16
    .vgpr_spill_count: 0
    .wavefront_size: 32
    .workgroup_processor_mode: 1
  - .args:
      - .offset:         0
        .size:           4
        .value_kind:     by_value
      - .offset:         8
        .size:           8
        .value_kind:     by_value
      - .offset:         16
        .size:           8
        .value_kind:     by_value
      - .offset:         24
        .size:           4
        .value_kind:     by_value
      - .address_space:  global
        .offset:         32
        .size:           8
        .value_kind:     global_buffer
      - .offset:         40
        .size:           8
        .value_kind:     by_value
      - .offset:         48
        .size:           8
        .value_kind:     by_value
      - .offset:         56
        .size:           8
        .value_kind:     by_value
      - .address_space:  global
        .offset:         64
        .size:           8
        .value_kind:     global_buffer
      - .offset:         72
        .size:           8
        .value_kind:     by_value
      - .offset:         80
        .size:           8
        .value_kind:     by_value
      - .offset:         88
        .size:           8
        .value_kind:     by_value
      - .offset:         96
        .size:           4
        .value_kind:     by_value
      - .offset:         100
        .size:           1
        .value_kind:     by_value
      - .offset:         104
        .size:           4
        .value_kind:     hidden_block_count_x
      - .offset:         108
        .size:           4
        .value_kind:     hidden_block_count_y
      - .offset:         112
        .size:           4
        .value_kind:     hidden_block_count_z
      - .offset:         116
        .size:           2
        .value_kind:     hidden_group_size_x
      - .offset:         118
        .size:           2
        .value_kind:     hidden_group_size_y
      - .offset:         120
        .size:           2
        .value_kind:     hidden_group_size_z
      - .offset:         122
        .size:           2
        .value_kind:     hidden_remainder_x
      - .offset:         124
        .size:           2
        .value_kind:     hidden_remainder_y
      - .offset:         126
        .size:           2
        .value_kind:     hidden_remainder_z
      - .offset:         144
        .size:           8
        .value_kind:     hidden_global_offset_x
      - .offset:         152
        .size:           8
        .value_kind:     hidden_global_offset_y
      - .offset:         160
        .size:           8
        .value_kind:     hidden_global_offset_z
      - .offset:         168
        .size:           2
        .value_kind:     hidden_grid_dims
      - .offset:         224
        .size:           4
        .value_kind:     hidden_dynamic_lds_size
    .group_segment_fixed_size: 0
    .kernarg_segment_align: 8
    .kernarg_segment_size: 360
    .language:       OpenCL C
    .language_version:
      - 2
      - 0
    .max_flat_workgroup_size: 1024
    .name:           _ZL39rocblas_trsm_block_forward_substitutionIffPKPKfPKPfLb0ELb1ELb1EEv18rocblas_operation_llT0_T1_lllT2_lllib
    .private_segment_fixed_size: 0
    .sgpr_count:     26
    .sgpr_spill_count: 0
    .symbol:         _ZL39rocblas_trsm_block_forward_substitutionIffPKPKfPKPfLb0ELb1ELb1EEv18rocblas_operation_llT0_T1_lllT2_lllib.kd
    .uniform_work_group_size: 1
    .uses_dynamic_stack: false
    .vgpr_count:     10
    .vgpr_spill_count: 0
    .wavefront_size: 32
    .workgroup_processor_mode: 1
  - .args:
      - .offset:         0
        .size:           4
        .value_kind:     by_value
      - .offset:         8
        .size:           8
        .value_kind:     by_value
      - .offset:         16
        .size:           8
        .value_kind:     by_value
      - .offset:         24
        .size:           4
        .value_kind:     by_value
      - .address_space:  global
        .offset:         32
        .size:           8
        .value_kind:     global_buffer
      - .offset:         40
        .size:           8
        .value_kind:     by_value
      - .offset:         48
        .size:           8
        .value_kind:     by_value
      - .offset:         56
        .size:           8
        .value_kind:     by_value
      - .address_space:  global
        .offset:         64
        .size:           8
        .value_kind:     global_buffer
      - .offset:         72
        .size:           8
        .value_kind:     by_value
      - .offset:         80
        .size:           8
        .value_kind:     by_value
      - .offset:         88
        .size:           8
        .value_kind:     by_value
      - .offset:         96
        .size:           4
        .value_kind:     by_value
      - .offset:         100
        .size:           1
        .value_kind:     by_value
      - .offset:         104
        .size:           4
        .value_kind:     hidden_block_count_x
      - .offset:         108
        .size:           4
        .value_kind:     hidden_block_count_y
      - .offset:         112
        .size:           4
        .value_kind:     hidden_block_count_z
      - .offset:         116
        .size:           2
        .value_kind:     hidden_group_size_x
      - .offset:         118
        .size:           2
        .value_kind:     hidden_group_size_y
      - .offset:         120
        .size:           2
        .value_kind:     hidden_group_size_z
      - .offset:         122
        .size:           2
        .value_kind:     hidden_remainder_x
      - .offset:         124
        .size:           2
        .value_kind:     hidden_remainder_y
      - .offset:         126
        .size:           2
        .value_kind:     hidden_remainder_z
      - .offset:         144
        .size:           8
        .value_kind:     hidden_global_offset_x
      - .offset:         152
        .size:           8
        .value_kind:     hidden_global_offset_y
      - .offset:         160
        .size:           8
        .value_kind:     hidden_global_offset_z
      - .offset:         168
        .size:           2
        .value_kind:     hidden_grid_dims
      - .offset:         224
        .size:           4
        .value_kind:     hidden_dynamic_lds_size
    .group_segment_fixed_size: 0
    .kernarg_segment_align: 8
    .kernarg_segment_size: 360
    .language:       OpenCL C
    .language_version:
      - 2
      - 0
    .max_flat_workgroup_size: 1024
    .name:           _ZL40rocblas_trsm_block_backward_substitutionIffPKPKfPKPfLb0ELb1ELb1EEv18rocblas_operation_llT0_T1_lllT2_lllib
    .private_segment_fixed_size: 0
    .sgpr_count:     28
    .sgpr_spill_count: 0
    .symbol:         _ZL40rocblas_trsm_block_backward_substitutionIffPKPKfPKPfLb0ELb1ELb1EEv18rocblas_operation_llT0_T1_lllT2_lllib.kd
    .uniform_work_group_size: 1
    .uses_dynamic_stack: false
    .vgpr_count:     10
    .vgpr_spill_count: 0
    .wavefront_size: 32
    .workgroup_processor_mode: 1
  - .args:
      - .offset:         0
        .size:           4
        .value_kind:     by_value
      - .offset:         8
        .size:           8
        .value_kind:     by_value
      - .offset:         16
        .size:           8
        .value_kind:     by_value
      - .offset:         24
        .size:           4
        .value_kind:     by_value
      - .address_space:  global
        .offset:         32
        .size:           8
        .value_kind:     global_buffer
      - .offset:         40
        .size:           8
        .value_kind:     by_value
      - .offset:         48
        .size:           8
        .value_kind:     by_value
      - .offset:         56
        .size:           8
        .value_kind:     by_value
      - .address_space:  global
        .offset:         64
        .size:           8
        .value_kind:     global_buffer
      - .offset:         72
        .size:           8
        .value_kind:     by_value
      - .offset:         80
        .size:           8
        .value_kind:     by_value
      - .offset:         88
        .size:           8
        .value_kind:     by_value
      - .offset:         96
        .size:           4
        .value_kind:     by_value
      - .offset:         100
        .size:           1
        .value_kind:     by_value
      - .offset:         104
        .size:           4
        .value_kind:     hidden_block_count_x
      - .offset:         108
        .size:           4
        .value_kind:     hidden_block_count_y
      - .offset:         112
        .size:           4
        .value_kind:     hidden_block_count_z
      - .offset:         116
        .size:           2
        .value_kind:     hidden_group_size_x
      - .offset:         118
        .size:           2
        .value_kind:     hidden_group_size_y
      - .offset:         120
        .size:           2
        .value_kind:     hidden_group_size_z
      - .offset:         122
        .size:           2
        .value_kind:     hidden_remainder_x
      - .offset:         124
        .size:           2
        .value_kind:     hidden_remainder_y
      - .offset:         126
        .size:           2
        .value_kind:     hidden_remainder_z
      - .offset:         144
        .size:           8
        .value_kind:     hidden_global_offset_x
      - .offset:         152
        .size:           8
        .value_kind:     hidden_global_offset_y
      - .offset:         160
        .size:           8
        .value_kind:     hidden_global_offset_z
      - .offset:         168
        .size:           2
        .value_kind:     hidden_grid_dims
      - .offset:         224
        .size:           4
        .value_kind:     hidden_dynamic_lds_size
    .group_segment_fixed_size: 0
    .kernarg_segment_align: 8
    .kernarg_segment_size: 360
    .language:       OpenCL C
    .language_version:
      - 2
      - 0
    .max_flat_workgroup_size: 1024
    .name:           _ZL39rocblas_trsm_block_forward_substitutionIffPKPKfPKPfLb1ELb1ELb0EEv18rocblas_operation_llT0_T1_lllT2_lllib
    .private_segment_fixed_size: 0
    .sgpr_count:     30
    .sgpr_spill_count: 0
    .symbol:         _ZL39rocblas_trsm_block_forward_substitutionIffPKPKfPKPfLb1ELb1ELb0EEv18rocblas_operation_llT0_T1_lllT2_lllib.kd
    .uniform_work_group_size: 1
    .uses_dynamic_stack: false
    .vgpr_count:     16
    .vgpr_spill_count: 0
    .wavefront_size: 32
    .workgroup_processor_mode: 1
  - .args:
      - .offset:         0
        .size:           4
        .value_kind:     by_value
      - .offset:         8
        .size:           8
        .value_kind:     by_value
      - .offset:         16
        .size:           8
        .value_kind:     by_value
      - .offset:         24
        .size:           4
        .value_kind:     by_value
      - .address_space:  global
        .offset:         32
        .size:           8
        .value_kind:     global_buffer
      - .offset:         40
        .size:           8
        .value_kind:     by_value
      - .offset:         48
        .size:           8
        .value_kind:     by_value
      - .offset:         56
        .size:           8
        .value_kind:     by_value
      - .address_space:  global
        .offset:         64
        .size:           8
        .value_kind:     global_buffer
      - .offset:         72
        .size:           8
        .value_kind:     by_value
      - .offset:         80
        .size:           8
        .value_kind:     by_value
      - .offset:         88
        .size:           8
        .value_kind:     by_value
      - .offset:         96
        .size:           4
        .value_kind:     by_value
      - .offset:         100
        .size:           1
        .value_kind:     by_value
      - .offset:         104
        .size:           4
        .value_kind:     hidden_block_count_x
      - .offset:         108
        .size:           4
        .value_kind:     hidden_block_count_y
      - .offset:         112
        .size:           4
        .value_kind:     hidden_block_count_z
      - .offset:         116
        .size:           2
        .value_kind:     hidden_group_size_x
      - .offset:         118
        .size:           2
        .value_kind:     hidden_group_size_y
      - .offset:         120
        .size:           2
        .value_kind:     hidden_group_size_z
      - .offset:         122
        .size:           2
        .value_kind:     hidden_remainder_x
      - .offset:         124
        .size:           2
        .value_kind:     hidden_remainder_y
      - .offset:         126
        .size:           2
        .value_kind:     hidden_remainder_z
      - .offset:         144
        .size:           8
        .value_kind:     hidden_global_offset_x
      - .offset:         152
        .size:           8
        .value_kind:     hidden_global_offset_y
      - .offset:         160
        .size:           8
        .value_kind:     hidden_global_offset_z
      - .offset:         168
        .size:           2
        .value_kind:     hidden_grid_dims
      - .offset:         224
        .size:           4
        .value_kind:     hidden_dynamic_lds_size
    .group_segment_fixed_size: 0
    .kernarg_segment_align: 8
    .kernarg_segment_size: 360
    .language:       OpenCL C
    .language_version:
      - 2
      - 0
    .max_flat_workgroup_size: 1024
    .name:           _ZL40rocblas_trsm_block_backward_substitutionIffPKPKfPKPfLb1ELb1ELb0EEv18rocblas_operation_llT0_T1_lllT2_lllib
    .private_segment_fixed_size: 0
    .sgpr_count:     31
    .sgpr_spill_count: 0
    .symbol:         _ZL40rocblas_trsm_block_backward_substitutionIffPKPKfPKPfLb1ELb1ELb0EEv18rocblas_operation_llT0_T1_lllT2_lllib.kd
    .uniform_work_group_size: 1
    .uses_dynamic_stack: false
    .vgpr_count:     16
    .vgpr_spill_count: 0
    .wavefront_size: 32
    .workgroup_processor_mode: 1
  - .args:
      - .offset:         0
        .size:           4
        .value_kind:     by_value
      - .offset:         8
        .size:           8
        .value_kind:     by_value
      - .offset:         16
        .size:           8
        .value_kind:     by_value
      - .offset:         24
        .size:           4
        .value_kind:     by_value
      - .address_space:  global
        .offset:         32
        .size:           8
        .value_kind:     global_buffer
      - .offset:         40
        .size:           8
        .value_kind:     by_value
      - .offset:         48
        .size:           8
        .value_kind:     by_value
      - .offset:         56
        .size:           8
        .value_kind:     by_value
      - .address_space:  global
        .offset:         64
        .size:           8
        .value_kind:     global_buffer
      - .offset:         72
        .size:           8
        .value_kind:     by_value
      - .offset:         80
        .size:           8
        .value_kind:     by_value
      - .offset:         88
        .size:           8
        .value_kind:     by_value
      - .offset:         96
        .size:           4
        .value_kind:     by_value
      - .offset:         100
        .size:           1
        .value_kind:     by_value
      - .offset:         104
        .size:           4
        .value_kind:     hidden_block_count_x
      - .offset:         108
        .size:           4
        .value_kind:     hidden_block_count_y
      - .offset:         112
        .size:           4
        .value_kind:     hidden_block_count_z
      - .offset:         116
        .size:           2
        .value_kind:     hidden_group_size_x
      - .offset:         118
        .size:           2
        .value_kind:     hidden_group_size_y
      - .offset:         120
        .size:           2
        .value_kind:     hidden_group_size_z
      - .offset:         122
        .size:           2
        .value_kind:     hidden_remainder_x
      - .offset:         124
        .size:           2
        .value_kind:     hidden_remainder_y
      - .offset:         126
        .size:           2
        .value_kind:     hidden_remainder_z
      - .offset:         144
        .size:           8
        .value_kind:     hidden_global_offset_x
      - .offset:         152
        .size:           8
        .value_kind:     hidden_global_offset_y
      - .offset:         160
        .size:           8
        .value_kind:     hidden_global_offset_z
      - .offset:         168
        .size:           2
        .value_kind:     hidden_grid_dims
      - .offset:         224
        .size:           4
        .value_kind:     hidden_dynamic_lds_size
    .group_segment_fixed_size: 0
    .kernarg_segment_align: 8
    .kernarg_segment_size: 360
    .language:       OpenCL C
    .language_version:
      - 2
      - 0
    .max_flat_workgroup_size: 1024
    .name:           _ZL39rocblas_trsm_block_forward_substitutionIffPKPKfPKPfLb1ELb1ELb1EEv18rocblas_operation_llT0_T1_lllT2_lllib
    .private_segment_fixed_size: 0
    .sgpr_count:     28
    .sgpr_spill_count: 0
    .symbol:         _ZL39rocblas_trsm_block_forward_substitutionIffPKPKfPKPfLb1ELb1ELb1EEv18rocblas_operation_llT0_T1_lllT2_lllib.kd
    .uniform_work_group_size: 1
    .uses_dynamic_stack: false
    .vgpr_count:     10
    .vgpr_spill_count: 0
    .wavefront_size: 32
    .workgroup_processor_mode: 1
  - .args:
      - .offset:         0
        .size:           4
        .value_kind:     by_value
      - .offset:         8
        .size:           8
        .value_kind:     by_value
      - .offset:         16
        .size:           8
        .value_kind:     by_value
      - .offset:         24
        .size:           4
        .value_kind:     by_value
      - .address_space:  global
        .offset:         32
        .size:           8
        .value_kind:     global_buffer
      - .offset:         40
        .size:           8
        .value_kind:     by_value
      - .offset:         48
        .size:           8
        .value_kind:     by_value
      - .offset:         56
        .size:           8
        .value_kind:     by_value
      - .address_space:  global
        .offset:         64
        .size:           8
        .value_kind:     global_buffer
      - .offset:         72
        .size:           8
        .value_kind:     by_value
      - .offset:         80
        .size:           8
        .value_kind:     by_value
      - .offset:         88
        .size:           8
        .value_kind:     by_value
      - .offset:         96
        .size:           4
        .value_kind:     by_value
      - .offset:         100
        .size:           1
        .value_kind:     by_value
      - .offset:         104
        .size:           4
        .value_kind:     hidden_block_count_x
      - .offset:         108
        .size:           4
        .value_kind:     hidden_block_count_y
      - .offset:         112
        .size:           4
        .value_kind:     hidden_block_count_z
      - .offset:         116
        .size:           2
        .value_kind:     hidden_group_size_x
      - .offset:         118
        .size:           2
        .value_kind:     hidden_group_size_y
      - .offset:         120
        .size:           2
        .value_kind:     hidden_group_size_z
      - .offset:         122
        .size:           2
        .value_kind:     hidden_remainder_x
      - .offset:         124
        .size:           2
        .value_kind:     hidden_remainder_y
      - .offset:         126
        .size:           2
        .value_kind:     hidden_remainder_z
      - .offset:         144
        .size:           8
        .value_kind:     hidden_global_offset_x
      - .offset:         152
        .size:           8
        .value_kind:     hidden_global_offset_y
      - .offset:         160
        .size:           8
        .value_kind:     hidden_global_offset_z
      - .offset:         168
        .size:           2
        .value_kind:     hidden_grid_dims
      - .offset:         224
        .size:           4
        .value_kind:     hidden_dynamic_lds_size
    .group_segment_fixed_size: 0
    .kernarg_segment_align: 8
    .kernarg_segment_size: 360
    .language:       OpenCL C
    .language_version:
      - 2
      - 0
    .max_flat_workgroup_size: 1024
    .name:           _ZL40rocblas_trsm_block_backward_substitutionIffPKPKfPKPfLb1ELb1ELb1EEv18rocblas_operation_llT0_T1_lllT2_lllib
    .private_segment_fixed_size: 0
    .sgpr_count:     26
    .sgpr_spill_count: 0
    .symbol:         _ZL40rocblas_trsm_block_backward_substitutionIffPKPKfPKPfLb1ELb1ELb1EEv18rocblas_operation_llT0_T1_lllT2_lllib.kd
    .uniform_work_group_size: 1
    .uses_dynamic_stack: false
    .vgpr_count:     10
    .vgpr_spill_count: 0
    .wavefront_size: 32
    .workgroup_processor_mode: 1
  - .args:
      - .offset:         0
        .size:           4
        .value_kind:     by_value
      - .offset:         8
        .size:           8
        .value_kind:     by_value
      - .offset:         16
        .size:           8
        .value_kind:     by_value
      - .offset:         24
        .size:           4
        .value_kind:     by_value
      - .address_space:  global
        .offset:         32
        .size:           8
        .value_kind:     global_buffer
      - .offset:         40
        .size:           8
        .value_kind:     by_value
      - .offset:         48
        .size:           8
        .value_kind:     by_value
      - .offset:         56
        .size:           8
        .value_kind:     by_value
      - .address_space:  global
        .offset:         64
        .size:           8
        .value_kind:     global_buffer
      - .offset:         72
        .size:           8
        .value_kind:     by_value
      - .offset:         80
        .size:           8
        .value_kind:     by_value
      - .offset:         88
        .size:           8
        .value_kind:     by_value
      - .offset:         96
        .size:           4
        .value_kind:     by_value
      - .offset:         100
        .size:           1
        .value_kind:     by_value
      - .offset:         104
        .size:           4
        .value_kind:     hidden_block_count_x
      - .offset:         108
        .size:           4
        .value_kind:     hidden_block_count_y
      - .offset:         112
        .size:           4
        .value_kind:     hidden_block_count_z
      - .offset:         116
        .size:           2
        .value_kind:     hidden_group_size_x
      - .offset:         118
        .size:           2
        .value_kind:     hidden_group_size_y
      - .offset:         120
        .size:           2
        .value_kind:     hidden_group_size_z
      - .offset:         122
        .size:           2
        .value_kind:     hidden_remainder_x
      - .offset:         124
        .size:           2
        .value_kind:     hidden_remainder_y
      - .offset:         126
        .size:           2
        .value_kind:     hidden_remainder_z
      - .offset:         144
        .size:           8
        .value_kind:     hidden_global_offset_x
      - .offset:         152
        .size:           8
        .value_kind:     hidden_global_offset_y
      - .offset:         160
        .size:           8
        .value_kind:     hidden_global_offset_z
      - .offset:         168
        .size:           2
        .value_kind:     hidden_grid_dims
      - .offset:         224
        .size:           4
        .value_kind:     hidden_dynamic_lds_size
    .group_segment_fixed_size: 0
    .kernarg_segment_align: 8
    .kernarg_segment_size: 360
    .language:       OpenCL C
    .language_version:
      - 2
      - 0
    .max_flat_workgroup_size: 1024
    .name:           _ZL39rocblas_trsm_block_forward_substitutionIffPKPKfPKPfLb1ELb0ELb0EEv18rocblas_operation_llT0_T1_lllT2_lllib
    .private_segment_fixed_size: 0
    .sgpr_count:     30
    .sgpr_spill_count: 0
    .symbol:         _ZL39rocblas_trsm_block_forward_substitutionIffPKPKfPKPfLb1ELb0ELb0EEv18rocblas_operation_llT0_T1_lllT2_lllib.kd
    .uniform_work_group_size: 1
    .uses_dynamic_stack: false
    .vgpr_count:     16
    .vgpr_spill_count: 0
    .wavefront_size: 32
    .workgroup_processor_mode: 1
  - .args:
      - .offset:         0
        .size:           4
        .value_kind:     by_value
      - .offset:         8
        .size:           8
        .value_kind:     by_value
      - .offset:         16
        .size:           8
        .value_kind:     by_value
      - .offset:         24
        .size:           4
        .value_kind:     by_value
      - .address_space:  global
        .offset:         32
        .size:           8
        .value_kind:     global_buffer
      - .offset:         40
        .size:           8
        .value_kind:     by_value
      - .offset:         48
        .size:           8
        .value_kind:     by_value
      - .offset:         56
        .size:           8
        .value_kind:     by_value
      - .address_space:  global
        .offset:         64
        .size:           8
        .value_kind:     global_buffer
      - .offset:         72
        .size:           8
        .value_kind:     by_value
      - .offset:         80
        .size:           8
        .value_kind:     by_value
      - .offset:         88
        .size:           8
        .value_kind:     by_value
      - .offset:         96
        .size:           4
        .value_kind:     by_value
      - .offset:         100
        .size:           1
        .value_kind:     by_value
      - .offset:         104
        .size:           4
        .value_kind:     hidden_block_count_x
      - .offset:         108
        .size:           4
        .value_kind:     hidden_block_count_y
      - .offset:         112
        .size:           4
        .value_kind:     hidden_block_count_z
      - .offset:         116
        .size:           2
        .value_kind:     hidden_group_size_x
      - .offset:         118
        .size:           2
        .value_kind:     hidden_group_size_y
      - .offset:         120
        .size:           2
        .value_kind:     hidden_group_size_z
      - .offset:         122
        .size:           2
        .value_kind:     hidden_remainder_x
      - .offset:         124
        .size:           2
        .value_kind:     hidden_remainder_y
      - .offset:         126
        .size:           2
        .value_kind:     hidden_remainder_z
      - .offset:         144
        .size:           8
        .value_kind:     hidden_global_offset_x
      - .offset:         152
        .size:           8
        .value_kind:     hidden_global_offset_y
      - .offset:         160
        .size:           8
        .value_kind:     hidden_global_offset_z
      - .offset:         168
        .size:           2
        .value_kind:     hidden_grid_dims
      - .offset:         224
        .size:           4
        .value_kind:     hidden_dynamic_lds_size
    .group_segment_fixed_size: 0
    .kernarg_segment_align: 8
    .kernarg_segment_size: 360
    .language:       OpenCL C
    .language_version:
      - 2
      - 0
    .max_flat_workgroup_size: 1024
    .name:           _ZL40rocblas_trsm_block_backward_substitutionIffPKPKfPKPfLb1ELb0ELb0EEv18rocblas_operation_llT0_T1_lllT2_lllib
    .private_segment_fixed_size: 0
    .sgpr_count:     31
    .sgpr_spill_count: 0
    .symbol:         _ZL40rocblas_trsm_block_backward_substitutionIffPKPKfPKPfLb1ELb0ELb0EEv18rocblas_operation_llT0_T1_lllT2_lllib.kd
    .uniform_work_group_size: 1
    .uses_dynamic_stack: false
    .vgpr_count:     16
    .vgpr_spill_count: 0
    .wavefront_size: 32
    .workgroup_processor_mode: 1
  - .args:
      - .offset:         0
        .size:           4
        .value_kind:     by_value
      - .offset:         8
        .size:           8
        .value_kind:     by_value
      - .offset:         16
        .size:           8
        .value_kind:     by_value
      - .offset:         24
        .size:           4
        .value_kind:     by_value
      - .address_space:  global
        .offset:         32
        .size:           8
        .value_kind:     global_buffer
      - .offset:         40
        .size:           8
        .value_kind:     by_value
      - .offset:         48
        .size:           8
        .value_kind:     by_value
      - .offset:         56
        .size:           8
        .value_kind:     by_value
      - .address_space:  global
        .offset:         64
        .size:           8
        .value_kind:     global_buffer
      - .offset:         72
        .size:           8
        .value_kind:     by_value
      - .offset:         80
        .size:           8
        .value_kind:     by_value
      - .offset:         88
        .size:           8
        .value_kind:     by_value
      - .offset:         96
        .size:           4
        .value_kind:     by_value
      - .offset:         100
        .size:           1
        .value_kind:     by_value
      - .offset:         104
        .size:           4
        .value_kind:     hidden_block_count_x
      - .offset:         108
        .size:           4
        .value_kind:     hidden_block_count_y
      - .offset:         112
        .size:           4
        .value_kind:     hidden_block_count_z
      - .offset:         116
        .size:           2
        .value_kind:     hidden_group_size_x
      - .offset:         118
        .size:           2
        .value_kind:     hidden_group_size_y
      - .offset:         120
        .size:           2
        .value_kind:     hidden_group_size_z
      - .offset:         122
        .size:           2
        .value_kind:     hidden_remainder_x
      - .offset:         124
        .size:           2
        .value_kind:     hidden_remainder_y
      - .offset:         126
        .size:           2
        .value_kind:     hidden_remainder_z
      - .offset:         144
        .size:           8
        .value_kind:     hidden_global_offset_x
      - .offset:         152
        .size:           8
        .value_kind:     hidden_global_offset_y
      - .offset:         160
        .size:           8
        .value_kind:     hidden_global_offset_z
      - .offset:         168
        .size:           2
        .value_kind:     hidden_grid_dims
      - .offset:         224
        .size:           4
        .value_kind:     hidden_dynamic_lds_size
    .group_segment_fixed_size: 0
    .kernarg_segment_align: 8
    .kernarg_segment_size: 360
    .language:       OpenCL C
    .language_version:
      - 2
      - 0
    .max_flat_workgroup_size: 1024
    .name:           _ZL39rocblas_trsm_block_forward_substitutionIffPKPKfPKPfLb1ELb0ELb1EEv18rocblas_operation_llT0_T1_lllT2_lllib
    .private_segment_fixed_size: 0
    .sgpr_count:     28
    .sgpr_spill_count: 0
    .symbol:         _ZL39rocblas_trsm_block_forward_substitutionIffPKPKfPKPfLb1ELb0ELb1EEv18rocblas_operation_llT0_T1_lllT2_lllib.kd
    .uniform_work_group_size: 1
    .uses_dynamic_stack: false
    .vgpr_count:     10
    .vgpr_spill_count: 0
    .wavefront_size: 32
    .workgroup_processor_mode: 1
  - .args:
      - .offset:         0
        .size:           4
        .value_kind:     by_value
      - .offset:         8
        .size:           8
        .value_kind:     by_value
      - .offset:         16
        .size:           8
        .value_kind:     by_value
      - .offset:         24
        .size:           4
        .value_kind:     by_value
      - .address_space:  global
        .offset:         32
        .size:           8
        .value_kind:     global_buffer
      - .offset:         40
        .size:           8
        .value_kind:     by_value
      - .offset:         48
        .size:           8
        .value_kind:     by_value
      - .offset:         56
        .size:           8
        .value_kind:     by_value
      - .address_space:  global
        .offset:         64
        .size:           8
        .value_kind:     global_buffer
      - .offset:         72
        .size:           8
        .value_kind:     by_value
      - .offset:         80
        .size:           8
        .value_kind:     by_value
      - .offset:         88
        .size:           8
        .value_kind:     by_value
      - .offset:         96
        .size:           4
        .value_kind:     by_value
      - .offset:         100
        .size:           1
        .value_kind:     by_value
      - .offset:         104
        .size:           4
        .value_kind:     hidden_block_count_x
      - .offset:         108
        .size:           4
        .value_kind:     hidden_block_count_y
      - .offset:         112
        .size:           4
        .value_kind:     hidden_block_count_z
      - .offset:         116
        .size:           2
        .value_kind:     hidden_group_size_x
      - .offset:         118
        .size:           2
        .value_kind:     hidden_group_size_y
      - .offset:         120
        .size:           2
        .value_kind:     hidden_group_size_z
      - .offset:         122
        .size:           2
        .value_kind:     hidden_remainder_x
      - .offset:         124
        .size:           2
        .value_kind:     hidden_remainder_y
      - .offset:         126
        .size:           2
        .value_kind:     hidden_remainder_z
      - .offset:         144
        .size:           8
        .value_kind:     hidden_global_offset_x
      - .offset:         152
        .size:           8
        .value_kind:     hidden_global_offset_y
      - .offset:         160
        .size:           8
        .value_kind:     hidden_global_offset_z
      - .offset:         168
        .size:           2
        .value_kind:     hidden_grid_dims
      - .offset:         224
        .size:           4
        .value_kind:     hidden_dynamic_lds_size
    .group_segment_fixed_size: 0
    .kernarg_segment_align: 8
    .kernarg_segment_size: 360
    .language:       OpenCL C
    .language_version:
      - 2
      - 0
    .max_flat_workgroup_size: 1024
    .name:           _ZL40rocblas_trsm_block_backward_substitutionIffPKPKfPKPfLb1ELb0ELb1EEv18rocblas_operation_llT0_T1_lllT2_lllib
    .private_segment_fixed_size: 0
    .sgpr_count:     26
    .sgpr_spill_count: 0
    .symbol:         _ZL40rocblas_trsm_block_backward_substitutionIffPKPKfPKPfLb1ELb0ELb1EEv18rocblas_operation_llT0_T1_lllT2_lllib.kd
    .uniform_work_group_size: 1
    .uses_dynamic_stack: false
    .vgpr_count:     10
    .vgpr_spill_count: 0
    .wavefront_size: 32
    .workgroup_processor_mode: 1
  - .args:
      - .address_space:  global
        .offset:         0
        .size:           8
        .value_kind:     global_buffer
      - .offset:         8
        .size:           8
        .value_kind:     by_value
      - .address_space:  global
        .offset:         16
        .size:           8
        .value_kind:     global_buffer
    .group_segment_fixed_size: 0
    .kernarg_segment_align: 8
    .kernarg_segment_size: 24
    .language:       OpenCL C
    .language_version:
      - 2
      - 0
    .max_flat_workgroup_size: 128
    .name:           _ZL26setup_batched_array_kernelILi128EfEvPT0_lPS1_
    .private_segment_fixed_size: 0
    .sgpr_count:     16
    .sgpr_spill_count: 0
    .symbol:         _ZL26setup_batched_array_kernelILi128EfEvPT0_lPS1_.kd
    .uniform_work_group_size: 1
    .uses_dynamic_stack: false
    .vgpr_count:     3
    .vgpr_spill_count: 0
    .wavefront_size: 32
    .workgroup_processor_mode: 1
  - .args:
      - .offset:         0
        .size:           4
        .value_kind:     by_value
      - .offset:         4
        .size:           4
        .value_kind:     by_value
      - .address_space:  global
        .offset:         8
        .size:           8
        .value_kind:     global_buffer
      - .offset:         16
        .size:           8
        .value_kind:     by_value
      - .offset:         24
        .size:           4
        .value_kind:     by_value
      - .offset:         32
        .size:           8
        .value_kind:     by_value
      - .address_space:  global
        .offset:         40
        .size:           8
        .value_kind:     global_buffer
      - .offset:         48
        .size:           8
        .value_kind:     by_value
      - .offset:         56
        .size:           8
        .value_kind:     by_value
      - .offset:         64
        .size:           4
        .value_kind:     by_value
    .group_segment_fixed_size: 4096
    .kernarg_segment_align: 8
    .kernarg_segment_size: 68
    .language:       OpenCL C
    .language_version:
      - 2
      - 0
    .max_flat_workgroup_size: 256
    .name:           _ZL25rocblas_trtri_trsm_kernelILi128ELi16ELi8EfPKPKfPKPfEv13rocblas_fill_17rocblas_diagonal_T3_lilT4_lli
    .private_segment_fixed_size: 0
    .sgpr_count:     26
    .sgpr_spill_count: 0
    .symbol:         _ZL25rocblas_trtri_trsm_kernelILi128ELi16ELi8EfPKPKfPKPfEv13rocblas_fill_17rocblas_diagonal_T3_lilT4_lli.kd
    .uniform_work_group_size: 1
    .uses_dynamic_stack: false
    .vgpr_count:     27
    .vgpr_spill_count: 0
    .wavefront_size: 32
    .workgroup_processor_mode: 1
  - .args:
      - .address_space:  global
        .offset:         0
        .size:           8
        .value_kind:     global_buffer
      - .offset:         8
        .size:           4
        .value_kind:     by_value
      - .offset:         12
        .size:           4
        .value_kind:     by_value
      - .offset:         16
        .size:           8
        .value_kind:     by_value
      - .offset:         24
        .size:           4
        .value_kind:     by_value
      - .offset:         32
        .size:           8
        .value_kind:     by_value
      - .address_space:  global
        .offset:         40
        .size:           8
        .value_kind:     global_buffer
      - .offset:         48
        .size:           8
        .value_kind:     by_value
      - .offset:         56
        .size:           8
        .value_kind:     by_value
      - .offset:         64
        .size:           4
        .value_kind:     by_value
      - .offset:         68
        .size:           4
        .value_kind:     by_value
      - .offset:         72
        .size:           4
        .value_kind:     hidden_block_count_x
      - .offset:         76
        .size:           4
        .value_kind:     hidden_block_count_y
      - .offset:         80
        .size:           4
        .value_kind:     hidden_block_count_z
      - .offset:         84
        .size:           2
        .value_kind:     hidden_group_size_x
      - .offset:         86
        .size:           2
        .value_kind:     hidden_group_size_y
      - .offset:         88
        .size:           2
        .value_kind:     hidden_group_size_z
      - .offset:         90
        .size:           2
        .value_kind:     hidden_remainder_x
      - .offset:         92
        .size:           2
        .value_kind:     hidden_remainder_y
      - .offset:         94
        .size:           2
        .value_kind:     hidden_remainder_z
      - .offset:         112
        .size:           8
        .value_kind:     hidden_global_offset_x
      - .offset:         120
        .size:           8
        .value_kind:     hidden_global_offset_y
      - .offset:         128
        .size:           8
        .value_kind:     hidden_global_offset_z
      - .offset:         136
        .size:           2
        .value_kind:     hidden_grid_dims
    .group_segment_fixed_size: 0
    .kernarg_segment_align: 8
    .kernarg_segment_size: 328
    .language:       OpenCL C
    .language_version:
      - 2
      - 0
    .max_flat_workgroup_size: 128
    .name:           _ZL18rocblas_trtri_fillILi128EfPKPfEvP15_rocblas_handle13rocblas_fill_ililT1_llii
    .private_segment_fixed_size: 0
    .sgpr_count:     25
    .sgpr_spill_count: 0
    .symbol:         _ZL18rocblas_trtri_fillILi128EfPKPfEvP15_rocblas_handle13rocblas_fill_ililT1_llii.kd
    .uniform_work_group_size: 1
    .uses_dynamic_stack: false
    .vgpr_count:     26
    .vgpr_spill_count: 0
    .wavefront_size: 32
    .workgroup_processor_mode: 1
  - .args:
      - .offset:         0
        .size:           4
        .value_kind:     by_value
      - .offset:         4
        .size:           4
        .value_kind:     by_value
      - .offset:         8
        .size:           4
        .value_kind:     by_value
      - .address_space:  global
        .offset:         16
        .size:           8
        .value_kind:     global_buffer
      - .offset:         24
        .size:           4
        .value_kind:     by_value
      - .offset:         32
        .size:           8
        .value_kind:     by_value
      - .address_space:  global
        .offset:         40
        .size:           8
        .value_kind:     global_buffer
      - .offset:         48
        .size:           4
        .value_kind:     by_value
      - .offset:         56
        .size:           8
        .value_kind:     by_value
      - .offset:         64
        .size:           8
        .value_kind:     by_value
      - .offset:         72
        .size:           8
        .value_kind:     by_value
      - .offset:         80
        .size:           4
        .value_kind:     by_value
      - .offset:         88
        .size:           4
        .value_kind:     hidden_block_count_x
      - .offset:         92
        .size:           4
        .value_kind:     hidden_block_count_y
      - .offset:         96
        .size:           4
        .value_kind:     hidden_block_count_z
      - .offset:         100
        .size:           2
        .value_kind:     hidden_group_size_x
      - .offset:         102
        .size:           2
        .value_kind:     hidden_group_size_y
      - .offset:         104
        .size:           2
        .value_kind:     hidden_group_size_z
      - .offset:         106
        .size:           2
        .value_kind:     hidden_remainder_x
      - .offset:         108
        .size:           2
        .value_kind:     hidden_remainder_y
      - .offset:         110
        .size:           2
        .value_kind:     hidden_remainder_z
      - .offset:         128
        .size:           8
        .value_kind:     hidden_global_offset_x
      - .offset:         136
        .size:           8
        .value_kind:     hidden_global_offset_y
      - .offset:         144
        .size:           8
        .value_kind:     hidden_global_offset_z
      - .offset:         152
        .size:           2
        .value_kind:     hidden_grid_dims
    .group_segment_fixed_size: 0
    .kernarg_segment_align: 8
    .kernarg_segment_size: 344
    .language:       OpenCL C
    .language_version:
      - 2
      - 0
    .max_flat_workgroup_size: 1024
    .name:           _ZL24rocblas_copy_matrix_trsmILi128ELi8EfPKPKfPKPfEviiiT2_ilT3_illli
    .private_segment_fixed_size: 0
    .sgpr_count:     21
    .sgpr_spill_count: 0
    .symbol:         _ZL24rocblas_copy_matrix_trsmILi128ELi8EfPKPKfPKPfEviiiT2_ilT3_illli.kd
    .uniform_work_group_size: 1
    .uses_dynamic_stack: false
    .vgpr_count:     11
    .vgpr_spill_count: 0
    .wavefront_size: 32
    .workgroup_processor_mode: 1
  - .args:
      - .offset:         0
        .size:           8
        .value_kind:     by_value
      - .offset:         8
        .size:           8
        .value_kind:     by_value
      - .offset:         16
        .size:           4
        .value_kind:     by_value
      - .address_space:  global
        .offset:         24
        .size:           8
        .value_kind:     global_buffer
      - .offset:         32
        .size:           8
        .value_kind:     by_value
      - .offset:         40
        .size:           8
        .value_kind:     by_value
      - .offset:         48
        .size:           8
        .value_kind:     by_value
      - .offset:         56
        .size:           8
        .value_kind:     by_value
      - .offset:         64
        .size:           4
        .value_kind:     by_value
    .group_segment_fixed_size: 0
    .kernarg_segment_align: 8
    .kernarg_segment_size: 68
    .language:       OpenCL C
    .language_version:
      - 2
      - 0
    .max_flat_workgroup_size: 1024
    .name:           _ZL23rocblas_set_matrix_trsmILi128ELi8EdPKPdEvlliT2_llT1_li
    .private_segment_fixed_size: 0
    .sgpr_count:     18
    .sgpr_spill_count: 0
    .symbol:         _ZL23rocblas_set_matrix_trsmILi128ELi8EdPKPdEvlliT2_llT1_li.kd
    .uniform_work_group_size: 1
    .uses_dynamic_stack: false
    .vgpr_count:     7
    .vgpr_spill_count: 0
    .wavefront_size: 32
    .workgroup_processor_mode: 1
  - .args:
      - .offset:         0
        .size:           4
        .value_kind:     by_value
      - .offset:         4
        .size:           4
        .value_kind:     by_value
      - .offset:         8
        .size:           4
        .value_kind:     by_value
      - .offset:         12
        .size:           4
        .value_kind:     by_value
      - .offset:         16
        .size:           4
        .value_kind:     by_value
      - .offset:         24
        .size:           8
        .value_kind:     by_value
      - .address_space:  global
        .offset:         32
        .size:           8
        .value_kind:     global_buffer
      - .offset:         40
        .size:           8
        .value_kind:     by_value
      - .offset:         48
        .size:           4
        .value_kind:     by_value
      - .offset:         56
        .size:           8
        .value_kind:     by_value
      - .address_space:  global
        .offset:         64
        .size:           8
        .value_kind:     global_buffer
      - .offset:         72
        .size:           8
        .value_kind:     by_value
      - .offset:         80
        .size:           4
        .value_kind:     by_value
      - .offset:         88
        .size:           8
        .value_kind:     by_value
      - .offset:         96
        .size:           4
        .value_kind:     by_value
      - .offset:         104
        .size:           4
        .value_kind:     hidden_block_count_x
      - .offset:         108
        .size:           4
        .value_kind:     hidden_block_count_y
      - .offset:         112
        .size:           4
        .value_kind:     hidden_block_count_z
      - .offset:         116
        .size:           2
        .value_kind:     hidden_group_size_x
      - .offset:         118
        .size:           2
        .value_kind:     hidden_group_size_y
      - .offset:         120
        .size:           2
        .value_kind:     hidden_group_size_z
      - .offset:         122
        .size:           2
        .value_kind:     hidden_remainder_x
      - .offset:         124
        .size:           2
        .value_kind:     hidden_remainder_y
      - .offset:         126
        .size:           2
        .value_kind:     hidden_remainder_z
      - .offset:         144
        .size:           8
        .value_kind:     hidden_global_offset_x
      - .offset:         152
        .size:           8
        .value_kind:     hidden_global_offset_y
      - .offset:         160
        .size:           8
        .value_kind:     hidden_global_offset_z
      - .offset:         168
        .size:           2
        .value_kind:     hidden_grid_dims
    .group_segment_fixed_size: 256
    .kernarg_segment_align: 8
    .kernarg_segment_size: 360
    .language:       OpenCL C
    .language_version:
      - 2
      - 0
    .max_flat_workgroup_size: 4
    .name:           _ZL38rocblas_trsm_small_left_device_sharedBILi4ELi4ELb0EddPKPKdPKPdEv13rocblas_fill_18rocblas_operation_17rocblas_diagonal_iiT3_T4_lilT5_lili
    .private_segment_fixed_size: 0
    .sgpr_count:     34
    .sgpr_spill_count: 0
    .symbol:         _ZL38rocblas_trsm_small_left_device_sharedBILi4ELi4ELb0EddPKPKdPKPdEv13rocblas_fill_18rocblas_operation_17rocblas_diagonal_iiT3_T4_lilT5_lili.kd
    .uniform_work_group_size: 1
    .uses_dynamic_stack: false
    .vgpr_count:     24
    .vgpr_spill_count: 0
    .wavefront_size: 32
    .workgroup_processor_mode: 1
  - .args:
      - .offset:         0
        .size:           4
        .value_kind:     by_value
      - .offset:         4
        .size:           4
        .value_kind:     by_value
      - .offset:         8
        .size:           4
        .value_kind:     by_value
      - .offset:         12
        .size:           4
        .value_kind:     by_value
      - .offset:         16
        .size:           4
        .value_kind:     by_value
      - .offset:         24
        .size:           8
        .value_kind:     by_value
      - .address_space:  global
        .offset:         32
        .size:           8
        .value_kind:     global_buffer
      - .offset:         40
        .size:           8
        .value_kind:     by_value
      - .offset:         48
        .size:           4
        .value_kind:     by_value
      - .offset:         56
        .size:           8
        .value_kind:     by_value
      - .address_space:  global
        .offset:         64
        .size:           8
        .value_kind:     global_buffer
      - .offset:         72
        .size:           8
        .value_kind:     by_value
      - .offset:         80
        .size:           4
        .value_kind:     by_value
      - .offset:         88
        .size:           8
        .value_kind:     by_value
      - .offset:         96
        .size:           4
        .value_kind:     by_value
      - .offset:         104
        .size:           4
        .value_kind:     hidden_block_count_x
      - .offset:         108
        .size:           4
        .value_kind:     hidden_block_count_y
      - .offset:         112
        .size:           4
        .value_kind:     hidden_block_count_z
      - .offset:         116
        .size:           2
        .value_kind:     hidden_group_size_x
      - .offset:         118
        .size:           2
        .value_kind:     hidden_group_size_y
      - .offset:         120
        .size:           2
        .value_kind:     hidden_group_size_z
      - .offset:         122
        .size:           2
        .value_kind:     hidden_remainder_x
      - .offset:         124
        .size:           2
        .value_kind:     hidden_remainder_y
      - .offset:         126
        .size:           2
        .value_kind:     hidden_remainder_z
      - .offset:         144
        .size:           8
        .value_kind:     hidden_global_offset_x
      - .offset:         152
        .size:           8
        .value_kind:     hidden_global_offset_y
      - .offset:         160
        .size:           8
        .value_kind:     hidden_global_offset_z
      - .offset:         168
        .size:           2
        .value_kind:     hidden_grid_dims
    .group_segment_fixed_size: 128
    .kernarg_segment_align: 8
    .kernarg_segment_size: 360
    .language:       OpenCL C
    .language_version:
      - 2
      - 0
    .max_flat_workgroup_size: 4
    .name:           _ZL30rocblas_trsm_small_left_deviceILi4ELi4ELb0EddPKPKdPKPdEv13rocblas_fill_18rocblas_operation_17rocblas_diagonal_iiT3_T4_lilT5_lili
    .private_segment_fixed_size: 0
    .sgpr_count:     34
    .sgpr_spill_count: 0
    .symbol:         _ZL30rocblas_trsm_small_left_deviceILi4ELi4ELb0EddPKPKdPKPdEv13rocblas_fill_18rocblas_operation_17rocblas_diagonal_iiT3_T4_lilT5_lili.kd
    .uniform_work_group_size: 1
    .uses_dynamic_stack: false
    .vgpr_count:     32
    .vgpr_spill_count: 0
    .wavefront_size: 32
    .workgroup_processor_mode: 1
  - .args:
      - .offset:         0
        .size:           4
        .value_kind:     by_value
      - .offset:         4
        .size:           4
        .value_kind:     by_value
      - .offset:         8
        .size:           4
        .value_kind:     by_value
      - .offset:         12
        .size:           4
        .value_kind:     by_value
      - .offset:         16
        .size:           4
        .value_kind:     by_value
      - .offset:         24
        .size:           8
        .value_kind:     by_value
      - .address_space:  global
        .offset:         32
        .size:           8
        .value_kind:     global_buffer
      - .offset:         40
        .size:           8
        .value_kind:     by_value
      - .offset:         48
        .size:           4
        .value_kind:     by_value
      - .offset:         56
        .size:           8
        .value_kind:     by_value
      - .address_space:  global
        .offset:         64
        .size:           8
        .value_kind:     global_buffer
      - .offset:         72
        .size:           8
        .value_kind:     by_value
      - .offset:         80
        .size:           4
        .value_kind:     by_value
      - .offset:         88
        .size:           8
        .value_kind:     by_value
      - .offset:         96
        .size:           4
        .value_kind:     by_value
      - .offset:         104
        .size:           4
        .value_kind:     hidden_block_count_x
      - .offset:         108
        .size:           4
        .value_kind:     hidden_block_count_y
      - .offset:         112
        .size:           4
        .value_kind:     hidden_block_count_z
      - .offset:         116
        .size:           2
        .value_kind:     hidden_group_size_x
      - .offset:         118
        .size:           2
        .value_kind:     hidden_group_size_y
      - .offset:         120
        .size:           2
        .value_kind:     hidden_group_size_z
      - .offset:         122
        .size:           2
        .value_kind:     hidden_remainder_x
      - .offset:         124
        .size:           2
        .value_kind:     hidden_remainder_y
      - .offset:         126
        .size:           2
        .value_kind:     hidden_remainder_z
      - .offset:         144
        .size:           8
        .value_kind:     hidden_global_offset_x
      - .offset:         152
        .size:           8
        .value_kind:     hidden_global_offset_y
      - .offset:         160
        .size:           8
        .value_kind:     hidden_global_offset_z
      - .offset:         168
        .size:           2
        .value_kind:     hidden_grid_dims
    .group_segment_fixed_size: 256
    .kernarg_segment_align: 8
    .kernarg_segment_size: 360
    .language:       OpenCL C
    .language_version:
      - 2
      - 0
    .max_flat_workgroup_size: 4
    .name:           _ZL38rocblas_trsm_small_left_device_sharedBILi4ELi4ELb1EddPKPKdPKPdEv13rocblas_fill_18rocblas_operation_17rocblas_diagonal_iiT3_T4_lilT5_lili
    .private_segment_fixed_size: 0
    .sgpr_count:     34
    .sgpr_spill_count: 0
    .symbol:         _ZL38rocblas_trsm_small_left_device_sharedBILi4ELi4ELb1EddPKPKdPKPdEv13rocblas_fill_18rocblas_operation_17rocblas_diagonal_iiT3_T4_lilT5_lili.kd
    .uniform_work_group_size: 1
    .uses_dynamic_stack: false
    .vgpr_count:     26
    .vgpr_spill_count: 0
    .wavefront_size: 32
    .workgroup_processor_mode: 1
  - .args:
      - .offset:         0
        .size:           4
        .value_kind:     by_value
      - .offset:         4
        .size:           4
        .value_kind:     by_value
      - .offset:         8
        .size:           4
        .value_kind:     by_value
      - .offset:         12
        .size:           4
        .value_kind:     by_value
      - .offset:         16
        .size:           4
        .value_kind:     by_value
      - .offset:         24
        .size:           8
        .value_kind:     by_value
      - .address_space:  global
        .offset:         32
        .size:           8
        .value_kind:     global_buffer
      - .offset:         40
        .size:           8
        .value_kind:     by_value
      - .offset:         48
        .size:           4
        .value_kind:     by_value
      - .offset:         56
        .size:           8
        .value_kind:     by_value
      - .address_space:  global
        .offset:         64
        .size:           8
        .value_kind:     global_buffer
      - .offset:         72
        .size:           8
        .value_kind:     by_value
      - .offset:         80
        .size:           4
        .value_kind:     by_value
      - .offset:         88
        .size:           8
        .value_kind:     by_value
      - .offset:         96
        .size:           4
        .value_kind:     by_value
      - .offset:         104
        .size:           4
        .value_kind:     hidden_block_count_x
      - .offset:         108
        .size:           4
        .value_kind:     hidden_block_count_y
      - .offset:         112
        .size:           4
        .value_kind:     hidden_block_count_z
      - .offset:         116
        .size:           2
        .value_kind:     hidden_group_size_x
      - .offset:         118
        .size:           2
        .value_kind:     hidden_group_size_y
      - .offset:         120
        .size:           2
        .value_kind:     hidden_group_size_z
      - .offset:         122
        .size:           2
        .value_kind:     hidden_remainder_x
      - .offset:         124
        .size:           2
        .value_kind:     hidden_remainder_y
      - .offset:         126
        .size:           2
        .value_kind:     hidden_remainder_z
      - .offset:         144
        .size:           8
        .value_kind:     hidden_global_offset_x
      - .offset:         152
        .size:           8
        .value_kind:     hidden_global_offset_y
      - .offset:         160
        .size:           8
        .value_kind:     hidden_global_offset_z
      - .offset:         168
        .size:           2
        .value_kind:     hidden_grid_dims
    .group_segment_fixed_size: 128
    .kernarg_segment_align: 8
    .kernarg_segment_size: 360
    .language:       OpenCL C
    .language_version:
      - 2
      - 0
    .max_flat_workgroup_size: 4
    .name:           _ZL30rocblas_trsm_small_left_deviceILi4ELi4ELb1EddPKPKdPKPdEv13rocblas_fill_18rocblas_operation_17rocblas_diagonal_iiT3_T4_lilT5_lili
    .private_segment_fixed_size: 0
    .sgpr_count:     34
    .sgpr_spill_count: 0
    .symbol:         _ZL30rocblas_trsm_small_left_deviceILi4ELi4ELb1EddPKPKdPKPdEv13rocblas_fill_18rocblas_operation_17rocblas_diagonal_iiT3_T4_lilT5_lili.kd
    .uniform_work_group_size: 1
    .uses_dynamic_stack: false
    .vgpr_count:     30
    .vgpr_spill_count: 0
    .wavefront_size: 32
    .workgroup_processor_mode: 1
  - .args:
      - .offset:         0
        .size:           4
        .value_kind:     by_value
      - .offset:         4
        .size:           4
        .value_kind:     by_value
      - .offset:         8
        .size:           4
        .value_kind:     by_value
      - .offset:         12
        .size:           4
        .value_kind:     by_value
      - .offset:         16
        .size:           4
        .value_kind:     by_value
      - .offset:         24
        .size:           8
        .value_kind:     by_value
      - .address_space:  global
        .offset:         32
        .size:           8
        .value_kind:     global_buffer
      - .offset:         40
        .size:           8
        .value_kind:     by_value
      - .offset:         48
        .size:           4
        .value_kind:     by_value
      - .offset:         56
        .size:           8
        .value_kind:     by_value
      - .address_space:  global
        .offset:         64
        .size:           8
        .value_kind:     global_buffer
      - .offset:         72
        .size:           8
        .value_kind:     by_value
      - .offset:         80
        .size:           4
        .value_kind:     by_value
      - .offset:         88
        .size:           8
        .value_kind:     by_value
      - .offset:         96
        .size:           4
        .value_kind:     by_value
      - .offset:         104
        .size:           4
        .value_kind:     hidden_block_count_x
      - .offset:         108
        .size:           4
        .value_kind:     hidden_block_count_y
      - .offset:         112
        .size:           4
        .value_kind:     hidden_block_count_z
      - .offset:         116
        .size:           2
        .value_kind:     hidden_group_size_x
      - .offset:         118
        .size:           2
        .value_kind:     hidden_group_size_y
      - .offset:         120
        .size:           2
        .value_kind:     hidden_group_size_z
      - .offset:         122
        .size:           2
        .value_kind:     hidden_remainder_x
      - .offset:         124
        .size:           2
        .value_kind:     hidden_remainder_y
      - .offset:         126
        .size:           2
        .value_kind:     hidden_remainder_z
      - .offset:         144
        .size:           8
        .value_kind:     hidden_global_offset_x
      - .offset:         152
        .size:           8
        .value_kind:     hidden_global_offset_y
      - .offset:         160
        .size:           8
        .value_kind:     hidden_global_offset_z
      - .offset:         168
        .size:           2
        .value_kind:     hidden_grid_dims
    .group_segment_fixed_size: 256
    .kernarg_segment_align: 8
    .kernarg_segment_size: 360
    .language:       OpenCL C
    .language_version:
      - 2
      - 0
    .max_flat_workgroup_size: 4
    .name:           _ZL31rocblas_trsm_small_right_deviceIddPKPKdPKPdLi4EEv13rocblas_fill_18rocblas_operation_17rocblas_diagonal_iiT0_T1_lilT2_lili
    .private_segment_fixed_size: 0
    .sgpr_count:     36
    .sgpr_spill_count: 0
    .symbol:         _ZL31rocblas_trsm_small_right_deviceIddPKPKdPKPdLi4EEv13rocblas_fill_18rocblas_operation_17rocblas_diagonal_iiT0_T1_lilT2_lili.kd
    .uniform_work_group_size: 1
    .uses_dynamic_stack: false
    .vgpr_count:     31
    .vgpr_spill_count: 0
    .wavefront_size: 32
    .workgroup_processor_mode: 1
  - .args:
      - .offset:         0
        .size:           4
        .value_kind:     by_value
      - .offset:         4
        .size:           4
        .value_kind:     by_value
      - .offset:         8
        .size:           4
        .value_kind:     by_value
      - .offset:         12
        .size:           4
        .value_kind:     by_value
      - .offset:         16
        .size:           4
        .value_kind:     by_value
      - .offset:         24
        .size:           8
        .value_kind:     by_value
      - .address_space:  global
        .offset:         32
        .size:           8
        .value_kind:     global_buffer
      - .offset:         40
        .size:           8
        .value_kind:     by_value
      - .offset:         48
        .size:           4
        .value_kind:     by_value
      - .offset:         56
        .size:           8
        .value_kind:     by_value
      - .address_space:  global
        .offset:         64
        .size:           8
        .value_kind:     global_buffer
      - .offset:         72
        .size:           8
        .value_kind:     by_value
      - .offset:         80
        .size:           4
        .value_kind:     by_value
      - .offset:         88
        .size:           8
        .value_kind:     by_value
      - .offset:         96
        .size:           4
        .value_kind:     by_value
      - .offset:         104
        .size:           4
        .value_kind:     hidden_block_count_x
      - .offset:         108
        .size:           4
        .value_kind:     hidden_block_count_y
      - .offset:         112
        .size:           4
        .value_kind:     hidden_block_count_z
      - .offset:         116
        .size:           2
        .value_kind:     hidden_group_size_x
      - .offset:         118
        .size:           2
        .value_kind:     hidden_group_size_y
      - .offset:         120
        .size:           2
        .value_kind:     hidden_group_size_z
      - .offset:         122
        .size:           2
        .value_kind:     hidden_remainder_x
      - .offset:         124
        .size:           2
        .value_kind:     hidden_remainder_y
      - .offset:         126
        .size:           2
        .value_kind:     hidden_remainder_z
      - .offset:         144
        .size:           8
        .value_kind:     hidden_global_offset_x
      - .offset:         152
        .size:           8
        .value_kind:     hidden_global_offset_y
      - .offset:         160
        .size:           8
        .value_kind:     hidden_global_offset_z
      - .offset:         168
        .size:           2
        .value_kind:     hidden_grid_dims
    .group_segment_fixed_size: 1024
    .kernarg_segment_align: 8
    .kernarg_segment_size: 360
    .language:       OpenCL C
    .language_version:
      - 2
      - 0
    .max_flat_workgroup_size: 8
    .name:           _ZL38rocblas_trsm_small_left_device_sharedBILi8ELi8ELb0EddPKPKdPKPdEv13rocblas_fill_18rocblas_operation_17rocblas_diagonal_iiT3_T4_lilT5_lili
    .private_segment_fixed_size: 0
    .sgpr_count:     34
    .sgpr_spill_count: 0
    .symbol:         _ZL38rocblas_trsm_small_left_device_sharedBILi8ELi8ELb0EddPKPKdPKPdEv13rocblas_fill_18rocblas_operation_17rocblas_diagonal_iiT3_T4_lilT5_lili.kd
    .uniform_work_group_size: 1
    .uses_dynamic_stack: false
    .vgpr_count:     49
    .vgpr_spill_count: 0
    .wavefront_size: 32
    .workgroup_processor_mode: 1
  - .args:
      - .offset:         0
        .size:           4
        .value_kind:     by_value
      - .offset:         4
        .size:           4
        .value_kind:     by_value
      - .offset:         8
        .size:           4
        .value_kind:     by_value
      - .offset:         12
        .size:           4
        .value_kind:     by_value
      - .offset:         16
        .size:           4
        .value_kind:     by_value
      - .offset:         24
        .size:           8
        .value_kind:     by_value
      - .address_space:  global
        .offset:         32
        .size:           8
        .value_kind:     global_buffer
      - .offset:         40
        .size:           8
        .value_kind:     by_value
      - .offset:         48
        .size:           4
        .value_kind:     by_value
      - .offset:         56
        .size:           8
        .value_kind:     by_value
      - .address_space:  global
        .offset:         64
        .size:           8
        .value_kind:     global_buffer
      - .offset:         72
        .size:           8
        .value_kind:     by_value
      - .offset:         80
        .size:           4
        .value_kind:     by_value
      - .offset:         88
        .size:           8
        .value_kind:     by_value
      - .offset:         96
        .size:           4
        .value_kind:     by_value
      - .offset:         104
        .size:           4
        .value_kind:     hidden_block_count_x
      - .offset:         108
        .size:           4
        .value_kind:     hidden_block_count_y
      - .offset:         112
        .size:           4
        .value_kind:     hidden_block_count_z
      - .offset:         116
        .size:           2
        .value_kind:     hidden_group_size_x
      - .offset:         118
        .size:           2
        .value_kind:     hidden_group_size_y
      - .offset:         120
        .size:           2
        .value_kind:     hidden_group_size_z
      - .offset:         122
        .size:           2
        .value_kind:     hidden_remainder_x
      - .offset:         124
        .size:           2
        .value_kind:     hidden_remainder_y
      - .offset:         126
        .size:           2
        .value_kind:     hidden_remainder_z
      - .offset:         144
        .size:           8
        .value_kind:     hidden_global_offset_x
      - .offset:         152
        .size:           8
        .value_kind:     hidden_global_offset_y
      - .offset:         160
        .size:           8
        .value_kind:     hidden_global_offset_z
      - .offset:         168
        .size:           2
        .value_kind:     hidden_grid_dims
    .group_segment_fixed_size: 512
    .kernarg_segment_align: 8
    .kernarg_segment_size: 360
    .language:       OpenCL C
    .language_version:
      - 2
      - 0
    .max_flat_workgroup_size: 8
    .name:           _ZL30rocblas_trsm_small_left_deviceILi8ELi8ELb0EddPKPKdPKPdEv13rocblas_fill_18rocblas_operation_17rocblas_diagonal_iiT3_T4_lilT5_lili
    .private_segment_fixed_size: 0
    .sgpr_count:     34
    .sgpr_spill_count: 0
    .symbol:         _ZL30rocblas_trsm_small_left_deviceILi8ELi8ELb0EddPKPKdPKPdEv13rocblas_fill_18rocblas_operation_17rocblas_diagonal_iiT3_T4_lilT5_lili.kd
    .uniform_work_group_size: 1
    .uses_dynamic_stack: false
    .vgpr_count:     58
    .vgpr_spill_count: 0
    .wavefront_size: 32
    .workgroup_processor_mode: 1
  - .args:
      - .offset:         0
        .size:           4
        .value_kind:     by_value
      - .offset:         4
        .size:           4
        .value_kind:     by_value
      - .offset:         8
        .size:           4
        .value_kind:     by_value
      - .offset:         12
        .size:           4
        .value_kind:     by_value
      - .offset:         16
        .size:           4
        .value_kind:     by_value
      - .offset:         24
        .size:           8
        .value_kind:     by_value
      - .address_space:  global
        .offset:         32
        .size:           8
        .value_kind:     global_buffer
      - .offset:         40
        .size:           8
        .value_kind:     by_value
      - .offset:         48
        .size:           4
        .value_kind:     by_value
      - .offset:         56
        .size:           8
        .value_kind:     by_value
      - .address_space:  global
        .offset:         64
        .size:           8
        .value_kind:     global_buffer
      - .offset:         72
        .size:           8
        .value_kind:     by_value
      - .offset:         80
        .size:           4
        .value_kind:     by_value
      - .offset:         88
        .size:           8
        .value_kind:     by_value
      - .offset:         96
        .size:           4
        .value_kind:     by_value
      - .offset:         104
        .size:           4
        .value_kind:     hidden_block_count_x
      - .offset:         108
        .size:           4
        .value_kind:     hidden_block_count_y
      - .offset:         112
        .size:           4
        .value_kind:     hidden_block_count_z
      - .offset:         116
        .size:           2
        .value_kind:     hidden_group_size_x
      - .offset:         118
        .size:           2
        .value_kind:     hidden_group_size_y
      - .offset:         120
        .size:           2
        .value_kind:     hidden_group_size_z
      - .offset:         122
        .size:           2
        .value_kind:     hidden_remainder_x
      - .offset:         124
        .size:           2
        .value_kind:     hidden_remainder_y
      - .offset:         126
        .size:           2
        .value_kind:     hidden_remainder_z
      - .offset:         144
        .size:           8
        .value_kind:     hidden_global_offset_x
      - .offset:         152
        .size:           8
        .value_kind:     hidden_global_offset_y
      - .offset:         160
        .size:           8
        .value_kind:     hidden_global_offset_z
      - .offset:         168
        .size:           2
        .value_kind:     hidden_grid_dims
    .group_segment_fixed_size: 1024
    .kernarg_segment_align: 8
    .kernarg_segment_size: 360
    .language:       OpenCL C
    .language_version:
      - 2
      - 0
    .max_flat_workgroup_size: 8
    .name:           _ZL38rocblas_trsm_small_left_device_sharedBILi8ELi8ELb1EddPKPKdPKPdEv13rocblas_fill_18rocblas_operation_17rocblas_diagonal_iiT3_T4_lilT5_lili
    .private_segment_fixed_size: 0
    .sgpr_count:     34
    .sgpr_spill_count: 0
    .symbol:         _ZL38rocblas_trsm_small_left_device_sharedBILi8ELi8ELb1EddPKPKdPKPdEv13rocblas_fill_18rocblas_operation_17rocblas_diagonal_iiT3_T4_lilT5_lili.kd
    .uniform_work_group_size: 1
    .uses_dynamic_stack: false
    .vgpr_count:     49
    .vgpr_spill_count: 0
    .wavefront_size: 32
    .workgroup_processor_mode: 1
  - .args:
      - .offset:         0
        .size:           4
        .value_kind:     by_value
      - .offset:         4
        .size:           4
        .value_kind:     by_value
      - .offset:         8
        .size:           4
        .value_kind:     by_value
      - .offset:         12
        .size:           4
        .value_kind:     by_value
      - .offset:         16
        .size:           4
        .value_kind:     by_value
      - .offset:         24
        .size:           8
        .value_kind:     by_value
      - .address_space:  global
        .offset:         32
        .size:           8
        .value_kind:     global_buffer
      - .offset:         40
        .size:           8
        .value_kind:     by_value
      - .offset:         48
        .size:           4
        .value_kind:     by_value
      - .offset:         56
        .size:           8
        .value_kind:     by_value
      - .address_space:  global
        .offset:         64
        .size:           8
        .value_kind:     global_buffer
      - .offset:         72
        .size:           8
        .value_kind:     by_value
      - .offset:         80
        .size:           4
        .value_kind:     by_value
      - .offset:         88
        .size:           8
        .value_kind:     by_value
      - .offset:         96
        .size:           4
        .value_kind:     by_value
      - .offset:         104
        .size:           4
        .value_kind:     hidden_block_count_x
      - .offset:         108
        .size:           4
        .value_kind:     hidden_block_count_y
      - .offset:         112
        .size:           4
        .value_kind:     hidden_block_count_z
      - .offset:         116
        .size:           2
        .value_kind:     hidden_group_size_x
      - .offset:         118
        .size:           2
        .value_kind:     hidden_group_size_y
      - .offset:         120
        .size:           2
        .value_kind:     hidden_group_size_z
      - .offset:         122
        .size:           2
        .value_kind:     hidden_remainder_x
      - .offset:         124
        .size:           2
        .value_kind:     hidden_remainder_y
      - .offset:         126
        .size:           2
        .value_kind:     hidden_remainder_z
      - .offset:         144
        .size:           8
        .value_kind:     hidden_global_offset_x
      - .offset:         152
        .size:           8
        .value_kind:     hidden_global_offset_y
      - .offset:         160
        .size:           8
        .value_kind:     hidden_global_offset_z
      - .offset:         168
        .size:           2
        .value_kind:     hidden_grid_dims
    .group_segment_fixed_size: 512
    .kernarg_segment_align: 8
    .kernarg_segment_size: 360
    .language:       OpenCL C
    .language_version:
      - 2
      - 0
    .max_flat_workgroup_size: 8
    .name:           _ZL30rocblas_trsm_small_left_deviceILi8ELi8ELb1EddPKPKdPKPdEv13rocblas_fill_18rocblas_operation_17rocblas_diagonal_iiT3_T4_lilT5_lili
    .private_segment_fixed_size: 0
    .sgpr_count:     34
    .sgpr_spill_count: 0
    .symbol:         _ZL30rocblas_trsm_small_left_deviceILi8ELi8ELb1EddPKPKdPKPdEv13rocblas_fill_18rocblas_operation_17rocblas_diagonal_iiT3_T4_lilT5_lili.kd
    .uniform_work_group_size: 1
    .uses_dynamic_stack: false
    .vgpr_count:     46
    .vgpr_spill_count: 0
    .wavefront_size: 32
    .workgroup_processor_mode: 1
  - .args:
      - .offset:         0
        .size:           4
        .value_kind:     by_value
      - .offset:         4
        .size:           4
        .value_kind:     by_value
      - .offset:         8
        .size:           4
        .value_kind:     by_value
      - .offset:         12
        .size:           4
        .value_kind:     by_value
      - .offset:         16
        .size:           4
        .value_kind:     by_value
      - .offset:         24
        .size:           8
        .value_kind:     by_value
      - .address_space:  global
        .offset:         32
        .size:           8
        .value_kind:     global_buffer
      - .offset:         40
        .size:           8
        .value_kind:     by_value
      - .offset:         48
        .size:           4
        .value_kind:     by_value
      - .offset:         56
        .size:           8
        .value_kind:     by_value
      - .address_space:  global
        .offset:         64
        .size:           8
        .value_kind:     global_buffer
      - .offset:         72
        .size:           8
        .value_kind:     by_value
      - .offset:         80
        .size:           4
        .value_kind:     by_value
      - .offset:         88
        .size:           8
        .value_kind:     by_value
      - .offset:         96
        .size:           4
        .value_kind:     by_value
      - .offset:         104
        .size:           4
        .value_kind:     hidden_block_count_x
      - .offset:         108
        .size:           4
        .value_kind:     hidden_block_count_y
      - .offset:         112
        .size:           4
        .value_kind:     hidden_block_count_z
      - .offset:         116
        .size:           2
        .value_kind:     hidden_group_size_x
      - .offset:         118
        .size:           2
        .value_kind:     hidden_group_size_y
      - .offset:         120
        .size:           2
        .value_kind:     hidden_group_size_z
      - .offset:         122
        .size:           2
        .value_kind:     hidden_remainder_x
      - .offset:         124
        .size:           2
        .value_kind:     hidden_remainder_y
      - .offset:         126
        .size:           2
        .value_kind:     hidden_remainder_z
      - .offset:         144
        .size:           8
        .value_kind:     hidden_global_offset_x
      - .offset:         152
        .size:           8
        .value_kind:     hidden_global_offset_y
      - .offset:         160
        .size:           8
        .value_kind:     hidden_global_offset_z
      - .offset:         168
        .size:           2
        .value_kind:     hidden_grid_dims
    .group_segment_fixed_size: 1024
    .kernarg_segment_align: 8
    .kernarg_segment_size: 360
    .language:       OpenCL C
    .language_version:
      - 2
      - 0
    .max_flat_workgroup_size: 8
    .name:           _ZL31rocblas_trsm_small_right_deviceIddPKPKdPKPdLi8EEv13rocblas_fill_18rocblas_operation_17rocblas_diagonal_iiT0_T1_lilT2_lili
    .private_segment_fixed_size: 0
    .sgpr_count:     36
    .sgpr_spill_count: 0
    .symbol:         _ZL31rocblas_trsm_small_right_deviceIddPKPKdPKPdLi8EEv13rocblas_fill_18rocblas_operation_17rocblas_diagonal_iiT0_T1_lilT2_lili.kd
    .uniform_work_group_size: 1
    .uses_dynamic_stack: false
    .vgpr_count:     52
    .vgpr_spill_count: 0
    .wavefront_size: 32
    .workgroup_processor_mode: 1
  - .args:
      - .offset:         0
        .size:           4
        .value_kind:     by_value
      - .offset:         4
        .size:           4
        .value_kind:     by_value
      - .offset:         8
        .size:           4
        .value_kind:     by_value
      - .offset:         12
        .size:           4
        .value_kind:     by_value
      - .offset:         16
        .size:           4
        .value_kind:     by_value
      - .offset:         24
        .size:           8
        .value_kind:     by_value
      - .address_space:  global
        .offset:         32
        .size:           8
        .value_kind:     global_buffer
      - .offset:         40
        .size:           8
        .value_kind:     by_value
      - .offset:         48
        .size:           4
        .value_kind:     by_value
      - .offset:         56
        .size:           8
        .value_kind:     by_value
      - .address_space:  global
        .offset:         64
        .size:           8
        .value_kind:     global_buffer
      - .offset:         72
        .size:           8
        .value_kind:     by_value
      - .offset:         80
        .size:           4
        .value_kind:     by_value
      - .offset:         88
        .size:           8
        .value_kind:     by_value
      - .offset:         96
        .size:           4
        .value_kind:     by_value
      - .offset:         104
        .size:           4
        .value_kind:     hidden_block_count_x
      - .offset:         108
        .size:           4
        .value_kind:     hidden_block_count_y
      - .offset:         112
        .size:           4
        .value_kind:     hidden_block_count_z
      - .offset:         116
        .size:           2
        .value_kind:     hidden_group_size_x
      - .offset:         118
        .size:           2
        .value_kind:     hidden_group_size_y
      - .offset:         120
        .size:           2
        .value_kind:     hidden_group_size_z
      - .offset:         122
        .size:           2
        .value_kind:     hidden_remainder_x
      - .offset:         124
        .size:           2
        .value_kind:     hidden_remainder_y
      - .offset:         126
        .size:           2
        .value_kind:     hidden_remainder_z
      - .offset:         144
        .size:           8
        .value_kind:     hidden_global_offset_x
      - .offset:         152
        .size:           8
        .value_kind:     hidden_global_offset_y
      - .offset:         160
        .size:           8
        .value_kind:     hidden_global_offset_z
      - .offset:         168
        .size:           2
        .value_kind:     hidden_grid_dims
    .group_segment_fixed_size: 2304
    .kernarg_segment_align: 8
    .kernarg_segment_size: 360
    .language:       OpenCL C
    .language_version:
      - 2
      - 0
    .max_flat_workgroup_size: 12
    .name:           _ZL38rocblas_trsm_small_left_device_sharedBILi12ELi12ELb0EddPKPKdPKPdEv13rocblas_fill_18rocblas_operation_17rocblas_diagonal_iiT3_T4_lilT5_lili
    .private_segment_fixed_size: 0
    .sgpr_count:     34
    .sgpr_spill_count: 0
    .symbol:         _ZL38rocblas_trsm_small_left_device_sharedBILi12ELi12ELb0EddPKPKdPKPdEv13rocblas_fill_18rocblas_operation_17rocblas_diagonal_iiT3_T4_lilT5_lili.kd
    .uniform_work_group_size: 1
    .uses_dynamic_stack: false
    .vgpr_count:     66
    .vgpr_spill_count: 0
    .wavefront_size: 32
    .workgroup_processor_mode: 1
  - .args:
      - .offset:         0
        .size:           4
        .value_kind:     by_value
      - .offset:         4
        .size:           4
        .value_kind:     by_value
      - .offset:         8
        .size:           4
        .value_kind:     by_value
      - .offset:         12
        .size:           4
        .value_kind:     by_value
      - .offset:         16
        .size:           4
        .value_kind:     by_value
      - .offset:         24
        .size:           8
        .value_kind:     by_value
      - .address_space:  global
        .offset:         32
        .size:           8
        .value_kind:     global_buffer
      - .offset:         40
        .size:           8
        .value_kind:     by_value
      - .offset:         48
        .size:           4
        .value_kind:     by_value
      - .offset:         56
        .size:           8
        .value_kind:     by_value
      - .address_space:  global
        .offset:         64
        .size:           8
        .value_kind:     global_buffer
      - .offset:         72
        .size:           8
        .value_kind:     by_value
      - .offset:         80
        .size:           4
        .value_kind:     by_value
      - .offset:         88
        .size:           8
        .value_kind:     by_value
      - .offset:         96
        .size:           4
        .value_kind:     by_value
      - .offset:         104
        .size:           4
        .value_kind:     hidden_block_count_x
      - .offset:         108
        .size:           4
        .value_kind:     hidden_block_count_y
      - .offset:         112
        .size:           4
        .value_kind:     hidden_block_count_z
      - .offset:         116
        .size:           2
        .value_kind:     hidden_group_size_x
      - .offset:         118
        .size:           2
        .value_kind:     hidden_group_size_y
      - .offset:         120
        .size:           2
        .value_kind:     hidden_group_size_z
      - .offset:         122
        .size:           2
        .value_kind:     hidden_remainder_x
      - .offset:         124
        .size:           2
        .value_kind:     hidden_remainder_y
      - .offset:         126
        .size:           2
        .value_kind:     hidden_remainder_z
      - .offset:         144
        .size:           8
        .value_kind:     hidden_global_offset_x
      - .offset:         152
        .size:           8
        .value_kind:     hidden_global_offset_y
      - .offset:         160
        .size:           8
        .value_kind:     hidden_global_offset_z
      - .offset:         168
        .size:           2
        .value_kind:     hidden_grid_dims
    .group_segment_fixed_size: 1152
    .kernarg_segment_align: 8
    .kernarg_segment_size: 360
    .language:       OpenCL C
    .language_version:
      - 2
      - 0
    .max_flat_workgroup_size: 12
    .name:           _ZL30rocblas_trsm_small_left_deviceILi12ELi12ELb0EddPKPKdPKPdEv13rocblas_fill_18rocblas_operation_17rocblas_diagonal_iiT3_T4_lilT5_lili
    .private_segment_fixed_size: 0
    .sgpr_count:     34
    .sgpr_spill_count: 0
    .symbol:         _ZL30rocblas_trsm_small_left_deviceILi12ELi12ELb0EddPKPKdPKPdEv13rocblas_fill_18rocblas_operation_17rocblas_diagonal_iiT3_T4_lilT5_lili.kd
    .uniform_work_group_size: 1
    .uses_dynamic_stack: false
    .vgpr_count:     70
    .vgpr_spill_count: 0
    .wavefront_size: 32
    .workgroup_processor_mode: 1
  - .args:
      - .offset:         0
        .size:           4
        .value_kind:     by_value
      - .offset:         4
        .size:           4
        .value_kind:     by_value
      - .offset:         8
        .size:           4
        .value_kind:     by_value
      - .offset:         12
        .size:           4
        .value_kind:     by_value
      - .offset:         16
        .size:           4
        .value_kind:     by_value
      - .offset:         24
        .size:           8
        .value_kind:     by_value
      - .address_space:  global
        .offset:         32
        .size:           8
        .value_kind:     global_buffer
      - .offset:         40
        .size:           8
        .value_kind:     by_value
      - .offset:         48
        .size:           4
        .value_kind:     by_value
      - .offset:         56
        .size:           8
        .value_kind:     by_value
      - .address_space:  global
        .offset:         64
        .size:           8
        .value_kind:     global_buffer
      - .offset:         72
        .size:           8
        .value_kind:     by_value
      - .offset:         80
        .size:           4
        .value_kind:     by_value
      - .offset:         88
        .size:           8
        .value_kind:     by_value
      - .offset:         96
        .size:           4
        .value_kind:     by_value
      - .offset:         104
        .size:           4
        .value_kind:     hidden_block_count_x
      - .offset:         108
        .size:           4
        .value_kind:     hidden_block_count_y
      - .offset:         112
        .size:           4
        .value_kind:     hidden_block_count_z
      - .offset:         116
        .size:           2
        .value_kind:     hidden_group_size_x
      - .offset:         118
        .size:           2
        .value_kind:     hidden_group_size_y
      - .offset:         120
        .size:           2
        .value_kind:     hidden_group_size_z
      - .offset:         122
        .size:           2
        .value_kind:     hidden_remainder_x
      - .offset:         124
        .size:           2
        .value_kind:     hidden_remainder_y
      - .offset:         126
        .size:           2
        .value_kind:     hidden_remainder_z
      - .offset:         144
        .size:           8
        .value_kind:     hidden_global_offset_x
      - .offset:         152
        .size:           8
        .value_kind:     hidden_global_offset_y
      - .offset:         160
        .size:           8
        .value_kind:     hidden_global_offset_z
      - .offset:         168
        .size:           2
        .value_kind:     hidden_grid_dims
    .group_segment_fixed_size: 2304
    .kernarg_segment_align: 8
    .kernarg_segment_size: 360
    .language:       OpenCL C
    .language_version:
      - 2
      - 0
    .max_flat_workgroup_size: 12
    .name:           _ZL38rocblas_trsm_small_left_device_sharedBILi12ELi12ELb1EddPKPKdPKPdEv13rocblas_fill_18rocblas_operation_17rocblas_diagonal_iiT3_T4_lilT5_lili
    .private_segment_fixed_size: 0
    .sgpr_count:     34
    .sgpr_spill_count: 0
    .symbol:         _ZL38rocblas_trsm_small_left_device_sharedBILi12ELi12ELb1EddPKPKdPKPdEv13rocblas_fill_18rocblas_operation_17rocblas_diagonal_iiT3_T4_lilT5_lili.kd
    .uniform_work_group_size: 1
    .uses_dynamic_stack: false
    .vgpr_count:     66
    .vgpr_spill_count: 0
    .wavefront_size: 32
    .workgroup_processor_mode: 1
  - .args:
      - .offset:         0
        .size:           4
        .value_kind:     by_value
      - .offset:         4
        .size:           4
        .value_kind:     by_value
      - .offset:         8
        .size:           4
        .value_kind:     by_value
      - .offset:         12
        .size:           4
        .value_kind:     by_value
      - .offset:         16
        .size:           4
        .value_kind:     by_value
      - .offset:         24
        .size:           8
        .value_kind:     by_value
      - .address_space:  global
        .offset:         32
        .size:           8
        .value_kind:     global_buffer
      - .offset:         40
        .size:           8
        .value_kind:     by_value
      - .offset:         48
        .size:           4
        .value_kind:     by_value
      - .offset:         56
        .size:           8
        .value_kind:     by_value
      - .address_space:  global
        .offset:         64
        .size:           8
        .value_kind:     global_buffer
      - .offset:         72
        .size:           8
        .value_kind:     by_value
      - .offset:         80
        .size:           4
        .value_kind:     by_value
      - .offset:         88
        .size:           8
        .value_kind:     by_value
      - .offset:         96
        .size:           4
        .value_kind:     by_value
      - .offset:         104
        .size:           4
        .value_kind:     hidden_block_count_x
      - .offset:         108
        .size:           4
        .value_kind:     hidden_block_count_y
      - .offset:         112
        .size:           4
        .value_kind:     hidden_block_count_z
      - .offset:         116
        .size:           2
        .value_kind:     hidden_group_size_x
      - .offset:         118
        .size:           2
        .value_kind:     hidden_group_size_y
      - .offset:         120
        .size:           2
        .value_kind:     hidden_group_size_z
      - .offset:         122
        .size:           2
        .value_kind:     hidden_remainder_x
      - .offset:         124
        .size:           2
        .value_kind:     hidden_remainder_y
      - .offset:         126
        .size:           2
        .value_kind:     hidden_remainder_z
      - .offset:         144
        .size:           8
        .value_kind:     hidden_global_offset_x
      - .offset:         152
        .size:           8
        .value_kind:     hidden_global_offset_y
      - .offset:         160
        .size:           8
        .value_kind:     hidden_global_offset_z
      - .offset:         168
        .size:           2
        .value_kind:     hidden_grid_dims
    .group_segment_fixed_size: 1152
    .kernarg_segment_align: 8
    .kernarg_segment_size: 360
    .language:       OpenCL C
    .language_version:
      - 2
      - 0
    .max_flat_workgroup_size: 12
    .name:           _ZL30rocblas_trsm_small_left_deviceILi12ELi12ELb1EddPKPKdPKPdEv13rocblas_fill_18rocblas_operation_17rocblas_diagonal_iiT3_T4_lilT5_lili
    .private_segment_fixed_size: 0
    .sgpr_count:     34
    .sgpr_spill_count: 0
    .symbol:         _ZL30rocblas_trsm_small_left_deviceILi12ELi12ELb1EddPKPKdPKPdEv13rocblas_fill_18rocblas_operation_17rocblas_diagonal_iiT3_T4_lilT5_lili.kd
    .uniform_work_group_size: 1
    .uses_dynamic_stack: false
    .vgpr_count:     68
    .vgpr_spill_count: 0
    .wavefront_size: 32
    .workgroup_processor_mode: 1
  - .args:
      - .offset:         0
        .size:           4
        .value_kind:     by_value
      - .offset:         4
        .size:           4
        .value_kind:     by_value
      - .offset:         8
        .size:           4
        .value_kind:     by_value
      - .offset:         12
        .size:           4
        .value_kind:     by_value
      - .offset:         16
        .size:           4
        .value_kind:     by_value
      - .offset:         24
        .size:           8
        .value_kind:     by_value
      - .address_space:  global
        .offset:         32
        .size:           8
        .value_kind:     global_buffer
      - .offset:         40
        .size:           8
        .value_kind:     by_value
      - .offset:         48
        .size:           4
        .value_kind:     by_value
      - .offset:         56
        .size:           8
        .value_kind:     by_value
      - .address_space:  global
        .offset:         64
        .size:           8
        .value_kind:     global_buffer
      - .offset:         72
        .size:           8
        .value_kind:     by_value
      - .offset:         80
        .size:           4
        .value_kind:     by_value
      - .offset:         88
        .size:           8
        .value_kind:     by_value
      - .offset:         96
        .size:           4
        .value_kind:     by_value
      - .offset:         104
        .size:           4
        .value_kind:     hidden_block_count_x
      - .offset:         108
        .size:           4
        .value_kind:     hidden_block_count_y
      - .offset:         112
        .size:           4
        .value_kind:     hidden_block_count_z
      - .offset:         116
        .size:           2
        .value_kind:     hidden_group_size_x
      - .offset:         118
        .size:           2
        .value_kind:     hidden_group_size_y
      - .offset:         120
        .size:           2
        .value_kind:     hidden_group_size_z
      - .offset:         122
        .size:           2
        .value_kind:     hidden_remainder_x
      - .offset:         124
        .size:           2
        .value_kind:     hidden_remainder_y
      - .offset:         126
        .size:           2
        .value_kind:     hidden_remainder_z
      - .offset:         144
        .size:           8
        .value_kind:     hidden_global_offset_x
      - .offset:         152
        .size:           8
        .value_kind:     hidden_global_offset_y
      - .offset:         160
        .size:           8
        .value_kind:     hidden_global_offset_z
      - .offset:         168
        .size:           2
        .value_kind:     hidden_grid_dims
    .group_segment_fixed_size: 2304
    .kernarg_segment_align: 8
    .kernarg_segment_size: 360
    .language:       OpenCL C
    .language_version:
      - 2
      - 0
    .max_flat_workgroup_size: 12
    .name:           _ZL31rocblas_trsm_small_right_deviceIddPKPKdPKPdLi12EEv13rocblas_fill_18rocblas_operation_17rocblas_diagonal_iiT0_T1_lilT2_lili
    .private_segment_fixed_size: 0
    .sgpr_count:     36
    .sgpr_spill_count: 0
    .symbol:         _ZL31rocblas_trsm_small_right_deviceIddPKPKdPKPdLi12EEv13rocblas_fill_18rocblas_operation_17rocblas_diagonal_iiT0_T1_lilT2_lili.kd
    .uniform_work_group_size: 1
    .uses_dynamic_stack: false
    .vgpr_count:     51
    .vgpr_spill_count: 0
    .wavefront_size: 32
    .workgroup_processor_mode: 1
  - .args:
      - .offset:         0
        .size:           4
        .value_kind:     by_value
      - .offset:         4
        .size:           4
        .value_kind:     by_value
      - .offset:         8
        .size:           4
        .value_kind:     by_value
      - .offset:         12
        .size:           4
        .value_kind:     by_value
      - .offset:         16
        .size:           4
        .value_kind:     by_value
      - .offset:         24
        .size:           8
        .value_kind:     by_value
      - .address_space:  global
        .offset:         32
        .size:           8
        .value_kind:     global_buffer
      - .offset:         40
        .size:           8
        .value_kind:     by_value
      - .offset:         48
        .size:           4
        .value_kind:     by_value
      - .offset:         56
        .size:           8
        .value_kind:     by_value
      - .address_space:  global
        .offset:         64
        .size:           8
        .value_kind:     global_buffer
      - .offset:         72
        .size:           8
        .value_kind:     by_value
      - .offset:         80
        .size:           4
        .value_kind:     by_value
      - .offset:         88
        .size:           8
        .value_kind:     by_value
      - .offset:         96
        .size:           4
        .value_kind:     by_value
      - .offset:         104
        .size:           4
        .value_kind:     hidden_block_count_x
      - .offset:         108
        .size:           4
        .value_kind:     hidden_block_count_y
      - .offset:         112
        .size:           4
        .value_kind:     hidden_block_count_z
      - .offset:         116
        .size:           2
        .value_kind:     hidden_group_size_x
      - .offset:         118
        .size:           2
        .value_kind:     hidden_group_size_y
      - .offset:         120
        .size:           2
        .value_kind:     hidden_group_size_z
      - .offset:         122
        .size:           2
        .value_kind:     hidden_remainder_x
      - .offset:         124
        .size:           2
        .value_kind:     hidden_remainder_y
      - .offset:         126
        .size:           2
        .value_kind:     hidden_remainder_z
      - .offset:         144
        .size:           8
        .value_kind:     hidden_global_offset_x
      - .offset:         152
        .size:           8
        .value_kind:     hidden_global_offset_y
      - .offset:         160
        .size:           8
        .value_kind:     hidden_global_offset_z
      - .offset:         168
        .size:           2
        .value_kind:     hidden_grid_dims
    .group_segment_fixed_size: 4096
    .kernarg_segment_align: 8
    .kernarg_segment_size: 360
    .language:       OpenCL C
    .language_version:
      - 2
      - 0
    .max_flat_workgroup_size: 16
    .name:           _ZL38rocblas_trsm_small_left_device_sharedBILi16ELi16ELb0EddPKPKdPKPdEv13rocblas_fill_18rocblas_operation_17rocblas_diagonal_iiT3_T4_lilT5_lili
    .private_segment_fixed_size: 0
    .sgpr_count:     40
    .sgpr_spill_count: 0
    .symbol:         _ZL38rocblas_trsm_small_left_device_sharedBILi16ELi16ELb0EddPKPKdPKPdEv13rocblas_fill_18rocblas_operation_17rocblas_diagonal_iiT3_T4_lilT5_lili.kd
    .uniform_work_group_size: 1
    .uses_dynamic_stack: false
    .vgpr_count:     81
    .vgpr_spill_count: 0
    .wavefront_size: 32
    .workgroup_processor_mode: 1
  - .args:
      - .offset:         0
        .size:           4
        .value_kind:     by_value
      - .offset:         4
        .size:           4
        .value_kind:     by_value
      - .offset:         8
        .size:           4
        .value_kind:     by_value
      - .offset:         12
        .size:           4
        .value_kind:     by_value
      - .offset:         16
        .size:           4
        .value_kind:     by_value
      - .offset:         24
        .size:           8
        .value_kind:     by_value
      - .address_space:  global
        .offset:         32
        .size:           8
        .value_kind:     global_buffer
      - .offset:         40
        .size:           8
        .value_kind:     by_value
      - .offset:         48
        .size:           4
        .value_kind:     by_value
      - .offset:         56
        .size:           8
        .value_kind:     by_value
      - .address_space:  global
        .offset:         64
        .size:           8
        .value_kind:     global_buffer
      - .offset:         72
        .size:           8
        .value_kind:     by_value
      - .offset:         80
        .size:           4
        .value_kind:     by_value
      - .offset:         88
        .size:           8
        .value_kind:     by_value
      - .offset:         96
        .size:           4
        .value_kind:     by_value
      - .offset:         104
        .size:           4
        .value_kind:     hidden_block_count_x
      - .offset:         108
        .size:           4
        .value_kind:     hidden_block_count_y
      - .offset:         112
        .size:           4
        .value_kind:     hidden_block_count_z
      - .offset:         116
        .size:           2
        .value_kind:     hidden_group_size_x
      - .offset:         118
        .size:           2
        .value_kind:     hidden_group_size_y
      - .offset:         120
        .size:           2
        .value_kind:     hidden_group_size_z
      - .offset:         122
        .size:           2
        .value_kind:     hidden_remainder_x
      - .offset:         124
        .size:           2
        .value_kind:     hidden_remainder_y
      - .offset:         126
        .size:           2
        .value_kind:     hidden_remainder_z
      - .offset:         144
        .size:           8
        .value_kind:     hidden_global_offset_x
      - .offset:         152
        .size:           8
        .value_kind:     hidden_global_offset_y
      - .offset:         160
        .size:           8
        .value_kind:     hidden_global_offset_z
      - .offset:         168
        .size:           2
        .value_kind:     hidden_grid_dims
    .group_segment_fixed_size: 2048
    .kernarg_segment_align: 8
    .kernarg_segment_size: 360
    .language:       OpenCL C
    .language_version:
      - 2
      - 0
    .max_flat_workgroup_size: 16
    .name:           _ZL30rocblas_trsm_small_left_deviceILi16ELi16ELb0EddPKPKdPKPdEv13rocblas_fill_18rocblas_operation_17rocblas_diagonal_iiT3_T4_lilT5_lili
    .private_segment_fixed_size: 0
    .sgpr_count:     34
    .sgpr_spill_count: 0
    .symbol:         _ZL30rocblas_trsm_small_left_deviceILi16ELi16ELb0EddPKPKdPKPdEv13rocblas_fill_18rocblas_operation_17rocblas_diagonal_iiT3_T4_lilT5_lili.kd
    .uniform_work_group_size: 1
    .uses_dynamic_stack: false
    .vgpr_count:     85
    .vgpr_spill_count: 0
    .wavefront_size: 32
    .workgroup_processor_mode: 1
  - .args:
      - .offset:         0
        .size:           4
        .value_kind:     by_value
      - .offset:         4
        .size:           4
        .value_kind:     by_value
      - .offset:         8
        .size:           4
        .value_kind:     by_value
      - .offset:         12
        .size:           4
        .value_kind:     by_value
      - .offset:         16
        .size:           4
        .value_kind:     by_value
      - .offset:         24
        .size:           8
        .value_kind:     by_value
      - .address_space:  global
        .offset:         32
        .size:           8
        .value_kind:     global_buffer
      - .offset:         40
        .size:           8
        .value_kind:     by_value
      - .offset:         48
        .size:           4
        .value_kind:     by_value
      - .offset:         56
        .size:           8
        .value_kind:     by_value
      - .address_space:  global
        .offset:         64
        .size:           8
        .value_kind:     global_buffer
      - .offset:         72
        .size:           8
        .value_kind:     by_value
      - .offset:         80
        .size:           4
        .value_kind:     by_value
      - .offset:         88
        .size:           8
        .value_kind:     by_value
      - .offset:         96
        .size:           4
        .value_kind:     by_value
      - .offset:         104
        .size:           4
        .value_kind:     hidden_block_count_x
      - .offset:         108
        .size:           4
        .value_kind:     hidden_block_count_y
      - .offset:         112
        .size:           4
        .value_kind:     hidden_block_count_z
      - .offset:         116
        .size:           2
        .value_kind:     hidden_group_size_x
      - .offset:         118
        .size:           2
        .value_kind:     hidden_group_size_y
      - .offset:         120
        .size:           2
        .value_kind:     hidden_group_size_z
      - .offset:         122
        .size:           2
        .value_kind:     hidden_remainder_x
      - .offset:         124
        .size:           2
        .value_kind:     hidden_remainder_y
      - .offset:         126
        .size:           2
        .value_kind:     hidden_remainder_z
      - .offset:         144
        .size:           8
        .value_kind:     hidden_global_offset_x
      - .offset:         152
        .size:           8
        .value_kind:     hidden_global_offset_y
      - .offset:         160
        .size:           8
        .value_kind:     hidden_global_offset_z
      - .offset:         168
        .size:           2
        .value_kind:     hidden_grid_dims
    .group_segment_fixed_size: 4096
    .kernarg_segment_align: 8
    .kernarg_segment_size: 360
    .language:       OpenCL C
    .language_version:
      - 2
      - 0
    .max_flat_workgroup_size: 16
    .name:           _ZL38rocblas_trsm_small_left_device_sharedBILi16ELi16ELb1EddPKPKdPKPdEv13rocblas_fill_18rocblas_operation_17rocblas_diagonal_iiT3_T4_lilT5_lili
    .private_segment_fixed_size: 0
    .sgpr_count:     34
    .sgpr_spill_count: 0
    .symbol:         _ZL38rocblas_trsm_small_left_device_sharedBILi16ELi16ELb1EddPKPKdPKPdEv13rocblas_fill_18rocblas_operation_17rocblas_diagonal_iiT3_T4_lilT5_lili.kd
    .uniform_work_group_size: 1
    .uses_dynamic_stack: false
    .vgpr_count:     93
    .vgpr_spill_count: 0
    .wavefront_size: 32
    .workgroup_processor_mode: 1
  - .args:
      - .offset:         0
        .size:           4
        .value_kind:     by_value
      - .offset:         4
        .size:           4
        .value_kind:     by_value
      - .offset:         8
        .size:           4
        .value_kind:     by_value
      - .offset:         12
        .size:           4
        .value_kind:     by_value
      - .offset:         16
        .size:           4
        .value_kind:     by_value
      - .offset:         24
        .size:           8
        .value_kind:     by_value
      - .address_space:  global
        .offset:         32
        .size:           8
        .value_kind:     global_buffer
      - .offset:         40
        .size:           8
        .value_kind:     by_value
      - .offset:         48
        .size:           4
        .value_kind:     by_value
      - .offset:         56
        .size:           8
        .value_kind:     by_value
      - .address_space:  global
        .offset:         64
        .size:           8
        .value_kind:     global_buffer
      - .offset:         72
        .size:           8
        .value_kind:     by_value
      - .offset:         80
        .size:           4
        .value_kind:     by_value
      - .offset:         88
        .size:           8
        .value_kind:     by_value
      - .offset:         96
        .size:           4
        .value_kind:     by_value
      - .offset:         104
        .size:           4
        .value_kind:     hidden_block_count_x
      - .offset:         108
        .size:           4
        .value_kind:     hidden_block_count_y
      - .offset:         112
        .size:           4
        .value_kind:     hidden_block_count_z
      - .offset:         116
        .size:           2
        .value_kind:     hidden_group_size_x
      - .offset:         118
        .size:           2
        .value_kind:     hidden_group_size_y
      - .offset:         120
        .size:           2
        .value_kind:     hidden_group_size_z
      - .offset:         122
        .size:           2
        .value_kind:     hidden_remainder_x
      - .offset:         124
        .size:           2
        .value_kind:     hidden_remainder_y
      - .offset:         126
        .size:           2
        .value_kind:     hidden_remainder_z
      - .offset:         144
        .size:           8
        .value_kind:     hidden_global_offset_x
      - .offset:         152
        .size:           8
        .value_kind:     hidden_global_offset_y
      - .offset:         160
        .size:           8
        .value_kind:     hidden_global_offset_z
      - .offset:         168
        .size:           2
        .value_kind:     hidden_grid_dims
    .group_segment_fixed_size: 2048
    .kernarg_segment_align: 8
    .kernarg_segment_size: 360
    .language:       OpenCL C
    .language_version:
      - 2
      - 0
    .max_flat_workgroup_size: 16
    .name:           _ZL30rocblas_trsm_small_left_deviceILi16ELi16ELb1EddPKPKdPKPdEv13rocblas_fill_18rocblas_operation_17rocblas_diagonal_iiT3_T4_lilT5_lili
    .private_segment_fixed_size: 0
    .sgpr_count:     34
    .sgpr_spill_count: 0
    .symbol:         _ZL30rocblas_trsm_small_left_deviceILi16ELi16ELb1EddPKPKdPKPdEv13rocblas_fill_18rocblas_operation_17rocblas_diagonal_iiT3_T4_lilT5_lili.kd
    .uniform_work_group_size: 1
    .uses_dynamic_stack: false
    .vgpr_count:     93
    .vgpr_spill_count: 0
    .wavefront_size: 32
    .workgroup_processor_mode: 1
  - .args:
      - .offset:         0
        .size:           4
        .value_kind:     by_value
      - .offset:         4
        .size:           4
        .value_kind:     by_value
      - .offset:         8
        .size:           4
        .value_kind:     by_value
      - .offset:         12
        .size:           4
        .value_kind:     by_value
      - .offset:         16
        .size:           4
        .value_kind:     by_value
      - .offset:         24
        .size:           8
        .value_kind:     by_value
      - .address_space:  global
        .offset:         32
        .size:           8
        .value_kind:     global_buffer
      - .offset:         40
        .size:           8
        .value_kind:     by_value
      - .offset:         48
        .size:           4
        .value_kind:     by_value
      - .offset:         56
        .size:           8
        .value_kind:     by_value
      - .address_space:  global
        .offset:         64
        .size:           8
        .value_kind:     global_buffer
      - .offset:         72
        .size:           8
        .value_kind:     by_value
      - .offset:         80
        .size:           4
        .value_kind:     by_value
      - .offset:         88
        .size:           8
        .value_kind:     by_value
      - .offset:         96
        .size:           4
        .value_kind:     by_value
      - .offset:         104
        .size:           4
        .value_kind:     hidden_block_count_x
      - .offset:         108
        .size:           4
        .value_kind:     hidden_block_count_y
      - .offset:         112
        .size:           4
        .value_kind:     hidden_block_count_z
      - .offset:         116
        .size:           2
        .value_kind:     hidden_group_size_x
      - .offset:         118
        .size:           2
        .value_kind:     hidden_group_size_y
      - .offset:         120
        .size:           2
        .value_kind:     hidden_group_size_z
      - .offset:         122
        .size:           2
        .value_kind:     hidden_remainder_x
      - .offset:         124
        .size:           2
        .value_kind:     hidden_remainder_y
      - .offset:         126
        .size:           2
        .value_kind:     hidden_remainder_z
      - .offset:         144
        .size:           8
        .value_kind:     hidden_global_offset_x
      - .offset:         152
        .size:           8
        .value_kind:     hidden_global_offset_y
      - .offset:         160
        .size:           8
        .value_kind:     hidden_global_offset_z
      - .offset:         168
        .size:           2
        .value_kind:     hidden_grid_dims
    .group_segment_fixed_size: 4096
    .kernarg_segment_align: 8
    .kernarg_segment_size: 360
    .language:       OpenCL C
    .language_version:
      - 2
      - 0
    .max_flat_workgroup_size: 16
    .name:           _ZL31rocblas_trsm_small_right_deviceIddPKPKdPKPdLi16EEv13rocblas_fill_18rocblas_operation_17rocblas_diagonal_iiT0_T1_lilT2_lili
    .private_segment_fixed_size: 0
    .sgpr_count:     36
    .sgpr_spill_count: 0
    .symbol:         _ZL31rocblas_trsm_small_right_deviceIddPKPKdPKPdLi16EEv13rocblas_fill_18rocblas_operation_17rocblas_diagonal_iiT0_T1_lilT2_lili.kd
    .uniform_work_group_size: 1
    .uses_dynamic_stack: false
    .vgpr_count:     52
    .vgpr_spill_count: 0
    .wavefront_size: 32
    .workgroup_processor_mode: 1
  - .args:
      - .offset:         0
        .size:           4
        .value_kind:     by_value
      - .offset:         4
        .size:           4
        .value_kind:     by_value
      - .offset:         8
        .size:           4
        .value_kind:     by_value
      - .offset:         12
        .size:           4
        .value_kind:     by_value
      - .offset:         16
        .size:           4
        .value_kind:     by_value
      - .offset:         24
        .size:           8
        .value_kind:     by_value
      - .address_space:  global
        .offset:         32
        .size:           8
        .value_kind:     global_buffer
      - .offset:         40
        .size:           8
        .value_kind:     by_value
      - .offset:         48
        .size:           4
        .value_kind:     by_value
      - .offset:         56
        .size:           8
        .value_kind:     by_value
      - .address_space:  global
        .offset:         64
        .size:           8
        .value_kind:     global_buffer
      - .offset:         72
        .size:           8
        .value_kind:     by_value
      - .offset:         80
        .size:           4
        .value_kind:     by_value
      - .offset:         88
        .size:           8
        .value_kind:     by_value
      - .offset:         96
        .size:           4
        .value_kind:     by_value
      - .offset:         104
        .size:           4
        .value_kind:     hidden_block_count_x
      - .offset:         108
        .size:           4
        .value_kind:     hidden_block_count_y
      - .offset:         112
        .size:           4
        .value_kind:     hidden_block_count_z
      - .offset:         116
        .size:           2
        .value_kind:     hidden_group_size_x
      - .offset:         118
        .size:           2
        .value_kind:     hidden_group_size_y
      - .offset:         120
        .size:           2
        .value_kind:     hidden_group_size_z
      - .offset:         122
        .size:           2
        .value_kind:     hidden_remainder_x
      - .offset:         124
        .size:           2
        .value_kind:     hidden_remainder_y
      - .offset:         126
        .size:           2
        .value_kind:     hidden_remainder_z
      - .offset:         144
        .size:           8
        .value_kind:     hidden_global_offset_x
      - .offset:         152
        .size:           8
        .value_kind:     hidden_global_offset_y
      - .offset:         160
        .size:           8
        .value_kind:     hidden_global_offset_z
      - .offset:         168
        .size:           2
        .value_kind:     hidden_grid_dims
    .group_segment_fixed_size: 6400
    .kernarg_segment_align: 8
    .kernarg_segment_size: 360
    .language:       OpenCL C
    .language_version:
      - 2
      - 0
    .max_flat_workgroup_size: 20
    .name:           _ZL38rocblas_trsm_small_left_device_sharedBILi20ELi20ELb0EddPKPKdPKPdEv13rocblas_fill_18rocblas_operation_17rocblas_diagonal_iiT3_T4_lilT5_lili
    .private_segment_fixed_size: 0
    .sgpr_count:     50
    .sgpr_spill_count: 0
    .symbol:         _ZL38rocblas_trsm_small_left_device_sharedBILi20ELi20ELb0EddPKPKdPKPdEv13rocblas_fill_18rocblas_operation_17rocblas_diagonal_iiT3_T4_lilT5_lili.kd
    .uniform_work_group_size: 1
    .uses_dynamic_stack: false
    .vgpr_count:     110
    .vgpr_spill_count: 0
    .wavefront_size: 32
    .workgroup_processor_mode: 1
  - .args:
      - .offset:         0
        .size:           4
        .value_kind:     by_value
      - .offset:         4
        .size:           4
        .value_kind:     by_value
      - .offset:         8
        .size:           4
        .value_kind:     by_value
      - .offset:         12
        .size:           4
        .value_kind:     by_value
      - .offset:         16
        .size:           4
        .value_kind:     by_value
      - .offset:         24
        .size:           8
        .value_kind:     by_value
      - .address_space:  global
        .offset:         32
        .size:           8
        .value_kind:     global_buffer
      - .offset:         40
        .size:           8
        .value_kind:     by_value
      - .offset:         48
        .size:           4
        .value_kind:     by_value
      - .offset:         56
        .size:           8
        .value_kind:     by_value
      - .address_space:  global
        .offset:         64
        .size:           8
        .value_kind:     global_buffer
      - .offset:         72
        .size:           8
        .value_kind:     by_value
      - .offset:         80
        .size:           4
        .value_kind:     by_value
      - .offset:         88
        .size:           8
        .value_kind:     by_value
      - .offset:         96
        .size:           4
        .value_kind:     by_value
      - .offset:         104
        .size:           4
        .value_kind:     hidden_block_count_x
      - .offset:         108
        .size:           4
        .value_kind:     hidden_block_count_y
      - .offset:         112
        .size:           4
        .value_kind:     hidden_block_count_z
      - .offset:         116
        .size:           2
        .value_kind:     hidden_group_size_x
      - .offset:         118
        .size:           2
        .value_kind:     hidden_group_size_y
      - .offset:         120
        .size:           2
        .value_kind:     hidden_group_size_z
      - .offset:         122
        .size:           2
        .value_kind:     hidden_remainder_x
      - .offset:         124
        .size:           2
        .value_kind:     hidden_remainder_y
      - .offset:         126
        .size:           2
        .value_kind:     hidden_remainder_z
      - .offset:         144
        .size:           8
        .value_kind:     hidden_global_offset_x
      - .offset:         152
        .size:           8
        .value_kind:     hidden_global_offset_y
      - .offset:         160
        .size:           8
        .value_kind:     hidden_global_offset_z
      - .offset:         168
        .size:           2
        .value_kind:     hidden_grid_dims
    .group_segment_fixed_size: 3200
    .kernarg_segment_align: 8
    .kernarg_segment_size: 360
    .language:       OpenCL C
    .language_version:
      - 2
      - 0
    .max_flat_workgroup_size: 20
    .name:           _ZL30rocblas_trsm_small_left_deviceILi20ELi20ELb0EddPKPKdPKPdEv13rocblas_fill_18rocblas_operation_17rocblas_diagonal_iiT3_T4_lilT5_lili
    .private_segment_fixed_size: 0
    .sgpr_count:     34
    .sgpr_spill_count: 0
    .symbol:         _ZL30rocblas_trsm_small_left_deviceILi20ELi20ELb0EddPKPKdPKPdEv13rocblas_fill_18rocblas_operation_17rocblas_diagonal_iiT3_T4_lilT5_lili.kd
    .uniform_work_group_size: 1
    .uses_dynamic_stack: false
    .vgpr_count:     108
    .vgpr_spill_count: 0
    .wavefront_size: 32
    .workgroup_processor_mode: 1
  - .args:
      - .offset:         0
        .size:           4
        .value_kind:     by_value
      - .offset:         4
        .size:           4
        .value_kind:     by_value
      - .offset:         8
        .size:           4
        .value_kind:     by_value
      - .offset:         12
        .size:           4
        .value_kind:     by_value
      - .offset:         16
        .size:           4
        .value_kind:     by_value
      - .offset:         24
        .size:           8
        .value_kind:     by_value
      - .address_space:  global
        .offset:         32
        .size:           8
        .value_kind:     global_buffer
      - .offset:         40
        .size:           8
        .value_kind:     by_value
      - .offset:         48
        .size:           4
        .value_kind:     by_value
      - .offset:         56
        .size:           8
        .value_kind:     by_value
      - .address_space:  global
        .offset:         64
        .size:           8
        .value_kind:     global_buffer
      - .offset:         72
        .size:           8
        .value_kind:     by_value
      - .offset:         80
        .size:           4
        .value_kind:     by_value
      - .offset:         88
        .size:           8
        .value_kind:     by_value
      - .offset:         96
        .size:           4
        .value_kind:     by_value
      - .offset:         104
        .size:           4
        .value_kind:     hidden_block_count_x
      - .offset:         108
        .size:           4
        .value_kind:     hidden_block_count_y
      - .offset:         112
        .size:           4
        .value_kind:     hidden_block_count_z
      - .offset:         116
        .size:           2
        .value_kind:     hidden_group_size_x
      - .offset:         118
        .size:           2
        .value_kind:     hidden_group_size_y
      - .offset:         120
        .size:           2
        .value_kind:     hidden_group_size_z
      - .offset:         122
        .size:           2
        .value_kind:     hidden_remainder_x
      - .offset:         124
        .size:           2
        .value_kind:     hidden_remainder_y
      - .offset:         126
        .size:           2
        .value_kind:     hidden_remainder_z
      - .offset:         144
        .size:           8
        .value_kind:     hidden_global_offset_x
      - .offset:         152
        .size:           8
        .value_kind:     hidden_global_offset_y
      - .offset:         160
        .size:           8
        .value_kind:     hidden_global_offset_z
      - .offset:         168
        .size:           2
        .value_kind:     hidden_grid_dims
    .group_segment_fixed_size: 6400
    .kernarg_segment_align: 8
    .kernarg_segment_size: 360
    .language:       OpenCL C
    .language_version:
      - 2
      - 0
    .max_flat_workgroup_size: 20
    .name:           _ZL38rocblas_trsm_small_left_device_sharedBILi20ELi20ELb1EddPKPKdPKPdEv13rocblas_fill_18rocblas_operation_17rocblas_diagonal_iiT3_T4_lilT5_lili
    .private_segment_fixed_size: 0
    .sgpr_count:     39
    .sgpr_spill_count: 0
    .symbol:         _ZL38rocblas_trsm_small_left_device_sharedBILi20ELi20ELb1EddPKPKdPKPdEv13rocblas_fill_18rocblas_operation_17rocblas_diagonal_iiT3_T4_lilT5_lili.kd
    .uniform_work_group_size: 1
    .uses_dynamic_stack: false
    .vgpr_count:     128
    .vgpr_spill_count: 0
    .wavefront_size: 32
    .workgroup_processor_mode: 1
  - .args:
      - .offset:         0
        .size:           4
        .value_kind:     by_value
      - .offset:         4
        .size:           4
        .value_kind:     by_value
      - .offset:         8
        .size:           4
        .value_kind:     by_value
      - .offset:         12
        .size:           4
        .value_kind:     by_value
      - .offset:         16
        .size:           4
        .value_kind:     by_value
      - .offset:         24
        .size:           8
        .value_kind:     by_value
      - .address_space:  global
        .offset:         32
        .size:           8
        .value_kind:     global_buffer
      - .offset:         40
        .size:           8
        .value_kind:     by_value
      - .offset:         48
        .size:           4
        .value_kind:     by_value
      - .offset:         56
        .size:           8
        .value_kind:     by_value
      - .address_space:  global
        .offset:         64
        .size:           8
        .value_kind:     global_buffer
      - .offset:         72
        .size:           8
        .value_kind:     by_value
      - .offset:         80
        .size:           4
        .value_kind:     by_value
      - .offset:         88
        .size:           8
        .value_kind:     by_value
      - .offset:         96
        .size:           4
        .value_kind:     by_value
      - .offset:         104
        .size:           4
        .value_kind:     hidden_block_count_x
      - .offset:         108
        .size:           4
        .value_kind:     hidden_block_count_y
      - .offset:         112
        .size:           4
        .value_kind:     hidden_block_count_z
      - .offset:         116
        .size:           2
        .value_kind:     hidden_group_size_x
      - .offset:         118
        .size:           2
        .value_kind:     hidden_group_size_y
      - .offset:         120
        .size:           2
        .value_kind:     hidden_group_size_z
      - .offset:         122
        .size:           2
        .value_kind:     hidden_remainder_x
      - .offset:         124
        .size:           2
        .value_kind:     hidden_remainder_y
      - .offset:         126
        .size:           2
        .value_kind:     hidden_remainder_z
      - .offset:         144
        .size:           8
        .value_kind:     hidden_global_offset_x
      - .offset:         152
        .size:           8
        .value_kind:     hidden_global_offset_y
      - .offset:         160
        .size:           8
        .value_kind:     hidden_global_offset_z
      - .offset:         168
        .size:           2
        .value_kind:     hidden_grid_dims
    .group_segment_fixed_size: 3200
    .kernarg_segment_align: 8
    .kernarg_segment_size: 360
    .language:       OpenCL C
    .language_version:
      - 2
      - 0
    .max_flat_workgroup_size: 20
    .name:           _ZL30rocblas_trsm_small_left_deviceILi20ELi20ELb1EddPKPKdPKPdEv13rocblas_fill_18rocblas_operation_17rocblas_diagonal_iiT3_T4_lilT5_lili
    .private_segment_fixed_size: 0
    .sgpr_count:     34
    .sgpr_spill_count: 0
    .symbol:         _ZL30rocblas_trsm_small_left_deviceILi20ELi20ELb1EddPKPKdPKPdEv13rocblas_fill_18rocblas_operation_17rocblas_diagonal_iiT3_T4_lilT5_lili.kd
    .uniform_work_group_size: 1
    .uses_dynamic_stack: false
    .vgpr_count:     113
    .vgpr_spill_count: 0
    .wavefront_size: 32
    .workgroup_processor_mode: 1
  - .args:
      - .offset:         0
        .size:           4
        .value_kind:     by_value
      - .offset:         4
        .size:           4
        .value_kind:     by_value
      - .offset:         8
        .size:           4
        .value_kind:     by_value
      - .offset:         12
        .size:           4
        .value_kind:     by_value
      - .offset:         16
        .size:           4
        .value_kind:     by_value
      - .offset:         24
        .size:           8
        .value_kind:     by_value
      - .address_space:  global
        .offset:         32
        .size:           8
        .value_kind:     global_buffer
      - .offset:         40
        .size:           8
        .value_kind:     by_value
      - .offset:         48
        .size:           4
        .value_kind:     by_value
      - .offset:         56
        .size:           8
        .value_kind:     by_value
      - .address_space:  global
        .offset:         64
        .size:           8
        .value_kind:     global_buffer
      - .offset:         72
        .size:           8
        .value_kind:     by_value
      - .offset:         80
        .size:           4
        .value_kind:     by_value
      - .offset:         88
        .size:           8
        .value_kind:     by_value
      - .offset:         96
        .size:           4
        .value_kind:     by_value
      - .offset:         104
        .size:           4
        .value_kind:     hidden_block_count_x
      - .offset:         108
        .size:           4
        .value_kind:     hidden_block_count_y
      - .offset:         112
        .size:           4
        .value_kind:     hidden_block_count_z
      - .offset:         116
        .size:           2
        .value_kind:     hidden_group_size_x
      - .offset:         118
        .size:           2
        .value_kind:     hidden_group_size_y
      - .offset:         120
        .size:           2
        .value_kind:     hidden_group_size_z
      - .offset:         122
        .size:           2
        .value_kind:     hidden_remainder_x
      - .offset:         124
        .size:           2
        .value_kind:     hidden_remainder_y
      - .offset:         126
        .size:           2
        .value_kind:     hidden_remainder_z
      - .offset:         144
        .size:           8
        .value_kind:     hidden_global_offset_x
      - .offset:         152
        .size:           8
        .value_kind:     hidden_global_offset_y
      - .offset:         160
        .size:           8
        .value_kind:     hidden_global_offset_z
      - .offset:         168
        .size:           2
        .value_kind:     hidden_grid_dims
    .group_segment_fixed_size: 6400
    .kernarg_segment_align: 8
    .kernarg_segment_size: 360
    .language:       OpenCL C
    .language_version:
      - 2
      - 0
    .max_flat_workgroup_size: 20
    .name:           _ZL31rocblas_trsm_small_right_deviceIddPKPKdPKPdLi20EEv13rocblas_fill_18rocblas_operation_17rocblas_diagonal_iiT0_T1_lilT2_lili
    .private_segment_fixed_size: 0
    .sgpr_count:     36
    .sgpr_spill_count: 0
    .symbol:         _ZL31rocblas_trsm_small_right_deviceIddPKPKdPKPdLi20EEv13rocblas_fill_18rocblas_operation_17rocblas_diagonal_iiT0_T1_lilT2_lili.kd
    .uniform_work_group_size: 1
    .uses_dynamic_stack: false
    .vgpr_count:     51
    .vgpr_spill_count: 0
    .wavefront_size: 32
    .workgroup_processor_mode: 1
  - .args:
      - .offset:         0
        .size:           4
        .value_kind:     by_value
      - .offset:         4
        .size:           4
        .value_kind:     by_value
      - .offset:         8
        .size:           4
        .value_kind:     by_value
      - .offset:         12
        .size:           4
        .value_kind:     by_value
      - .offset:         16
        .size:           4
        .value_kind:     by_value
      - .offset:         24
        .size:           8
        .value_kind:     by_value
      - .address_space:  global
        .offset:         32
        .size:           8
        .value_kind:     global_buffer
      - .offset:         40
        .size:           8
        .value_kind:     by_value
      - .offset:         48
        .size:           4
        .value_kind:     by_value
      - .offset:         56
        .size:           8
        .value_kind:     by_value
      - .address_space:  global
        .offset:         64
        .size:           8
        .value_kind:     global_buffer
      - .offset:         72
        .size:           8
        .value_kind:     by_value
      - .offset:         80
        .size:           4
        .value_kind:     by_value
      - .offset:         88
        .size:           8
        .value_kind:     by_value
      - .offset:         96
        .size:           4
        .value_kind:     by_value
      - .offset:         104
        .size:           4
        .value_kind:     hidden_block_count_x
      - .offset:         108
        .size:           4
        .value_kind:     hidden_block_count_y
      - .offset:         112
        .size:           4
        .value_kind:     hidden_block_count_z
      - .offset:         116
        .size:           2
        .value_kind:     hidden_group_size_x
      - .offset:         118
        .size:           2
        .value_kind:     hidden_group_size_y
      - .offset:         120
        .size:           2
        .value_kind:     hidden_group_size_z
      - .offset:         122
        .size:           2
        .value_kind:     hidden_remainder_x
      - .offset:         124
        .size:           2
        .value_kind:     hidden_remainder_y
      - .offset:         126
        .size:           2
        .value_kind:     hidden_remainder_z
      - .offset:         144
        .size:           8
        .value_kind:     hidden_global_offset_x
      - .offset:         152
        .size:           8
        .value_kind:     hidden_global_offset_y
      - .offset:         160
        .size:           8
        .value_kind:     hidden_global_offset_z
      - .offset:         168
        .size:           2
        .value_kind:     hidden_grid_dims
    .group_segment_fixed_size: 9216
    .kernarg_segment_align: 8
    .kernarg_segment_size: 360
    .language:       OpenCL C
    .language_version:
      - 2
      - 0
    .max_flat_workgroup_size: 24
    .name:           _ZL38rocblas_trsm_small_left_device_sharedBILi24ELi24ELb0EddPKPKdPKPdEv13rocblas_fill_18rocblas_operation_17rocblas_diagonal_iiT3_T4_lilT5_lili
    .private_segment_fixed_size: 0
    .sgpr_count:     58
    .sgpr_spill_count: 0
    .symbol:         _ZL38rocblas_trsm_small_left_device_sharedBILi24ELi24ELb0EddPKPKdPKPdEv13rocblas_fill_18rocblas_operation_17rocblas_diagonal_iiT3_T4_lilT5_lili.kd
    .uniform_work_group_size: 1
    .uses_dynamic_stack: false
    .vgpr_count:     132
    .vgpr_spill_count: 0
    .wavefront_size: 32
    .workgroup_processor_mode: 1
  - .args:
      - .offset:         0
        .size:           4
        .value_kind:     by_value
      - .offset:         4
        .size:           4
        .value_kind:     by_value
      - .offset:         8
        .size:           4
        .value_kind:     by_value
      - .offset:         12
        .size:           4
        .value_kind:     by_value
      - .offset:         16
        .size:           4
        .value_kind:     by_value
      - .offset:         24
        .size:           8
        .value_kind:     by_value
      - .address_space:  global
        .offset:         32
        .size:           8
        .value_kind:     global_buffer
      - .offset:         40
        .size:           8
        .value_kind:     by_value
      - .offset:         48
        .size:           4
        .value_kind:     by_value
      - .offset:         56
        .size:           8
        .value_kind:     by_value
      - .address_space:  global
        .offset:         64
        .size:           8
        .value_kind:     global_buffer
      - .offset:         72
        .size:           8
        .value_kind:     by_value
      - .offset:         80
        .size:           4
        .value_kind:     by_value
      - .offset:         88
        .size:           8
        .value_kind:     by_value
      - .offset:         96
        .size:           4
        .value_kind:     by_value
      - .offset:         104
        .size:           4
        .value_kind:     hidden_block_count_x
      - .offset:         108
        .size:           4
        .value_kind:     hidden_block_count_y
      - .offset:         112
        .size:           4
        .value_kind:     hidden_block_count_z
      - .offset:         116
        .size:           2
        .value_kind:     hidden_group_size_x
      - .offset:         118
        .size:           2
        .value_kind:     hidden_group_size_y
      - .offset:         120
        .size:           2
        .value_kind:     hidden_group_size_z
      - .offset:         122
        .size:           2
        .value_kind:     hidden_remainder_x
      - .offset:         124
        .size:           2
        .value_kind:     hidden_remainder_y
      - .offset:         126
        .size:           2
        .value_kind:     hidden_remainder_z
      - .offset:         144
        .size:           8
        .value_kind:     hidden_global_offset_x
      - .offset:         152
        .size:           8
        .value_kind:     hidden_global_offset_y
      - .offset:         160
        .size:           8
        .value_kind:     hidden_global_offset_z
      - .offset:         168
        .size:           2
        .value_kind:     hidden_grid_dims
    .group_segment_fixed_size: 4608
    .kernarg_segment_align: 8
    .kernarg_segment_size: 360
    .language:       OpenCL C
    .language_version:
      - 2
      - 0
    .max_flat_workgroup_size: 24
    .name:           _ZL30rocblas_trsm_small_left_deviceILi24ELi24ELb0EddPKPKdPKPdEv13rocblas_fill_18rocblas_operation_17rocblas_diagonal_iiT3_T4_lilT5_lili
    .private_segment_fixed_size: 0
    .sgpr_count:     37
    .sgpr_spill_count: 0
    .symbol:         _ZL30rocblas_trsm_small_left_deviceILi24ELi24ELb0EddPKPKdPKPdEv13rocblas_fill_18rocblas_operation_17rocblas_diagonal_iiT3_T4_lilT5_lili.kd
    .uniform_work_group_size: 1
    .uses_dynamic_stack: false
    .vgpr_count:     128
    .vgpr_spill_count: 0
    .wavefront_size: 32
    .workgroup_processor_mode: 1
  - .args:
      - .offset:         0
        .size:           4
        .value_kind:     by_value
      - .offset:         4
        .size:           4
        .value_kind:     by_value
      - .offset:         8
        .size:           4
        .value_kind:     by_value
      - .offset:         12
        .size:           4
        .value_kind:     by_value
      - .offset:         16
        .size:           4
        .value_kind:     by_value
      - .offset:         24
        .size:           8
        .value_kind:     by_value
      - .address_space:  global
        .offset:         32
        .size:           8
        .value_kind:     global_buffer
      - .offset:         40
        .size:           8
        .value_kind:     by_value
      - .offset:         48
        .size:           4
        .value_kind:     by_value
      - .offset:         56
        .size:           8
        .value_kind:     by_value
      - .address_space:  global
        .offset:         64
        .size:           8
        .value_kind:     global_buffer
      - .offset:         72
        .size:           8
        .value_kind:     by_value
      - .offset:         80
        .size:           4
        .value_kind:     by_value
      - .offset:         88
        .size:           8
        .value_kind:     by_value
      - .offset:         96
        .size:           4
        .value_kind:     by_value
      - .offset:         104
        .size:           4
        .value_kind:     hidden_block_count_x
      - .offset:         108
        .size:           4
        .value_kind:     hidden_block_count_y
      - .offset:         112
        .size:           4
        .value_kind:     hidden_block_count_z
      - .offset:         116
        .size:           2
        .value_kind:     hidden_group_size_x
      - .offset:         118
        .size:           2
        .value_kind:     hidden_group_size_y
      - .offset:         120
        .size:           2
        .value_kind:     hidden_group_size_z
      - .offset:         122
        .size:           2
        .value_kind:     hidden_remainder_x
      - .offset:         124
        .size:           2
        .value_kind:     hidden_remainder_y
      - .offset:         126
        .size:           2
        .value_kind:     hidden_remainder_z
      - .offset:         144
        .size:           8
        .value_kind:     hidden_global_offset_x
      - .offset:         152
        .size:           8
        .value_kind:     hidden_global_offset_y
      - .offset:         160
        .size:           8
        .value_kind:     hidden_global_offset_z
      - .offset:         168
        .size:           2
        .value_kind:     hidden_grid_dims
    .group_segment_fixed_size: 9216
    .kernarg_segment_align: 8
    .kernarg_segment_size: 360
    .language:       OpenCL C
    .language_version:
      - 2
      - 0
    .max_flat_workgroup_size: 24
    .name:           _ZL38rocblas_trsm_small_left_device_sharedBILi24ELi24ELb1EddPKPKdPKPdEv13rocblas_fill_18rocblas_operation_17rocblas_diagonal_iiT3_T4_lilT5_lili
    .private_segment_fixed_size: 0
    .sgpr_count:     48
    .sgpr_spill_count: 0
    .symbol:         _ZL38rocblas_trsm_small_left_device_sharedBILi24ELi24ELb1EddPKPKdPKPdEv13rocblas_fill_18rocblas_operation_17rocblas_diagonal_iiT3_T4_lilT5_lili.kd
    .uniform_work_group_size: 1
    .uses_dynamic_stack: false
    .vgpr_count:     152
    .vgpr_spill_count: 0
    .wavefront_size: 32
    .workgroup_processor_mode: 1
  - .args:
      - .offset:         0
        .size:           4
        .value_kind:     by_value
      - .offset:         4
        .size:           4
        .value_kind:     by_value
      - .offset:         8
        .size:           4
        .value_kind:     by_value
      - .offset:         12
        .size:           4
        .value_kind:     by_value
      - .offset:         16
        .size:           4
        .value_kind:     by_value
      - .offset:         24
        .size:           8
        .value_kind:     by_value
      - .address_space:  global
        .offset:         32
        .size:           8
        .value_kind:     global_buffer
      - .offset:         40
        .size:           8
        .value_kind:     by_value
      - .offset:         48
        .size:           4
        .value_kind:     by_value
      - .offset:         56
        .size:           8
        .value_kind:     by_value
      - .address_space:  global
        .offset:         64
        .size:           8
        .value_kind:     global_buffer
      - .offset:         72
        .size:           8
        .value_kind:     by_value
      - .offset:         80
        .size:           4
        .value_kind:     by_value
      - .offset:         88
        .size:           8
        .value_kind:     by_value
      - .offset:         96
        .size:           4
        .value_kind:     by_value
      - .offset:         104
        .size:           4
        .value_kind:     hidden_block_count_x
      - .offset:         108
        .size:           4
        .value_kind:     hidden_block_count_y
      - .offset:         112
        .size:           4
        .value_kind:     hidden_block_count_z
      - .offset:         116
        .size:           2
        .value_kind:     hidden_group_size_x
      - .offset:         118
        .size:           2
        .value_kind:     hidden_group_size_y
      - .offset:         120
        .size:           2
        .value_kind:     hidden_group_size_z
      - .offset:         122
        .size:           2
        .value_kind:     hidden_remainder_x
      - .offset:         124
        .size:           2
        .value_kind:     hidden_remainder_y
      - .offset:         126
        .size:           2
        .value_kind:     hidden_remainder_z
      - .offset:         144
        .size:           8
        .value_kind:     hidden_global_offset_x
      - .offset:         152
        .size:           8
        .value_kind:     hidden_global_offset_y
      - .offset:         160
        .size:           8
        .value_kind:     hidden_global_offset_z
      - .offset:         168
        .size:           2
        .value_kind:     hidden_grid_dims
    .group_segment_fixed_size: 4608
    .kernarg_segment_align: 8
    .kernarg_segment_size: 360
    .language:       OpenCL C
    .language_version:
      - 2
      - 0
    .max_flat_workgroup_size: 24
    .name:           _ZL30rocblas_trsm_small_left_deviceILi24ELi24ELb1EddPKPKdPKPdEv13rocblas_fill_18rocblas_operation_17rocblas_diagonal_iiT3_T4_lilT5_lili
    .private_segment_fixed_size: 0
    .sgpr_count:     34
    .sgpr_spill_count: 0
    .symbol:         _ZL30rocblas_trsm_small_left_deviceILi24ELi24ELb1EddPKPKdPKPdEv13rocblas_fill_18rocblas_operation_17rocblas_diagonal_iiT3_T4_lilT5_lili.kd
    .uniform_work_group_size: 1
    .uses_dynamic_stack: false
    .vgpr_count:     142
    .vgpr_spill_count: 0
    .wavefront_size: 32
    .workgroup_processor_mode: 1
  - .args:
      - .offset:         0
        .size:           4
        .value_kind:     by_value
      - .offset:         4
        .size:           4
        .value_kind:     by_value
      - .offset:         8
        .size:           4
        .value_kind:     by_value
      - .offset:         12
        .size:           4
        .value_kind:     by_value
      - .offset:         16
        .size:           4
        .value_kind:     by_value
      - .offset:         24
        .size:           8
        .value_kind:     by_value
      - .address_space:  global
        .offset:         32
        .size:           8
        .value_kind:     global_buffer
      - .offset:         40
        .size:           8
        .value_kind:     by_value
      - .offset:         48
        .size:           4
        .value_kind:     by_value
      - .offset:         56
        .size:           8
        .value_kind:     by_value
      - .address_space:  global
        .offset:         64
        .size:           8
        .value_kind:     global_buffer
      - .offset:         72
        .size:           8
        .value_kind:     by_value
      - .offset:         80
        .size:           4
        .value_kind:     by_value
      - .offset:         88
        .size:           8
        .value_kind:     by_value
      - .offset:         96
        .size:           4
        .value_kind:     by_value
      - .offset:         104
        .size:           4
        .value_kind:     hidden_block_count_x
      - .offset:         108
        .size:           4
        .value_kind:     hidden_block_count_y
      - .offset:         112
        .size:           4
        .value_kind:     hidden_block_count_z
      - .offset:         116
        .size:           2
        .value_kind:     hidden_group_size_x
      - .offset:         118
        .size:           2
        .value_kind:     hidden_group_size_y
      - .offset:         120
        .size:           2
        .value_kind:     hidden_group_size_z
      - .offset:         122
        .size:           2
        .value_kind:     hidden_remainder_x
      - .offset:         124
        .size:           2
        .value_kind:     hidden_remainder_y
      - .offset:         126
        .size:           2
        .value_kind:     hidden_remainder_z
      - .offset:         144
        .size:           8
        .value_kind:     hidden_global_offset_x
      - .offset:         152
        .size:           8
        .value_kind:     hidden_global_offset_y
      - .offset:         160
        .size:           8
        .value_kind:     hidden_global_offset_z
      - .offset:         168
        .size:           2
        .value_kind:     hidden_grid_dims
    .group_segment_fixed_size: 9216
    .kernarg_segment_align: 8
    .kernarg_segment_size: 360
    .language:       OpenCL C
    .language_version:
      - 2
      - 0
    .max_flat_workgroup_size: 24
    .name:           _ZL31rocblas_trsm_small_right_deviceIddPKPKdPKPdLi24EEv13rocblas_fill_18rocblas_operation_17rocblas_diagonal_iiT0_T1_lilT2_lili
    .private_segment_fixed_size: 0
    .sgpr_count:     36
    .sgpr_spill_count: 0
    .symbol:         _ZL31rocblas_trsm_small_right_deviceIddPKPKdPKPdLi24EEv13rocblas_fill_18rocblas_operation_17rocblas_diagonal_iiT0_T1_lilT2_lili.kd
    .uniform_work_group_size: 1
    .uses_dynamic_stack: false
    .vgpr_count:     51
    .vgpr_spill_count: 0
    .wavefront_size: 32
    .workgroup_processor_mode: 1
  - .args:
      - .offset:         0
        .size:           4
        .value_kind:     by_value
      - .offset:         4
        .size:           4
        .value_kind:     by_value
      - .offset:         8
        .size:           4
        .value_kind:     by_value
      - .offset:         12
        .size:           4
        .value_kind:     by_value
      - .offset:         16
        .size:           4
        .value_kind:     by_value
      - .offset:         24
        .size:           8
        .value_kind:     by_value
      - .address_space:  global
        .offset:         32
        .size:           8
        .value_kind:     global_buffer
      - .offset:         40
        .size:           8
        .value_kind:     by_value
      - .offset:         48
        .size:           4
        .value_kind:     by_value
      - .offset:         56
        .size:           8
        .value_kind:     by_value
      - .address_space:  global
        .offset:         64
        .size:           8
        .value_kind:     global_buffer
      - .offset:         72
        .size:           8
        .value_kind:     by_value
      - .offset:         80
        .size:           4
        .value_kind:     by_value
      - .offset:         88
        .size:           8
        .value_kind:     by_value
      - .offset:         96
        .size:           4
        .value_kind:     by_value
      - .offset:         104
        .size:           4
        .value_kind:     hidden_block_count_x
      - .offset:         108
        .size:           4
        .value_kind:     hidden_block_count_y
      - .offset:         112
        .size:           4
        .value_kind:     hidden_block_count_z
      - .offset:         116
        .size:           2
        .value_kind:     hidden_group_size_x
      - .offset:         118
        .size:           2
        .value_kind:     hidden_group_size_y
      - .offset:         120
        .size:           2
        .value_kind:     hidden_group_size_z
      - .offset:         122
        .size:           2
        .value_kind:     hidden_remainder_x
      - .offset:         124
        .size:           2
        .value_kind:     hidden_remainder_y
      - .offset:         126
        .size:           2
        .value_kind:     hidden_remainder_z
      - .offset:         144
        .size:           8
        .value_kind:     hidden_global_offset_x
      - .offset:         152
        .size:           8
        .value_kind:     hidden_global_offset_y
      - .offset:         160
        .size:           8
        .value_kind:     hidden_global_offset_z
      - .offset:         168
        .size:           2
        .value_kind:     hidden_grid_dims
    .group_segment_fixed_size: 12544
    .kernarg_segment_align: 8
    .kernarg_segment_size: 360
    .language:       OpenCL C
    .language_version:
      - 2
      - 0
    .max_flat_workgroup_size: 28
    .name:           _ZL38rocblas_trsm_small_left_device_sharedBILi28ELi28ELb0EddPKPKdPKPdEv13rocblas_fill_18rocblas_operation_17rocblas_diagonal_iiT3_T4_lilT5_lili
    .private_segment_fixed_size: 0
    .sgpr_count:     80
    .sgpr_spill_count: 0
    .symbol:         _ZL38rocblas_trsm_small_left_device_sharedBILi28ELi28ELb0EddPKPKdPKPdEv13rocblas_fill_18rocblas_operation_17rocblas_diagonal_iiT3_T4_lilT5_lili.kd
    .uniform_work_group_size: 1
    .uses_dynamic_stack: false
    .vgpr_count:     156
    .vgpr_spill_count: 0
    .wavefront_size: 32
    .workgroup_processor_mode: 1
  - .args:
      - .offset:         0
        .size:           4
        .value_kind:     by_value
      - .offset:         4
        .size:           4
        .value_kind:     by_value
      - .offset:         8
        .size:           4
        .value_kind:     by_value
      - .offset:         12
        .size:           4
        .value_kind:     by_value
      - .offset:         16
        .size:           4
        .value_kind:     by_value
      - .offset:         24
        .size:           8
        .value_kind:     by_value
      - .address_space:  global
        .offset:         32
        .size:           8
        .value_kind:     global_buffer
      - .offset:         40
        .size:           8
        .value_kind:     by_value
      - .offset:         48
        .size:           4
        .value_kind:     by_value
      - .offset:         56
        .size:           8
        .value_kind:     by_value
      - .address_space:  global
        .offset:         64
        .size:           8
        .value_kind:     global_buffer
      - .offset:         72
        .size:           8
        .value_kind:     by_value
      - .offset:         80
        .size:           4
        .value_kind:     by_value
      - .offset:         88
        .size:           8
        .value_kind:     by_value
      - .offset:         96
        .size:           4
        .value_kind:     by_value
      - .offset:         104
        .size:           4
        .value_kind:     hidden_block_count_x
      - .offset:         108
        .size:           4
        .value_kind:     hidden_block_count_y
      - .offset:         112
        .size:           4
        .value_kind:     hidden_block_count_z
      - .offset:         116
        .size:           2
        .value_kind:     hidden_group_size_x
      - .offset:         118
        .size:           2
        .value_kind:     hidden_group_size_y
      - .offset:         120
        .size:           2
        .value_kind:     hidden_group_size_z
      - .offset:         122
        .size:           2
        .value_kind:     hidden_remainder_x
      - .offset:         124
        .size:           2
        .value_kind:     hidden_remainder_y
      - .offset:         126
        .size:           2
        .value_kind:     hidden_remainder_z
      - .offset:         144
        .size:           8
        .value_kind:     hidden_global_offset_x
      - .offset:         152
        .size:           8
        .value_kind:     hidden_global_offset_y
      - .offset:         160
        .size:           8
        .value_kind:     hidden_global_offset_z
      - .offset:         168
        .size:           2
        .value_kind:     hidden_grid_dims
    .group_segment_fixed_size: 6272
    .kernarg_segment_align: 8
    .kernarg_segment_size: 360
    .language:       OpenCL C
    .language_version:
      - 2
      - 0
    .max_flat_workgroup_size: 28
    .name:           _ZL30rocblas_trsm_small_left_deviceILi28ELi28ELb0EddPKPKdPKPdEv13rocblas_fill_18rocblas_operation_17rocblas_diagonal_iiT3_T4_lilT5_lili
    .private_segment_fixed_size: 0
    .sgpr_count:     42
    .sgpr_spill_count: 0
    .symbol:         _ZL30rocblas_trsm_small_left_deviceILi28ELi28ELb0EddPKPKdPKPdEv13rocblas_fill_18rocblas_operation_17rocblas_diagonal_iiT3_T4_lilT5_lili.kd
    .uniform_work_group_size: 1
    .uses_dynamic_stack: false
    .vgpr_count:     148
    .vgpr_spill_count: 0
    .wavefront_size: 32
    .workgroup_processor_mode: 1
  - .args:
      - .offset:         0
        .size:           4
        .value_kind:     by_value
      - .offset:         4
        .size:           4
        .value_kind:     by_value
      - .offset:         8
        .size:           4
        .value_kind:     by_value
      - .offset:         12
        .size:           4
        .value_kind:     by_value
      - .offset:         16
        .size:           4
        .value_kind:     by_value
      - .offset:         24
        .size:           8
        .value_kind:     by_value
      - .address_space:  global
        .offset:         32
        .size:           8
        .value_kind:     global_buffer
      - .offset:         40
        .size:           8
        .value_kind:     by_value
      - .offset:         48
        .size:           4
        .value_kind:     by_value
      - .offset:         56
        .size:           8
        .value_kind:     by_value
      - .address_space:  global
        .offset:         64
        .size:           8
        .value_kind:     global_buffer
      - .offset:         72
        .size:           8
        .value_kind:     by_value
      - .offset:         80
        .size:           4
        .value_kind:     by_value
      - .offset:         88
        .size:           8
        .value_kind:     by_value
      - .offset:         96
        .size:           4
        .value_kind:     by_value
      - .offset:         104
        .size:           4
        .value_kind:     hidden_block_count_x
      - .offset:         108
        .size:           4
        .value_kind:     hidden_block_count_y
      - .offset:         112
        .size:           4
        .value_kind:     hidden_block_count_z
      - .offset:         116
        .size:           2
        .value_kind:     hidden_group_size_x
      - .offset:         118
        .size:           2
        .value_kind:     hidden_group_size_y
      - .offset:         120
        .size:           2
        .value_kind:     hidden_group_size_z
      - .offset:         122
        .size:           2
        .value_kind:     hidden_remainder_x
      - .offset:         124
        .size:           2
        .value_kind:     hidden_remainder_y
      - .offset:         126
        .size:           2
        .value_kind:     hidden_remainder_z
      - .offset:         144
        .size:           8
        .value_kind:     hidden_global_offset_x
      - .offset:         152
        .size:           8
        .value_kind:     hidden_global_offset_y
      - .offset:         160
        .size:           8
        .value_kind:     hidden_global_offset_z
      - .offset:         168
        .size:           2
        .value_kind:     hidden_grid_dims
    .group_segment_fixed_size: 12544
    .kernarg_segment_align: 8
    .kernarg_segment_size: 360
    .language:       OpenCL C
    .language_version:
      - 2
      - 0
    .max_flat_workgroup_size: 28
    .name:           _ZL38rocblas_trsm_small_left_device_sharedBILi28ELi28ELb1EddPKPKdPKPdEv13rocblas_fill_18rocblas_operation_17rocblas_diagonal_iiT3_T4_lilT5_lili
    .private_segment_fixed_size: 0
    .sgpr_count:     54
    .sgpr_spill_count: 0
    .symbol:         _ZL38rocblas_trsm_small_left_device_sharedBILi28ELi28ELb1EddPKPKdPKPdEv13rocblas_fill_18rocblas_operation_17rocblas_diagonal_iiT3_T4_lilT5_lili.kd
    .uniform_work_group_size: 1
    .uses_dynamic_stack: false
    .vgpr_count:     181
    .vgpr_spill_count: 0
    .wavefront_size: 32
    .workgroup_processor_mode: 1
  - .args:
      - .offset:         0
        .size:           4
        .value_kind:     by_value
      - .offset:         4
        .size:           4
        .value_kind:     by_value
      - .offset:         8
        .size:           4
        .value_kind:     by_value
      - .offset:         12
        .size:           4
        .value_kind:     by_value
      - .offset:         16
        .size:           4
        .value_kind:     by_value
      - .offset:         24
        .size:           8
        .value_kind:     by_value
      - .address_space:  global
        .offset:         32
        .size:           8
        .value_kind:     global_buffer
      - .offset:         40
        .size:           8
        .value_kind:     by_value
      - .offset:         48
        .size:           4
        .value_kind:     by_value
      - .offset:         56
        .size:           8
        .value_kind:     by_value
      - .address_space:  global
        .offset:         64
        .size:           8
        .value_kind:     global_buffer
      - .offset:         72
        .size:           8
        .value_kind:     by_value
      - .offset:         80
        .size:           4
        .value_kind:     by_value
      - .offset:         88
        .size:           8
        .value_kind:     by_value
      - .offset:         96
        .size:           4
        .value_kind:     by_value
      - .offset:         104
        .size:           4
        .value_kind:     hidden_block_count_x
      - .offset:         108
        .size:           4
        .value_kind:     hidden_block_count_y
      - .offset:         112
        .size:           4
        .value_kind:     hidden_block_count_z
      - .offset:         116
        .size:           2
        .value_kind:     hidden_group_size_x
      - .offset:         118
        .size:           2
        .value_kind:     hidden_group_size_y
      - .offset:         120
        .size:           2
        .value_kind:     hidden_group_size_z
      - .offset:         122
        .size:           2
        .value_kind:     hidden_remainder_x
      - .offset:         124
        .size:           2
        .value_kind:     hidden_remainder_y
      - .offset:         126
        .size:           2
        .value_kind:     hidden_remainder_z
      - .offset:         144
        .size:           8
        .value_kind:     hidden_global_offset_x
      - .offset:         152
        .size:           8
        .value_kind:     hidden_global_offset_y
      - .offset:         160
        .size:           8
        .value_kind:     hidden_global_offset_z
      - .offset:         168
        .size:           2
        .value_kind:     hidden_grid_dims
    .group_segment_fixed_size: 6272
    .kernarg_segment_align: 8
    .kernarg_segment_size: 360
    .language:       OpenCL C
    .language_version:
      - 2
      - 0
    .max_flat_workgroup_size: 28
    .name:           _ZL30rocblas_trsm_small_left_deviceILi28ELi28ELb1EddPKPKdPKPdEv13rocblas_fill_18rocblas_operation_17rocblas_diagonal_iiT3_T4_lilT5_lili
    .private_segment_fixed_size: 0
    .sgpr_count:     34
    .sgpr_spill_count: 0
    .symbol:         _ZL30rocblas_trsm_small_left_deviceILi28ELi28ELb1EddPKPKdPKPdEv13rocblas_fill_18rocblas_operation_17rocblas_diagonal_iiT3_T4_lilT5_lili.kd
    .uniform_work_group_size: 1
    .uses_dynamic_stack: false
    .vgpr_count:     158
    .vgpr_spill_count: 0
    .wavefront_size: 32
    .workgroup_processor_mode: 1
  - .args:
      - .offset:         0
        .size:           4
        .value_kind:     by_value
      - .offset:         4
        .size:           4
        .value_kind:     by_value
      - .offset:         8
        .size:           4
        .value_kind:     by_value
      - .offset:         12
        .size:           4
        .value_kind:     by_value
      - .offset:         16
        .size:           4
        .value_kind:     by_value
      - .offset:         24
        .size:           8
        .value_kind:     by_value
      - .address_space:  global
        .offset:         32
        .size:           8
        .value_kind:     global_buffer
      - .offset:         40
        .size:           8
        .value_kind:     by_value
      - .offset:         48
        .size:           4
        .value_kind:     by_value
      - .offset:         56
        .size:           8
        .value_kind:     by_value
      - .address_space:  global
        .offset:         64
        .size:           8
        .value_kind:     global_buffer
      - .offset:         72
        .size:           8
        .value_kind:     by_value
      - .offset:         80
        .size:           4
        .value_kind:     by_value
      - .offset:         88
        .size:           8
        .value_kind:     by_value
      - .offset:         96
        .size:           4
        .value_kind:     by_value
      - .offset:         104
        .size:           4
        .value_kind:     hidden_block_count_x
      - .offset:         108
        .size:           4
        .value_kind:     hidden_block_count_y
      - .offset:         112
        .size:           4
        .value_kind:     hidden_block_count_z
      - .offset:         116
        .size:           2
        .value_kind:     hidden_group_size_x
      - .offset:         118
        .size:           2
        .value_kind:     hidden_group_size_y
      - .offset:         120
        .size:           2
        .value_kind:     hidden_group_size_z
      - .offset:         122
        .size:           2
        .value_kind:     hidden_remainder_x
      - .offset:         124
        .size:           2
        .value_kind:     hidden_remainder_y
      - .offset:         126
        .size:           2
        .value_kind:     hidden_remainder_z
      - .offset:         144
        .size:           8
        .value_kind:     hidden_global_offset_x
      - .offset:         152
        .size:           8
        .value_kind:     hidden_global_offset_y
      - .offset:         160
        .size:           8
        .value_kind:     hidden_global_offset_z
      - .offset:         168
        .size:           2
        .value_kind:     hidden_grid_dims
    .group_segment_fixed_size: 12544
    .kernarg_segment_align: 8
    .kernarg_segment_size: 360
    .language:       OpenCL C
    .language_version:
      - 2
      - 0
    .max_flat_workgroup_size: 28
    .name:           _ZL31rocblas_trsm_small_right_deviceIddPKPKdPKPdLi28EEv13rocblas_fill_18rocblas_operation_17rocblas_diagonal_iiT0_T1_lilT2_lili
    .private_segment_fixed_size: 0
    .sgpr_count:     36
    .sgpr_spill_count: 0
    .symbol:         _ZL31rocblas_trsm_small_right_deviceIddPKPKdPKPdLi28EEv13rocblas_fill_18rocblas_operation_17rocblas_diagonal_iiT0_T1_lilT2_lili.kd
    .uniform_work_group_size: 1
    .uses_dynamic_stack: false
    .vgpr_count:     51
    .vgpr_spill_count: 0
    .wavefront_size: 32
    .workgroup_processor_mode: 1
  - .args:
      - .offset:         0
        .size:           4
        .value_kind:     by_value
      - .offset:         4
        .size:           4
        .value_kind:     by_value
      - .offset:         8
        .size:           4
        .value_kind:     by_value
      - .offset:         12
        .size:           4
        .value_kind:     by_value
      - .offset:         16
        .size:           4
        .value_kind:     by_value
      - .offset:         24
        .size:           8
        .value_kind:     by_value
      - .address_space:  global
        .offset:         32
        .size:           8
        .value_kind:     global_buffer
      - .offset:         40
        .size:           8
        .value_kind:     by_value
      - .offset:         48
        .size:           4
        .value_kind:     by_value
      - .offset:         56
        .size:           8
        .value_kind:     by_value
      - .address_space:  global
        .offset:         64
        .size:           8
        .value_kind:     global_buffer
      - .offset:         72
        .size:           8
        .value_kind:     by_value
      - .offset:         80
        .size:           4
        .value_kind:     by_value
      - .offset:         88
        .size:           8
        .value_kind:     by_value
      - .offset:         96
        .size:           4
        .value_kind:     by_value
      - .offset:         104
        .size:           4
        .value_kind:     hidden_block_count_x
      - .offset:         108
        .size:           4
        .value_kind:     hidden_block_count_y
      - .offset:         112
        .size:           4
        .value_kind:     hidden_block_count_z
      - .offset:         116
        .size:           2
        .value_kind:     hidden_group_size_x
      - .offset:         118
        .size:           2
        .value_kind:     hidden_group_size_y
      - .offset:         120
        .size:           2
        .value_kind:     hidden_group_size_z
      - .offset:         122
        .size:           2
        .value_kind:     hidden_remainder_x
      - .offset:         124
        .size:           2
        .value_kind:     hidden_remainder_y
      - .offset:         126
        .size:           2
        .value_kind:     hidden_remainder_z
      - .offset:         144
        .size:           8
        .value_kind:     hidden_global_offset_x
      - .offset:         152
        .size:           8
        .value_kind:     hidden_global_offset_y
      - .offset:         160
        .size:           8
        .value_kind:     hidden_global_offset_z
      - .offset:         168
        .size:           2
        .value_kind:     hidden_grid_dims
    .group_segment_fixed_size: 16384
    .kernarg_segment_align: 8
    .kernarg_segment_size: 360
    .language:       OpenCL C
    .language_version:
      - 2
      - 0
    .max_flat_workgroup_size: 32
    .name:           _ZL38rocblas_trsm_small_left_device_sharedBILi32ELi32ELb0EddPKPKdPKPdEv13rocblas_fill_18rocblas_operation_17rocblas_diagonal_iiT3_T4_lilT5_lili
    .private_segment_fixed_size: 0
    .sgpr_count:     88
    .sgpr_spill_count: 0
    .symbol:         _ZL38rocblas_trsm_small_left_device_sharedBILi32ELi32ELb0EddPKPKdPKPdEv13rocblas_fill_18rocblas_operation_17rocblas_diagonal_iiT3_T4_lilT5_lili.kd
    .uniform_work_group_size: 1
    .uses_dynamic_stack: false
    .vgpr_count:     164
    .vgpr_spill_count: 0
    .wavefront_size: 32
    .workgroup_processor_mode: 1
  - .args:
      - .offset:         0
        .size:           4
        .value_kind:     by_value
      - .offset:         4
        .size:           4
        .value_kind:     by_value
      - .offset:         8
        .size:           4
        .value_kind:     by_value
      - .offset:         12
        .size:           4
        .value_kind:     by_value
      - .offset:         16
        .size:           4
        .value_kind:     by_value
      - .offset:         24
        .size:           8
        .value_kind:     by_value
      - .address_space:  global
        .offset:         32
        .size:           8
        .value_kind:     global_buffer
      - .offset:         40
        .size:           8
        .value_kind:     by_value
      - .offset:         48
        .size:           4
        .value_kind:     by_value
      - .offset:         56
        .size:           8
        .value_kind:     by_value
      - .address_space:  global
        .offset:         64
        .size:           8
        .value_kind:     global_buffer
      - .offset:         72
        .size:           8
        .value_kind:     by_value
      - .offset:         80
        .size:           4
        .value_kind:     by_value
      - .offset:         88
        .size:           8
        .value_kind:     by_value
      - .offset:         96
        .size:           4
        .value_kind:     by_value
      - .offset:         104
        .size:           4
        .value_kind:     hidden_block_count_x
      - .offset:         108
        .size:           4
        .value_kind:     hidden_block_count_y
      - .offset:         112
        .size:           4
        .value_kind:     hidden_block_count_z
      - .offset:         116
        .size:           2
        .value_kind:     hidden_group_size_x
      - .offset:         118
        .size:           2
        .value_kind:     hidden_group_size_y
      - .offset:         120
        .size:           2
        .value_kind:     hidden_group_size_z
      - .offset:         122
        .size:           2
        .value_kind:     hidden_remainder_x
      - .offset:         124
        .size:           2
        .value_kind:     hidden_remainder_y
      - .offset:         126
        .size:           2
        .value_kind:     hidden_remainder_z
      - .offset:         144
        .size:           8
        .value_kind:     hidden_global_offset_x
      - .offset:         152
        .size:           8
        .value_kind:     hidden_global_offset_y
      - .offset:         160
        .size:           8
        .value_kind:     hidden_global_offset_z
      - .offset:         168
        .size:           2
        .value_kind:     hidden_grid_dims
    .group_segment_fixed_size: 8192
    .kernarg_segment_align: 8
    .kernarg_segment_size: 360
    .language:       OpenCL C
    .language_version:
      - 2
      - 0
    .max_flat_workgroup_size: 32
    .name:           _ZL30rocblas_trsm_small_left_deviceILi32ELi32ELb0EddPKPKdPKPdEv13rocblas_fill_18rocblas_operation_17rocblas_diagonal_iiT3_T4_lilT5_lili
    .private_segment_fixed_size: 0
    .sgpr_count:     107
    .sgpr_spill_count: 2
    .symbol:         _ZL30rocblas_trsm_small_left_deviceILi32ELi32ELb0EddPKPKdPKPdEv13rocblas_fill_18rocblas_operation_17rocblas_diagonal_iiT3_T4_lilT5_lili.kd
    .uniform_work_group_size: 1
    .uses_dynamic_stack: false
    .vgpr_count:     170
    .vgpr_spill_count: 0
    .wavefront_size: 32
    .workgroup_processor_mode: 1
  - .args:
      - .offset:         0
        .size:           4
        .value_kind:     by_value
      - .offset:         4
        .size:           4
        .value_kind:     by_value
      - .offset:         8
        .size:           4
        .value_kind:     by_value
      - .offset:         12
        .size:           4
        .value_kind:     by_value
      - .offset:         16
        .size:           4
        .value_kind:     by_value
      - .offset:         24
        .size:           8
        .value_kind:     by_value
      - .address_space:  global
        .offset:         32
        .size:           8
        .value_kind:     global_buffer
      - .offset:         40
        .size:           8
        .value_kind:     by_value
      - .offset:         48
        .size:           4
        .value_kind:     by_value
      - .offset:         56
        .size:           8
        .value_kind:     by_value
      - .address_space:  global
        .offset:         64
        .size:           8
        .value_kind:     global_buffer
      - .offset:         72
        .size:           8
        .value_kind:     by_value
      - .offset:         80
        .size:           4
        .value_kind:     by_value
      - .offset:         88
        .size:           8
        .value_kind:     by_value
      - .offset:         96
        .size:           4
        .value_kind:     by_value
      - .offset:         104
        .size:           4
        .value_kind:     hidden_block_count_x
      - .offset:         108
        .size:           4
        .value_kind:     hidden_block_count_y
      - .offset:         112
        .size:           4
        .value_kind:     hidden_block_count_z
      - .offset:         116
        .size:           2
        .value_kind:     hidden_group_size_x
      - .offset:         118
        .size:           2
        .value_kind:     hidden_group_size_y
      - .offset:         120
        .size:           2
        .value_kind:     hidden_group_size_z
      - .offset:         122
        .size:           2
        .value_kind:     hidden_remainder_x
      - .offset:         124
        .size:           2
        .value_kind:     hidden_remainder_y
      - .offset:         126
        .size:           2
        .value_kind:     hidden_remainder_z
      - .offset:         144
        .size:           8
        .value_kind:     hidden_global_offset_x
      - .offset:         152
        .size:           8
        .value_kind:     hidden_global_offset_y
      - .offset:         160
        .size:           8
        .value_kind:     hidden_global_offset_z
      - .offset:         168
        .size:           2
        .value_kind:     hidden_grid_dims
    .group_segment_fixed_size: 16384
    .kernarg_segment_align: 8
    .kernarg_segment_size: 360
    .language:       OpenCL C
    .language_version:
      - 2
      - 0
    .max_flat_workgroup_size: 32
    .name:           _ZL38rocblas_trsm_small_left_device_sharedBILi32ELi32ELb1EddPKPKdPKPdEv13rocblas_fill_18rocblas_operation_17rocblas_diagonal_iiT3_T4_lilT5_lili
    .private_segment_fixed_size: 0
    .sgpr_count:     63
    .sgpr_spill_count: 0
    .symbol:         _ZL38rocblas_trsm_small_left_device_sharedBILi32ELi32ELb1EddPKPKdPKPdEv13rocblas_fill_18rocblas_operation_17rocblas_diagonal_iiT3_T4_lilT5_lili.kd
    .uniform_work_group_size: 1
    .uses_dynamic_stack: false
    .vgpr_count:     207
    .vgpr_spill_count: 0
    .wavefront_size: 32
    .workgroup_processor_mode: 1
  - .args:
      - .offset:         0
        .size:           4
        .value_kind:     by_value
      - .offset:         4
        .size:           4
        .value_kind:     by_value
      - .offset:         8
        .size:           4
        .value_kind:     by_value
      - .offset:         12
        .size:           4
        .value_kind:     by_value
      - .offset:         16
        .size:           4
        .value_kind:     by_value
      - .offset:         24
        .size:           8
        .value_kind:     by_value
      - .address_space:  global
        .offset:         32
        .size:           8
        .value_kind:     global_buffer
      - .offset:         40
        .size:           8
        .value_kind:     by_value
      - .offset:         48
        .size:           4
        .value_kind:     by_value
      - .offset:         56
        .size:           8
        .value_kind:     by_value
      - .address_space:  global
        .offset:         64
        .size:           8
        .value_kind:     global_buffer
      - .offset:         72
        .size:           8
        .value_kind:     by_value
      - .offset:         80
        .size:           4
        .value_kind:     by_value
      - .offset:         88
        .size:           8
        .value_kind:     by_value
      - .offset:         96
        .size:           4
        .value_kind:     by_value
      - .offset:         104
        .size:           4
        .value_kind:     hidden_block_count_x
      - .offset:         108
        .size:           4
        .value_kind:     hidden_block_count_y
      - .offset:         112
        .size:           4
        .value_kind:     hidden_block_count_z
      - .offset:         116
        .size:           2
        .value_kind:     hidden_group_size_x
      - .offset:         118
        .size:           2
        .value_kind:     hidden_group_size_y
      - .offset:         120
        .size:           2
        .value_kind:     hidden_group_size_z
      - .offset:         122
        .size:           2
        .value_kind:     hidden_remainder_x
      - .offset:         124
        .size:           2
        .value_kind:     hidden_remainder_y
      - .offset:         126
        .size:           2
        .value_kind:     hidden_remainder_z
      - .offset:         144
        .size:           8
        .value_kind:     hidden_global_offset_x
      - .offset:         152
        .size:           8
        .value_kind:     hidden_global_offset_y
      - .offset:         160
        .size:           8
        .value_kind:     hidden_global_offset_z
      - .offset:         168
        .size:           2
        .value_kind:     hidden_grid_dims
    .group_segment_fixed_size: 8192
    .kernarg_segment_align: 8
    .kernarg_segment_size: 360
    .language:       OpenCL C
    .language_version:
      - 2
      - 0
    .max_flat_workgroup_size: 32
    .name:           _ZL30rocblas_trsm_small_left_deviceILi32ELi32ELb1EddPKPKdPKPdEv13rocblas_fill_18rocblas_operation_17rocblas_diagonal_iiT3_T4_lilT5_lili
    .private_segment_fixed_size: 0
    .sgpr_count:     37
    .sgpr_spill_count: 0
    .symbol:         _ZL30rocblas_trsm_small_left_deviceILi32ELi32ELb1EddPKPKdPKPdEv13rocblas_fill_18rocblas_operation_17rocblas_diagonal_iiT3_T4_lilT5_lili.kd
    .uniform_work_group_size: 1
    .uses_dynamic_stack: false
    .vgpr_count:     185
    .vgpr_spill_count: 0
    .wavefront_size: 32
    .workgroup_processor_mode: 1
  - .args:
      - .offset:         0
        .size:           4
        .value_kind:     by_value
      - .offset:         4
        .size:           4
        .value_kind:     by_value
      - .offset:         8
        .size:           4
        .value_kind:     by_value
      - .offset:         12
        .size:           4
        .value_kind:     by_value
      - .offset:         16
        .size:           4
        .value_kind:     by_value
      - .offset:         24
        .size:           8
        .value_kind:     by_value
      - .address_space:  global
        .offset:         32
        .size:           8
        .value_kind:     global_buffer
      - .offset:         40
        .size:           8
        .value_kind:     by_value
      - .offset:         48
        .size:           4
        .value_kind:     by_value
      - .offset:         56
        .size:           8
        .value_kind:     by_value
      - .address_space:  global
        .offset:         64
        .size:           8
        .value_kind:     global_buffer
      - .offset:         72
        .size:           8
        .value_kind:     by_value
      - .offset:         80
        .size:           4
        .value_kind:     by_value
      - .offset:         88
        .size:           8
        .value_kind:     by_value
      - .offset:         96
        .size:           4
        .value_kind:     by_value
      - .offset:         104
        .size:           4
        .value_kind:     hidden_block_count_x
      - .offset:         108
        .size:           4
        .value_kind:     hidden_block_count_y
      - .offset:         112
        .size:           4
        .value_kind:     hidden_block_count_z
      - .offset:         116
        .size:           2
        .value_kind:     hidden_group_size_x
      - .offset:         118
        .size:           2
        .value_kind:     hidden_group_size_y
      - .offset:         120
        .size:           2
        .value_kind:     hidden_group_size_z
      - .offset:         122
        .size:           2
        .value_kind:     hidden_remainder_x
      - .offset:         124
        .size:           2
        .value_kind:     hidden_remainder_y
      - .offset:         126
        .size:           2
        .value_kind:     hidden_remainder_z
      - .offset:         144
        .size:           8
        .value_kind:     hidden_global_offset_x
      - .offset:         152
        .size:           8
        .value_kind:     hidden_global_offset_y
      - .offset:         160
        .size:           8
        .value_kind:     hidden_global_offset_z
      - .offset:         168
        .size:           2
        .value_kind:     hidden_grid_dims
    .group_segment_fixed_size: 16384
    .kernarg_segment_align: 8
    .kernarg_segment_size: 360
    .language:       OpenCL C
    .language_version:
      - 2
      - 0
    .max_flat_workgroup_size: 32
    .name:           _ZL31rocblas_trsm_small_right_deviceIddPKPKdPKPdLi32EEv13rocblas_fill_18rocblas_operation_17rocblas_diagonal_iiT0_T1_lilT2_lili
    .private_segment_fixed_size: 0
    .sgpr_count:     36
    .sgpr_spill_count: 0
    .symbol:         _ZL31rocblas_trsm_small_right_deviceIddPKPKdPKPdLi32EEv13rocblas_fill_18rocblas_operation_17rocblas_diagonal_iiT0_T1_lilT2_lili.kd
    .uniform_work_group_size: 1
    .uses_dynamic_stack: false
    .vgpr_count:     52
    .vgpr_spill_count: 0
    .wavefront_size: 32
    .workgroup_processor_mode: 1
  - .args:
      - .offset:         0
        .size:           4
        .value_kind:     by_value
      - .offset:         4
        .size:           4
        .value_kind:     by_value
      - .offset:         8
        .size:           4
        .value_kind:     by_value
      - .offset:         12
        .size:           4
        .value_kind:     by_value
      - .offset:         16
        .size:           4
        .value_kind:     by_value
      - .offset:         24
        .size:           8
        .value_kind:     by_value
      - .address_space:  global
        .offset:         32
        .size:           8
        .value_kind:     global_buffer
      - .offset:         40
        .size:           8
        .value_kind:     by_value
      - .offset:         48
        .size:           4
        .value_kind:     by_value
      - .offset:         56
        .size:           8
        .value_kind:     by_value
      - .address_space:  global
        .offset:         64
        .size:           8
        .value_kind:     global_buffer
      - .offset:         72
        .size:           8
        .value_kind:     by_value
      - .offset:         80
        .size:           4
        .value_kind:     by_value
      - .offset:         88
        .size:           8
        .value_kind:     by_value
      - .offset:         96
        .size:           4
        .value_kind:     by_value
      - .offset:         104
        .size:           4
        .value_kind:     hidden_block_count_x
      - .offset:         108
        .size:           4
        .value_kind:     hidden_block_count_y
      - .offset:         112
        .size:           4
        .value_kind:     hidden_block_count_z
      - .offset:         116
        .size:           2
        .value_kind:     hidden_group_size_x
      - .offset:         118
        .size:           2
        .value_kind:     hidden_group_size_y
      - .offset:         120
        .size:           2
        .value_kind:     hidden_group_size_z
      - .offset:         122
        .size:           2
        .value_kind:     hidden_remainder_x
      - .offset:         124
        .size:           2
        .value_kind:     hidden_remainder_y
      - .offset:         126
        .size:           2
        .value_kind:     hidden_remainder_z
      - .offset:         144
        .size:           8
        .value_kind:     hidden_global_offset_x
      - .offset:         152
        .size:           8
        .value_kind:     hidden_global_offset_y
      - .offset:         160
        .size:           8
        .value_kind:     hidden_global_offset_z
      - .offset:         168
        .size:           2
        .value_kind:     hidden_grid_dims
    .group_segment_fixed_size: 65536
    .kernarg_segment_align: 8
    .kernarg_segment_size: 360
    .language:       OpenCL C
    .language_version:
      - 2
      - 0
    .max_flat_workgroup_size: 64
    .name:           _ZL38rocblas_trsm_small_left_device_sharedBILi64ELi32ELb0EddPKPKdPKPdEv13rocblas_fill_18rocblas_operation_17rocblas_diagonal_iiT3_T4_lilT5_lili
    .private_segment_fixed_size: 0
    .sgpr_count:     59
    .sgpr_spill_count: 0
    .symbol:         _ZL38rocblas_trsm_small_left_device_sharedBILi64ELi32ELb0EddPKPKdPKPdEv13rocblas_fill_18rocblas_operation_17rocblas_diagonal_iiT3_T4_lilT5_lili.kd
    .uniform_work_group_size: 1
    .uses_dynamic_stack: false
    .vgpr_count:     189
    .vgpr_spill_count: 0
    .wavefront_size: 32
    .workgroup_processor_mode: 1
  - .args:
      - .offset:         0
        .size:           4
        .value_kind:     by_value
      - .offset:         4
        .size:           4
        .value_kind:     by_value
      - .offset:         8
        .size:           4
        .value_kind:     by_value
      - .offset:         12
        .size:           4
        .value_kind:     by_value
      - .offset:         16
        .size:           4
        .value_kind:     by_value
      - .offset:         24
        .size:           8
        .value_kind:     by_value
      - .address_space:  global
        .offset:         32
        .size:           8
        .value_kind:     global_buffer
      - .offset:         40
        .size:           8
        .value_kind:     by_value
      - .offset:         48
        .size:           4
        .value_kind:     by_value
      - .offset:         56
        .size:           8
        .value_kind:     by_value
      - .address_space:  global
        .offset:         64
        .size:           8
        .value_kind:     global_buffer
      - .offset:         72
        .size:           8
        .value_kind:     by_value
      - .offset:         80
        .size:           4
        .value_kind:     by_value
      - .offset:         88
        .size:           8
        .value_kind:     by_value
      - .offset:         96
        .size:           4
        .value_kind:     by_value
      - .offset:         104
        .size:           4
        .value_kind:     hidden_block_count_x
      - .offset:         108
        .size:           4
        .value_kind:     hidden_block_count_y
      - .offset:         112
        .size:           4
        .value_kind:     hidden_block_count_z
      - .offset:         116
        .size:           2
        .value_kind:     hidden_group_size_x
      - .offset:         118
        .size:           2
        .value_kind:     hidden_group_size_y
      - .offset:         120
        .size:           2
        .value_kind:     hidden_group_size_z
      - .offset:         122
        .size:           2
        .value_kind:     hidden_remainder_x
      - .offset:         124
        .size:           2
        .value_kind:     hidden_remainder_y
      - .offset:         126
        .size:           2
        .value_kind:     hidden_remainder_z
      - .offset:         144
        .size:           8
        .value_kind:     hidden_global_offset_x
      - .offset:         152
        .size:           8
        .value_kind:     hidden_global_offset_y
      - .offset:         160
        .size:           8
        .value_kind:     hidden_global_offset_z
      - .offset:         168
        .size:           2
        .value_kind:     hidden_grid_dims
    .group_segment_fixed_size: 32768
    .kernarg_segment_align: 8
    .kernarg_segment_size: 360
    .language:       OpenCL C
    .language_version:
      - 2
      - 0
    .max_flat_workgroup_size: 64
    .name:           _ZL30rocblas_trsm_small_left_deviceILi64ELi32ELb0EddPKPKdPKPdEv13rocblas_fill_18rocblas_operation_17rocblas_diagonal_iiT3_T4_lilT5_lili
    .private_segment_fixed_size: 0
    .sgpr_count:     107
    .sgpr_spill_count: 0
    .symbol:         _ZL30rocblas_trsm_small_left_deviceILi64ELi32ELb0EddPKPKdPKPdEv13rocblas_fill_18rocblas_operation_17rocblas_diagonal_iiT3_T4_lilT5_lili.kd
    .uniform_work_group_size: 1
    .uses_dynamic_stack: false
    .vgpr_count:     167
    .vgpr_spill_count: 0
    .wavefront_size: 32
    .workgroup_processor_mode: 1
  - .args:
      - .offset:         0
        .size:           4
        .value_kind:     by_value
      - .offset:         4
        .size:           4
        .value_kind:     by_value
      - .offset:         8
        .size:           4
        .value_kind:     by_value
      - .offset:         12
        .size:           4
        .value_kind:     by_value
      - .offset:         16
        .size:           4
        .value_kind:     by_value
      - .offset:         24
        .size:           8
        .value_kind:     by_value
      - .address_space:  global
        .offset:         32
        .size:           8
        .value_kind:     global_buffer
      - .offset:         40
        .size:           8
        .value_kind:     by_value
      - .offset:         48
        .size:           4
        .value_kind:     by_value
      - .offset:         56
        .size:           8
        .value_kind:     by_value
      - .address_space:  global
        .offset:         64
        .size:           8
        .value_kind:     global_buffer
      - .offset:         72
        .size:           8
        .value_kind:     by_value
      - .offset:         80
        .size:           4
        .value_kind:     by_value
      - .offset:         88
        .size:           8
        .value_kind:     by_value
      - .offset:         96
        .size:           4
        .value_kind:     by_value
      - .offset:         104
        .size:           4
        .value_kind:     hidden_block_count_x
      - .offset:         108
        .size:           4
        .value_kind:     hidden_block_count_y
      - .offset:         112
        .size:           4
        .value_kind:     hidden_block_count_z
      - .offset:         116
        .size:           2
        .value_kind:     hidden_group_size_x
      - .offset:         118
        .size:           2
        .value_kind:     hidden_group_size_y
      - .offset:         120
        .size:           2
        .value_kind:     hidden_group_size_z
      - .offset:         122
        .size:           2
        .value_kind:     hidden_remainder_x
      - .offset:         124
        .size:           2
        .value_kind:     hidden_remainder_y
      - .offset:         126
        .size:           2
        .value_kind:     hidden_remainder_z
      - .offset:         144
        .size:           8
        .value_kind:     hidden_global_offset_x
      - .offset:         152
        .size:           8
        .value_kind:     hidden_global_offset_y
      - .offset:         160
        .size:           8
        .value_kind:     hidden_global_offset_z
      - .offset:         168
        .size:           2
        .value_kind:     hidden_grid_dims
    .group_segment_fixed_size: 65536
    .kernarg_segment_align: 8
    .kernarg_segment_size: 360
    .language:       OpenCL C
    .language_version:
      - 2
      - 0
    .max_flat_workgroup_size: 64
    .name:           _ZL38rocblas_trsm_small_left_device_sharedBILi64ELi32ELb1EddPKPKdPKPdEv13rocblas_fill_18rocblas_operation_17rocblas_diagonal_iiT3_T4_lilT5_lili
    .private_segment_fixed_size: 0
    .sgpr_count:     59
    .sgpr_spill_count: 0
    .symbol:         _ZL38rocblas_trsm_small_left_device_sharedBILi64ELi32ELb1EddPKPKdPKPdEv13rocblas_fill_18rocblas_operation_17rocblas_diagonal_iiT3_T4_lilT5_lili.kd
    .uniform_work_group_size: 1
    .uses_dynamic_stack: false
    .vgpr_count:     209
    .vgpr_spill_count: 0
    .wavefront_size: 32
    .workgroup_processor_mode: 1
  - .args:
      - .offset:         0
        .size:           4
        .value_kind:     by_value
      - .offset:         4
        .size:           4
        .value_kind:     by_value
      - .offset:         8
        .size:           4
        .value_kind:     by_value
      - .offset:         12
        .size:           4
        .value_kind:     by_value
      - .offset:         16
        .size:           4
        .value_kind:     by_value
      - .offset:         24
        .size:           8
        .value_kind:     by_value
      - .address_space:  global
        .offset:         32
        .size:           8
        .value_kind:     global_buffer
      - .offset:         40
        .size:           8
        .value_kind:     by_value
      - .offset:         48
        .size:           4
        .value_kind:     by_value
      - .offset:         56
        .size:           8
        .value_kind:     by_value
      - .address_space:  global
        .offset:         64
        .size:           8
        .value_kind:     global_buffer
      - .offset:         72
        .size:           8
        .value_kind:     by_value
      - .offset:         80
        .size:           4
        .value_kind:     by_value
      - .offset:         88
        .size:           8
        .value_kind:     by_value
      - .offset:         96
        .size:           4
        .value_kind:     by_value
      - .offset:         104
        .size:           4
        .value_kind:     hidden_block_count_x
      - .offset:         108
        .size:           4
        .value_kind:     hidden_block_count_y
      - .offset:         112
        .size:           4
        .value_kind:     hidden_block_count_z
      - .offset:         116
        .size:           2
        .value_kind:     hidden_group_size_x
      - .offset:         118
        .size:           2
        .value_kind:     hidden_group_size_y
      - .offset:         120
        .size:           2
        .value_kind:     hidden_group_size_z
      - .offset:         122
        .size:           2
        .value_kind:     hidden_remainder_x
      - .offset:         124
        .size:           2
        .value_kind:     hidden_remainder_y
      - .offset:         126
        .size:           2
        .value_kind:     hidden_remainder_z
      - .offset:         144
        .size:           8
        .value_kind:     hidden_global_offset_x
      - .offset:         152
        .size:           8
        .value_kind:     hidden_global_offset_y
      - .offset:         160
        .size:           8
        .value_kind:     hidden_global_offset_z
      - .offset:         168
        .size:           2
        .value_kind:     hidden_grid_dims
    .group_segment_fixed_size: 32768
    .kernarg_segment_align: 8
    .kernarg_segment_size: 360
    .language:       OpenCL C
    .language_version:
      - 2
      - 0
    .max_flat_workgroup_size: 64
    .name:           _ZL30rocblas_trsm_small_left_deviceILi64ELi32ELb1EddPKPKdPKPdEv13rocblas_fill_18rocblas_operation_17rocblas_diagonal_iiT3_T4_lilT5_lili
    .private_segment_fixed_size: 0
    .sgpr_count:     43
    .sgpr_spill_count: 0
    .symbol:         _ZL30rocblas_trsm_small_left_deviceILi64ELi32ELb1EddPKPKdPKPdEv13rocblas_fill_18rocblas_operation_17rocblas_diagonal_iiT3_T4_lilT5_lili.kd
    .uniform_work_group_size: 1
    .uses_dynamic_stack: false
    .vgpr_count:     203
    .vgpr_spill_count: 0
    .wavefront_size: 32
    .workgroup_processor_mode: 1
  - .args:
      - .offset:         0
        .size:           4
        .value_kind:     by_value
      - .offset:         4
        .size:           4
        .value_kind:     by_value
      - .offset:         8
        .size:           4
        .value_kind:     by_value
      - .offset:         12
        .size:           4
        .value_kind:     by_value
      - .offset:         16
        .size:           4
        .value_kind:     by_value
      - .offset:         24
        .size:           8
        .value_kind:     by_value
      - .address_space:  global
        .offset:         32
        .size:           8
        .value_kind:     global_buffer
      - .offset:         40
        .size:           8
        .value_kind:     by_value
      - .offset:         48
        .size:           4
        .value_kind:     by_value
      - .offset:         56
        .size:           8
        .value_kind:     by_value
      - .address_space:  global
        .offset:         64
        .size:           8
        .value_kind:     global_buffer
      - .offset:         72
        .size:           8
        .value_kind:     by_value
      - .offset:         80
        .size:           4
        .value_kind:     by_value
      - .offset:         88
        .size:           8
        .value_kind:     by_value
      - .offset:         96
        .size:           4
        .value_kind:     by_value
      - .offset:         104
        .size:           4
        .value_kind:     hidden_block_count_x
      - .offset:         108
        .size:           4
        .value_kind:     hidden_block_count_y
      - .offset:         112
        .size:           4
        .value_kind:     hidden_block_count_z
      - .offset:         116
        .size:           2
        .value_kind:     hidden_group_size_x
      - .offset:         118
        .size:           2
        .value_kind:     hidden_group_size_y
      - .offset:         120
        .size:           2
        .value_kind:     hidden_group_size_z
      - .offset:         122
        .size:           2
        .value_kind:     hidden_remainder_x
      - .offset:         124
        .size:           2
        .value_kind:     hidden_remainder_y
      - .offset:         126
        .size:           2
        .value_kind:     hidden_remainder_z
      - .offset:         144
        .size:           8
        .value_kind:     hidden_global_offset_x
      - .offset:         152
        .size:           8
        .value_kind:     hidden_global_offset_y
      - .offset:         160
        .size:           8
        .value_kind:     hidden_global_offset_z
      - .offset:         168
        .size:           2
        .value_kind:     hidden_grid_dims
    .group_segment_fixed_size: 65536
    .kernarg_segment_align: 8
    .kernarg_segment_size: 360
    .language:       OpenCL C
    .language_version:
      - 2
      - 0
    .max_flat_workgroup_size: 64
    .name:           _ZL31rocblas_trsm_small_right_deviceIddPKPKdPKPdLi64EEv13rocblas_fill_18rocblas_operation_17rocblas_diagonal_iiT0_T1_lilT2_lili
    .private_segment_fixed_size: 0
    .sgpr_count:     36
    .sgpr_spill_count: 0
    .symbol:         _ZL31rocblas_trsm_small_right_deviceIddPKPKdPKPdLi64EEv13rocblas_fill_18rocblas_operation_17rocblas_diagonal_iiT0_T1_lilT2_lili.kd
    .uniform_work_group_size: 1
    .uses_dynamic_stack: false
    .vgpr_count:     56
    .vgpr_spill_count: 0
    .wavefront_size: 32
    .workgroup_processor_mode: 1
  - .args:
      - .offset:         0
        .size:           4
        .value_kind:     by_value
      - .offset:         8
        .size:           8
        .value_kind:     by_value
      - .offset:         16
        .size:           8
        .value_kind:     by_value
      - .offset:         24
        .size:           8
        .value_kind:     by_value
      - .address_space:  global
        .offset:         32
        .size:           8
        .value_kind:     global_buffer
      - .offset:         40
        .size:           8
        .value_kind:     by_value
      - .offset:         48
        .size:           8
        .value_kind:     by_value
      - .offset:         56
        .size:           8
        .value_kind:     by_value
      - .address_space:  global
        .offset:         64
        .size:           8
        .value_kind:     global_buffer
      - .offset:         72
        .size:           8
        .value_kind:     by_value
      - .offset:         80
        .size:           8
        .value_kind:     by_value
      - .offset:         88
        .size:           8
        .value_kind:     by_value
      - .offset:         96
        .size:           4
        .value_kind:     by_value
      - .offset:         100
        .size:           1
        .value_kind:     by_value
      - .offset:         104
        .size:           4
        .value_kind:     hidden_block_count_x
      - .offset:         108
        .size:           4
        .value_kind:     hidden_block_count_y
      - .offset:         112
        .size:           4
        .value_kind:     hidden_block_count_z
      - .offset:         116
        .size:           2
        .value_kind:     hidden_group_size_x
      - .offset:         118
        .size:           2
        .value_kind:     hidden_group_size_y
      - .offset:         120
        .size:           2
        .value_kind:     hidden_group_size_z
      - .offset:         122
        .size:           2
        .value_kind:     hidden_remainder_x
      - .offset:         124
        .size:           2
        .value_kind:     hidden_remainder_y
      - .offset:         126
        .size:           2
        .value_kind:     hidden_remainder_z
      - .offset:         144
        .size:           8
        .value_kind:     hidden_global_offset_x
      - .offset:         152
        .size:           8
        .value_kind:     hidden_global_offset_y
      - .offset:         160
        .size:           8
        .value_kind:     hidden_global_offset_z
      - .offset:         168
        .size:           2
        .value_kind:     hidden_grid_dims
      - .offset:         224
        .size:           4
        .value_kind:     hidden_dynamic_lds_size
    .group_segment_fixed_size: 0
    .kernarg_segment_align: 8
    .kernarg_segment_size: 360
    .language:       OpenCL C
    .language_version:
      - 2
      - 0
    .max_flat_workgroup_size: 1024
    .name:           _ZL39rocblas_trsm_block_forward_substitutionIddPKPKdPKPdLb0ELb0ELb0EEv18rocblas_operation_llT0_T1_lllT2_lllib
    .private_segment_fixed_size: 0
    .sgpr_count:     29
    .sgpr_spill_count: 0
    .symbol:         _ZL39rocblas_trsm_block_forward_substitutionIddPKPKdPKPdLb0ELb0ELb0EEv18rocblas_operation_llT0_T1_lllT2_lllib.kd
    .uniform_work_group_size: 1
    .uses_dynamic_stack: false
    .vgpr_count:     21
    .vgpr_spill_count: 0
    .wavefront_size: 32
    .workgroup_processor_mode: 1
  - .args:
      - .offset:         0
        .size:           4
        .value_kind:     by_value
      - .offset:         8
        .size:           8
        .value_kind:     by_value
      - .offset:         16
        .size:           8
        .value_kind:     by_value
      - .offset:         24
        .size:           8
        .value_kind:     by_value
      - .address_space:  global
        .offset:         32
        .size:           8
        .value_kind:     global_buffer
      - .offset:         40
        .size:           8
        .value_kind:     by_value
      - .offset:         48
        .size:           8
        .value_kind:     by_value
      - .offset:         56
        .size:           8
        .value_kind:     by_value
      - .address_space:  global
        .offset:         64
        .size:           8
        .value_kind:     global_buffer
      - .offset:         72
        .size:           8
        .value_kind:     by_value
      - .offset:         80
        .size:           8
        .value_kind:     by_value
      - .offset:         88
        .size:           8
        .value_kind:     by_value
      - .offset:         96
        .size:           4
        .value_kind:     by_value
      - .offset:         100
        .size:           1
        .value_kind:     by_value
      - .offset:         104
        .size:           4
        .value_kind:     hidden_block_count_x
      - .offset:         108
        .size:           4
        .value_kind:     hidden_block_count_y
      - .offset:         112
        .size:           4
        .value_kind:     hidden_block_count_z
      - .offset:         116
        .size:           2
        .value_kind:     hidden_group_size_x
      - .offset:         118
        .size:           2
        .value_kind:     hidden_group_size_y
      - .offset:         120
        .size:           2
        .value_kind:     hidden_group_size_z
      - .offset:         122
        .size:           2
        .value_kind:     hidden_remainder_x
      - .offset:         124
        .size:           2
        .value_kind:     hidden_remainder_y
      - .offset:         126
        .size:           2
        .value_kind:     hidden_remainder_z
      - .offset:         144
        .size:           8
        .value_kind:     hidden_global_offset_x
      - .offset:         152
        .size:           8
        .value_kind:     hidden_global_offset_y
      - .offset:         160
        .size:           8
        .value_kind:     hidden_global_offset_z
      - .offset:         168
        .size:           2
        .value_kind:     hidden_grid_dims
      - .offset:         224
        .size:           4
        .value_kind:     hidden_dynamic_lds_size
    .group_segment_fixed_size: 0
    .kernarg_segment_align: 8
    .kernarg_segment_size: 360
    .language:       OpenCL C
    .language_version:
      - 2
      - 0
    .max_flat_workgroup_size: 1024
    .name:           _ZL40rocblas_trsm_block_backward_substitutionIddPKPKdPKPdLb0ELb0ELb0EEv18rocblas_operation_llT0_T1_lllT2_lllib
    .private_segment_fixed_size: 0
    .sgpr_count:     31
    .sgpr_spill_count: 0
    .symbol:         _ZL40rocblas_trsm_block_backward_substitutionIddPKPKdPKPdLb0ELb0ELb0EEv18rocblas_operation_llT0_T1_lllT2_lllib.kd
    .uniform_work_group_size: 1
    .uses_dynamic_stack: false
    .vgpr_count:     21
    .vgpr_spill_count: 0
    .wavefront_size: 32
    .workgroup_processor_mode: 1
  - .args:
      - .offset:         0
        .size:           4
        .value_kind:     by_value
      - .offset:         8
        .size:           8
        .value_kind:     by_value
      - .offset:         16
        .size:           8
        .value_kind:     by_value
      - .offset:         24
        .size:           8
        .value_kind:     by_value
      - .address_space:  global
        .offset:         32
        .size:           8
        .value_kind:     global_buffer
      - .offset:         40
        .size:           8
        .value_kind:     by_value
      - .offset:         48
        .size:           8
        .value_kind:     by_value
      - .offset:         56
        .size:           8
        .value_kind:     by_value
      - .address_space:  global
        .offset:         64
        .size:           8
        .value_kind:     global_buffer
      - .offset:         72
        .size:           8
        .value_kind:     by_value
      - .offset:         80
        .size:           8
        .value_kind:     by_value
      - .offset:         88
        .size:           8
        .value_kind:     by_value
      - .offset:         96
        .size:           4
        .value_kind:     by_value
      - .offset:         100
        .size:           1
        .value_kind:     by_value
      - .offset:         104
        .size:           4
        .value_kind:     hidden_block_count_x
      - .offset:         108
        .size:           4
        .value_kind:     hidden_block_count_y
      - .offset:         112
        .size:           4
        .value_kind:     hidden_block_count_z
      - .offset:         116
        .size:           2
        .value_kind:     hidden_group_size_x
      - .offset:         118
        .size:           2
        .value_kind:     hidden_group_size_y
      - .offset:         120
        .size:           2
        .value_kind:     hidden_group_size_z
      - .offset:         122
        .size:           2
        .value_kind:     hidden_remainder_x
      - .offset:         124
        .size:           2
        .value_kind:     hidden_remainder_y
      - .offset:         126
        .size:           2
        .value_kind:     hidden_remainder_z
      - .offset:         144
        .size:           8
        .value_kind:     hidden_global_offset_x
      - .offset:         152
        .size:           8
        .value_kind:     hidden_global_offset_y
      - .offset:         160
        .size:           8
        .value_kind:     hidden_global_offset_z
      - .offset:         168
        .size:           2
        .value_kind:     hidden_grid_dims
      - .offset:         224
        .size:           4
        .value_kind:     hidden_dynamic_lds_size
    .group_segment_fixed_size: 0
    .kernarg_segment_align: 8
    .kernarg_segment_size: 360
    .language:       OpenCL C
    .language_version:
      - 2
      - 0
    .max_flat_workgroup_size: 1024
    .name:           _ZL39rocblas_trsm_block_forward_substitutionIddPKPKdPKPdLb0ELb0ELb1EEv18rocblas_operation_llT0_T1_lllT2_lllib
    .private_segment_fixed_size: 0
    .sgpr_count:     27
    .sgpr_spill_count: 0
    .symbol:         _ZL39rocblas_trsm_block_forward_substitutionIddPKPKdPKPdLb0ELb0ELb1EEv18rocblas_operation_llT0_T1_lllT2_lllib.kd
    .uniform_work_group_size: 1
    .uses_dynamic_stack: false
    .vgpr_count:     13
    .vgpr_spill_count: 0
    .wavefront_size: 32
    .workgroup_processor_mode: 1
  - .args:
      - .offset:         0
        .size:           4
        .value_kind:     by_value
      - .offset:         8
        .size:           8
        .value_kind:     by_value
      - .offset:         16
        .size:           8
        .value_kind:     by_value
      - .offset:         24
        .size:           8
        .value_kind:     by_value
      - .address_space:  global
        .offset:         32
        .size:           8
        .value_kind:     global_buffer
      - .offset:         40
        .size:           8
        .value_kind:     by_value
      - .offset:         48
        .size:           8
        .value_kind:     by_value
      - .offset:         56
        .size:           8
        .value_kind:     by_value
      - .address_space:  global
        .offset:         64
        .size:           8
        .value_kind:     global_buffer
      - .offset:         72
        .size:           8
        .value_kind:     by_value
      - .offset:         80
        .size:           8
        .value_kind:     by_value
      - .offset:         88
        .size:           8
        .value_kind:     by_value
      - .offset:         96
        .size:           4
        .value_kind:     by_value
      - .offset:         100
        .size:           1
        .value_kind:     by_value
      - .offset:         104
        .size:           4
        .value_kind:     hidden_block_count_x
      - .offset:         108
        .size:           4
        .value_kind:     hidden_block_count_y
      - .offset:         112
        .size:           4
        .value_kind:     hidden_block_count_z
      - .offset:         116
        .size:           2
        .value_kind:     hidden_group_size_x
      - .offset:         118
        .size:           2
        .value_kind:     hidden_group_size_y
      - .offset:         120
        .size:           2
        .value_kind:     hidden_group_size_z
      - .offset:         122
        .size:           2
        .value_kind:     hidden_remainder_x
      - .offset:         124
        .size:           2
        .value_kind:     hidden_remainder_y
      - .offset:         126
        .size:           2
        .value_kind:     hidden_remainder_z
      - .offset:         144
        .size:           8
        .value_kind:     hidden_global_offset_x
      - .offset:         152
        .size:           8
        .value_kind:     hidden_global_offset_y
      - .offset:         160
        .size:           8
        .value_kind:     hidden_global_offset_z
      - .offset:         168
        .size:           2
        .value_kind:     hidden_grid_dims
      - .offset:         224
        .size:           4
        .value_kind:     hidden_dynamic_lds_size
    .group_segment_fixed_size: 0
    .kernarg_segment_align: 8
    .kernarg_segment_size: 360
    .language:       OpenCL C
    .language_version:
      - 2
      - 0
    .max_flat_workgroup_size: 1024
    .name:           _ZL40rocblas_trsm_block_backward_substitutionIddPKPKdPKPdLb0ELb0ELb1EEv18rocblas_operation_llT0_T1_lllT2_lllib
    .private_segment_fixed_size: 0
    .sgpr_count:     28
    .sgpr_spill_count: 0
    .symbol:         _ZL40rocblas_trsm_block_backward_substitutionIddPKPKdPKPdLb0ELb0ELb1EEv18rocblas_operation_llT0_T1_lllT2_lllib.kd
    .uniform_work_group_size: 1
    .uses_dynamic_stack: false
    .vgpr_count:     13
    .vgpr_spill_count: 0
    .wavefront_size: 32
    .workgroup_processor_mode: 1
  - .args:
      - .offset:         0
        .size:           4
        .value_kind:     by_value
      - .offset:         8
        .size:           8
        .value_kind:     by_value
      - .offset:         16
        .size:           8
        .value_kind:     by_value
      - .offset:         24
        .size:           8
        .value_kind:     by_value
      - .address_space:  global
        .offset:         32
        .size:           8
        .value_kind:     global_buffer
      - .offset:         40
        .size:           8
        .value_kind:     by_value
      - .offset:         48
        .size:           8
        .value_kind:     by_value
      - .offset:         56
        .size:           8
        .value_kind:     by_value
      - .address_space:  global
        .offset:         64
        .size:           8
        .value_kind:     global_buffer
      - .offset:         72
        .size:           8
        .value_kind:     by_value
      - .offset:         80
        .size:           8
        .value_kind:     by_value
      - .offset:         88
        .size:           8
        .value_kind:     by_value
      - .offset:         96
        .size:           4
        .value_kind:     by_value
      - .offset:         100
        .size:           1
        .value_kind:     by_value
      - .offset:         104
        .size:           4
        .value_kind:     hidden_block_count_x
      - .offset:         108
        .size:           4
        .value_kind:     hidden_block_count_y
      - .offset:         112
        .size:           4
        .value_kind:     hidden_block_count_z
      - .offset:         116
        .size:           2
        .value_kind:     hidden_group_size_x
      - .offset:         118
        .size:           2
        .value_kind:     hidden_group_size_y
      - .offset:         120
        .size:           2
        .value_kind:     hidden_group_size_z
      - .offset:         122
        .size:           2
        .value_kind:     hidden_remainder_x
      - .offset:         124
        .size:           2
        .value_kind:     hidden_remainder_y
      - .offset:         126
        .size:           2
        .value_kind:     hidden_remainder_z
      - .offset:         144
        .size:           8
        .value_kind:     hidden_global_offset_x
      - .offset:         152
        .size:           8
        .value_kind:     hidden_global_offset_y
      - .offset:         160
        .size:           8
        .value_kind:     hidden_global_offset_z
      - .offset:         168
        .size:           2
        .value_kind:     hidden_grid_dims
      - .offset:         224
        .size:           4
        .value_kind:     hidden_dynamic_lds_size
    .group_segment_fixed_size: 0
    .kernarg_segment_align: 8
    .kernarg_segment_size: 360
    .language:       OpenCL C
    .language_version:
      - 2
      - 0
    .max_flat_workgroup_size: 1024
    .name:           _ZL39rocblas_trsm_block_forward_substitutionIddPKPKdPKPdLb0ELb1ELb0EEv18rocblas_operation_llT0_T1_lllT2_lllib
    .private_segment_fixed_size: 0
    .sgpr_count:     29
    .sgpr_spill_count: 0
    .symbol:         _ZL39rocblas_trsm_block_forward_substitutionIddPKPKdPKPdLb0ELb1ELb0EEv18rocblas_operation_llT0_T1_lllT2_lllib.kd
    .uniform_work_group_size: 1
    .uses_dynamic_stack: false
    .vgpr_count:     21
    .vgpr_spill_count: 0
    .wavefront_size: 32
    .workgroup_processor_mode: 1
  - .args:
      - .offset:         0
        .size:           4
        .value_kind:     by_value
      - .offset:         8
        .size:           8
        .value_kind:     by_value
      - .offset:         16
        .size:           8
        .value_kind:     by_value
      - .offset:         24
        .size:           8
        .value_kind:     by_value
      - .address_space:  global
        .offset:         32
        .size:           8
        .value_kind:     global_buffer
      - .offset:         40
        .size:           8
        .value_kind:     by_value
      - .offset:         48
        .size:           8
        .value_kind:     by_value
      - .offset:         56
        .size:           8
        .value_kind:     by_value
      - .address_space:  global
        .offset:         64
        .size:           8
        .value_kind:     global_buffer
      - .offset:         72
        .size:           8
        .value_kind:     by_value
      - .offset:         80
        .size:           8
        .value_kind:     by_value
      - .offset:         88
        .size:           8
        .value_kind:     by_value
      - .offset:         96
        .size:           4
        .value_kind:     by_value
      - .offset:         100
        .size:           1
        .value_kind:     by_value
      - .offset:         104
        .size:           4
        .value_kind:     hidden_block_count_x
      - .offset:         108
        .size:           4
        .value_kind:     hidden_block_count_y
      - .offset:         112
        .size:           4
        .value_kind:     hidden_block_count_z
      - .offset:         116
        .size:           2
        .value_kind:     hidden_group_size_x
      - .offset:         118
        .size:           2
        .value_kind:     hidden_group_size_y
      - .offset:         120
        .size:           2
        .value_kind:     hidden_group_size_z
      - .offset:         122
        .size:           2
        .value_kind:     hidden_remainder_x
      - .offset:         124
        .size:           2
        .value_kind:     hidden_remainder_y
      - .offset:         126
        .size:           2
        .value_kind:     hidden_remainder_z
      - .offset:         144
        .size:           8
        .value_kind:     hidden_global_offset_x
      - .offset:         152
        .size:           8
        .value_kind:     hidden_global_offset_y
      - .offset:         160
        .size:           8
        .value_kind:     hidden_global_offset_z
      - .offset:         168
        .size:           2
        .value_kind:     hidden_grid_dims
      - .offset:         224
        .size:           4
        .value_kind:     hidden_dynamic_lds_size
    .group_segment_fixed_size: 0
    .kernarg_segment_align: 8
    .kernarg_segment_size: 360
    .language:       OpenCL C
    .language_version:
      - 2
      - 0
    .max_flat_workgroup_size: 1024
    .name:           _ZL40rocblas_trsm_block_backward_substitutionIddPKPKdPKPdLb0ELb1ELb0EEv18rocblas_operation_llT0_T1_lllT2_lllib
    .private_segment_fixed_size: 0
    .sgpr_count:     31
    .sgpr_spill_count: 0
    .symbol:         _ZL40rocblas_trsm_block_backward_substitutionIddPKPKdPKPdLb0ELb1ELb0EEv18rocblas_operation_llT0_T1_lllT2_lllib.kd
    .uniform_work_group_size: 1
    .uses_dynamic_stack: false
    .vgpr_count:     21
    .vgpr_spill_count: 0
    .wavefront_size: 32
    .workgroup_processor_mode: 1
  - .args:
      - .offset:         0
        .size:           4
        .value_kind:     by_value
      - .offset:         8
        .size:           8
        .value_kind:     by_value
      - .offset:         16
        .size:           8
        .value_kind:     by_value
      - .offset:         24
        .size:           8
        .value_kind:     by_value
      - .address_space:  global
        .offset:         32
        .size:           8
        .value_kind:     global_buffer
      - .offset:         40
        .size:           8
        .value_kind:     by_value
      - .offset:         48
        .size:           8
        .value_kind:     by_value
      - .offset:         56
        .size:           8
        .value_kind:     by_value
      - .address_space:  global
        .offset:         64
        .size:           8
        .value_kind:     global_buffer
      - .offset:         72
        .size:           8
        .value_kind:     by_value
      - .offset:         80
        .size:           8
        .value_kind:     by_value
      - .offset:         88
        .size:           8
        .value_kind:     by_value
      - .offset:         96
        .size:           4
        .value_kind:     by_value
      - .offset:         100
        .size:           1
        .value_kind:     by_value
      - .offset:         104
        .size:           4
        .value_kind:     hidden_block_count_x
      - .offset:         108
        .size:           4
        .value_kind:     hidden_block_count_y
      - .offset:         112
        .size:           4
        .value_kind:     hidden_block_count_z
      - .offset:         116
        .size:           2
        .value_kind:     hidden_group_size_x
      - .offset:         118
        .size:           2
        .value_kind:     hidden_group_size_y
      - .offset:         120
        .size:           2
        .value_kind:     hidden_group_size_z
      - .offset:         122
        .size:           2
        .value_kind:     hidden_remainder_x
      - .offset:         124
        .size:           2
        .value_kind:     hidden_remainder_y
      - .offset:         126
        .size:           2
        .value_kind:     hidden_remainder_z
      - .offset:         144
        .size:           8
        .value_kind:     hidden_global_offset_x
      - .offset:         152
        .size:           8
        .value_kind:     hidden_global_offset_y
      - .offset:         160
        .size:           8
        .value_kind:     hidden_global_offset_z
      - .offset:         168
        .size:           2
        .value_kind:     hidden_grid_dims
      - .offset:         224
        .size:           4
        .value_kind:     hidden_dynamic_lds_size
    .group_segment_fixed_size: 0
    .kernarg_segment_align: 8
    .kernarg_segment_size: 360
    .language:       OpenCL C
    .language_version:
      - 2
      - 0
    .max_flat_workgroup_size: 1024
    .name:           _ZL39rocblas_trsm_block_forward_substitutionIddPKPKdPKPdLb0ELb1ELb1EEv18rocblas_operation_llT0_T1_lllT2_lllib
    .private_segment_fixed_size: 0
    .sgpr_count:     27
    .sgpr_spill_count: 0
    .symbol:         _ZL39rocblas_trsm_block_forward_substitutionIddPKPKdPKPdLb0ELb1ELb1EEv18rocblas_operation_llT0_T1_lllT2_lllib.kd
    .uniform_work_group_size: 1
    .uses_dynamic_stack: false
    .vgpr_count:     13
    .vgpr_spill_count: 0
    .wavefront_size: 32
    .workgroup_processor_mode: 1
  - .args:
      - .offset:         0
        .size:           4
        .value_kind:     by_value
      - .offset:         8
        .size:           8
        .value_kind:     by_value
      - .offset:         16
        .size:           8
        .value_kind:     by_value
      - .offset:         24
        .size:           8
        .value_kind:     by_value
      - .address_space:  global
        .offset:         32
        .size:           8
        .value_kind:     global_buffer
      - .offset:         40
        .size:           8
        .value_kind:     by_value
      - .offset:         48
        .size:           8
        .value_kind:     by_value
      - .offset:         56
        .size:           8
        .value_kind:     by_value
      - .address_space:  global
        .offset:         64
        .size:           8
        .value_kind:     global_buffer
      - .offset:         72
        .size:           8
        .value_kind:     by_value
      - .offset:         80
        .size:           8
        .value_kind:     by_value
      - .offset:         88
        .size:           8
        .value_kind:     by_value
      - .offset:         96
        .size:           4
        .value_kind:     by_value
      - .offset:         100
        .size:           1
        .value_kind:     by_value
      - .offset:         104
        .size:           4
        .value_kind:     hidden_block_count_x
      - .offset:         108
        .size:           4
        .value_kind:     hidden_block_count_y
      - .offset:         112
        .size:           4
        .value_kind:     hidden_block_count_z
      - .offset:         116
        .size:           2
        .value_kind:     hidden_group_size_x
      - .offset:         118
        .size:           2
        .value_kind:     hidden_group_size_y
      - .offset:         120
        .size:           2
        .value_kind:     hidden_group_size_z
      - .offset:         122
        .size:           2
        .value_kind:     hidden_remainder_x
      - .offset:         124
        .size:           2
        .value_kind:     hidden_remainder_y
      - .offset:         126
        .size:           2
        .value_kind:     hidden_remainder_z
      - .offset:         144
        .size:           8
        .value_kind:     hidden_global_offset_x
      - .offset:         152
        .size:           8
        .value_kind:     hidden_global_offset_y
      - .offset:         160
        .size:           8
        .value_kind:     hidden_global_offset_z
      - .offset:         168
        .size:           2
        .value_kind:     hidden_grid_dims
      - .offset:         224
        .size:           4
        .value_kind:     hidden_dynamic_lds_size
    .group_segment_fixed_size: 0
    .kernarg_segment_align: 8
    .kernarg_segment_size: 360
    .language:       OpenCL C
    .language_version:
      - 2
      - 0
    .max_flat_workgroup_size: 1024
    .name:           _ZL40rocblas_trsm_block_backward_substitutionIddPKPKdPKPdLb0ELb1ELb1EEv18rocblas_operation_llT0_T1_lllT2_lllib
    .private_segment_fixed_size: 0
    .sgpr_count:     28
    .sgpr_spill_count: 0
    .symbol:         _ZL40rocblas_trsm_block_backward_substitutionIddPKPKdPKPdLb0ELb1ELb1EEv18rocblas_operation_llT0_T1_lllT2_lllib.kd
    .uniform_work_group_size: 1
    .uses_dynamic_stack: false
    .vgpr_count:     13
    .vgpr_spill_count: 0
    .wavefront_size: 32
    .workgroup_processor_mode: 1
  - .args:
      - .offset:         0
        .size:           4
        .value_kind:     by_value
      - .offset:         8
        .size:           8
        .value_kind:     by_value
      - .offset:         16
        .size:           8
        .value_kind:     by_value
      - .offset:         24
        .size:           8
        .value_kind:     by_value
      - .address_space:  global
        .offset:         32
        .size:           8
        .value_kind:     global_buffer
      - .offset:         40
        .size:           8
        .value_kind:     by_value
      - .offset:         48
        .size:           8
        .value_kind:     by_value
      - .offset:         56
        .size:           8
        .value_kind:     by_value
      - .address_space:  global
        .offset:         64
        .size:           8
        .value_kind:     global_buffer
      - .offset:         72
        .size:           8
        .value_kind:     by_value
      - .offset:         80
        .size:           8
        .value_kind:     by_value
      - .offset:         88
        .size:           8
        .value_kind:     by_value
      - .offset:         96
        .size:           4
        .value_kind:     by_value
      - .offset:         100
        .size:           1
        .value_kind:     by_value
      - .offset:         104
        .size:           4
        .value_kind:     hidden_block_count_x
      - .offset:         108
        .size:           4
        .value_kind:     hidden_block_count_y
      - .offset:         112
        .size:           4
        .value_kind:     hidden_block_count_z
      - .offset:         116
        .size:           2
        .value_kind:     hidden_group_size_x
      - .offset:         118
        .size:           2
        .value_kind:     hidden_group_size_y
      - .offset:         120
        .size:           2
        .value_kind:     hidden_group_size_z
      - .offset:         122
        .size:           2
        .value_kind:     hidden_remainder_x
      - .offset:         124
        .size:           2
        .value_kind:     hidden_remainder_y
      - .offset:         126
        .size:           2
        .value_kind:     hidden_remainder_z
      - .offset:         144
        .size:           8
        .value_kind:     hidden_global_offset_x
      - .offset:         152
        .size:           8
        .value_kind:     hidden_global_offset_y
      - .offset:         160
        .size:           8
        .value_kind:     hidden_global_offset_z
      - .offset:         168
        .size:           2
        .value_kind:     hidden_grid_dims
      - .offset:         224
        .size:           4
        .value_kind:     hidden_dynamic_lds_size
    .group_segment_fixed_size: 0
    .kernarg_segment_align: 8
    .kernarg_segment_size: 360
    .language:       OpenCL C
    .language_version:
      - 2
      - 0
    .max_flat_workgroup_size: 1024
    .name:           _ZL39rocblas_trsm_block_forward_substitutionIddPKPKdPKPdLb1ELb1ELb0EEv18rocblas_operation_llT0_T1_lllT2_lllib
    .private_segment_fixed_size: 0
    .sgpr_count:     30
    .sgpr_spill_count: 0
    .symbol:         _ZL39rocblas_trsm_block_forward_substitutionIddPKPKdPKPdLb1ELb1ELb0EEv18rocblas_operation_llT0_T1_lllT2_lllib.kd
    .uniform_work_group_size: 1
    .uses_dynamic_stack: false
    .vgpr_count:     21
    .vgpr_spill_count: 0
    .wavefront_size: 32
    .workgroup_processor_mode: 1
  - .args:
      - .offset:         0
        .size:           4
        .value_kind:     by_value
      - .offset:         8
        .size:           8
        .value_kind:     by_value
      - .offset:         16
        .size:           8
        .value_kind:     by_value
      - .offset:         24
        .size:           8
        .value_kind:     by_value
      - .address_space:  global
        .offset:         32
        .size:           8
        .value_kind:     global_buffer
      - .offset:         40
        .size:           8
        .value_kind:     by_value
      - .offset:         48
        .size:           8
        .value_kind:     by_value
      - .offset:         56
        .size:           8
        .value_kind:     by_value
      - .address_space:  global
        .offset:         64
        .size:           8
        .value_kind:     global_buffer
      - .offset:         72
        .size:           8
        .value_kind:     by_value
      - .offset:         80
        .size:           8
        .value_kind:     by_value
      - .offset:         88
        .size:           8
        .value_kind:     by_value
      - .offset:         96
        .size:           4
        .value_kind:     by_value
      - .offset:         100
        .size:           1
        .value_kind:     by_value
      - .offset:         104
        .size:           4
        .value_kind:     hidden_block_count_x
      - .offset:         108
        .size:           4
        .value_kind:     hidden_block_count_y
      - .offset:         112
        .size:           4
        .value_kind:     hidden_block_count_z
      - .offset:         116
        .size:           2
        .value_kind:     hidden_group_size_x
      - .offset:         118
        .size:           2
        .value_kind:     hidden_group_size_y
      - .offset:         120
        .size:           2
        .value_kind:     hidden_group_size_z
      - .offset:         122
        .size:           2
        .value_kind:     hidden_remainder_x
      - .offset:         124
        .size:           2
        .value_kind:     hidden_remainder_y
      - .offset:         126
        .size:           2
        .value_kind:     hidden_remainder_z
      - .offset:         144
        .size:           8
        .value_kind:     hidden_global_offset_x
      - .offset:         152
        .size:           8
        .value_kind:     hidden_global_offset_y
      - .offset:         160
        .size:           8
        .value_kind:     hidden_global_offset_z
      - .offset:         168
        .size:           2
        .value_kind:     hidden_grid_dims
      - .offset:         224
        .size:           4
        .value_kind:     hidden_dynamic_lds_size
    .group_segment_fixed_size: 0
    .kernarg_segment_align: 8
    .kernarg_segment_size: 360
    .language:       OpenCL C
    .language_version:
      - 2
      - 0
    .max_flat_workgroup_size: 1024
    .name:           _ZL40rocblas_trsm_block_backward_substitutionIddPKPKdPKPdLb1ELb1ELb0EEv18rocblas_operation_llT0_T1_lllT2_lllib
    .private_segment_fixed_size: 0
    .sgpr_count:     31
    .sgpr_spill_count: 0
    .symbol:         _ZL40rocblas_trsm_block_backward_substitutionIddPKPKdPKPdLb1ELb1ELb0EEv18rocblas_operation_llT0_T1_lllT2_lllib.kd
    .uniform_work_group_size: 1
    .uses_dynamic_stack: false
    .vgpr_count:     21
    .vgpr_spill_count: 0
    .wavefront_size: 32
    .workgroup_processor_mode: 1
  - .args:
      - .offset:         0
        .size:           4
        .value_kind:     by_value
      - .offset:         8
        .size:           8
        .value_kind:     by_value
      - .offset:         16
        .size:           8
        .value_kind:     by_value
      - .offset:         24
        .size:           8
        .value_kind:     by_value
      - .address_space:  global
        .offset:         32
        .size:           8
        .value_kind:     global_buffer
      - .offset:         40
        .size:           8
        .value_kind:     by_value
      - .offset:         48
        .size:           8
        .value_kind:     by_value
      - .offset:         56
        .size:           8
        .value_kind:     by_value
      - .address_space:  global
        .offset:         64
        .size:           8
        .value_kind:     global_buffer
      - .offset:         72
        .size:           8
        .value_kind:     by_value
      - .offset:         80
        .size:           8
        .value_kind:     by_value
      - .offset:         88
        .size:           8
        .value_kind:     by_value
      - .offset:         96
        .size:           4
        .value_kind:     by_value
      - .offset:         100
        .size:           1
        .value_kind:     by_value
      - .offset:         104
        .size:           4
        .value_kind:     hidden_block_count_x
      - .offset:         108
        .size:           4
        .value_kind:     hidden_block_count_y
      - .offset:         112
        .size:           4
        .value_kind:     hidden_block_count_z
      - .offset:         116
        .size:           2
        .value_kind:     hidden_group_size_x
      - .offset:         118
        .size:           2
        .value_kind:     hidden_group_size_y
      - .offset:         120
        .size:           2
        .value_kind:     hidden_group_size_z
      - .offset:         122
        .size:           2
        .value_kind:     hidden_remainder_x
      - .offset:         124
        .size:           2
        .value_kind:     hidden_remainder_y
      - .offset:         126
        .size:           2
        .value_kind:     hidden_remainder_z
      - .offset:         144
        .size:           8
        .value_kind:     hidden_global_offset_x
      - .offset:         152
        .size:           8
        .value_kind:     hidden_global_offset_y
      - .offset:         160
        .size:           8
        .value_kind:     hidden_global_offset_z
      - .offset:         168
        .size:           2
        .value_kind:     hidden_grid_dims
      - .offset:         224
        .size:           4
        .value_kind:     hidden_dynamic_lds_size
    .group_segment_fixed_size: 0
    .kernarg_segment_align: 8
    .kernarg_segment_size: 360
    .language:       OpenCL C
    .language_version:
      - 2
      - 0
    .max_flat_workgroup_size: 1024
    .name:           _ZL39rocblas_trsm_block_forward_substitutionIddPKPKdPKPdLb1ELb1ELb1EEv18rocblas_operation_llT0_T1_lllT2_lllib
    .private_segment_fixed_size: 0
    .sgpr_count:     28
    .sgpr_spill_count: 0
    .symbol:         _ZL39rocblas_trsm_block_forward_substitutionIddPKPKdPKPdLb1ELb1ELb1EEv18rocblas_operation_llT0_T1_lllT2_lllib.kd
    .uniform_work_group_size: 1
    .uses_dynamic_stack: false
    .vgpr_count:     13
    .vgpr_spill_count: 0
    .wavefront_size: 32
    .workgroup_processor_mode: 1
  - .args:
      - .offset:         0
        .size:           4
        .value_kind:     by_value
      - .offset:         8
        .size:           8
        .value_kind:     by_value
      - .offset:         16
        .size:           8
        .value_kind:     by_value
      - .offset:         24
        .size:           8
        .value_kind:     by_value
      - .address_space:  global
        .offset:         32
        .size:           8
        .value_kind:     global_buffer
      - .offset:         40
        .size:           8
        .value_kind:     by_value
      - .offset:         48
        .size:           8
        .value_kind:     by_value
      - .offset:         56
        .size:           8
        .value_kind:     by_value
      - .address_space:  global
        .offset:         64
        .size:           8
        .value_kind:     global_buffer
      - .offset:         72
        .size:           8
        .value_kind:     by_value
      - .offset:         80
        .size:           8
        .value_kind:     by_value
      - .offset:         88
        .size:           8
        .value_kind:     by_value
      - .offset:         96
        .size:           4
        .value_kind:     by_value
      - .offset:         100
        .size:           1
        .value_kind:     by_value
      - .offset:         104
        .size:           4
        .value_kind:     hidden_block_count_x
      - .offset:         108
        .size:           4
        .value_kind:     hidden_block_count_y
      - .offset:         112
        .size:           4
        .value_kind:     hidden_block_count_z
      - .offset:         116
        .size:           2
        .value_kind:     hidden_group_size_x
      - .offset:         118
        .size:           2
        .value_kind:     hidden_group_size_y
      - .offset:         120
        .size:           2
        .value_kind:     hidden_group_size_z
      - .offset:         122
        .size:           2
        .value_kind:     hidden_remainder_x
      - .offset:         124
        .size:           2
        .value_kind:     hidden_remainder_y
      - .offset:         126
        .size:           2
        .value_kind:     hidden_remainder_z
      - .offset:         144
        .size:           8
        .value_kind:     hidden_global_offset_x
      - .offset:         152
        .size:           8
        .value_kind:     hidden_global_offset_y
      - .offset:         160
        .size:           8
        .value_kind:     hidden_global_offset_z
      - .offset:         168
        .size:           2
        .value_kind:     hidden_grid_dims
      - .offset:         224
        .size:           4
        .value_kind:     hidden_dynamic_lds_size
    .group_segment_fixed_size: 0
    .kernarg_segment_align: 8
    .kernarg_segment_size: 360
    .language:       OpenCL C
    .language_version:
      - 2
      - 0
    .max_flat_workgroup_size: 1024
    .name:           _ZL40rocblas_trsm_block_backward_substitutionIddPKPKdPKPdLb1ELb1ELb1EEv18rocblas_operation_llT0_T1_lllT2_lllib
    .private_segment_fixed_size: 0
    .sgpr_count:     27
    .sgpr_spill_count: 0
    .symbol:         _ZL40rocblas_trsm_block_backward_substitutionIddPKPKdPKPdLb1ELb1ELb1EEv18rocblas_operation_llT0_T1_lllT2_lllib.kd
    .uniform_work_group_size: 1
    .uses_dynamic_stack: false
    .vgpr_count:     13
    .vgpr_spill_count: 0
    .wavefront_size: 32
    .workgroup_processor_mode: 1
  - .args:
      - .offset:         0
        .size:           4
        .value_kind:     by_value
      - .offset:         8
        .size:           8
        .value_kind:     by_value
      - .offset:         16
        .size:           8
        .value_kind:     by_value
      - .offset:         24
        .size:           8
        .value_kind:     by_value
      - .address_space:  global
        .offset:         32
        .size:           8
        .value_kind:     global_buffer
      - .offset:         40
        .size:           8
        .value_kind:     by_value
      - .offset:         48
        .size:           8
        .value_kind:     by_value
      - .offset:         56
        .size:           8
        .value_kind:     by_value
      - .address_space:  global
        .offset:         64
        .size:           8
        .value_kind:     global_buffer
      - .offset:         72
        .size:           8
        .value_kind:     by_value
      - .offset:         80
        .size:           8
        .value_kind:     by_value
      - .offset:         88
        .size:           8
        .value_kind:     by_value
      - .offset:         96
        .size:           4
        .value_kind:     by_value
      - .offset:         100
        .size:           1
        .value_kind:     by_value
      - .offset:         104
        .size:           4
        .value_kind:     hidden_block_count_x
      - .offset:         108
        .size:           4
        .value_kind:     hidden_block_count_y
      - .offset:         112
        .size:           4
        .value_kind:     hidden_block_count_z
      - .offset:         116
        .size:           2
        .value_kind:     hidden_group_size_x
      - .offset:         118
        .size:           2
        .value_kind:     hidden_group_size_y
      - .offset:         120
        .size:           2
        .value_kind:     hidden_group_size_z
      - .offset:         122
        .size:           2
        .value_kind:     hidden_remainder_x
      - .offset:         124
        .size:           2
        .value_kind:     hidden_remainder_y
      - .offset:         126
        .size:           2
        .value_kind:     hidden_remainder_z
      - .offset:         144
        .size:           8
        .value_kind:     hidden_global_offset_x
      - .offset:         152
        .size:           8
        .value_kind:     hidden_global_offset_y
      - .offset:         160
        .size:           8
        .value_kind:     hidden_global_offset_z
      - .offset:         168
        .size:           2
        .value_kind:     hidden_grid_dims
      - .offset:         224
        .size:           4
        .value_kind:     hidden_dynamic_lds_size
    .group_segment_fixed_size: 0
    .kernarg_segment_align: 8
    .kernarg_segment_size: 360
    .language:       OpenCL C
    .language_version:
      - 2
      - 0
    .max_flat_workgroup_size: 1024
    .name:           _ZL39rocblas_trsm_block_forward_substitutionIddPKPKdPKPdLb1ELb0ELb0EEv18rocblas_operation_llT0_T1_lllT2_lllib
    .private_segment_fixed_size: 0
    .sgpr_count:     30
    .sgpr_spill_count: 0
    .symbol:         _ZL39rocblas_trsm_block_forward_substitutionIddPKPKdPKPdLb1ELb0ELb0EEv18rocblas_operation_llT0_T1_lllT2_lllib.kd
    .uniform_work_group_size: 1
    .uses_dynamic_stack: false
    .vgpr_count:     21
    .vgpr_spill_count: 0
    .wavefront_size: 32
    .workgroup_processor_mode: 1
  - .args:
      - .offset:         0
        .size:           4
        .value_kind:     by_value
      - .offset:         8
        .size:           8
        .value_kind:     by_value
      - .offset:         16
        .size:           8
        .value_kind:     by_value
      - .offset:         24
        .size:           8
        .value_kind:     by_value
      - .address_space:  global
        .offset:         32
        .size:           8
        .value_kind:     global_buffer
      - .offset:         40
        .size:           8
        .value_kind:     by_value
      - .offset:         48
        .size:           8
        .value_kind:     by_value
      - .offset:         56
        .size:           8
        .value_kind:     by_value
      - .address_space:  global
        .offset:         64
        .size:           8
        .value_kind:     global_buffer
      - .offset:         72
        .size:           8
        .value_kind:     by_value
      - .offset:         80
        .size:           8
        .value_kind:     by_value
      - .offset:         88
        .size:           8
        .value_kind:     by_value
      - .offset:         96
        .size:           4
        .value_kind:     by_value
      - .offset:         100
        .size:           1
        .value_kind:     by_value
      - .offset:         104
        .size:           4
        .value_kind:     hidden_block_count_x
      - .offset:         108
        .size:           4
        .value_kind:     hidden_block_count_y
      - .offset:         112
        .size:           4
        .value_kind:     hidden_block_count_z
      - .offset:         116
        .size:           2
        .value_kind:     hidden_group_size_x
      - .offset:         118
        .size:           2
        .value_kind:     hidden_group_size_y
      - .offset:         120
        .size:           2
        .value_kind:     hidden_group_size_z
      - .offset:         122
        .size:           2
        .value_kind:     hidden_remainder_x
      - .offset:         124
        .size:           2
        .value_kind:     hidden_remainder_y
      - .offset:         126
        .size:           2
        .value_kind:     hidden_remainder_z
      - .offset:         144
        .size:           8
        .value_kind:     hidden_global_offset_x
      - .offset:         152
        .size:           8
        .value_kind:     hidden_global_offset_y
      - .offset:         160
        .size:           8
        .value_kind:     hidden_global_offset_z
      - .offset:         168
        .size:           2
        .value_kind:     hidden_grid_dims
      - .offset:         224
        .size:           4
        .value_kind:     hidden_dynamic_lds_size
    .group_segment_fixed_size: 0
    .kernarg_segment_align: 8
    .kernarg_segment_size: 360
    .language:       OpenCL C
    .language_version:
      - 2
      - 0
    .max_flat_workgroup_size: 1024
    .name:           _ZL40rocblas_trsm_block_backward_substitutionIddPKPKdPKPdLb1ELb0ELb0EEv18rocblas_operation_llT0_T1_lllT2_lllib
    .private_segment_fixed_size: 0
    .sgpr_count:     31
    .sgpr_spill_count: 0
    .symbol:         _ZL40rocblas_trsm_block_backward_substitutionIddPKPKdPKPdLb1ELb0ELb0EEv18rocblas_operation_llT0_T1_lllT2_lllib.kd
    .uniform_work_group_size: 1
    .uses_dynamic_stack: false
    .vgpr_count:     21
    .vgpr_spill_count: 0
    .wavefront_size: 32
    .workgroup_processor_mode: 1
  - .args:
      - .offset:         0
        .size:           4
        .value_kind:     by_value
      - .offset:         8
        .size:           8
        .value_kind:     by_value
      - .offset:         16
        .size:           8
        .value_kind:     by_value
      - .offset:         24
        .size:           8
        .value_kind:     by_value
      - .address_space:  global
        .offset:         32
        .size:           8
        .value_kind:     global_buffer
      - .offset:         40
        .size:           8
        .value_kind:     by_value
      - .offset:         48
        .size:           8
        .value_kind:     by_value
      - .offset:         56
        .size:           8
        .value_kind:     by_value
      - .address_space:  global
        .offset:         64
        .size:           8
        .value_kind:     global_buffer
      - .offset:         72
        .size:           8
        .value_kind:     by_value
      - .offset:         80
        .size:           8
        .value_kind:     by_value
      - .offset:         88
        .size:           8
        .value_kind:     by_value
      - .offset:         96
        .size:           4
        .value_kind:     by_value
      - .offset:         100
        .size:           1
        .value_kind:     by_value
      - .offset:         104
        .size:           4
        .value_kind:     hidden_block_count_x
      - .offset:         108
        .size:           4
        .value_kind:     hidden_block_count_y
      - .offset:         112
        .size:           4
        .value_kind:     hidden_block_count_z
      - .offset:         116
        .size:           2
        .value_kind:     hidden_group_size_x
      - .offset:         118
        .size:           2
        .value_kind:     hidden_group_size_y
      - .offset:         120
        .size:           2
        .value_kind:     hidden_group_size_z
      - .offset:         122
        .size:           2
        .value_kind:     hidden_remainder_x
      - .offset:         124
        .size:           2
        .value_kind:     hidden_remainder_y
      - .offset:         126
        .size:           2
        .value_kind:     hidden_remainder_z
      - .offset:         144
        .size:           8
        .value_kind:     hidden_global_offset_x
      - .offset:         152
        .size:           8
        .value_kind:     hidden_global_offset_y
      - .offset:         160
        .size:           8
        .value_kind:     hidden_global_offset_z
      - .offset:         168
        .size:           2
        .value_kind:     hidden_grid_dims
      - .offset:         224
        .size:           4
        .value_kind:     hidden_dynamic_lds_size
    .group_segment_fixed_size: 0
    .kernarg_segment_align: 8
    .kernarg_segment_size: 360
    .language:       OpenCL C
    .language_version:
      - 2
      - 0
    .max_flat_workgroup_size: 1024
    .name:           _ZL39rocblas_trsm_block_forward_substitutionIddPKPKdPKPdLb1ELb0ELb1EEv18rocblas_operation_llT0_T1_lllT2_lllib
    .private_segment_fixed_size: 0
    .sgpr_count:     28
    .sgpr_spill_count: 0
    .symbol:         _ZL39rocblas_trsm_block_forward_substitutionIddPKPKdPKPdLb1ELb0ELb1EEv18rocblas_operation_llT0_T1_lllT2_lllib.kd
    .uniform_work_group_size: 1
    .uses_dynamic_stack: false
    .vgpr_count:     13
    .vgpr_spill_count: 0
    .wavefront_size: 32
    .workgroup_processor_mode: 1
  - .args:
      - .offset:         0
        .size:           4
        .value_kind:     by_value
      - .offset:         8
        .size:           8
        .value_kind:     by_value
      - .offset:         16
        .size:           8
        .value_kind:     by_value
      - .offset:         24
        .size:           8
        .value_kind:     by_value
      - .address_space:  global
        .offset:         32
        .size:           8
        .value_kind:     global_buffer
      - .offset:         40
        .size:           8
        .value_kind:     by_value
      - .offset:         48
        .size:           8
        .value_kind:     by_value
      - .offset:         56
        .size:           8
        .value_kind:     by_value
      - .address_space:  global
        .offset:         64
        .size:           8
        .value_kind:     global_buffer
      - .offset:         72
        .size:           8
        .value_kind:     by_value
      - .offset:         80
        .size:           8
        .value_kind:     by_value
      - .offset:         88
        .size:           8
        .value_kind:     by_value
      - .offset:         96
        .size:           4
        .value_kind:     by_value
      - .offset:         100
        .size:           1
        .value_kind:     by_value
      - .offset:         104
        .size:           4
        .value_kind:     hidden_block_count_x
      - .offset:         108
        .size:           4
        .value_kind:     hidden_block_count_y
      - .offset:         112
        .size:           4
        .value_kind:     hidden_block_count_z
      - .offset:         116
        .size:           2
        .value_kind:     hidden_group_size_x
      - .offset:         118
        .size:           2
        .value_kind:     hidden_group_size_y
      - .offset:         120
        .size:           2
        .value_kind:     hidden_group_size_z
      - .offset:         122
        .size:           2
        .value_kind:     hidden_remainder_x
      - .offset:         124
        .size:           2
        .value_kind:     hidden_remainder_y
      - .offset:         126
        .size:           2
        .value_kind:     hidden_remainder_z
      - .offset:         144
        .size:           8
        .value_kind:     hidden_global_offset_x
      - .offset:         152
        .size:           8
        .value_kind:     hidden_global_offset_y
      - .offset:         160
        .size:           8
        .value_kind:     hidden_global_offset_z
      - .offset:         168
        .size:           2
        .value_kind:     hidden_grid_dims
      - .offset:         224
        .size:           4
        .value_kind:     hidden_dynamic_lds_size
    .group_segment_fixed_size: 0
    .kernarg_segment_align: 8
    .kernarg_segment_size: 360
    .language:       OpenCL C
    .language_version:
      - 2
      - 0
    .max_flat_workgroup_size: 1024
    .name:           _ZL40rocblas_trsm_block_backward_substitutionIddPKPKdPKPdLb1ELb0ELb1EEv18rocblas_operation_llT0_T1_lllT2_lllib
    .private_segment_fixed_size: 0
    .sgpr_count:     27
    .sgpr_spill_count: 0
    .symbol:         _ZL40rocblas_trsm_block_backward_substitutionIddPKPKdPKPdLb1ELb0ELb1EEv18rocblas_operation_llT0_T1_lllT2_lllib.kd
    .uniform_work_group_size: 1
    .uses_dynamic_stack: false
    .vgpr_count:     13
    .vgpr_spill_count: 0
    .wavefront_size: 32
    .workgroup_processor_mode: 1
  - .args:
      - .address_space:  global
        .offset:         0
        .size:           8
        .value_kind:     global_buffer
      - .offset:         8
        .size:           8
        .value_kind:     by_value
      - .address_space:  global
        .offset:         16
        .size:           8
        .value_kind:     global_buffer
    .group_segment_fixed_size: 0
    .kernarg_segment_align: 8
    .kernarg_segment_size: 24
    .language:       OpenCL C
    .language_version:
      - 2
      - 0
    .max_flat_workgroup_size: 128
    .name:           _ZL26setup_batched_array_kernelILi128EdEvPT0_lPS1_
    .private_segment_fixed_size: 0
    .sgpr_count:     16
    .sgpr_spill_count: 0
    .symbol:         _ZL26setup_batched_array_kernelILi128EdEvPT0_lPS1_.kd
    .uniform_work_group_size: 1
    .uses_dynamic_stack: false
    .vgpr_count:     3
    .vgpr_spill_count: 0
    .wavefront_size: 32
    .workgroup_processor_mode: 1
  - .args:
      - .offset:         0
        .size:           4
        .value_kind:     by_value
      - .offset:         4
        .size:           4
        .value_kind:     by_value
      - .address_space:  global
        .offset:         8
        .size:           8
        .value_kind:     global_buffer
      - .offset:         16
        .size:           8
        .value_kind:     by_value
      - .offset:         24
        .size:           4
        .value_kind:     by_value
      - .offset:         32
        .size:           8
        .value_kind:     by_value
      - .address_space:  global
        .offset:         40
        .size:           8
        .value_kind:     global_buffer
      - .offset:         48
        .size:           8
        .value_kind:     by_value
      - .offset:         56
        .size:           8
        .value_kind:     by_value
      - .offset:         64
        .size:           4
        .value_kind:     by_value
    .group_segment_fixed_size: 8192
    .kernarg_segment_align: 8
    .kernarg_segment_size: 68
    .language:       OpenCL C
    .language_version:
      - 2
      - 0
    .max_flat_workgroup_size: 256
    .name:           _ZL25rocblas_trtri_trsm_kernelILi128ELi16ELi8EdPKPKdPKPdEv13rocblas_fill_17rocblas_diagonal_T3_lilT4_lli
    .private_segment_fixed_size: 0
    .sgpr_count:     26
    .sgpr_spill_count: 0
    .symbol:         _ZL25rocblas_trtri_trsm_kernelILi128ELi16ELi8EdPKPKdPKPdEv13rocblas_fill_17rocblas_diagonal_T3_lilT4_lli.kd
    .uniform_work_group_size: 1
    .uses_dynamic_stack: false
    .vgpr_count:     38
    .vgpr_spill_count: 0
    .wavefront_size: 32
    .workgroup_processor_mode: 1
  - .args:
      - .address_space:  global
        .offset:         0
        .size:           8
        .value_kind:     global_buffer
      - .offset:         8
        .size:           4
        .value_kind:     by_value
      - .offset:         12
        .size:           4
        .value_kind:     by_value
      - .offset:         16
        .size:           8
        .value_kind:     by_value
      - .offset:         24
        .size:           4
        .value_kind:     by_value
      - .offset:         32
        .size:           8
        .value_kind:     by_value
      - .address_space:  global
        .offset:         40
        .size:           8
        .value_kind:     global_buffer
      - .offset:         48
        .size:           8
        .value_kind:     by_value
      - .offset:         56
        .size:           8
        .value_kind:     by_value
      - .offset:         64
        .size:           4
        .value_kind:     by_value
      - .offset:         68
        .size:           4
        .value_kind:     by_value
      - .offset:         72
        .size:           4
        .value_kind:     hidden_block_count_x
      - .offset:         76
        .size:           4
        .value_kind:     hidden_block_count_y
      - .offset:         80
        .size:           4
        .value_kind:     hidden_block_count_z
      - .offset:         84
        .size:           2
        .value_kind:     hidden_group_size_x
      - .offset:         86
        .size:           2
        .value_kind:     hidden_group_size_y
      - .offset:         88
        .size:           2
        .value_kind:     hidden_group_size_z
      - .offset:         90
        .size:           2
        .value_kind:     hidden_remainder_x
      - .offset:         92
        .size:           2
        .value_kind:     hidden_remainder_y
      - .offset:         94
        .size:           2
        .value_kind:     hidden_remainder_z
      - .offset:         112
        .size:           8
        .value_kind:     hidden_global_offset_x
      - .offset:         120
        .size:           8
        .value_kind:     hidden_global_offset_y
      - .offset:         128
        .size:           8
        .value_kind:     hidden_global_offset_z
      - .offset:         136
        .size:           2
        .value_kind:     hidden_grid_dims
    .group_segment_fixed_size: 0
    .kernarg_segment_align: 8
    .kernarg_segment_size: 328
    .language:       OpenCL C
    .language_version:
      - 2
      - 0
    .max_flat_workgroup_size: 128
    .name:           _ZL18rocblas_trtri_fillILi128EdPKPdEvP15_rocblas_handle13rocblas_fill_ililT1_llii
    .private_segment_fixed_size: 0
    .sgpr_count:     25
    .sgpr_spill_count: 0
    .symbol:         _ZL18rocblas_trtri_fillILi128EdPKPdEvP15_rocblas_handle13rocblas_fill_ililT1_llii.kd
    .uniform_work_group_size: 1
    .uses_dynamic_stack: false
    .vgpr_count:     26
    .vgpr_spill_count: 0
    .wavefront_size: 32
    .workgroup_processor_mode: 1
  - .args:
      - .offset:         0
        .size:           4
        .value_kind:     by_value
      - .offset:         4
        .size:           4
        .value_kind:     by_value
      - .offset:         8
        .size:           4
        .value_kind:     by_value
      - .address_space:  global
        .offset:         16
        .size:           8
        .value_kind:     global_buffer
      - .offset:         24
        .size:           4
        .value_kind:     by_value
      - .offset:         32
        .size:           8
        .value_kind:     by_value
      - .address_space:  global
        .offset:         40
        .size:           8
        .value_kind:     global_buffer
      - .offset:         48
        .size:           4
        .value_kind:     by_value
      - .offset:         56
        .size:           8
        .value_kind:     by_value
      - .offset:         64
        .size:           8
        .value_kind:     by_value
      - .offset:         72
        .size:           8
        .value_kind:     by_value
      - .offset:         80
        .size:           4
        .value_kind:     by_value
      - .offset:         88
        .size:           4
        .value_kind:     hidden_block_count_x
      - .offset:         92
        .size:           4
        .value_kind:     hidden_block_count_y
      - .offset:         96
        .size:           4
        .value_kind:     hidden_block_count_z
      - .offset:         100
        .size:           2
        .value_kind:     hidden_group_size_x
      - .offset:         102
        .size:           2
        .value_kind:     hidden_group_size_y
      - .offset:         104
        .size:           2
        .value_kind:     hidden_group_size_z
      - .offset:         106
        .size:           2
        .value_kind:     hidden_remainder_x
      - .offset:         108
        .size:           2
        .value_kind:     hidden_remainder_y
      - .offset:         110
        .size:           2
        .value_kind:     hidden_remainder_z
      - .offset:         128
        .size:           8
        .value_kind:     hidden_global_offset_x
      - .offset:         136
        .size:           8
        .value_kind:     hidden_global_offset_y
      - .offset:         144
        .size:           8
        .value_kind:     hidden_global_offset_z
      - .offset:         152
        .size:           2
        .value_kind:     hidden_grid_dims
    .group_segment_fixed_size: 0
    .kernarg_segment_align: 8
    .kernarg_segment_size: 344
    .language:       OpenCL C
    .language_version:
      - 2
      - 0
    .max_flat_workgroup_size: 1024
    .name:           _ZL24rocblas_copy_matrix_trsmILi128ELi8EdPKPKdPKPdEviiiT2_ilT3_illli
    .private_segment_fixed_size: 0
    .sgpr_count:     21
    .sgpr_spill_count: 0
    .symbol:         _ZL24rocblas_copy_matrix_trsmILi128ELi8EdPKPKdPKPdEviiiT2_ilT3_illli.kd
    .uniform_work_group_size: 1
    .uses_dynamic_stack: false
    .vgpr_count:     11
    .vgpr_spill_count: 0
    .wavefront_size: 32
    .workgroup_processor_mode: 1
  - .args:
      - .offset:         0
        .size:           8
        .value_kind:     by_value
      - .offset:         8
        .size:           8
        .value_kind:     by_value
      - .offset:         16
        .size:           4
        .value_kind:     by_value
      - .address_space:  global
        .offset:         24
        .size:           8
        .value_kind:     global_buffer
      - .offset:         32
        .size:           8
        .value_kind:     by_value
      - .offset:         40
        .size:           8
        .value_kind:     by_value
      - .offset:         48
        .size:           8
        .value_kind:     by_value
      - .offset:         56
        .size:           8
        .value_kind:     by_value
      - .offset:         64
        .size:           4
        .value_kind:     by_value
    .group_segment_fixed_size: 0
    .kernarg_segment_align: 8
    .kernarg_segment_size: 68
    .language:       OpenCL C
    .language_version:
      - 2
      - 0
    .max_flat_workgroup_size: 1024
    .name:           _ZL23rocblas_set_matrix_trsmILi128ELi8E19rocblas_complex_numIfEPKPS1_EvlliT2_llT1_li
    .private_segment_fixed_size: 0
    .sgpr_count:     18
    .sgpr_spill_count: 0
    .symbol:         _ZL23rocblas_set_matrix_trsmILi128ELi8E19rocblas_complex_numIfEPKPS1_EvlliT2_llT1_li.kd
    .uniform_work_group_size: 1
    .uses_dynamic_stack: false
    .vgpr_count:     7
    .vgpr_spill_count: 0
    .wavefront_size: 32
    .workgroup_processor_mode: 1
  - .args:
      - .offset:         0
        .size:           4
        .value_kind:     by_value
      - .offset:         4
        .size:           4
        .value_kind:     by_value
      - .offset:         8
        .size:           4
        .value_kind:     by_value
      - .offset:         12
        .size:           4
        .value_kind:     by_value
      - .offset:         16
        .size:           4
        .value_kind:     by_value
      - .offset:         20
        .size:           8
        .value_kind:     by_value
      - .address_space:  global
        .offset:         32
        .size:           8
        .value_kind:     global_buffer
      - .offset:         40
        .size:           8
        .value_kind:     by_value
      - .offset:         48
        .size:           4
        .value_kind:     by_value
      - .offset:         56
        .size:           8
        .value_kind:     by_value
      - .address_space:  global
        .offset:         64
        .size:           8
        .value_kind:     global_buffer
      - .offset:         72
        .size:           8
        .value_kind:     by_value
      - .offset:         80
        .size:           4
        .value_kind:     by_value
      - .offset:         88
        .size:           8
        .value_kind:     by_value
      - .offset:         96
        .size:           4
        .value_kind:     by_value
      - .offset:         104
        .size:           4
        .value_kind:     hidden_block_count_x
      - .offset:         108
        .size:           4
        .value_kind:     hidden_block_count_y
      - .offset:         112
        .size:           4
        .value_kind:     hidden_block_count_z
      - .offset:         116
        .size:           2
        .value_kind:     hidden_group_size_x
      - .offset:         118
        .size:           2
        .value_kind:     hidden_group_size_y
      - .offset:         120
        .size:           2
        .value_kind:     hidden_group_size_z
      - .offset:         122
        .size:           2
        .value_kind:     hidden_remainder_x
      - .offset:         124
        .size:           2
        .value_kind:     hidden_remainder_y
      - .offset:         126
        .size:           2
        .value_kind:     hidden_remainder_z
      - .offset:         144
        .size:           8
        .value_kind:     hidden_global_offset_x
      - .offset:         152
        .size:           8
        .value_kind:     hidden_global_offset_y
      - .offset:         160
        .size:           8
        .value_kind:     hidden_global_offset_z
      - .offset:         168
        .size:           2
        .value_kind:     hidden_grid_dims
    .group_segment_fixed_size: 384
    .kernarg_segment_align: 8
    .kernarg_segment_size: 360
    .language:       OpenCL C
    .language_version:
      - 2
      - 0
    .max_flat_workgroup_size: 4
    .name:           _ZL38rocblas_trsm_small_left_device_sharedBILi4ELi4ELb0E19rocblas_complex_numIfES1_PKPKS1_PKPS1_Ev13rocblas_fill_18rocblas_operation_17rocblas_diagonal_iiT3_T4_lilT5_lili
    .private_segment_fixed_size: 0
    .sgpr_count:     39
    .sgpr_spill_count: 0
    .symbol:         _ZL38rocblas_trsm_small_left_device_sharedBILi4ELi4ELb0E19rocblas_complex_numIfES1_PKPKS1_PKPS1_Ev13rocblas_fill_18rocblas_operation_17rocblas_diagonal_iiT3_T4_lilT5_lili.kd
    .uniform_work_group_size: 1
    .uses_dynamic_stack: false
    .vgpr_count:     14
    .vgpr_spill_count: 0
    .wavefront_size: 32
    .workgroup_processor_mode: 1
  - .args:
      - .offset:         0
        .size:           4
        .value_kind:     by_value
      - .offset:         4
        .size:           4
        .value_kind:     by_value
      - .offset:         8
        .size:           4
        .value_kind:     by_value
      - .offset:         12
        .size:           4
        .value_kind:     by_value
      - .offset:         16
        .size:           4
        .value_kind:     by_value
      - .offset:         20
        .size:           8
        .value_kind:     by_value
      - .address_space:  global
        .offset:         32
        .size:           8
        .value_kind:     global_buffer
      - .offset:         40
        .size:           8
        .value_kind:     by_value
      - .offset:         48
        .size:           4
        .value_kind:     by_value
      - .offset:         56
        .size:           8
        .value_kind:     by_value
      - .address_space:  global
        .offset:         64
        .size:           8
        .value_kind:     global_buffer
      - .offset:         72
        .size:           8
        .value_kind:     by_value
      - .offset:         80
        .size:           4
        .value_kind:     by_value
      - .offset:         88
        .size:           8
        .value_kind:     by_value
      - .offset:         96
        .size:           4
        .value_kind:     by_value
      - .offset:         104
        .size:           4
        .value_kind:     hidden_block_count_x
      - .offset:         108
        .size:           4
        .value_kind:     hidden_block_count_y
      - .offset:         112
        .size:           4
        .value_kind:     hidden_block_count_z
      - .offset:         116
        .size:           2
        .value_kind:     hidden_group_size_x
      - .offset:         118
        .size:           2
        .value_kind:     hidden_group_size_y
      - .offset:         120
        .size:           2
        .value_kind:     hidden_group_size_z
      - .offset:         122
        .size:           2
        .value_kind:     hidden_remainder_x
      - .offset:         124
        .size:           2
        .value_kind:     hidden_remainder_y
      - .offset:         126
        .size:           2
        .value_kind:     hidden_remainder_z
      - .offset:         144
        .size:           8
        .value_kind:     hidden_global_offset_x
      - .offset:         152
        .size:           8
        .value_kind:     hidden_global_offset_y
      - .offset:         160
        .size:           8
        .value_kind:     hidden_global_offset_z
      - .offset:         168
        .size:           2
        .value_kind:     hidden_grid_dims
    .group_segment_fixed_size: 256
    .kernarg_segment_align: 8
    .kernarg_segment_size: 360
    .language:       OpenCL C
    .language_version:
      - 2
      - 0
    .max_flat_workgroup_size: 4
    .name:           _ZL30rocblas_trsm_small_left_deviceILi4ELi4ELb0E19rocblas_complex_numIfES1_PKPKS1_PKPS1_Ev13rocblas_fill_18rocblas_operation_17rocblas_diagonal_iiT3_T4_lilT5_lili
    .private_segment_fixed_size: 0
    .sgpr_count:     38
    .sgpr_spill_count: 0
    .symbol:         _ZL30rocblas_trsm_small_left_deviceILi4ELi4ELb0E19rocblas_complex_numIfES1_PKPKS1_PKPS1_Ev13rocblas_fill_18rocblas_operation_17rocblas_diagonal_iiT3_T4_lilT5_lili.kd
    .uniform_work_group_size: 1
    .uses_dynamic_stack: false
    .vgpr_count:     18
    .vgpr_spill_count: 0
    .wavefront_size: 32
    .workgroup_processor_mode: 1
  - .args:
      - .offset:         0
        .size:           4
        .value_kind:     by_value
      - .offset:         4
        .size:           4
        .value_kind:     by_value
      - .offset:         8
        .size:           4
        .value_kind:     by_value
      - .offset:         12
        .size:           4
        .value_kind:     by_value
      - .offset:         16
        .size:           4
        .value_kind:     by_value
      - .offset:         20
        .size:           8
        .value_kind:     by_value
      - .address_space:  global
        .offset:         32
        .size:           8
        .value_kind:     global_buffer
      - .offset:         40
        .size:           8
        .value_kind:     by_value
      - .offset:         48
        .size:           4
        .value_kind:     by_value
      - .offset:         56
        .size:           8
        .value_kind:     by_value
      - .address_space:  global
        .offset:         64
        .size:           8
        .value_kind:     global_buffer
      - .offset:         72
        .size:           8
        .value_kind:     by_value
      - .offset:         80
        .size:           4
        .value_kind:     by_value
      - .offset:         88
        .size:           8
        .value_kind:     by_value
      - .offset:         96
        .size:           4
        .value_kind:     by_value
      - .offset:         104
        .size:           4
        .value_kind:     hidden_block_count_x
      - .offset:         108
        .size:           4
        .value_kind:     hidden_block_count_y
      - .offset:         112
        .size:           4
        .value_kind:     hidden_block_count_z
      - .offset:         116
        .size:           2
        .value_kind:     hidden_group_size_x
      - .offset:         118
        .size:           2
        .value_kind:     hidden_group_size_y
      - .offset:         120
        .size:           2
        .value_kind:     hidden_group_size_z
      - .offset:         122
        .size:           2
        .value_kind:     hidden_remainder_x
      - .offset:         124
        .size:           2
        .value_kind:     hidden_remainder_y
      - .offset:         126
        .size:           2
        .value_kind:     hidden_remainder_z
      - .offset:         144
        .size:           8
        .value_kind:     hidden_global_offset_x
      - .offset:         152
        .size:           8
        .value_kind:     hidden_global_offset_y
      - .offset:         160
        .size:           8
        .value_kind:     hidden_global_offset_z
      - .offset:         168
        .size:           2
        .value_kind:     hidden_grid_dims
    .group_segment_fixed_size: 384
    .kernarg_segment_align: 8
    .kernarg_segment_size: 360
    .language:       OpenCL C
    .language_version:
      - 2
      - 0
    .max_flat_workgroup_size: 4
    .name:           _ZL38rocblas_trsm_small_left_device_sharedBILi4ELi4ELb1E19rocblas_complex_numIfES1_PKPKS1_PKPS1_Ev13rocblas_fill_18rocblas_operation_17rocblas_diagonal_iiT3_T4_lilT5_lili
    .private_segment_fixed_size: 0
    .sgpr_count:     39
    .sgpr_spill_count: 0
    .symbol:         _ZL38rocblas_trsm_small_left_device_sharedBILi4ELi4ELb1E19rocblas_complex_numIfES1_PKPKS1_PKPS1_Ev13rocblas_fill_18rocblas_operation_17rocblas_diagonal_iiT3_T4_lilT5_lili.kd
    .uniform_work_group_size: 1
    .uses_dynamic_stack: false
    .vgpr_count:     14
    .vgpr_spill_count: 0
    .wavefront_size: 32
    .workgroup_processor_mode: 1
  - .args:
      - .offset:         0
        .size:           4
        .value_kind:     by_value
      - .offset:         4
        .size:           4
        .value_kind:     by_value
      - .offset:         8
        .size:           4
        .value_kind:     by_value
      - .offset:         12
        .size:           4
        .value_kind:     by_value
      - .offset:         16
        .size:           4
        .value_kind:     by_value
      - .offset:         20
        .size:           8
        .value_kind:     by_value
      - .address_space:  global
        .offset:         32
        .size:           8
        .value_kind:     global_buffer
      - .offset:         40
        .size:           8
        .value_kind:     by_value
      - .offset:         48
        .size:           4
        .value_kind:     by_value
      - .offset:         56
        .size:           8
        .value_kind:     by_value
      - .address_space:  global
        .offset:         64
        .size:           8
        .value_kind:     global_buffer
      - .offset:         72
        .size:           8
        .value_kind:     by_value
      - .offset:         80
        .size:           4
        .value_kind:     by_value
      - .offset:         88
        .size:           8
        .value_kind:     by_value
      - .offset:         96
        .size:           4
        .value_kind:     by_value
      - .offset:         104
        .size:           4
        .value_kind:     hidden_block_count_x
      - .offset:         108
        .size:           4
        .value_kind:     hidden_block_count_y
      - .offset:         112
        .size:           4
        .value_kind:     hidden_block_count_z
      - .offset:         116
        .size:           2
        .value_kind:     hidden_group_size_x
      - .offset:         118
        .size:           2
        .value_kind:     hidden_group_size_y
      - .offset:         120
        .size:           2
        .value_kind:     hidden_group_size_z
      - .offset:         122
        .size:           2
        .value_kind:     hidden_remainder_x
      - .offset:         124
        .size:           2
        .value_kind:     hidden_remainder_y
      - .offset:         126
        .size:           2
        .value_kind:     hidden_remainder_z
      - .offset:         144
        .size:           8
        .value_kind:     hidden_global_offset_x
      - .offset:         152
        .size:           8
        .value_kind:     hidden_global_offset_y
      - .offset:         160
        .size:           8
        .value_kind:     hidden_global_offset_z
      - .offset:         168
        .size:           2
        .value_kind:     hidden_grid_dims
    .group_segment_fixed_size: 256
    .kernarg_segment_align: 8
    .kernarg_segment_size: 360
    .language:       OpenCL C
    .language_version:
      - 2
      - 0
    .max_flat_workgroup_size: 4
    .name:           _ZL30rocblas_trsm_small_left_deviceILi4ELi4ELb1E19rocblas_complex_numIfES1_PKPKS1_PKPS1_Ev13rocblas_fill_18rocblas_operation_17rocblas_diagonal_iiT3_T4_lilT5_lili
    .private_segment_fixed_size: 0
    .sgpr_count:     38
    .sgpr_spill_count: 0
    .symbol:         _ZL30rocblas_trsm_small_left_deviceILi4ELi4ELb1E19rocblas_complex_numIfES1_PKPKS1_PKPS1_Ev13rocblas_fill_18rocblas_operation_17rocblas_diagonal_iiT3_T4_lilT5_lili.kd
    .uniform_work_group_size: 1
    .uses_dynamic_stack: false
    .vgpr_count:     16
    .vgpr_spill_count: 0
    .wavefront_size: 32
    .workgroup_processor_mode: 1
  - .args:
      - .offset:         0
        .size:           4
        .value_kind:     by_value
      - .offset:         4
        .size:           4
        .value_kind:     by_value
      - .offset:         8
        .size:           4
        .value_kind:     by_value
      - .offset:         12
        .size:           4
        .value_kind:     by_value
      - .offset:         16
        .size:           4
        .value_kind:     by_value
      - .offset:         20
        .size:           8
        .value_kind:     by_value
      - .address_space:  global
        .offset:         32
        .size:           8
        .value_kind:     global_buffer
      - .offset:         40
        .size:           8
        .value_kind:     by_value
      - .offset:         48
        .size:           4
        .value_kind:     by_value
      - .offset:         56
        .size:           8
        .value_kind:     by_value
      - .address_space:  global
        .offset:         64
        .size:           8
        .value_kind:     global_buffer
      - .offset:         72
        .size:           8
        .value_kind:     by_value
      - .offset:         80
        .size:           4
        .value_kind:     by_value
      - .offset:         88
        .size:           8
        .value_kind:     by_value
      - .offset:         96
        .size:           4
        .value_kind:     by_value
      - .offset:         104
        .size:           4
        .value_kind:     hidden_block_count_x
      - .offset:         108
        .size:           4
        .value_kind:     hidden_block_count_y
      - .offset:         112
        .size:           4
        .value_kind:     hidden_block_count_z
      - .offset:         116
        .size:           2
        .value_kind:     hidden_group_size_x
      - .offset:         118
        .size:           2
        .value_kind:     hidden_group_size_y
      - .offset:         120
        .size:           2
        .value_kind:     hidden_group_size_z
      - .offset:         122
        .size:           2
        .value_kind:     hidden_remainder_x
      - .offset:         124
        .size:           2
        .value_kind:     hidden_remainder_y
      - .offset:         126
        .size:           2
        .value_kind:     hidden_remainder_z
      - .offset:         144
        .size:           8
        .value_kind:     hidden_global_offset_x
      - .offset:         152
        .size:           8
        .value_kind:     hidden_global_offset_y
      - .offset:         160
        .size:           8
        .value_kind:     hidden_global_offset_z
      - .offset:         168
        .size:           2
        .value_kind:     hidden_grid_dims
    .group_segment_fixed_size: 256
    .kernarg_segment_align: 8
    .kernarg_segment_size: 360
    .language:       OpenCL C
    .language_version:
      - 2
      - 0
    .max_flat_workgroup_size: 4
    .name:           _ZL31rocblas_trsm_small_right_deviceI19rocblas_complex_numIfES1_PKPKS1_PKPS1_Li4EEv13rocblas_fill_18rocblas_operation_17rocblas_diagonal_iiT0_T1_lilT2_lili
    .private_segment_fixed_size: 0
    .sgpr_count:     38
    .sgpr_spill_count: 0
    .symbol:         _ZL31rocblas_trsm_small_right_deviceI19rocblas_complex_numIfES1_PKPKS1_PKPS1_Li4EEv13rocblas_fill_18rocblas_operation_17rocblas_diagonal_iiT0_T1_lilT2_lili.kd
    .uniform_work_group_size: 1
    .uses_dynamic_stack: false
    .vgpr_count:     22
    .vgpr_spill_count: 0
    .wavefront_size: 32
    .workgroup_processor_mode: 1
  - .args:
      - .offset:         0
        .size:           4
        .value_kind:     by_value
      - .offset:         4
        .size:           4
        .value_kind:     by_value
      - .offset:         8
        .size:           4
        .value_kind:     by_value
      - .offset:         12
        .size:           4
        .value_kind:     by_value
      - .offset:         16
        .size:           4
        .value_kind:     by_value
      - .offset:         20
        .size:           8
        .value_kind:     by_value
      - .address_space:  global
        .offset:         32
        .size:           8
        .value_kind:     global_buffer
      - .offset:         40
        .size:           8
        .value_kind:     by_value
      - .offset:         48
        .size:           4
        .value_kind:     by_value
      - .offset:         56
        .size:           8
        .value_kind:     by_value
      - .address_space:  global
        .offset:         64
        .size:           8
        .value_kind:     global_buffer
      - .offset:         72
        .size:           8
        .value_kind:     by_value
      - .offset:         80
        .size:           4
        .value_kind:     by_value
      - .offset:         88
        .size:           8
        .value_kind:     by_value
      - .offset:         96
        .size:           4
        .value_kind:     by_value
      - .offset:         104
        .size:           4
        .value_kind:     hidden_block_count_x
      - .offset:         108
        .size:           4
        .value_kind:     hidden_block_count_y
      - .offset:         112
        .size:           4
        .value_kind:     hidden_block_count_z
      - .offset:         116
        .size:           2
        .value_kind:     hidden_group_size_x
      - .offset:         118
        .size:           2
        .value_kind:     hidden_group_size_y
      - .offset:         120
        .size:           2
        .value_kind:     hidden_group_size_z
      - .offset:         122
        .size:           2
        .value_kind:     hidden_remainder_x
      - .offset:         124
        .size:           2
        .value_kind:     hidden_remainder_y
      - .offset:         126
        .size:           2
        .value_kind:     hidden_remainder_z
      - .offset:         144
        .size:           8
        .value_kind:     hidden_global_offset_x
      - .offset:         152
        .size:           8
        .value_kind:     hidden_global_offset_y
      - .offset:         160
        .size:           8
        .value_kind:     hidden_global_offset_z
      - .offset:         168
        .size:           2
        .value_kind:     hidden_grid_dims
    .group_segment_fixed_size: 1536
    .kernarg_segment_align: 8
    .kernarg_segment_size: 360
    .language:       OpenCL C
    .language_version:
      - 2
      - 0
    .max_flat_workgroup_size: 8
    .name:           _ZL38rocblas_trsm_small_left_device_sharedBILi8ELi8ELb0E19rocblas_complex_numIfES1_PKPKS1_PKPS1_Ev13rocblas_fill_18rocblas_operation_17rocblas_diagonal_iiT3_T4_lilT5_lili
    .private_segment_fixed_size: 0
    .sgpr_count:     39
    .sgpr_spill_count: 0
    .symbol:         _ZL38rocblas_trsm_small_left_device_sharedBILi8ELi8ELb0E19rocblas_complex_numIfES1_PKPKS1_PKPS1_Ev13rocblas_fill_18rocblas_operation_17rocblas_diagonal_iiT3_T4_lilT5_lili.kd
    .uniform_work_group_size: 1
    .uses_dynamic_stack: false
    .vgpr_count:     14
    .vgpr_spill_count: 0
    .wavefront_size: 32
    .workgroup_processor_mode: 1
  - .args:
      - .offset:         0
        .size:           4
        .value_kind:     by_value
      - .offset:         4
        .size:           4
        .value_kind:     by_value
      - .offset:         8
        .size:           4
        .value_kind:     by_value
      - .offset:         12
        .size:           4
        .value_kind:     by_value
      - .offset:         16
        .size:           4
        .value_kind:     by_value
      - .offset:         20
        .size:           8
        .value_kind:     by_value
      - .address_space:  global
        .offset:         32
        .size:           8
        .value_kind:     global_buffer
      - .offset:         40
        .size:           8
        .value_kind:     by_value
      - .offset:         48
        .size:           4
        .value_kind:     by_value
      - .offset:         56
        .size:           8
        .value_kind:     by_value
      - .address_space:  global
        .offset:         64
        .size:           8
        .value_kind:     global_buffer
      - .offset:         72
        .size:           8
        .value_kind:     by_value
      - .offset:         80
        .size:           4
        .value_kind:     by_value
      - .offset:         88
        .size:           8
        .value_kind:     by_value
      - .offset:         96
        .size:           4
        .value_kind:     by_value
      - .offset:         104
        .size:           4
        .value_kind:     hidden_block_count_x
      - .offset:         108
        .size:           4
        .value_kind:     hidden_block_count_y
      - .offset:         112
        .size:           4
        .value_kind:     hidden_block_count_z
      - .offset:         116
        .size:           2
        .value_kind:     hidden_group_size_x
      - .offset:         118
        .size:           2
        .value_kind:     hidden_group_size_y
      - .offset:         120
        .size:           2
        .value_kind:     hidden_group_size_z
      - .offset:         122
        .size:           2
        .value_kind:     hidden_remainder_x
      - .offset:         124
        .size:           2
        .value_kind:     hidden_remainder_y
      - .offset:         126
        .size:           2
        .value_kind:     hidden_remainder_z
      - .offset:         144
        .size:           8
        .value_kind:     hidden_global_offset_x
      - .offset:         152
        .size:           8
        .value_kind:     hidden_global_offset_y
      - .offset:         160
        .size:           8
        .value_kind:     hidden_global_offset_z
      - .offset:         168
        .size:           2
        .value_kind:     hidden_grid_dims
    .group_segment_fixed_size: 1024
    .kernarg_segment_align: 8
    .kernarg_segment_size: 360
    .language:       OpenCL C
    .language_version:
      - 2
      - 0
    .max_flat_workgroup_size: 8
    .name:           _ZL30rocblas_trsm_small_left_deviceILi8ELi8ELb0E19rocblas_complex_numIfES1_PKPKS1_PKPS1_Ev13rocblas_fill_18rocblas_operation_17rocblas_diagonal_iiT3_T4_lilT5_lili
    .private_segment_fixed_size: 0
    .sgpr_count:     38
    .sgpr_spill_count: 0
    .symbol:         _ZL30rocblas_trsm_small_left_deviceILi8ELi8ELb0E19rocblas_complex_numIfES1_PKPKS1_PKPS1_Ev13rocblas_fill_18rocblas_operation_17rocblas_diagonal_iiT3_T4_lilT5_lili.kd
    .uniform_work_group_size: 1
    .uses_dynamic_stack: false
    .vgpr_count:     18
    .vgpr_spill_count: 0
    .wavefront_size: 32
    .workgroup_processor_mode: 1
  - .args:
      - .offset:         0
        .size:           4
        .value_kind:     by_value
      - .offset:         4
        .size:           4
        .value_kind:     by_value
      - .offset:         8
        .size:           4
        .value_kind:     by_value
      - .offset:         12
        .size:           4
        .value_kind:     by_value
      - .offset:         16
        .size:           4
        .value_kind:     by_value
      - .offset:         20
        .size:           8
        .value_kind:     by_value
      - .address_space:  global
        .offset:         32
        .size:           8
        .value_kind:     global_buffer
      - .offset:         40
        .size:           8
        .value_kind:     by_value
      - .offset:         48
        .size:           4
        .value_kind:     by_value
      - .offset:         56
        .size:           8
        .value_kind:     by_value
      - .address_space:  global
        .offset:         64
        .size:           8
        .value_kind:     global_buffer
      - .offset:         72
        .size:           8
        .value_kind:     by_value
      - .offset:         80
        .size:           4
        .value_kind:     by_value
      - .offset:         88
        .size:           8
        .value_kind:     by_value
      - .offset:         96
        .size:           4
        .value_kind:     by_value
      - .offset:         104
        .size:           4
        .value_kind:     hidden_block_count_x
      - .offset:         108
        .size:           4
        .value_kind:     hidden_block_count_y
      - .offset:         112
        .size:           4
        .value_kind:     hidden_block_count_z
      - .offset:         116
        .size:           2
        .value_kind:     hidden_group_size_x
      - .offset:         118
        .size:           2
        .value_kind:     hidden_group_size_y
      - .offset:         120
        .size:           2
        .value_kind:     hidden_group_size_z
      - .offset:         122
        .size:           2
        .value_kind:     hidden_remainder_x
      - .offset:         124
        .size:           2
        .value_kind:     hidden_remainder_y
      - .offset:         126
        .size:           2
        .value_kind:     hidden_remainder_z
      - .offset:         144
        .size:           8
        .value_kind:     hidden_global_offset_x
      - .offset:         152
        .size:           8
        .value_kind:     hidden_global_offset_y
      - .offset:         160
        .size:           8
        .value_kind:     hidden_global_offset_z
      - .offset:         168
        .size:           2
        .value_kind:     hidden_grid_dims
    .group_segment_fixed_size: 1536
    .kernarg_segment_align: 8
    .kernarg_segment_size: 360
    .language:       OpenCL C
    .language_version:
      - 2
      - 0
    .max_flat_workgroup_size: 8
    .name:           _ZL38rocblas_trsm_small_left_device_sharedBILi8ELi8ELb1E19rocblas_complex_numIfES1_PKPKS1_PKPS1_Ev13rocblas_fill_18rocblas_operation_17rocblas_diagonal_iiT3_T4_lilT5_lili
    .private_segment_fixed_size: 0
    .sgpr_count:     39
    .sgpr_spill_count: 0
    .symbol:         _ZL38rocblas_trsm_small_left_device_sharedBILi8ELi8ELb1E19rocblas_complex_numIfES1_PKPKS1_PKPS1_Ev13rocblas_fill_18rocblas_operation_17rocblas_diagonal_iiT3_T4_lilT5_lili.kd
    .uniform_work_group_size: 1
    .uses_dynamic_stack: false
    .vgpr_count:     14
    .vgpr_spill_count: 0
    .wavefront_size: 32
    .workgroup_processor_mode: 1
  - .args:
      - .offset:         0
        .size:           4
        .value_kind:     by_value
      - .offset:         4
        .size:           4
        .value_kind:     by_value
      - .offset:         8
        .size:           4
        .value_kind:     by_value
      - .offset:         12
        .size:           4
        .value_kind:     by_value
      - .offset:         16
        .size:           4
        .value_kind:     by_value
      - .offset:         20
        .size:           8
        .value_kind:     by_value
      - .address_space:  global
        .offset:         32
        .size:           8
        .value_kind:     global_buffer
      - .offset:         40
        .size:           8
        .value_kind:     by_value
      - .offset:         48
        .size:           4
        .value_kind:     by_value
      - .offset:         56
        .size:           8
        .value_kind:     by_value
      - .address_space:  global
        .offset:         64
        .size:           8
        .value_kind:     global_buffer
      - .offset:         72
        .size:           8
        .value_kind:     by_value
      - .offset:         80
        .size:           4
        .value_kind:     by_value
      - .offset:         88
        .size:           8
        .value_kind:     by_value
      - .offset:         96
        .size:           4
        .value_kind:     by_value
      - .offset:         104
        .size:           4
        .value_kind:     hidden_block_count_x
      - .offset:         108
        .size:           4
        .value_kind:     hidden_block_count_y
      - .offset:         112
        .size:           4
        .value_kind:     hidden_block_count_z
      - .offset:         116
        .size:           2
        .value_kind:     hidden_group_size_x
      - .offset:         118
        .size:           2
        .value_kind:     hidden_group_size_y
      - .offset:         120
        .size:           2
        .value_kind:     hidden_group_size_z
      - .offset:         122
        .size:           2
        .value_kind:     hidden_remainder_x
      - .offset:         124
        .size:           2
        .value_kind:     hidden_remainder_y
      - .offset:         126
        .size:           2
        .value_kind:     hidden_remainder_z
      - .offset:         144
        .size:           8
        .value_kind:     hidden_global_offset_x
      - .offset:         152
        .size:           8
        .value_kind:     hidden_global_offset_y
      - .offset:         160
        .size:           8
        .value_kind:     hidden_global_offset_z
      - .offset:         168
        .size:           2
        .value_kind:     hidden_grid_dims
    .group_segment_fixed_size: 1024
    .kernarg_segment_align: 8
    .kernarg_segment_size: 360
    .language:       OpenCL C
    .language_version:
      - 2
      - 0
    .max_flat_workgroup_size: 8
    .name:           _ZL30rocblas_trsm_small_left_deviceILi8ELi8ELb1E19rocblas_complex_numIfES1_PKPKS1_PKPS1_Ev13rocblas_fill_18rocblas_operation_17rocblas_diagonal_iiT3_T4_lilT5_lili
    .private_segment_fixed_size: 0
    .sgpr_count:     38
    .sgpr_spill_count: 0
    .symbol:         _ZL30rocblas_trsm_small_left_deviceILi8ELi8ELb1E19rocblas_complex_numIfES1_PKPKS1_PKPS1_Ev13rocblas_fill_18rocblas_operation_17rocblas_diagonal_iiT3_T4_lilT5_lili.kd
    .uniform_work_group_size: 1
    .uses_dynamic_stack: false
    .vgpr_count:     16
    .vgpr_spill_count: 0
    .wavefront_size: 32
    .workgroup_processor_mode: 1
  - .args:
      - .offset:         0
        .size:           4
        .value_kind:     by_value
      - .offset:         4
        .size:           4
        .value_kind:     by_value
      - .offset:         8
        .size:           4
        .value_kind:     by_value
      - .offset:         12
        .size:           4
        .value_kind:     by_value
      - .offset:         16
        .size:           4
        .value_kind:     by_value
      - .offset:         20
        .size:           8
        .value_kind:     by_value
      - .address_space:  global
        .offset:         32
        .size:           8
        .value_kind:     global_buffer
      - .offset:         40
        .size:           8
        .value_kind:     by_value
      - .offset:         48
        .size:           4
        .value_kind:     by_value
      - .offset:         56
        .size:           8
        .value_kind:     by_value
      - .address_space:  global
        .offset:         64
        .size:           8
        .value_kind:     global_buffer
      - .offset:         72
        .size:           8
        .value_kind:     by_value
      - .offset:         80
        .size:           4
        .value_kind:     by_value
      - .offset:         88
        .size:           8
        .value_kind:     by_value
      - .offset:         96
        .size:           4
        .value_kind:     by_value
      - .offset:         104
        .size:           4
        .value_kind:     hidden_block_count_x
      - .offset:         108
        .size:           4
        .value_kind:     hidden_block_count_y
      - .offset:         112
        .size:           4
        .value_kind:     hidden_block_count_z
      - .offset:         116
        .size:           2
        .value_kind:     hidden_group_size_x
      - .offset:         118
        .size:           2
        .value_kind:     hidden_group_size_y
      - .offset:         120
        .size:           2
        .value_kind:     hidden_group_size_z
      - .offset:         122
        .size:           2
        .value_kind:     hidden_remainder_x
      - .offset:         124
        .size:           2
        .value_kind:     hidden_remainder_y
      - .offset:         126
        .size:           2
        .value_kind:     hidden_remainder_z
      - .offset:         144
        .size:           8
        .value_kind:     hidden_global_offset_x
      - .offset:         152
        .size:           8
        .value_kind:     hidden_global_offset_y
      - .offset:         160
        .size:           8
        .value_kind:     hidden_global_offset_z
      - .offset:         168
        .size:           2
        .value_kind:     hidden_grid_dims
    .group_segment_fixed_size: 1024
    .kernarg_segment_align: 8
    .kernarg_segment_size: 360
    .language:       OpenCL C
    .language_version:
      - 2
      - 0
    .max_flat_workgroup_size: 8
    .name:           _ZL31rocblas_trsm_small_right_deviceI19rocblas_complex_numIfES1_PKPKS1_PKPS1_Li8EEv13rocblas_fill_18rocblas_operation_17rocblas_diagonal_iiT0_T1_lilT2_lili
    .private_segment_fixed_size: 0
    .sgpr_count:     38
    .sgpr_spill_count: 0
    .symbol:         _ZL31rocblas_trsm_small_right_deviceI19rocblas_complex_numIfES1_PKPKS1_PKPS1_Li8EEv13rocblas_fill_18rocblas_operation_17rocblas_diagonal_iiT0_T1_lilT2_lili.kd
    .uniform_work_group_size: 1
    .uses_dynamic_stack: false
    .vgpr_count:     46
    .vgpr_spill_count: 0
    .wavefront_size: 32
    .workgroup_processor_mode: 1
  - .args:
      - .offset:         0
        .size:           4
        .value_kind:     by_value
      - .offset:         4
        .size:           4
        .value_kind:     by_value
      - .offset:         8
        .size:           4
        .value_kind:     by_value
      - .offset:         12
        .size:           4
        .value_kind:     by_value
      - .offset:         16
        .size:           4
        .value_kind:     by_value
      - .offset:         20
        .size:           8
        .value_kind:     by_value
      - .address_space:  global
        .offset:         32
        .size:           8
        .value_kind:     global_buffer
      - .offset:         40
        .size:           8
        .value_kind:     by_value
      - .offset:         48
        .size:           4
        .value_kind:     by_value
      - .offset:         56
        .size:           8
        .value_kind:     by_value
      - .address_space:  global
        .offset:         64
        .size:           8
        .value_kind:     global_buffer
      - .offset:         72
        .size:           8
        .value_kind:     by_value
      - .offset:         80
        .size:           4
        .value_kind:     by_value
      - .offset:         88
        .size:           8
        .value_kind:     by_value
      - .offset:         96
        .size:           4
        .value_kind:     by_value
      - .offset:         104
        .size:           4
        .value_kind:     hidden_block_count_x
      - .offset:         108
        .size:           4
        .value_kind:     hidden_block_count_y
      - .offset:         112
        .size:           4
        .value_kind:     hidden_block_count_z
      - .offset:         116
        .size:           2
        .value_kind:     hidden_group_size_x
      - .offset:         118
        .size:           2
        .value_kind:     hidden_group_size_y
      - .offset:         120
        .size:           2
        .value_kind:     hidden_group_size_z
      - .offset:         122
        .size:           2
        .value_kind:     hidden_remainder_x
      - .offset:         124
        .size:           2
        .value_kind:     hidden_remainder_y
      - .offset:         126
        .size:           2
        .value_kind:     hidden_remainder_z
      - .offset:         144
        .size:           8
        .value_kind:     hidden_global_offset_x
      - .offset:         152
        .size:           8
        .value_kind:     hidden_global_offset_y
      - .offset:         160
        .size:           8
        .value_kind:     hidden_global_offset_z
      - .offset:         168
        .size:           2
        .value_kind:     hidden_grid_dims
    .group_segment_fixed_size: 2304
    .kernarg_segment_align: 8
    .kernarg_segment_size: 360
    .language:       OpenCL C
    .language_version:
      - 2
      - 0
    .max_flat_workgroup_size: 12
    .name:           _ZL38rocblas_trsm_small_left_device_sharedBILi12ELi12ELb0E19rocblas_complex_numIfES1_PKPKS1_PKPS1_Ev13rocblas_fill_18rocblas_operation_17rocblas_diagonal_iiT3_T4_lilT5_lili
    .private_segment_fixed_size: 112
    .sgpr_count:     37
    .sgpr_spill_count: 0
    .symbol:         _ZL38rocblas_trsm_small_left_device_sharedBILi12ELi12ELb0E19rocblas_complex_numIfES1_PKPKS1_PKPS1_Ev13rocblas_fill_18rocblas_operation_17rocblas_diagonal_iiT3_T4_lilT5_lili.kd
    .uniform_work_group_size: 1
    .uses_dynamic_stack: false
    .vgpr_count:     29
    .vgpr_spill_count: 0
    .wavefront_size: 32
    .workgroup_processor_mode: 1
  - .args:
      - .offset:         0
        .size:           4
        .value_kind:     by_value
      - .offset:         4
        .size:           4
        .value_kind:     by_value
      - .offset:         8
        .size:           4
        .value_kind:     by_value
      - .offset:         12
        .size:           4
        .value_kind:     by_value
      - .offset:         16
        .size:           4
        .value_kind:     by_value
      - .offset:         20
        .size:           8
        .value_kind:     by_value
      - .address_space:  global
        .offset:         32
        .size:           8
        .value_kind:     global_buffer
      - .offset:         40
        .size:           8
        .value_kind:     by_value
      - .offset:         48
        .size:           4
        .value_kind:     by_value
      - .offset:         56
        .size:           8
        .value_kind:     by_value
      - .address_space:  global
        .offset:         64
        .size:           8
        .value_kind:     global_buffer
      - .offset:         72
        .size:           8
        .value_kind:     by_value
      - .offset:         80
        .size:           4
        .value_kind:     by_value
      - .offset:         88
        .size:           8
        .value_kind:     by_value
      - .offset:         96
        .size:           4
        .value_kind:     by_value
      - .offset:         104
        .size:           4
        .value_kind:     hidden_block_count_x
      - .offset:         108
        .size:           4
        .value_kind:     hidden_block_count_y
      - .offset:         112
        .size:           4
        .value_kind:     hidden_block_count_z
      - .offset:         116
        .size:           2
        .value_kind:     hidden_group_size_x
      - .offset:         118
        .size:           2
        .value_kind:     hidden_group_size_y
      - .offset:         120
        .size:           2
        .value_kind:     hidden_group_size_z
      - .offset:         122
        .size:           2
        .value_kind:     hidden_remainder_x
      - .offset:         124
        .size:           2
        .value_kind:     hidden_remainder_y
      - .offset:         126
        .size:           2
        .value_kind:     hidden_remainder_z
      - .offset:         144
        .size:           8
        .value_kind:     hidden_global_offset_x
      - .offset:         152
        .size:           8
        .value_kind:     hidden_global_offset_y
      - .offset:         160
        .size:           8
        .value_kind:     hidden_global_offset_z
      - .offset:         168
        .size:           2
        .value_kind:     hidden_grid_dims
    .group_segment_fixed_size: 1152
    .kernarg_segment_align: 8
    .kernarg_segment_size: 360
    .language:       OpenCL C
    .language_version:
      - 2
      - 0
    .max_flat_workgroup_size: 12
    .name:           _ZL30rocblas_trsm_small_left_deviceILi12ELi12ELb0E19rocblas_complex_numIfES1_PKPKS1_PKPS1_Ev13rocblas_fill_18rocblas_operation_17rocblas_diagonal_iiT3_T4_lilT5_lili
    .private_segment_fixed_size: 112
    .sgpr_count:     36
    .sgpr_spill_count: 0
    .symbol:         _ZL30rocblas_trsm_small_left_deviceILi12ELi12ELb0E19rocblas_complex_numIfES1_PKPKS1_PKPS1_Ev13rocblas_fill_18rocblas_operation_17rocblas_diagonal_iiT3_T4_lilT5_lili.kd
    .uniform_work_group_size: 1
    .uses_dynamic_stack: false
    .vgpr_count:     18
    .vgpr_spill_count: 0
    .wavefront_size: 32
    .workgroup_processor_mode: 1
  - .args:
      - .offset:         0
        .size:           4
        .value_kind:     by_value
      - .offset:         4
        .size:           4
        .value_kind:     by_value
      - .offset:         8
        .size:           4
        .value_kind:     by_value
      - .offset:         12
        .size:           4
        .value_kind:     by_value
      - .offset:         16
        .size:           4
        .value_kind:     by_value
      - .offset:         20
        .size:           8
        .value_kind:     by_value
      - .address_space:  global
        .offset:         32
        .size:           8
        .value_kind:     global_buffer
      - .offset:         40
        .size:           8
        .value_kind:     by_value
      - .offset:         48
        .size:           4
        .value_kind:     by_value
      - .offset:         56
        .size:           8
        .value_kind:     by_value
      - .address_space:  global
        .offset:         64
        .size:           8
        .value_kind:     global_buffer
      - .offset:         72
        .size:           8
        .value_kind:     by_value
      - .offset:         80
        .size:           4
        .value_kind:     by_value
      - .offset:         88
        .size:           8
        .value_kind:     by_value
      - .offset:         96
        .size:           4
        .value_kind:     by_value
      - .offset:         104
        .size:           4
        .value_kind:     hidden_block_count_x
      - .offset:         108
        .size:           4
        .value_kind:     hidden_block_count_y
      - .offset:         112
        .size:           4
        .value_kind:     hidden_block_count_z
      - .offset:         116
        .size:           2
        .value_kind:     hidden_group_size_x
      - .offset:         118
        .size:           2
        .value_kind:     hidden_group_size_y
      - .offset:         120
        .size:           2
        .value_kind:     hidden_group_size_z
      - .offset:         122
        .size:           2
        .value_kind:     hidden_remainder_x
      - .offset:         124
        .size:           2
        .value_kind:     hidden_remainder_y
      - .offset:         126
        .size:           2
        .value_kind:     hidden_remainder_z
      - .offset:         144
        .size:           8
        .value_kind:     hidden_global_offset_x
      - .offset:         152
        .size:           8
        .value_kind:     hidden_global_offset_y
      - .offset:         160
        .size:           8
        .value_kind:     hidden_global_offset_z
      - .offset:         168
        .size:           2
        .value_kind:     hidden_grid_dims
    .group_segment_fixed_size: 2304
    .kernarg_segment_align: 8
    .kernarg_segment_size: 360
    .language:       OpenCL C
    .language_version:
      - 2
      - 0
    .max_flat_workgroup_size: 12
    .name:           _ZL38rocblas_trsm_small_left_device_sharedBILi12ELi12ELb1E19rocblas_complex_numIfES1_PKPKS1_PKPS1_Ev13rocblas_fill_18rocblas_operation_17rocblas_diagonal_iiT3_T4_lilT5_lili
    .private_segment_fixed_size: 112
    .sgpr_count:     37
    .sgpr_spill_count: 0
    .symbol:         _ZL38rocblas_trsm_small_left_device_sharedBILi12ELi12ELb1E19rocblas_complex_numIfES1_PKPKS1_PKPS1_Ev13rocblas_fill_18rocblas_operation_17rocblas_diagonal_iiT3_T4_lilT5_lili.kd
    .uniform_work_group_size: 1
    .uses_dynamic_stack: false
    .vgpr_count:     29
    .vgpr_spill_count: 0
    .wavefront_size: 32
    .workgroup_processor_mode: 1
  - .args:
      - .offset:         0
        .size:           4
        .value_kind:     by_value
      - .offset:         4
        .size:           4
        .value_kind:     by_value
      - .offset:         8
        .size:           4
        .value_kind:     by_value
      - .offset:         12
        .size:           4
        .value_kind:     by_value
      - .offset:         16
        .size:           4
        .value_kind:     by_value
      - .offset:         20
        .size:           8
        .value_kind:     by_value
      - .address_space:  global
        .offset:         32
        .size:           8
        .value_kind:     global_buffer
      - .offset:         40
        .size:           8
        .value_kind:     by_value
      - .offset:         48
        .size:           4
        .value_kind:     by_value
      - .offset:         56
        .size:           8
        .value_kind:     by_value
      - .address_space:  global
        .offset:         64
        .size:           8
        .value_kind:     global_buffer
      - .offset:         72
        .size:           8
        .value_kind:     by_value
      - .offset:         80
        .size:           4
        .value_kind:     by_value
      - .offset:         88
        .size:           8
        .value_kind:     by_value
      - .offset:         96
        .size:           4
        .value_kind:     by_value
      - .offset:         104
        .size:           4
        .value_kind:     hidden_block_count_x
      - .offset:         108
        .size:           4
        .value_kind:     hidden_block_count_y
      - .offset:         112
        .size:           4
        .value_kind:     hidden_block_count_z
      - .offset:         116
        .size:           2
        .value_kind:     hidden_group_size_x
      - .offset:         118
        .size:           2
        .value_kind:     hidden_group_size_y
      - .offset:         120
        .size:           2
        .value_kind:     hidden_group_size_z
      - .offset:         122
        .size:           2
        .value_kind:     hidden_remainder_x
      - .offset:         124
        .size:           2
        .value_kind:     hidden_remainder_y
      - .offset:         126
        .size:           2
        .value_kind:     hidden_remainder_z
      - .offset:         144
        .size:           8
        .value_kind:     hidden_global_offset_x
      - .offset:         152
        .size:           8
        .value_kind:     hidden_global_offset_y
      - .offset:         160
        .size:           8
        .value_kind:     hidden_global_offset_z
      - .offset:         168
        .size:           2
        .value_kind:     hidden_grid_dims
    .group_segment_fixed_size: 1152
    .kernarg_segment_align: 8
    .kernarg_segment_size: 360
    .language:       OpenCL C
    .language_version:
      - 2
      - 0
    .max_flat_workgroup_size: 12
    .name:           _ZL30rocblas_trsm_small_left_deviceILi12ELi12ELb1E19rocblas_complex_numIfES1_PKPKS1_PKPS1_Ev13rocblas_fill_18rocblas_operation_17rocblas_diagonal_iiT3_T4_lilT5_lili
    .private_segment_fixed_size: 112
    .sgpr_count:     36
    .sgpr_spill_count: 0
    .symbol:         _ZL30rocblas_trsm_small_left_deviceILi12ELi12ELb1E19rocblas_complex_numIfES1_PKPKS1_PKPS1_Ev13rocblas_fill_18rocblas_operation_17rocblas_diagonal_iiT3_T4_lilT5_lili.kd
    .uniform_work_group_size: 1
    .uses_dynamic_stack: false
    .vgpr_count:     16
    .vgpr_spill_count: 0
    .wavefront_size: 32
    .workgroup_processor_mode: 1
  - .args:
      - .offset:         0
        .size:           4
        .value_kind:     by_value
      - .offset:         4
        .size:           4
        .value_kind:     by_value
      - .offset:         8
        .size:           4
        .value_kind:     by_value
      - .offset:         12
        .size:           4
        .value_kind:     by_value
      - .offset:         16
        .size:           4
        .value_kind:     by_value
      - .offset:         20
        .size:           8
        .value_kind:     by_value
      - .address_space:  global
        .offset:         32
        .size:           8
        .value_kind:     global_buffer
      - .offset:         40
        .size:           8
        .value_kind:     by_value
      - .offset:         48
        .size:           4
        .value_kind:     by_value
      - .offset:         56
        .size:           8
        .value_kind:     by_value
      - .address_space:  global
        .offset:         64
        .size:           8
        .value_kind:     global_buffer
      - .offset:         72
        .size:           8
        .value_kind:     by_value
      - .offset:         80
        .size:           4
        .value_kind:     by_value
      - .offset:         88
        .size:           8
        .value_kind:     by_value
      - .offset:         96
        .size:           4
        .value_kind:     by_value
      - .offset:         104
        .size:           4
        .value_kind:     hidden_block_count_x
      - .offset:         108
        .size:           4
        .value_kind:     hidden_block_count_y
      - .offset:         112
        .size:           4
        .value_kind:     hidden_block_count_z
      - .offset:         116
        .size:           2
        .value_kind:     hidden_group_size_x
      - .offset:         118
        .size:           2
        .value_kind:     hidden_group_size_y
      - .offset:         120
        .size:           2
        .value_kind:     hidden_group_size_z
      - .offset:         122
        .size:           2
        .value_kind:     hidden_remainder_x
      - .offset:         124
        .size:           2
        .value_kind:     hidden_remainder_y
      - .offset:         126
        .size:           2
        .value_kind:     hidden_remainder_z
      - .offset:         144
        .size:           8
        .value_kind:     hidden_global_offset_x
      - .offset:         152
        .size:           8
        .value_kind:     hidden_global_offset_y
      - .offset:         160
        .size:           8
        .value_kind:     hidden_global_offset_z
      - .offset:         168
        .size:           2
        .value_kind:     hidden_grid_dims
    .group_segment_fixed_size: 2304
    .kernarg_segment_align: 8
    .kernarg_segment_size: 360
    .language:       OpenCL C
    .language_version:
      - 2
      - 0
    .max_flat_workgroup_size: 12
    .name:           _ZL31rocblas_trsm_small_right_deviceI19rocblas_complex_numIfES1_PKPKS1_PKPS1_Li12EEv13rocblas_fill_18rocblas_operation_17rocblas_diagonal_iiT0_T1_lilT2_lili
    .private_segment_fixed_size: 0
    .sgpr_count:     38
    .sgpr_spill_count: 0
    .symbol:         _ZL31rocblas_trsm_small_right_deviceI19rocblas_complex_numIfES1_PKPKS1_PKPS1_Li12EEv13rocblas_fill_18rocblas_operation_17rocblas_diagonal_iiT0_T1_lilT2_lili.kd
    .uniform_work_group_size: 1
    .uses_dynamic_stack: false
    .vgpr_count:     45
    .vgpr_spill_count: 0
    .wavefront_size: 32
    .workgroup_processor_mode: 1
  - .args:
      - .offset:         0
        .size:           4
        .value_kind:     by_value
      - .offset:         4
        .size:           4
        .value_kind:     by_value
      - .offset:         8
        .size:           4
        .value_kind:     by_value
      - .offset:         12
        .size:           4
        .value_kind:     by_value
      - .offset:         16
        .size:           4
        .value_kind:     by_value
      - .offset:         20
        .size:           8
        .value_kind:     by_value
      - .address_space:  global
        .offset:         32
        .size:           8
        .value_kind:     global_buffer
      - .offset:         40
        .size:           8
        .value_kind:     by_value
      - .offset:         48
        .size:           4
        .value_kind:     by_value
      - .offset:         56
        .size:           8
        .value_kind:     by_value
      - .address_space:  global
        .offset:         64
        .size:           8
        .value_kind:     global_buffer
      - .offset:         72
        .size:           8
        .value_kind:     by_value
      - .offset:         80
        .size:           4
        .value_kind:     by_value
      - .offset:         88
        .size:           8
        .value_kind:     by_value
      - .offset:         96
        .size:           4
        .value_kind:     by_value
      - .offset:         104
        .size:           4
        .value_kind:     hidden_block_count_x
      - .offset:         108
        .size:           4
        .value_kind:     hidden_block_count_y
      - .offset:         112
        .size:           4
        .value_kind:     hidden_block_count_z
      - .offset:         116
        .size:           2
        .value_kind:     hidden_group_size_x
      - .offset:         118
        .size:           2
        .value_kind:     hidden_group_size_y
      - .offset:         120
        .size:           2
        .value_kind:     hidden_group_size_z
      - .offset:         122
        .size:           2
        .value_kind:     hidden_remainder_x
      - .offset:         124
        .size:           2
        .value_kind:     hidden_remainder_y
      - .offset:         126
        .size:           2
        .value_kind:     hidden_remainder_z
      - .offset:         144
        .size:           8
        .value_kind:     hidden_global_offset_x
      - .offset:         152
        .size:           8
        .value_kind:     hidden_global_offset_y
      - .offset:         160
        .size:           8
        .value_kind:     hidden_global_offset_z
      - .offset:         168
        .size:           2
        .value_kind:     hidden_grid_dims
    .group_segment_fixed_size: 4096
    .kernarg_segment_align: 8
    .kernarg_segment_size: 360
    .language:       OpenCL C
    .language_version:
      - 2
      - 0
    .max_flat_workgroup_size: 16
    .name:           _ZL38rocblas_trsm_small_left_device_sharedBILi16ELi16ELb0E19rocblas_complex_numIfES1_PKPKS1_PKPS1_Ev13rocblas_fill_18rocblas_operation_17rocblas_diagonal_iiT3_T4_lilT5_lili
    .private_segment_fixed_size: 144
    .sgpr_count:     37
    .sgpr_spill_count: 0
    .symbol:         _ZL38rocblas_trsm_small_left_device_sharedBILi16ELi16ELb0E19rocblas_complex_numIfES1_PKPKS1_PKPS1_Ev13rocblas_fill_18rocblas_operation_17rocblas_diagonal_iiT3_T4_lilT5_lili.kd
    .uniform_work_group_size: 1
    .uses_dynamic_stack: false
    .vgpr_count:     29
    .vgpr_spill_count: 0
    .wavefront_size: 32
    .workgroup_processor_mode: 1
  - .args:
      - .offset:         0
        .size:           4
        .value_kind:     by_value
      - .offset:         4
        .size:           4
        .value_kind:     by_value
      - .offset:         8
        .size:           4
        .value_kind:     by_value
      - .offset:         12
        .size:           4
        .value_kind:     by_value
      - .offset:         16
        .size:           4
        .value_kind:     by_value
      - .offset:         20
        .size:           8
        .value_kind:     by_value
      - .address_space:  global
        .offset:         32
        .size:           8
        .value_kind:     global_buffer
      - .offset:         40
        .size:           8
        .value_kind:     by_value
      - .offset:         48
        .size:           4
        .value_kind:     by_value
      - .offset:         56
        .size:           8
        .value_kind:     by_value
      - .address_space:  global
        .offset:         64
        .size:           8
        .value_kind:     global_buffer
      - .offset:         72
        .size:           8
        .value_kind:     by_value
      - .offset:         80
        .size:           4
        .value_kind:     by_value
      - .offset:         88
        .size:           8
        .value_kind:     by_value
      - .offset:         96
        .size:           4
        .value_kind:     by_value
      - .offset:         104
        .size:           4
        .value_kind:     hidden_block_count_x
      - .offset:         108
        .size:           4
        .value_kind:     hidden_block_count_y
      - .offset:         112
        .size:           4
        .value_kind:     hidden_block_count_z
      - .offset:         116
        .size:           2
        .value_kind:     hidden_group_size_x
      - .offset:         118
        .size:           2
        .value_kind:     hidden_group_size_y
      - .offset:         120
        .size:           2
        .value_kind:     hidden_group_size_z
      - .offset:         122
        .size:           2
        .value_kind:     hidden_remainder_x
      - .offset:         124
        .size:           2
        .value_kind:     hidden_remainder_y
      - .offset:         126
        .size:           2
        .value_kind:     hidden_remainder_z
      - .offset:         144
        .size:           8
        .value_kind:     hidden_global_offset_x
      - .offset:         152
        .size:           8
        .value_kind:     hidden_global_offset_y
      - .offset:         160
        .size:           8
        .value_kind:     hidden_global_offset_z
      - .offset:         168
        .size:           2
        .value_kind:     hidden_grid_dims
    .group_segment_fixed_size: 2048
    .kernarg_segment_align: 8
    .kernarg_segment_size: 360
    .language:       OpenCL C
    .language_version:
      - 2
      - 0
    .max_flat_workgroup_size: 16
    .name:           _ZL30rocblas_trsm_small_left_deviceILi16ELi16ELb0E19rocblas_complex_numIfES1_PKPKS1_PKPS1_Ev13rocblas_fill_18rocblas_operation_17rocblas_diagonal_iiT3_T4_lilT5_lili
    .private_segment_fixed_size: 144
    .sgpr_count:     36
    .sgpr_spill_count: 0
    .symbol:         _ZL30rocblas_trsm_small_left_deviceILi16ELi16ELb0E19rocblas_complex_numIfES1_PKPKS1_PKPS1_Ev13rocblas_fill_18rocblas_operation_17rocblas_diagonal_iiT3_T4_lilT5_lili.kd
    .uniform_work_group_size: 1
    .uses_dynamic_stack: false
    .vgpr_count:     18
    .vgpr_spill_count: 0
    .wavefront_size: 32
    .workgroup_processor_mode: 1
  - .args:
      - .offset:         0
        .size:           4
        .value_kind:     by_value
      - .offset:         4
        .size:           4
        .value_kind:     by_value
      - .offset:         8
        .size:           4
        .value_kind:     by_value
      - .offset:         12
        .size:           4
        .value_kind:     by_value
      - .offset:         16
        .size:           4
        .value_kind:     by_value
      - .offset:         20
        .size:           8
        .value_kind:     by_value
      - .address_space:  global
        .offset:         32
        .size:           8
        .value_kind:     global_buffer
      - .offset:         40
        .size:           8
        .value_kind:     by_value
      - .offset:         48
        .size:           4
        .value_kind:     by_value
      - .offset:         56
        .size:           8
        .value_kind:     by_value
      - .address_space:  global
        .offset:         64
        .size:           8
        .value_kind:     global_buffer
      - .offset:         72
        .size:           8
        .value_kind:     by_value
      - .offset:         80
        .size:           4
        .value_kind:     by_value
      - .offset:         88
        .size:           8
        .value_kind:     by_value
      - .offset:         96
        .size:           4
        .value_kind:     by_value
      - .offset:         104
        .size:           4
        .value_kind:     hidden_block_count_x
      - .offset:         108
        .size:           4
        .value_kind:     hidden_block_count_y
      - .offset:         112
        .size:           4
        .value_kind:     hidden_block_count_z
      - .offset:         116
        .size:           2
        .value_kind:     hidden_group_size_x
      - .offset:         118
        .size:           2
        .value_kind:     hidden_group_size_y
      - .offset:         120
        .size:           2
        .value_kind:     hidden_group_size_z
      - .offset:         122
        .size:           2
        .value_kind:     hidden_remainder_x
      - .offset:         124
        .size:           2
        .value_kind:     hidden_remainder_y
      - .offset:         126
        .size:           2
        .value_kind:     hidden_remainder_z
      - .offset:         144
        .size:           8
        .value_kind:     hidden_global_offset_x
      - .offset:         152
        .size:           8
        .value_kind:     hidden_global_offset_y
      - .offset:         160
        .size:           8
        .value_kind:     hidden_global_offset_z
      - .offset:         168
        .size:           2
        .value_kind:     hidden_grid_dims
    .group_segment_fixed_size: 4096
    .kernarg_segment_align: 8
    .kernarg_segment_size: 360
    .language:       OpenCL C
    .language_version:
      - 2
      - 0
    .max_flat_workgroup_size: 16
    .name:           _ZL38rocblas_trsm_small_left_device_sharedBILi16ELi16ELb1E19rocblas_complex_numIfES1_PKPKS1_PKPS1_Ev13rocblas_fill_18rocblas_operation_17rocblas_diagonal_iiT3_T4_lilT5_lili
    .private_segment_fixed_size: 144
    .sgpr_count:     37
    .sgpr_spill_count: 0
    .symbol:         _ZL38rocblas_trsm_small_left_device_sharedBILi16ELi16ELb1E19rocblas_complex_numIfES1_PKPKS1_PKPS1_Ev13rocblas_fill_18rocblas_operation_17rocblas_diagonal_iiT3_T4_lilT5_lili.kd
    .uniform_work_group_size: 1
    .uses_dynamic_stack: false
    .vgpr_count:     29
    .vgpr_spill_count: 0
    .wavefront_size: 32
    .workgroup_processor_mode: 1
  - .args:
      - .offset:         0
        .size:           4
        .value_kind:     by_value
      - .offset:         4
        .size:           4
        .value_kind:     by_value
      - .offset:         8
        .size:           4
        .value_kind:     by_value
      - .offset:         12
        .size:           4
        .value_kind:     by_value
      - .offset:         16
        .size:           4
        .value_kind:     by_value
      - .offset:         20
        .size:           8
        .value_kind:     by_value
      - .address_space:  global
        .offset:         32
        .size:           8
        .value_kind:     global_buffer
      - .offset:         40
        .size:           8
        .value_kind:     by_value
      - .offset:         48
        .size:           4
        .value_kind:     by_value
      - .offset:         56
        .size:           8
        .value_kind:     by_value
      - .address_space:  global
        .offset:         64
        .size:           8
        .value_kind:     global_buffer
      - .offset:         72
        .size:           8
        .value_kind:     by_value
      - .offset:         80
        .size:           4
        .value_kind:     by_value
      - .offset:         88
        .size:           8
        .value_kind:     by_value
      - .offset:         96
        .size:           4
        .value_kind:     by_value
      - .offset:         104
        .size:           4
        .value_kind:     hidden_block_count_x
      - .offset:         108
        .size:           4
        .value_kind:     hidden_block_count_y
      - .offset:         112
        .size:           4
        .value_kind:     hidden_block_count_z
      - .offset:         116
        .size:           2
        .value_kind:     hidden_group_size_x
      - .offset:         118
        .size:           2
        .value_kind:     hidden_group_size_y
      - .offset:         120
        .size:           2
        .value_kind:     hidden_group_size_z
      - .offset:         122
        .size:           2
        .value_kind:     hidden_remainder_x
      - .offset:         124
        .size:           2
        .value_kind:     hidden_remainder_y
      - .offset:         126
        .size:           2
        .value_kind:     hidden_remainder_z
      - .offset:         144
        .size:           8
        .value_kind:     hidden_global_offset_x
      - .offset:         152
        .size:           8
        .value_kind:     hidden_global_offset_y
      - .offset:         160
        .size:           8
        .value_kind:     hidden_global_offset_z
      - .offset:         168
        .size:           2
        .value_kind:     hidden_grid_dims
    .group_segment_fixed_size: 2048
    .kernarg_segment_align: 8
    .kernarg_segment_size: 360
    .language:       OpenCL C
    .language_version:
      - 2
      - 0
    .max_flat_workgroup_size: 16
    .name:           _ZL30rocblas_trsm_small_left_deviceILi16ELi16ELb1E19rocblas_complex_numIfES1_PKPKS1_PKPS1_Ev13rocblas_fill_18rocblas_operation_17rocblas_diagonal_iiT3_T4_lilT5_lili
    .private_segment_fixed_size: 144
    .sgpr_count:     36
    .sgpr_spill_count: 0
    .symbol:         _ZL30rocblas_trsm_small_left_deviceILi16ELi16ELb1E19rocblas_complex_numIfES1_PKPKS1_PKPS1_Ev13rocblas_fill_18rocblas_operation_17rocblas_diagonal_iiT3_T4_lilT5_lili.kd
    .uniform_work_group_size: 1
    .uses_dynamic_stack: false
    .vgpr_count:     16
    .vgpr_spill_count: 0
    .wavefront_size: 32
    .workgroup_processor_mode: 1
  - .args:
      - .offset:         0
        .size:           4
        .value_kind:     by_value
      - .offset:         4
        .size:           4
        .value_kind:     by_value
      - .offset:         8
        .size:           4
        .value_kind:     by_value
      - .offset:         12
        .size:           4
        .value_kind:     by_value
      - .offset:         16
        .size:           4
        .value_kind:     by_value
      - .offset:         20
        .size:           8
        .value_kind:     by_value
      - .address_space:  global
        .offset:         32
        .size:           8
        .value_kind:     global_buffer
      - .offset:         40
        .size:           8
        .value_kind:     by_value
      - .offset:         48
        .size:           4
        .value_kind:     by_value
      - .offset:         56
        .size:           8
        .value_kind:     by_value
      - .address_space:  global
        .offset:         64
        .size:           8
        .value_kind:     global_buffer
      - .offset:         72
        .size:           8
        .value_kind:     by_value
      - .offset:         80
        .size:           4
        .value_kind:     by_value
      - .offset:         88
        .size:           8
        .value_kind:     by_value
      - .offset:         96
        .size:           4
        .value_kind:     by_value
      - .offset:         104
        .size:           4
        .value_kind:     hidden_block_count_x
      - .offset:         108
        .size:           4
        .value_kind:     hidden_block_count_y
      - .offset:         112
        .size:           4
        .value_kind:     hidden_block_count_z
      - .offset:         116
        .size:           2
        .value_kind:     hidden_group_size_x
      - .offset:         118
        .size:           2
        .value_kind:     hidden_group_size_y
      - .offset:         120
        .size:           2
        .value_kind:     hidden_group_size_z
      - .offset:         122
        .size:           2
        .value_kind:     hidden_remainder_x
      - .offset:         124
        .size:           2
        .value_kind:     hidden_remainder_y
      - .offset:         126
        .size:           2
        .value_kind:     hidden_remainder_z
      - .offset:         144
        .size:           8
        .value_kind:     hidden_global_offset_x
      - .offset:         152
        .size:           8
        .value_kind:     hidden_global_offset_y
      - .offset:         160
        .size:           8
        .value_kind:     hidden_global_offset_z
      - .offset:         168
        .size:           2
        .value_kind:     hidden_grid_dims
    .group_segment_fixed_size: 4096
    .kernarg_segment_align: 8
    .kernarg_segment_size: 360
    .language:       OpenCL C
    .language_version:
      - 2
      - 0
    .max_flat_workgroup_size: 16
    .name:           _ZL31rocblas_trsm_small_right_deviceI19rocblas_complex_numIfES1_PKPKS1_PKPS1_Li16EEv13rocblas_fill_18rocblas_operation_17rocblas_diagonal_iiT0_T1_lilT2_lili
    .private_segment_fixed_size: 0
    .sgpr_count:     38
    .sgpr_spill_count: 0
    .symbol:         _ZL31rocblas_trsm_small_right_deviceI19rocblas_complex_numIfES1_PKPKS1_PKPS1_Li16EEv13rocblas_fill_18rocblas_operation_17rocblas_diagonal_iiT0_T1_lilT2_lili.kd
    .uniform_work_group_size: 1
    .uses_dynamic_stack: false
    .vgpr_count:     46
    .vgpr_spill_count: 0
    .wavefront_size: 32
    .workgroup_processor_mode: 1
  - .args:
      - .offset:         0
        .size:           4
        .value_kind:     by_value
      - .offset:         4
        .size:           4
        .value_kind:     by_value
      - .offset:         8
        .size:           4
        .value_kind:     by_value
      - .offset:         12
        .size:           4
        .value_kind:     by_value
      - .offset:         16
        .size:           4
        .value_kind:     by_value
      - .offset:         20
        .size:           8
        .value_kind:     by_value
      - .address_space:  global
        .offset:         32
        .size:           8
        .value_kind:     global_buffer
      - .offset:         40
        .size:           8
        .value_kind:     by_value
      - .offset:         48
        .size:           4
        .value_kind:     by_value
      - .offset:         56
        .size:           8
        .value_kind:     by_value
      - .address_space:  global
        .offset:         64
        .size:           8
        .value_kind:     global_buffer
      - .offset:         72
        .size:           8
        .value_kind:     by_value
      - .offset:         80
        .size:           4
        .value_kind:     by_value
      - .offset:         88
        .size:           8
        .value_kind:     by_value
      - .offset:         96
        .size:           4
        .value_kind:     by_value
      - .offset:         104
        .size:           4
        .value_kind:     hidden_block_count_x
      - .offset:         108
        .size:           4
        .value_kind:     hidden_block_count_y
      - .offset:         112
        .size:           4
        .value_kind:     hidden_block_count_z
      - .offset:         116
        .size:           2
        .value_kind:     hidden_group_size_x
      - .offset:         118
        .size:           2
        .value_kind:     hidden_group_size_y
      - .offset:         120
        .size:           2
        .value_kind:     hidden_group_size_z
      - .offset:         122
        .size:           2
        .value_kind:     hidden_remainder_x
      - .offset:         124
        .size:           2
        .value_kind:     hidden_remainder_y
      - .offset:         126
        .size:           2
        .value_kind:     hidden_remainder_z
      - .offset:         144
        .size:           8
        .value_kind:     hidden_global_offset_x
      - .offset:         152
        .size:           8
        .value_kind:     hidden_global_offset_y
      - .offset:         160
        .size:           8
        .value_kind:     hidden_global_offset_z
      - .offset:         168
        .size:           2
        .value_kind:     hidden_grid_dims
    .group_segment_fixed_size: 6400
    .kernarg_segment_align: 8
    .kernarg_segment_size: 360
    .language:       OpenCL C
    .language_version:
      - 2
      - 0
    .max_flat_workgroup_size: 20
    .name:           _ZL38rocblas_trsm_small_left_device_sharedBILi20ELi20ELb0E19rocblas_complex_numIfES1_PKPKS1_PKPS1_Ev13rocblas_fill_18rocblas_operation_17rocblas_diagonal_iiT3_T4_lilT5_lili
    .private_segment_fixed_size: 176
    .sgpr_count:     37
    .sgpr_spill_count: 0
    .symbol:         _ZL38rocblas_trsm_small_left_device_sharedBILi20ELi20ELb0E19rocblas_complex_numIfES1_PKPKS1_PKPS1_Ev13rocblas_fill_18rocblas_operation_17rocblas_diagonal_iiT3_T4_lilT5_lili.kd
    .uniform_work_group_size: 1
    .uses_dynamic_stack: false
    .vgpr_count:     29
    .vgpr_spill_count: 0
    .wavefront_size: 32
    .workgroup_processor_mode: 1
  - .args:
      - .offset:         0
        .size:           4
        .value_kind:     by_value
      - .offset:         4
        .size:           4
        .value_kind:     by_value
      - .offset:         8
        .size:           4
        .value_kind:     by_value
      - .offset:         12
        .size:           4
        .value_kind:     by_value
      - .offset:         16
        .size:           4
        .value_kind:     by_value
      - .offset:         20
        .size:           8
        .value_kind:     by_value
      - .address_space:  global
        .offset:         32
        .size:           8
        .value_kind:     global_buffer
      - .offset:         40
        .size:           8
        .value_kind:     by_value
      - .offset:         48
        .size:           4
        .value_kind:     by_value
      - .offset:         56
        .size:           8
        .value_kind:     by_value
      - .address_space:  global
        .offset:         64
        .size:           8
        .value_kind:     global_buffer
      - .offset:         72
        .size:           8
        .value_kind:     by_value
      - .offset:         80
        .size:           4
        .value_kind:     by_value
      - .offset:         88
        .size:           8
        .value_kind:     by_value
      - .offset:         96
        .size:           4
        .value_kind:     by_value
      - .offset:         104
        .size:           4
        .value_kind:     hidden_block_count_x
      - .offset:         108
        .size:           4
        .value_kind:     hidden_block_count_y
      - .offset:         112
        .size:           4
        .value_kind:     hidden_block_count_z
      - .offset:         116
        .size:           2
        .value_kind:     hidden_group_size_x
      - .offset:         118
        .size:           2
        .value_kind:     hidden_group_size_y
      - .offset:         120
        .size:           2
        .value_kind:     hidden_group_size_z
      - .offset:         122
        .size:           2
        .value_kind:     hidden_remainder_x
      - .offset:         124
        .size:           2
        .value_kind:     hidden_remainder_y
      - .offset:         126
        .size:           2
        .value_kind:     hidden_remainder_z
      - .offset:         144
        .size:           8
        .value_kind:     hidden_global_offset_x
      - .offset:         152
        .size:           8
        .value_kind:     hidden_global_offset_y
      - .offset:         160
        .size:           8
        .value_kind:     hidden_global_offset_z
      - .offset:         168
        .size:           2
        .value_kind:     hidden_grid_dims
    .group_segment_fixed_size: 3200
    .kernarg_segment_align: 8
    .kernarg_segment_size: 360
    .language:       OpenCL C
    .language_version:
      - 2
      - 0
    .max_flat_workgroup_size: 20
    .name:           _ZL30rocblas_trsm_small_left_deviceILi20ELi20ELb0E19rocblas_complex_numIfES1_PKPKS1_PKPS1_Ev13rocblas_fill_18rocblas_operation_17rocblas_diagonal_iiT3_T4_lilT5_lili
    .private_segment_fixed_size: 176
    .sgpr_count:     36
    .sgpr_spill_count: 0
    .symbol:         _ZL30rocblas_trsm_small_left_deviceILi20ELi20ELb0E19rocblas_complex_numIfES1_PKPKS1_PKPS1_Ev13rocblas_fill_18rocblas_operation_17rocblas_diagonal_iiT3_T4_lilT5_lili.kd
    .uniform_work_group_size: 1
    .uses_dynamic_stack: false
    .vgpr_count:     18
    .vgpr_spill_count: 0
    .wavefront_size: 32
    .workgroup_processor_mode: 1
  - .args:
      - .offset:         0
        .size:           4
        .value_kind:     by_value
      - .offset:         4
        .size:           4
        .value_kind:     by_value
      - .offset:         8
        .size:           4
        .value_kind:     by_value
      - .offset:         12
        .size:           4
        .value_kind:     by_value
      - .offset:         16
        .size:           4
        .value_kind:     by_value
      - .offset:         20
        .size:           8
        .value_kind:     by_value
      - .address_space:  global
        .offset:         32
        .size:           8
        .value_kind:     global_buffer
      - .offset:         40
        .size:           8
        .value_kind:     by_value
      - .offset:         48
        .size:           4
        .value_kind:     by_value
      - .offset:         56
        .size:           8
        .value_kind:     by_value
      - .address_space:  global
        .offset:         64
        .size:           8
        .value_kind:     global_buffer
      - .offset:         72
        .size:           8
        .value_kind:     by_value
      - .offset:         80
        .size:           4
        .value_kind:     by_value
      - .offset:         88
        .size:           8
        .value_kind:     by_value
      - .offset:         96
        .size:           4
        .value_kind:     by_value
      - .offset:         104
        .size:           4
        .value_kind:     hidden_block_count_x
      - .offset:         108
        .size:           4
        .value_kind:     hidden_block_count_y
      - .offset:         112
        .size:           4
        .value_kind:     hidden_block_count_z
      - .offset:         116
        .size:           2
        .value_kind:     hidden_group_size_x
      - .offset:         118
        .size:           2
        .value_kind:     hidden_group_size_y
      - .offset:         120
        .size:           2
        .value_kind:     hidden_group_size_z
      - .offset:         122
        .size:           2
        .value_kind:     hidden_remainder_x
      - .offset:         124
        .size:           2
        .value_kind:     hidden_remainder_y
      - .offset:         126
        .size:           2
        .value_kind:     hidden_remainder_z
      - .offset:         144
        .size:           8
        .value_kind:     hidden_global_offset_x
      - .offset:         152
        .size:           8
        .value_kind:     hidden_global_offset_y
      - .offset:         160
        .size:           8
        .value_kind:     hidden_global_offset_z
      - .offset:         168
        .size:           2
        .value_kind:     hidden_grid_dims
    .group_segment_fixed_size: 6400
    .kernarg_segment_align: 8
    .kernarg_segment_size: 360
    .language:       OpenCL C
    .language_version:
      - 2
      - 0
    .max_flat_workgroup_size: 20
    .name:           _ZL38rocblas_trsm_small_left_device_sharedBILi20ELi20ELb1E19rocblas_complex_numIfES1_PKPKS1_PKPS1_Ev13rocblas_fill_18rocblas_operation_17rocblas_diagonal_iiT3_T4_lilT5_lili
    .private_segment_fixed_size: 176
    .sgpr_count:     37
    .sgpr_spill_count: 0
    .symbol:         _ZL38rocblas_trsm_small_left_device_sharedBILi20ELi20ELb1E19rocblas_complex_numIfES1_PKPKS1_PKPS1_Ev13rocblas_fill_18rocblas_operation_17rocblas_diagonal_iiT3_T4_lilT5_lili.kd
    .uniform_work_group_size: 1
    .uses_dynamic_stack: false
    .vgpr_count:     29
    .vgpr_spill_count: 0
    .wavefront_size: 32
    .workgroup_processor_mode: 1
  - .args:
      - .offset:         0
        .size:           4
        .value_kind:     by_value
      - .offset:         4
        .size:           4
        .value_kind:     by_value
      - .offset:         8
        .size:           4
        .value_kind:     by_value
      - .offset:         12
        .size:           4
        .value_kind:     by_value
      - .offset:         16
        .size:           4
        .value_kind:     by_value
      - .offset:         20
        .size:           8
        .value_kind:     by_value
      - .address_space:  global
        .offset:         32
        .size:           8
        .value_kind:     global_buffer
      - .offset:         40
        .size:           8
        .value_kind:     by_value
      - .offset:         48
        .size:           4
        .value_kind:     by_value
      - .offset:         56
        .size:           8
        .value_kind:     by_value
      - .address_space:  global
        .offset:         64
        .size:           8
        .value_kind:     global_buffer
      - .offset:         72
        .size:           8
        .value_kind:     by_value
      - .offset:         80
        .size:           4
        .value_kind:     by_value
      - .offset:         88
        .size:           8
        .value_kind:     by_value
      - .offset:         96
        .size:           4
        .value_kind:     by_value
      - .offset:         104
        .size:           4
        .value_kind:     hidden_block_count_x
      - .offset:         108
        .size:           4
        .value_kind:     hidden_block_count_y
      - .offset:         112
        .size:           4
        .value_kind:     hidden_block_count_z
      - .offset:         116
        .size:           2
        .value_kind:     hidden_group_size_x
      - .offset:         118
        .size:           2
        .value_kind:     hidden_group_size_y
      - .offset:         120
        .size:           2
        .value_kind:     hidden_group_size_z
      - .offset:         122
        .size:           2
        .value_kind:     hidden_remainder_x
      - .offset:         124
        .size:           2
        .value_kind:     hidden_remainder_y
      - .offset:         126
        .size:           2
        .value_kind:     hidden_remainder_z
      - .offset:         144
        .size:           8
        .value_kind:     hidden_global_offset_x
      - .offset:         152
        .size:           8
        .value_kind:     hidden_global_offset_y
      - .offset:         160
        .size:           8
        .value_kind:     hidden_global_offset_z
      - .offset:         168
        .size:           2
        .value_kind:     hidden_grid_dims
    .group_segment_fixed_size: 3200
    .kernarg_segment_align: 8
    .kernarg_segment_size: 360
    .language:       OpenCL C
    .language_version:
      - 2
      - 0
    .max_flat_workgroup_size: 20
    .name:           _ZL30rocblas_trsm_small_left_deviceILi20ELi20ELb1E19rocblas_complex_numIfES1_PKPKS1_PKPS1_Ev13rocblas_fill_18rocblas_operation_17rocblas_diagonal_iiT3_T4_lilT5_lili
    .private_segment_fixed_size: 176
    .sgpr_count:     36
    .sgpr_spill_count: 0
    .symbol:         _ZL30rocblas_trsm_small_left_deviceILi20ELi20ELb1E19rocblas_complex_numIfES1_PKPKS1_PKPS1_Ev13rocblas_fill_18rocblas_operation_17rocblas_diagonal_iiT3_T4_lilT5_lili.kd
    .uniform_work_group_size: 1
    .uses_dynamic_stack: false
    .vgpr_count:     16
    .vgpr_spill_count: 0
    .wavefront_size: 32
    .workgroup_processor_mode: 1
  - .args:
      - .offset:         0
        .size:           4
        .value_kind:     by_value
      - .offset:         4
        .size:           4
        .value_kind:     by_value
      - .offset:         8
        .size:           4
        .value_kind:     by_value
      - .offset:         12
        .size:           4
        .value_kind:     by_value
      - .offset:         16
        .size:           4
        .value_kind:     by_value
      - .offset:         20
        .size:           8
        .value_kind:     by_value
      - .address_space:  global
        .offset:         32
        .size:           8
        .value_kind:     global_buffer
      - .offset:         40
        .size:           8
        .value_kind:     by_value
      - .offset:         48
        .size:           4
        .value_kind:     by_value
      - .offset:         56
        .size:           8
        .value_kind:     by_value
      - .address_space:  global
        .offset:         64
        .size:           8
        .value_kind:     global_buffer
      - .offset:         72
        .size:           8
        .value_kind:     by_value
      - .offset:         80
        .size:           4
        .value_kind:     by_value
      - .offset:         88
        .size:           8
        .value_kind:     by_value
      - .offset:         96
        .size:           4
        .value_kind:     by_value
      - .offset:         104
        .size:           4
        .value_kind:     hidden_block_count_x
      - .offset:         108
        .size:           4
        .value_kind:     hidden_block_count_y
      - .offset:         112
        .size:           4
        .value_kind:     hidden_block_count_z
      - .offset:         116
        .size:           2
        .value_kind:     hidden_group_size_x
      - .offset:         118
        .size:           2
        .value_kind:     hidden_group_size_y
      - .offset:         120
        .size:           2
        .value_kind:     hidden_group_size_z
      - .offset:         122
        .size:           2
        .value_kind:     hidden_remainder_x
      - .offset:         124
        .size:           2
        .value_kind:     hidden_remainder_y
      - .offset:         126
        .size:           2
        .value_kind:     hidden_remainder_z
      - .offset:         144
        .size:           8
        .value_kind:     hidden_global_offset_x
      - .offset:         152
        .size:           8
        .value_kind:     hidden_global_offset_y
      - .offset:         160
        .size:           8
        .value_kind:     hidden_global_offset_z
      - .offset:         168
        .size:           2
        .value_kind:     hidden_grid_dims
    .group_segment_fixed_size: 6400
    .kernarg_segment_align: 8
    .kernarg_segment_size: 360
    .language:       OpenCL C
    .language_version:
      - 2
      - 0
    .max_flat_workgroup_size: 20
    .name:           _ZL31rocblas_trsm_small_right_deviceI19rocblas_complex_numIfES1_PKPKS1_PKPS1_Li20EEv13rocblas_fill_18rocblas_operation_17rocblas_diagonal_iiT0_T1_lilT2_lili
    .private_segment_fixed_size: 0
    .sgpr_count:     38
    .sgpr_spill_count: 0
    .symbol:         _ZL31rocblas_trsm_small_right_deviceI19rocblas_complex_numIfES1_PKPKS1_PKPS1_Li20EEv13rocblas_fill_18rocblas_operation_17rocblas_diagonal_iiT0_T1_lilT2_lili.kd
    .uniform_work_group_size: 1
    .uses_dynamic_stack: false
    .vgpr_count:     45
    .vgpr_spill_count: 0
    .wavefront_size: 32
    .workgroup_processor_mode: 1
  - .args:
      - .offset:         0
        .size:           4
        .value_kind:     by_value
      - .offset:         4
        .size:           4
        .value_kind:     by_value
      - .offset:         8
        .size:           4
        .value_kind:     by_value
      - .offset:         12
        .size:           4
        .value_kind:     by_value
      - .offset:         16
        .size:           4
        .value_kind:     by_value
      - .offset:         20
        .size:           8
        .value_kind:     by_value
      - .address_space:  global
        .offset:         32
        .size:           8
        .value_kind:     global_buffer
      - .offset:         40
        .size:           8
        .value_kind:     by_value
      - .offset:         48
        .size:           4
        .value_kind:     by_value
      - .offset:         56
        .size:           8
        .value_kind:     by_value
      - .address_space:  global
        .offset:         64
        .size:           8
        .value_kind:     global_buffer
      - .offset:         72
        .size:           8
        .value_kind:     by_value
      - .offset:         80
        .size:           4
        .value_kind:     by_value
      - .offset:         88
        .size:           8
        .value_kind:     by_value
      - .offset:         96
        .size:           4
        .value_kind:     by_value
      - .offset:         104
        .size:           4
        .value_kind:     hidden_block_count_x
      - .offset:         108
        .size:           4
        .value_kind:     hidden_block_count_y
      - .offset:         112
        .size:           4
        .value_kind:     hidden_block_count_z
      - .offset:         116
        .size:           2
        .value_kind:     hidden_group_size_x
      - .offset:         118
        .size:           2
        .value_kind:     hidden_group_size_y
      - .offset:         120
        .size:           2
        .value_kind:     hidden_group_size_z
      - .offset:         122
        .size:           2
        .value_kind:     hidden_remainder_x
      - .offset:         124
        .size:           2
        .value_kind:     hidden_remainder_y
      - .offset:         126
        .size:           2
        .value_kind:     hidden_remainder_z
      - .offset:         144
        .size:           8
        .value_kind:     hidden_global_offset_x
      - .offset:         152
        .size:           8
        .value_kind:     hidden_global_offset_y
      - .offset:         160
        .size:           8
        .value_kind:     hidden_global_offset_z
      - .offset:         168
        .size:           2
        .value_kind:     hidden_grid_dims
    .group_segment_fixed_size: 9216
    .kernarg_segment_align: 8
    .kernarg_segment_size: 360
    .language:       OpenCL C
    .language_version:
      - 2
      - 0
    .max_flat_workgroup_size: 24
    .name:           _ZL38rocblas_trsm_small_left_device_sharedBILi24ELi24ELb0E19rocblas_complex_numIfES1_PKPKS1_PKPS1_Ev13rocblas_fill_18rocblas_operation_17rocblas_diagonal_iiT3_T4_lilT5_lili
    .private_segment_fixed_size: 208
    .sgpr_count:     37
    .sgpr_spill_count: 0
    .symbol:         _ZL38rocblas_trsm_small_left_device_sharedBILi24ELi24ELb0E19rocblas_complex_numIfES1_PKPKS1_PKPS1_Ev13rocblas_fill_18rocblas_operation_17rocblas_diagonal_iiT3_T4_lilT5_lili.kd
    .uniform_work_group_size: 1
    .uses_dynamic_stack: false
    .vgpr_count:     29
    .vgpr_spill_count: 0
    .wavefront_size: 32
    .workgroup_processor_mode: 1
  - .args:
      - .offset:         0
        .size:           4
        .value_kind:     by_value
      - .offset:         4
        .size:           4
        .value_kind:     by_value
      - .offset:         8
        .size:           4
        .value_kind:     by_value
      - .offset:         12
        .size:           4
        .value_kind:     by_value
      - .offset:         16
        .size:           4
        .value_kind:     by_value
      - .offset:         20
        .size:           8
        .value_kind:     by_value
      - .address_space:  global
        .offset:         32
        .size:           8
        .value_kind:     global_buffer
      - .offset:         40
        .size:           8
        .value_kind:     by_value
      - .offset:         48
        .size:           4
        .value_kind:     by_value
      - .offset:         56
        .size:           8
        .value_kind:     by_value
      - .address_space:  global
        .offset:         64
        .size:           8
        .value_kind:     global_buffer
      - .offset:         72
        .size:           8
        .value_kind:     by_value
      - .offset:         80
        .size:           4
        .value_kind:     by_value
      - .offset:         88
        .size:           8
        .value_kind:     by_value
      - .offset:         96
        .size:           4
        .value_kind:     by_value
      - .offset:         104
        .size:           4
        .value_kind:     hidden_block_count_x
      - .offset:         108
        .size:           4
        .value_kind:     hidden_block_count_y
      - .offset:         112
        .size:           4
        .value_kind:     hidden_block_count_z
      - .offset:         116
        .size:           2
        .value_kind:     hidden_group_size_x
      - .offset:         118
        .size:           2
        .value_kind:     hidden_group_size_y
      - .offset:         120
        .size:           2
        .value_kind:     hidden_group_size_z
      - .offset:         122
        .size:           2
        .value_kind:     hidden_remainder_x
      - .offset:         124
        .size:           2
        .value_kind:     hidden_remainder_y
      - .offset:         126
        .size:           2
        .value_kind:     hidden_remainder_z
      - .offset:         144
        .size:           8
        .value_kind:     hidden_global_offset_x
      - .offset:         152
        .size:           8
        .value_kind:     hidden_global_offset_y
      - .offset:         160
        .size:           8
        .value_kind:     hidden_global_offset_z
      - .offset:         168
        .size:           2
        .value_kind:     hidden_grid_dims
    .group_segment_fixed_size: 4608
    .kernarg_segment_align: 8
    .kernarg_segment_size: 360
    .language:       OpenCL C
    .language_version:
      - 2
      - 0
    .max_flat_workgroup_size: 24
    .name:           _ZL30rocblas_trsm_small_left_deviceILi24ELi24ELb0E19rocblas_complex_numIfES1_PKPKS1_PKPS1_Ev13rocblas_fill_18rocblas_operation_17rocblas_diagonal_iiT3_T4_lilT5_lili
    .private_segment_fixed_size: 208
    .sgpr_count:     36
    .sgpr_spill_count: 0
    .symbol:         _ZL30rocblas_trsm_small_left_deviceILi24ELi24ELb0E19rocblas_complex_numIfES1_PKPKS1_PKPS1_Ev13rocblas_fill_18rocblas_operation_17rocblas_diagonal_iiT3_T4_lilT5_lili.kd
    .uniform_work_group_size: 1
    .uses_dynamic_stack: false
    .vgpr_count:     18
    .vgpr_spill_count: 0
    .wavefront_size: 32
    .workgroup_processor_mode: 1
  - .args:
      - .offset:         0
        .size:           4
        .value_kind:     by_value
      - .offset:         4
        .size:           4
        .value_kind:     by_value
      - .offset:         8
        .size:           4
        .value_kind:     by_value
      - .offset:         12
        .size:           4
        .value_kind:     by_value
      - .offset:         16
        .size:           4
        .value_kind:     by_value
      - .offset:         20
        .size:           8
        .value_kind:     by_value
      - .address_space:  global
        .offset:         32
        .size:           8
        .value_kind:     global_buffer
      - .offset:         40
        .size:           8
        .value_kind:     by_value
      - .offset:         48
        .size:           4
        .value_kind:     by_value
      - .offset:         56
        .size:           8
        .value_kind:     by_value
      - .address_space:  global
        .offset:         64
        .size:           8
        .value_kind:     global_buffer
      - .offset:         72
        .size:           8
        .value_kind:     by_value
      - .offset:         80
        .size:           4
        .value_kind:     by_value
      - .offset:         88
        .size:           8
        .value_kind:     by_value
      - .offset:         96
        .size:           4
        .value_kind:     by_value
      - .offset:         104
        .size:           4
        .value_kind:     hidden_block_count_x
      - .offset:         108
        .size:           4
        .value_kind:     hidden_block_count_y
      - .offset:         112
        .size:           4
        .value_kind:     hidden_block_count_z
      - .offset:         116
        .size:           2
        .value_kind:     hidden_group_size_x
      - .offset:         118
        .size:           2
        .value_kind:     hidden_group_size_y
      - .offset:         120
        .size:           2
        .value_kind:     hidden_group_size_z
      - .offset:         122
        .size:           2
        .value_kind:     hidden_remainder_x
      - .offset:         124
        .size:           2
        .value_kind:     hidden_remainder_y
      - .offset:         126
        .size:           2
        .value_kind:     hidden_remainder_z
      - .offset:         144
        .size:           8
        .value_kind:     hidden_global_offset_x
      - .offset:         152
        .size:           8
        .value_kind:     hidden_global_offset_y
      - .offset:         160
        .size:           8
        .value_kind:     hidden_global_offset_z
      - .offset:         168
        .size:           2
        .value_kind:     hidden_grid_dims
    .group_segment_fixed_size: 9216
    .kernarg_segment_align: 8
    .kernarg_segment_size: 360
    .language:       OpenCL C
    .language_version:
      - 2
      - 0
    .max_flat_workgroup_size: 24
    .name:           _ZL38rocblas_trsm_small_left_device_sharedBILi24ELi24ELb1E19rocblas_complex_numIfES1_PKPKS1_PKPS1_Ev13rocblas_fill_18rocblas_operation_17rocblas_diagonal_iiT3_T4_lilT5_lili
    .private_segment_fixed_size: 208
    .sgpr_count:     37
    .sgpr_spill_count: 0
    .symbol:         _ZL38rocblas_trsm_small_left_device_sharedBILi24ELi24ELb1E19rocblas_complex_numIfES1_PKPKS1_PKPS1_Ev13rocblas_fill_18rocblas_operation_17rocblas_diagonal_iiT3_T4_lilT5_lili.kd
    .uniform_work_group_size: 1
    .uses_dynamic_stack: false
    .vgpr_count:     29
    .vgpr_spill_count: 0
    .wavefront_size: 32
    .workgroup_processor_mode: 1
  - .args:
      - .offset:         0
        .size:           4
        .value_kind:     by_value
      - .offset:         4
        .size:           4
        .value_kind:     by_value
      - .offset:         8
        .size:           4
        .value_kind:     by_value
      - .offset:         12
        .size:           4
        .value_kind:     by_value
      - .offset:         16
        .size:           4
        .value_kind:     by_value
      - .offset:         20
        .size:           8
        .value_kind:     by_value
      - .address_space:  global
        .offset:         32
        .size:           8
        .value_kind:     global_buffer
      - .offset:         40
        .size:           8
        .value_kind:     by_value
      - .offset:         48
        .size:           4
        .value_kind:     by_value
      - .offset:         56
        .size:           8
        .value_kind:     by_value
      - .address_space:  global
        .offset:         64
        .size:           8
        .value_kind:     global_buffer
      - .offset:         72
        .size:           8
        .value_kind:     by_value
      - .offset:         80
        .size:           4
        .value_kind:     by_value
      - .offset:         88
        .size:           8
        .value_kind:     by_value
      - .offset:         96
        .size:           4
        .value_kind:     by_value
      - .offset:         104
        .size:           4
        .value_kind:     hidden_block_count_x
      - .offset:         108
        .size:           4
        .value_kind:     hidden_block_count_y
      - .offset:         112
        .size:           4
        .value_kind:     hidden_block_count_z
      - .offset:         116
        .size:           2
        .value_kind:     hidden_group_size_x
      - .offset:         118
        .size:           2
        .value_kind:     hidden_group_size_y
      - .offset:         120
        .size:           2
        .value_kind:     hidden_group_size_z
      - .offset:         122
        .size:           2
        .value_kind:     hidden_remainder_x
      - .offset:         124
        .size:           2
        .value_kind:     hidden_remainder_y
      - .offset:         126
        .size:           2
        .value_kind:     hidden_remainder_z
      - .offset:         144
        .size:           8
        .value_kind:     hidden_global_offset_x
      - .offset:         152
        .size:           8
        .value_kind:     hidden_global_offset_y
      - .offset:         160
        .size:           8
        .value_kind:     hidden_global_offset_z
      - .offset:         168
        .size:           2
        .value_kind:     hidden_grid_dims
    .group_segment_fixed_size: 4608
    .kernarg_segment_align: 8
    .kernarg_segment_size: 360
    .language:       OpenCL C
    .language_version:
      - 2
      - 0
    .max_flat_workgroup_size: 24
    .name:           _ZL30rocblas_trsm_small_left_deviceILi24ELi24ELb1E19rocblas_complex_numIfES1_PKPKS1_PKPS1_Ev13rocblas_fill_18rocblas_operation_17rocblas_diagonal_iiT3_T4_lilT5_lili
    .private_segment_fixed_size: 208
    .sgpr_count:     36
    .sgpr_spill_count: 0
    .symbol:         _ZL30rocblas_trsm_small_left_deviceILi24ELi24ELb1E19rocblas_complex_numIfES1_PKPKS1_PKPS1_Ev13rocblas_fill_18rocblas_operation_17rocblas_diagonal_iiT3_T4_lilT5_lili.kd
    .uniform_work_group_size: 1
    .uses_dynamic_stack: false
    .vgpr_count:     16
    .vgpr_spill_count: 0
    .wavefront_size: 32
    .workgroup_processor_mode: 1
  - .args:
      - .offset:         0
        .size:           4
        .value_kind:     by_value
      - .offset:         4
        .size:           4
        .value_kind:     by_value
      - .offset:         8
        .size:           4
        .value_kind:     by_value
      - .offset:         12
        .size:           4
        .value_kind:     by_value
      - .offset:         16
        .size:           4
        .value_kind:     by_value
      - .offset:         20
        .size:           8
        .value_kind:     by_value
      - .address_space:  global
        .offset:         32
        .size:           8
        .value_kind:     global_buffer
      - .offset:         40
        .size:           8
        .value_kind:     by_value
      - .offset:         48
        .size:           4
        .value_kind:     by_value
      - .offset:         56
        .size:           8
        .value_kind:     by_value
      - .address_space:  global
        .offset:         64
        .size:           8
        .value_kind:     global_buffer
      - .offset:         72
        .size:           8
        .value_kind:     by_value
      - .offset:         80
        .size:           4
        .value_kind:     by_value
      - .offset:         88
        .size:           8
        .value_kind:     by_value
      - .offset:         96
        .size:           4
        .value_kind:     by_value
      - .offset:         104
        .size:           4
        .value_kind:     hidden_block_count_x
      - .offset:         108
        .size:           4
        .value_kind:     hidden_block_count_y
      - .offset:         112
        .size:           4
        .value_kind:     hidden_block_count_z
      - .offset:         116
        .size:           2
        .value_kind:     hidden_group_size_x
      - .offset:         118
        .size:           2
        .value_kind:     hidden_group_size_y
      - .offset:         120
        .size:           2
        .value_kind:     hidden_group_size_z
      - .offset:         122
        .size:           2
        .value_kind:     hidden_remainder_x
      - .offset:         124
        .size:           2
        .value_kind:     hidden_remainder_y
      - .offset:         126
        .size:           2
        .value_kind:     hidden_remainder_z
      - .offset:         144
        .size:           8
        .value_kind:     hidden_global_offset_x
      - .offset:         152
        .size:           8
        .value_kind:     hidden_global_offset_y
      - .offset:         160
        .size:           8
        .value_kind:     hidden_global_offset_z
      - .offset:         168
        .size:           2
        .value_kind:     hidden_grid_dims
    .group_segment_fixed_size: 9216
    .kernarg_segment_align: 8
    .kernarg_segment_size: 360
    .language:       OpenCL C
    .language_version:
      - 2
      - 0
    .max_flat_workgroup_size: 24
    .name:           _ZL31rocblas_trsm_small_right_deviceI19rocblas_complex_numIfES1_PKPKS1_PKPS1_Li24EEv13rocblas_fill_18rocblas_operation_17rocblas_diagonal_iiT0_T1_lilT2_lili
    .private_segment_fixed_size: 0
    .sgpr_count:     38
    .sgpr_spill_count: 0
    .symbol:         _ZL31rocblas_trsm_small_right_deviceI19rocblas_complex_numIfES1_PKPKS1_PKPS1_Li24EEv13rocblas_fill_18rocblas_operation_17rocblas_diagonal_iiT0_T1_lilT2_lili.kd
    .uniform_work_group_size: 1
    .uses_dynamic_stack: false
    .vgpr_count:     45
    .vgpr_spill_count: 0
    .wavefront_size: 32
    .workgroup_processor_mode: 1
  - .args:
      - .offset:         0
        .size:           4
        .value_kind:     by_value
      - .offset:         4
        .size:           4
        .value_kind:     by_value
      - .offset:         8
        .size:           4
        .value_kind:     by_value
      - .offset:         12
        .size:           4
        .value_kind:     by_value
      - .offset:         16
        .size:           4
        .value_kind:     by_value
      - .offset:         20
        .size:           8
        .value_kind:     by_value
      - .address_space:  global
        .offset:         32
        .size:           8
        .value_kind:     global_buffer
      - .offset:         40
        .size:           8
        .value_kind:     by_value
      - .offset:         48
        .size:           4
        .value_kind:     by_value
      - .offset:         56
        .size:           8
        .value_kind:     by_value
      - .address_space:  global
        .offset:         64
        .size:           8
        .value_kind:     global_buffer
      - .offset:         72
        .size:           8
        .value_kind:     by_value
      - .offset:         80
        .size:           4
        .value_kind:     by_value
      - .offset:         88
        .size:           8
        .value_kind:     by_value
      - .offset:         96
        .size:           4
        .value_kind:     by_value
      - .offset:         104
        .size:           4
        .value_kind:     hidden_block_count_x
      - .offset:         108
        .size:           4
        .value_kind:     hidden_block_count_y
      - .offset:         112
        .size:           4
        .value_kind:     hidden_block_count_z
      - .offset:         116
        .size:           2
        .value_kind:     hidden_group_size_x
      - .offset:         118
        .size:           2
        .value_kind:     hidden_group_size_y
      - .offset:         120
        .size:           2
        .value_kind:     hidden_group_size_z
      - .offset:         122
        .size:           2
        .value_kind:     hidden_remainder_x
      - .offset:         124
        .size:           2
        .value_kind:     hidden_remainder_y
      - .offset:         126
        .size:           2
        .value_kind:     hidden_remainder_z
      - .offset:         144
        .size:           8
        .value_kind:     hidden_global_offset_x
      - .offset:         152
        .size:           8
        .value_kind:     hidden_global_offset_y
      - .offset:         160
        .size:           8
        .value_kind:     hidden_global_offset_z
      - .offset:         168
        .size:           2
        .value_kind:     hidden_grid_dims
    .group_segment_fixed_size: 12544
    .kernarg_segment_align: 8
    .kernarg_segment_size: 360
    .language:       OpenCL C
    .language_version:
      - 2
      - 0
    .max_flat_workgroup_size: 28
    .name:           _ZL38rocblas_trsm_small_left_device_sharedBILi28ELi28ELb0E19rocblas_complex_numIfES1_PKPKS1_PKPS1_Ev13rocblas_fill_18rocblas_operation_17rocblas_diagonal_iiT3_T4_lilT5_lili
    .private_segment_fixed_size: 240
    .sgpr_count:     37
    .sgpr_spill_count: 0
    .symbol:         _ZL38rocblas_trsm_small_left_device_sharedBILi28ELi28ELb0E19rocblas_complex_numIfES1_PKPKS1_PKPS1_Ev13rocblas_fill_18rocblas_operation_17rocblas_diagonal_iiT3_T4_lilT5_lili.kd
    .uniform_work_group_size: 1
    .uses_dynamic_stack: false
    .vgpr_count:     29
    .vgpr_spill_count: 0
    .wavefront_size: 32
    .workgroup_processor_mode: 1
  - .args:
      - .offset:         0
        .size:           4
        .value_kind:     by_value
      - .offset:         4
        .size:           4
        .value_kind:     by_value
      - .offset:         8
        .size:           4
        .value_kind:     by_value
      - .offset:         12
        .size:           4
        .value_kind:     by_value
      - .offset:         16
        .size:           4
        .value_kind:     by_value
      - .offset:         20
        .size:           8
        .value_kind:     by_value
      - .address_space:  global
        .offset:         32
        .size:           8
        .value_kind:     global_buffer
      - .offset:         40
        .size:           8
        .value_kind:     by_value
      - .offset:         48
        .size:           4
        .value_kind:     by_value
      - .offset:         56
        .size:           8
        .value_kind:     by_value
      - .address_space:  global
        .offset:         64
        .size:           8
        .value_kind:     global_buffer
      - .offset:         72
        .size:           8
        .value_kind:     by_value
      - .offset:         80
        .size:           4
        .value_kind:     by_value
      - .offset:         88
        .size:           8
        .value_kind:     by_value
      - .offset:         96
        .size:           4
        .value_kind:     by_value
      - .offset:         104
        .size:           4
        .value_kind:     hidden_block_count_x
      - .offset:         108
        .size:           4
        .value_kind:     hidden_block_count_y
      - .offset:         112
        .size:           4
        .value_kind:     hidden_block_count_z
      - .offset:         116
        .size:           2
        .value_kind:     hidden_group_size_x
      - .offset:         118
        .size:           2
        .value_kind:     hidden_group_size_y
      - .offset:         120
        .size:           2
        .value_kind:     hidden_group_size_z
      - .offset:         122
        .size:           2
        .value_kind:     hidden_remainder_x
      - .offset:         124
        .size:           2
        .value_kind:     hidden_remainder_y
      - .offset:         126
        .size:           2
        .value_kind:     hidden_remainder_z
      - .offset:         144
        .size:           8
        .value_kind:     hidden_global_offset_x
      - .offset:         152
        .size:           8
        .value_kind:     hidden_global_offset_y
      - .offset:         160
        .size:           8
        .value_kind:     hidden_global_offset_z
      - .offset:         168
        .size:           2
        .value_kind:     hidden_grid_dims
    .group_segment_fixed_size: 6272
    .kernarg_segment_align: 8
    .kernarg_segment_size: 360
    .language:       OpenCL C
    .language_version:
      - 2
      - 0
    .max_flat_workgroup_size: 28
    .name:           _ZL30rocblas_trsm_small_left_deviceILi28ELi28ELb0E19rocblas_complex_numIfES1_PKPKS1_PKPS1_Ev13rocblas_fill_18rocblas_operation_17rocblas_diagonal_iiT3_T4_lilT5_lili
    .private_segment_fixed_size: 240
    .sgpr_count:     36
    .sgpr_spill_count: 0
    .symbol:         _ZL30rocblas_trsm_small_left_deviceILi28ELi28ELb0E19rocblas_complex_numIfES1_PKPKS1_PKPS1_Ev13rocblas_fill_18rocblas_operation_17rocblas_diagonal_iiT3_T4_lilT5_lili.kd
    .uniform_work_group_size: 1
    .uses_dynamic_stack: false
    .vgpr_count:     18
    .vgpr_spill_count: 0
    .wavefront_size: 32
    .workgroup_processor_mode: 1
  - .args:
      - .offset:         0
        .size:           4
        .value_kind:     by_value
      - .offset:         4
        .size:           4
        .value_kind:     by_value
      - .offset:         8
        .size:           4
        .value_kind:     by_value
      - .offset:         12
        .size:           4
        .value_kind:     by_value
      - .offset:         16
        .size:           4
        .value_kind:     by_value
      - .offset:         20
        .size:           8
        .value_kind:     by_value
      - .address_space:  global
        .offset:         32
        .size:           8
        .value_kind:     global_buffer
      - .offset:         40
        .size:           8
        .value_kind:     by_value
      - .offset:         48
        .size:           4
        .value_kind:     by_value
      - .offset:         56
        .size:           8
        .value_kind:     by_value
      - .address_space:  global
        .offset:         64
        .size:           8
        .value_kind:     global_buffer
      - .offset:         72
        .size:           8
        .value_kind:     by_value
      - .offset:         80
        .size:           4
        .value_kind:     by_value
      - .offset:         88
        .size:           8
        .value_kind:     by_value
      - .offset:         96
        .size:           4
        .value_kind:     by_value
      - .offset:         104
        .size:           4
        .value_kind:     hidden_block_count_x
      - .offset:         108
        .size:           4
        .value_kind:     hidden_block_count_y
      - .offset:         112
        .size:           4
        .value_kind:     hidden_block_count_z
      - .offset:         116
        .size:           2
        .value_kind:     hidden_group_size_x
      - .offset:         118
        .size:           2
        .value_kind:     hidden_group_size_y
      - .offset:         120
        .size:           2
        .value_kind:     hidden_group_size_z
      - .offset:         122
        .size:           2
        .value_kind:     hidden_remainder_x
      - .offset:         124
        .size:           2
        .value_kind:     hidden_remainder_y
      - .offset:         126
        .size:           2
        .value_kind:     hidden_remainder_z
      - .offset:         144
        .size:           8
        .value_kind:     hidden_global_offset_x
      - .offset:         152
        .size:           8
        .value_kind:     hidden_global_offset_y
      - .offset:         160
        .size:           8
        .value_kind:     hidden_global_offset_z
      - .offset:         168
        .size:           2
        .value_kind:     hidden_grid_dims
    .group_segment_fixed_size: 12544
    .kernarg_segment_align: 8
    .kernarg_segment_size: 360
    .language:       OpenCL C
    .language_version:
      - 2
      - 0
    .max_flat_workgroup_size: 28
    .name:           _ZL38rocblas_trsm_small_left_device_sharedBILi28ELi28ELb1E19rocblas_complex_numIfES1_PKPKS1_PKPS1_Ev13rocblas_fill_18rocblas_operation_17rocblas_diagonal_iiT3_T4_lilT5_lili
    .private_segment_fixed_size: 240
    .sgpr_count:     37
    .sgpr_spill_count: 0
    .symbol:         _ZL38rocblas_trsm_small_left_device_sharedBILi28ELi28ELb1E19rocblas_complex_numIfES1_PKPKS1_PKPS1_Ev13rocblas_fill_18rocblas_operation_17rocblas_diagonal_iiT3_T4_lilT5_lili.kd
    .uniform_work_group_size: 1
    .uses_dynamic_stack: false
    .vgpr_count:     29
    .vgpr_spill_count: 0
    .wavefront_size: 32
    .workgroup_processor_mode: 1
  - .args:
      - .offset:         0
        .size:           4
        .value_kind:     by_value
      - .offset:         4
        .size:           4
        .value_kind:     by_value
      - .offset:         8
        .size:           4
        .value_kind:     by_value
      - .offset:         12
        .size:           4
        .value_kind:     by_value
      - .offset:         16
        .size:           4
        .value_kind:     by_value
      - .offset:         20
        .size:           8
        .value_kind:     by_value
      - .address_space:  global
        .offset:         32
        .size:           8
        .value_kind:     global_buffer
      - .offset:         40
        .size:           8
        .value_kind:     by_value
      - .offset:         48
        .size:           4
        .value_kind:     by_value
      - .offset:         56
        .size:           8
        .value_kind:     by_value
      - .address_space:  global
        .offset:         64
        .size:           8
        .value_kind:     global_buffer
      - .offset:         72
        .size:           8
        .value_kind:     by_value
      - .offset:         80
        .size:           4
        .value_kind:     by_value
      - .offset:         88
        .size:           8
        .value_kind:     by_value
      - .offset:         96
        .size:           4
        .value_kind:     by_value
      - .offset:         104
        .size:           4
        .value_kind:     hidden_block_count_x
      - .offset:         108
        .size:           4
        .value_kind:     hidden_block_count_y
      - .offset:         112
        .size:           4
        .value_kind:     hidden_block_count_z
      - .offset:         116
        .size:           2
        .value_kind:     hidden_group_size_x
      - .offset:         118
        .size:           2
        .value_kind:     hidden_group_size_y
      - .offset:         120
        .size:           2
        .value_kind:     hidden_group_size_z
      - .offset:         122
        .size:           2
        .value_kind:     hidden_remainder_x
      - .offset:         124
        .size:           2
        .value_kind:     hidden_remainder_y
      - .offset:         126
        .size:           2
        .value_kind:     hidden_remainder_z
      - .offset:         144
        .size:           8
        .value_kind:     hidden_global_offset_x
      - .offset:         152
        .size:           8
        .value_kind:     hidden_global_offset_y
      - .offset:         160
        .size:           8
        .value_kind:     hidden_global_offset_z
      - .offset:         168
        .size:           2
        .value_kind:     hidden_grid_dims
    .group_segment_fixed_size: 6272
    .kernarg_segment_align: 8
    .kernarg_segment_size: 360
    .language:       OpenCL C
    .language_version:
      - 2
      - 0
    .max_flat_workgroup_size: 28
    .name:           _ZL30rocblas_trsm_small_left_deviceILi28ELi28ELb1E19rocblas_complex_numIfES1_PKPKS1_PKPS1_Ev13rocblas_fill_18rocblas_operation_17rocblas_diagonal_iiT3_T4_lilT5_lili
    .private_segment_fixed_size: 240
    .sgpr_count:     36
    .sgpr_spill_count: 0
    .symbol:         _ZL30rocblas_trsm_small_left_deviceILi28ELi28ELb1E19rocblas_complex_numIfES1_PKPKS1_PKPS1_Ev13rocblas_fill_18rocblas_operation_17rocblas_diagonal_iiT3_T4_lilT5_lili.kd
    .uniform_work_group_size: 1
    .uses_dynamic_stack: false
    .vgpr_count:     16
    .vgpr_spill_count: 0
    .wavefront_size: 32
    .workgroup_processor_mode: 1
  - .args:
      - .offset:         0
        .size:           4
        .value_kind:     by_value
      - .offset:         4
        .size:           4
        .value_kind:     by_value
      - .offset:         8
        .size:           4
        .value_kind:     by_value
      - .offset:         12
        .size:           4
        .value_kind:     by_value
      - .offset:         16
        .size:           4
        .value_kind:     by_value
      - .offset:         20
        .size:           8
        .value_kind:     by_value
      - .address_space:  global
        .offset:         32
        .size:           8
        .value_kind:     global_buffer
      - .offset:         40
        .size:           8
        .value_kind:     by_value
      - .offset:         48
        .size:           4
        .value_kind:     by_value
      - .offset:         56
        .size:           8
        .value_kind:     by_value
      - .address_space:  global
        .offset:         64
        .size:           8
        .value_kind:     global_buffer
      - .offset:         72
        .size:           8
        .value_kind:     by_value
      - .offset:         80
        .size:           4
        .value_kind:     by_value
      - .offset:         88
        .size:           8
        .value_kind:     by_value
      - .offset:         96
        .size:           4
        .value_kind:     by_value
      - .offset:         104
        .size:           4
        .value_kind:     hidden_block_count_x
      - .offset:         108
        .size:           4
        .value_kind:     hidden_block_count_y
      - .offset:         112
        .size:           4
        .value_kind:     hidden_block_count_z
      - .offset:         116
        .size:           2
        .value_kind:     hidden_group_size_x
      - .offset:         118
        .size:           2
        .value_kind:     hidden_group_size_y
      - .offset:         120
        .size:           2
        .value_kind:     hidden_group_size_z
      - .offset:         122
        .size:           2
        .value_kind:     hidden_remainder_x
      - .offset:         124
        .size:           2
        .value_kind:     hidden_remainder_y
      - .offset:         126
        .size:           2
        .value_kind:     hidden_remainder_z
      - .offset:         144
        .size:           8
        .value_kind:     hidden_global_offset_x
      - .offset:         152
        .size:           8
        .value_kind:     hidden_global_offset_y
      - .offset:         160
        .size:           8
        .value_kind:     hidden_global_offset_z
      - .offset:         168
        .size:           2
        .value_kind:     hidden_grid_dims
    .group_segment_fixed_size: 12544
    .kernarg_segment_align: 8
    .kernarg_segment_size: 360
    .language:       OpenCL C
    .language_version:
      - 2
      - 0
    .max_flat_workgroup_size: 28
    .name:           _ZL31rocblas_trsm_small_right_deviceI19rocblas_complex_numIfES1_PKPKS1_PKPS1_Li28EEv13rocblas_fill_18rocblas_operation_17rocblas_diagonal_iiT0_T1_lilT2_lili
    .private_segment_fixed_size: 0
    .sgpr_count:     38
    .sgpr_spill_count: 0
    .symbol:         _ZL31rocblas_trsm_small_right_deviceI19rocblas_complex_numIfES1_PKPKS1_PKPS1_Li28EEv13rocblas_fill_18rocblas_operation_17rocblas_diagonal_iiT0_T1_lilT2_lili.kd
    .uniform_work_group_size: 1
    .uses_dynamic_stack: false
    .vgpr_count:     45
    .vgpr_spill_count: 0
    .wavefront_size: 32
    .workgroup_processor_mode: 1
  - .args:
      - .offset:         0
        .size:           4
        .value_kind:     by_value
      - .offset:         4
        .size:           4
        .value_kind:     by_value
      - .offset:         8
        .size:           4
        .value_kind:     by_value
      - .offset:         12
        .size:           4
        .value_kind:     by_value
      - .offset:         16
        .size:           4
        .value_kind:     by_value
      - .offset:         20
        .size:           8
        .value_kind:     by_value
      - .address_space:  global
        .offset:         32
        .size:           8
        .value_kind:     global_buffer
      - .offset:         40
        .size:           8
        .value_kind:     by_value
      - .offset:         48
        .size:           4
        .value_kind:     by_value
      - .offset:         56
        .size:           8
        .value_kind:     by_value
      - .address_space:  global
        .offset:         64
        .size:           8
        .value_kind:     global_buffer
      - .offset:         72
        .size:           8
        .value_kind:     by_value
      - .offset:         80
        .size:           4
        .value_kind:     by_value
      - .offset:         88
        .size:           8
        .value_kind:     by_value
      - .offset:         96
        .size:           4
        .value_kind:     by_value
      - .offset:         104
        .size:           4
        .value_kind:     hidden_block_count_x
      - .offset:         108
        .size:           4
        .value_kind:     hidden_block_count_y
      - .offset:         112
        .size:           4
        .value_kind:     hidden_block_count_z
      - .offset:         116
        .size:           2
        .value_kind:     hidden_group_size_x
      - .offset:         118
        .size:           2
        .value_kind:     hidden_group_size_y
      - .offset:         120
        .size:           2
        .value_kind:     hidden_group_size_z
      - .offset:         122
        .size:           2
        .value_kind:     hidden_remainder_x
      - .offset:         124
        .size:           2
        .value_kind:     hidden_remainder_y
      - .offset:         126
        .size:           2
        .value_kind:     hidden_remainder_z
      - .offset:         144
        .size:           8
        .value_kind:     hidden_global_offset_x
      - .offset:         152
        .size:           8
        .value_kind:     hidden_global_offset_y
      - .offset:         160
        .size:           8
        .value_kind:     hidden_global_offset_z
      - .offset:         168
        .size:           2
        .value_kind:     hidden_grid_dims
    .group_segment_fixed_size: 16384
    .kernarg_segment_align: 8
    .kernarg_segment_size: 360
    .language:       OpenCL C
    .language_version:
      - 2
      - 0
    .max_flat_workgroup_size: 32
    .name:           _ZL38rocblas_trsm_small_left_device_sharedBILi32ELi32ELb0E19rocblas_complex_numIfES1_PKPKS1_PKPS1_Ev13rocblas_fill_18rocblas_operation_17rocblas_diagonal_iiT3_T4_lilT5_lili
    .private_segment_fixed_size: 272
    .sgpr_count:     37
    .sgpr_spill_count: 0
    .symbol:         _ZL38rocblas_trsm_small_left_device_sharedBILi32ELi32ELb0E19rocblas_complex_numIfES1_PKPKS1_PKPS1_Ev13rocblas_fill_18rocblas_operation_17rocblas_diagonal_iiT3_T4_lilT5_lili.kd
    .uniform_work_group_size: 1
    .uses_dynamic_stack: false
    .vgpr_count:     29
    .vgpr_spill_count: 0
    .wavefront_size: 32
    .workgroup_processor_mode: 1
  - .args:
      - .offset:         0
        .size:           4
        .value_kind:     by_value
      - .offset:         4
        .size:           4
        .value_kind:     by_value
      - .offset:         8
        .size:           4
        .value_kind:     by_value
      - .offset:         12
        .size:           4
        .value_kind:     by_value
      - .offset:         16
        .size:           4
        .value_kind:     by_value
      - .offset:         20
        .size:           8
        .value_kind:     by_value
      - .address_space:  global
        .offset:         32
        .size:           8
        .value_kind:     global_buffer
      - .offset:         40
        .size:           8
        .value_kind:     by_value
      - .offset:         48
        .size:           4
        .value_kind:     by_value
      - .offset:         56
        .size:           8
        .value_kind:     by_value
      - .address_space:  global
        .offset:         64
        .size:           8
        .value_kind:     global_buffer
      - .offset:         72
        .size:           8
        .value_kind:     by_value
      - .offset:         80
        .size:           4
        .value_kind:     by_value
      - .offset:         88
        .size:           8
        .value_kind:     by_value
      - .offset:         96
        .size:           4
        .value_kind:     by_value
      - .offset:         104
        .size:           4
        .value_kind:     hidden_block_count_x
      - .offset:         108
        .size:           4
        .value_kind:     hidden_block_count_y
      - .offset:         112
        .size:           4
        .value_kind:     hidden_block_count_z
      - .offset:         116
        .size:           2
        .value_kind:     hidden_group_size_x
      - .offset:         118
        .size:           2
        .value_kind:     hidden_group_size_y
      - .offset:         120
        .size:           2
        .value_kind:     hidden_group_size_z
      - .offset:         122
        .size:           2
        .value_kind:     hidden_remainder_x
      - .offset:         124
        .size:           2
        .value_kind:     hidden_remainder_y
      - .offset:         126
        .size:           2
        .value_kind:     hidden_remainder_z
      - .offset:         144
        .size:           8
        .value_kind:     hidden_global_offset_x
      - .offset:         152
        .size:           8
        .value_kind:     hidden_global_offset_y
      - .offset:         160
        .size:           8
        .value_kind:     hidden_global_offset_z
      - .offset:         168
        .size:           2
        .value_kind:     hidden_grid_dims
    .group_segment_fixed_size: 8192
    .kernarg_segment_align: 8
    .kernarg_segment_size: 360
    .language:       OpenCL C
    .language_version:
      - 2
      - 0
    .max_flat_workgroup_size: 32
    .name:           _ZL30rocblas_trsm_small_left_deviceILi32ELi32ELb0E19rocblas_complex_numIfES1_PKPKS1_PKPS1_Ev13rocblas_fill_18rocblas_operation_17rocblas_diagonal_iiT3_T4_lilT5_lili
    .private_segment_fixed_size: 272
    .sgpr_count:     36
    .sgpr_spill_count: 0
    .symbol:         _ZL30rocblas_trsm_small_left_deviceILi32ELi32ELb0E19rocblas_complex_numIfES1_PKPKS1_PKPS1_Ev13rocblas_fill_18rocblas_operation_17rocblas_diagonal_iiT3_T4_lilT5_lili.kd
    .uniform_work_group_size: 1
    .uses_dynamic_stack: false
    .vgpr_count:     18
    .vgpr_spill_count: 0
    .wavefront_size: 32
    .workgroup_processor_mode: 1
  - .args:
      - .offset:         0
        .size:           4
        .value_kind:     by_value
      - .offset:         4
        .size:           4
        .value_kind:     by_value
      - .offset:         8
        .size:           4
        .value_kind:     by_value
      - .offset:         12
        .size:           4
        .value_kind:     by_value
      - .offset:         16
        .size:           4
        .value_kind:     by_value
      - .offset:         20
        .size:           8
        .value_kind:     by_value
      - .address_space:  global
        .offset:         32
        .size:           8
        .value_kind:     global_buffer
      - .offset:         40
        .size:           8
        .value_kind:     by_value
      - .offset:         48
        .size:           4
        .value_kind:     by_value
      - .offset:         56
        .size:           8
        .value_kind:     by_value
      - .address_space:  global
        .offset:         64
        .size:           8
        .value_kind:     global_buffer
      - .offset:         72
        .size:           8
        .value_kind:     by_value
      - .offset:         80
        .size:           4
        .value_kind:     by_value
      - .offset:         88
        .size:           8
        .value_kind:     by_value
      - .offset:         96
        .size:           4
        .value_kind:     by_value
      - .offset:         104
        .size:           4
        .value_kind:     hidden_block_count_x
      - .offset:         108
        .size:           4
        .value_kind:     hidden_block_count_y
      - .offset:         112
        .size:           4
        .value_kind:     hidden_block_count_z
      - .offset:         116
        .size:           2
        .value_kind:     hidden_group_size_x
      - .offset:         118
        .size:           2
        .value_kind:     hidden_group_size_y
      - .offset:         120
        .size:           2
        .value_kind:     hidden_group_size_z
      - .offset:         122
        .size:           2
        .value_kind:     hidden_remainder_x
      - .offset:         124
        .size:           2
        .value_kind:     hidden_remainder_y
      - .offset:         126
        .size:           2
        .value_kind:     hidden_remainder_z
      - .offset:         144
        .size:           8
        .value_kind:     hidden_global_offset_x
      - .offset:         152
        .size:           8
        .value_kind:     hidden_global_offset_y
      - .offset:         160
        .size:           8
        .value_kind:     hidden_global_offset_z
      - .offset:         168
        .size:           2
        .value_kind:     hidden_grid_dims
    .group_segment_fixed_size: 16384
    .kernarg_segment_align: 8
    .kernarg_segment_size: 360
    .language:       OpenCL C
    .language_version:
      - 2
      - 0
    .max_flat_workgroup_size: 32
    .name:           _ZL38rocblas_trsm_small_left_device_sharedBILi32ELi32ELb1E19rocblas_complex_numIfES1_PKPKS1_PKPS1_Ev13rocblas_fill_18rocblas_operation_17rocblas_diagonal_iiT3_T4_lilT5_lili
    .private_segment_fixed_size: 272
    .sgpr_count:     37
    .sgpr_spill_count: 0
    .symbol:         _ZL38rocblas_trsm_small_left_device_sharedBILi32ELi32ELb1E19rocblas_complex_numIfES1_PKPKS1_PKPS1_Ev13rocblas_fill_18rocblas_operation_17rocblas_diagonal_iiT3_T4_lilT5_lili.kd
    .uniform_work_group_size: 1
    .uses_dynamic_stack: false
    .vgpr_count:     29
    .vgpr_spill_count: 0
    .wavefront_size: 32
    .workgroup_processor_mode: 1
  - .args:
      - .offset:         0
        .size:           4
        .value_kind:     by_value
      - .offset:         4
        .size:           4
        .value_kind:     by_value
      - .offset:         8
        .size:           4
        .value_kind:     by_value
      - .offset:         12
        .size:           4
        .value_kind:     by_value
      - .offset:         16
        .size:           4
        .value_kind:     by_value
      - .offset:         20
        .size:           8
        .value_kind:     by_value
      - .address_space:  global
        .offset:         32
        .size:           8
        .value_kind:     global_buffer
      - .offset:         40
        .size:           8
        .value_kind:     by_value
      - .offset:         48
        .size:           4
        .value_kind:     by_value
      - .offset:         56
        .size:           8
        .value_kind:     by_value
      - .address_space:  global
        .offset:         64
        .size:           8
        .value_kind:     global_buffer
      - .offset:         72
        .size:           8
        .value_kind:     by_value
      - .offset:         80
        .size:           4
        .value_kind:     by_value
      - .offset:         88
        .size:           8
        .value_kind:     by_value
      - .offset:         96
        .size:           4
        .value_kind:     by_value
      - .offset:         104
        .size:           4
        .value_kind:     hidden_block_count_x
      - .offset:         108
        .size:           4
        .value_kind:     hidden_block_count_y
      - .offset:         112
        .size:           4
        .value_kind:     hidden_block_count_z
      - .offset:         116
        .size:           2
        .value_kind:     hidden_group_size_x
      - .offset:         118
        .size:           2
        .value_kind:     hidden_group_size_y
      - .offset:         120
        .size:           2
        .value_kind:     hidden_group_size_z
      - .offset:         122
        .size:           2
        .value_kind:     hidden_remainder_x
      - .offset:         124
        .size:           2
        .value_kind:     hidden_remainder_y
      - .offset:         126
        .size:           2
        .value_kind:     hidden_remainder_z
      - .offset:         144
        .size:           8
        .value_kind:     hidden_global_offset_x
      - .offset:         152
        .size:           8
        .value_kind:     hidden_global_offset_y
      - .offset:         160
        .size:           8
        .value_kind:     hidden_global_offset_z
      - .offset:         168
        .size:           2
        .value_kind:     hidden_grid_dims
    .group_segment_fixed_size: 8192
    .kernarg_segment_align: 8
    .kernarg_segment_size: 360
    .language:       OpenCL C
    .language_version:
      - 2
      - 0
    .max_flat_workgroup_size: 32
    .name:           _ZL30rocblas_trsm_small_left_deviceILi32ELi32ELb1E19rocblas_complex_numIfES1_PKPKS1_PKPS1_Ev13rocblas_fill_18rocblas_operation_17rocblas_diagonal_iiT3_T4_lilT5_lili
    .private_segment_fixed_size: 272
    .sgpr_count:     36
    .sgpr_spill_count: 0
    .symbol:         _ZL30rocblas_trsm_small_left_deviceILi32ELi32ELb1E19rocblas_complex_numIfES1_PKPKS1_PKPS1_Ev13rocblas_fill_18rocblas_operation_17rocblas_diagonal_iiT3_T4_lilT5_lili.kd
    .uniform_work_group_size: 1
    .uses_dynamic_stack: false
    .vgpr_count:     16
    .vgpr_spill_count: 0
    .wavefront_size: 32
    .workgroup_processor_mode: 1
  - .args:
      - .offset:         0
        .size:           4
        .value_kind:     by_value
      - .offset:         4
        .size:           4
        .value_kind:     by_value
      - .offset:         8
        .size:           4
        .value_kind:     by_value
      - .offset:         12
        .size:           4
        .value_kind:     by_value
      - .offset:         16
        .size:           4
        .value_kind:     by_value
      - .offset:         20
        .size:           8
        .value_kind:     by_value
      - .address_space:  global
        .offset:         32
        .size:           8
        .value_kind:     global_buffer
      - .offset:         40
        .size:           8
        .value_kind:     by_value
      - .offset:         48
        .size:           4
        .value_kind:     by_value
      - .offset:         56
        .size:           8
        .value_kind:     by_value
      - .address_space:  global
        .offset:         64
        .size:           8
        .value_kind:     global_buffer
      - .offset:         72
        .size:           8
        .value_kind:     by_value
      - .offset:         80
        .size:           4
        .value_kind:     by_value
      - .offset:         88
        .size:           8
        .value_kind:     by_value
      - .offset:         96
        .size:           4
        .value_kind:     by_value
      - .offset:         104
        .size:           4
        .value_kind:     hidden_block_count_x
      - .offset:         108
        .size:           4
        .value_kind:     hidden_block_count_y
      - .offset:         112
        .size:           4
        .value_kind:     hidden_block_count_z
      - .offset:         116
        .size:           2
        .value_kind:     hidden_group_size_x
      - .offset:         118
        .size:           2
        .value_kind:     hidden_group_size_y
      - .offset:         120
        .size:           2
        .value_kind:     hidden_group_size_z
      - .offset:         122
        .size:           2
        .value_kind:     hidden_remainder_x
      - .offset:         124
        .size:           2
        .value_kind:     hidden_remainder_y
      - .offset:         126
        .size:           2
        .value_kind:     hidden_remainder_z
      - .offset:         144
        .size:           8
        .value_kind:     hidden_global_offset_x
      - .offset:         152
        .size:           8
        .value_kind:     hidden_global_offset_y
      - .offset:         160
        .size:           8
        .value_kind:     hidden_global_offset_z
      - .offset:         168
        .size:           2
        .value_kind:     hidden_grid_dims
    .group_segment_fixed_size: 16384
    .kernarg_segment_align: 8
    .kernarg_segment_size: 360
    .language:       OpenCL C
    .language_version:
      - 2
      - 0
    .max_flat_workgroup_size: 32
    .name:           _ZL31rocblas_trsm_small_right_deviceI19rocblas_complex_numIfES1_PKPKS1_PKPS1_Li32EEv13rocblas_fill_18rocblas_operation_17rocblas_diagonal_iiT0_T1_lilT2_lili
    .private_segment_fixed_size: 0
    .sgpr_count:     38
    .sgpr_spill_count: 0
    .symbol:         _ZL31rocblas_trsm_small_right_deviceI19rocblas_complex_numIfES1_PKPKS1_PKPS1_Li32EEv13rocblas_fill_18rocblas_operation_17rocblas_diagonal_iiT0_T1_lilT2_lili.kd
    .uniform_work_group_size: 1
    .uses_dynamic_stack: false
    .vgpr_count:     46
    .vgpr_spill_count: 0
    .wavefront_size: 32
    .workgroup_processor_mode: 1
  - .args:
      - .offset:         0
        .size:           4
        .value_kind:     by_value
      - .offset:         4
        .size:           4
        .value_kind:     by_value
      - .offset:         8
        .size:           4
        .value_kind:     by_value
      - .offset:         12
        .size:           4
        .value_kind:     by_value
      - .offset:         16
        .size:           4
        .value_kind:     by_value
      - .offset:         20
        .size:           8
        .value_kind:     by_value
      - .address_space:  global
        .offset:         32
        .size:           8
        .value_kind:     global_buffer
      - .offset:         40
        .size:           8
        .value_kind:     by_value
      - .offset:         48
        .size:           4
        .value_kind:     by_value
      - .offset:         56
        .size:           8
        .value_kind:     by_value
      - .address_space:  global
        .offset:         64
        .size:           8
        .value_kind:     global_buffer
      - .offset:         72
        .size:           8
        .value_kind:     by_value
      - .offset:         80
        .size:           4
        .value_kind:     by_value
      - .offset:         88
        .size:           8
        .value_kind:     by_value
      - .offset:         96
        .size:           4
        .value_kind:     by_value
      - .offset:         104
        .size:           4
        .value_kind:     hidden_block_count_x
      - .offset:         108
        .size:           4
        .value_kind:     hidden_block_count_y
      - .offset:         112
        .size:           4
        .value_kind:     hidden_block_count_z
      - .offset:         116
        .size:           2
        .value_kind:     hidden_group_size_x
      - .offset:         118
        .size:           2
        .value_kind:     hidden_group_size_y
      - .offset:         120
        .size:           2
        .value_kind:     hidden_group_size_z
      - .offset:         122
        .size:           2
        .value_kind:     hidden_remainder_x
      - .offset:         124
        .size:           2
        .value_kind:     hidden_remainder_y
      - .offset:         126
        .size:           2
        .value_kind:     hidden_remainder_z
      - .offset:         144
        .size:           8
        .value_kind:     hidden_global_offset_x
      - .offset:         152
        .size:           8
        .value_kind:     hidden_global_offset_y
      - .offset:         160
        .size:           8
        .value_kind:     hidden_global_offset_z
      - .offset:         168
        .size:           2
        .value_kind:     hidden_grid_dims
    .group_segment_fixed_size: 65536
    .kernarg_segment_align: 8
    .kernarg_segment_size: 360
    .language:       OpenCL C
    .language_version:
      - 2
      - 0
    .max_flat_workgroup_size: 64
    .name:           _ZL38rocblas_trsm_small_left_device_sharedBILi64ELi32ELb0E19rocblas_complex_numIfES1_PKPKS1_PKPS1_Ev13rocblas_fill_18rocblas_operation_17rocblas_diagonal_iiT3_T4_lilT5_lili
    .private_segment_fixed_size: 272
    .sgpr_count:     37
    .sgpr_spill_count: 0
    .symbol:         _ZL38rocblas_trsm_small_left_device_sharedBILi64ELi32ELb0E19rocblas_complex_numIfES1_PKPKS1_PKPS1_Ev13rocblas_fill_18rocblas_operation_17rocblas_diagonal_iiT3_T4_lilT5_lili.kd
    .uniform_work_group_size: 1
    .uses_dynamic_stack: false
    .vgpr_count:     29
    .vgpr_spill_count: 0
    .wavefront_size: 32
    .workgroup_processor_mode: 1
  - .args:
      - .offset:         0
        .size:           4
        .value_kind:     by_value
      - .offset:         4
        .size:           4
        .value_kind:     by_value
      - .offset:         8
        .size:           4
        .value_kind:     by_value
      - .offset:         12
        .size:           4
        .value_kind:     by_value
      - .offset:         16
        .size:           4
        .value_kind:     by_value
      - .offset:         20
        .size:           8
        .value_kind:     by_value
      - .address_space:  global
        .offset:         32
        .size:           8
        .value_kind:     global_buffer
      - .offset:         40
        .size:           8
        .value_kind:     by_value
      - .offset:         48
        .size:           4
        .value_kind:     by_value
      - .offset:         56
        .size:           8
        .value_kind:     by_value
      - .address_space:  global
        .offset:         64
        .size:           8
        .value_kind:     global_buffer
      - .offset:         72
        .size:           8
        .value_kind:     by_value
      - .offset:         80
        .size:           4
        .value_kind:     by_value
      - .offset:         88
        .size:           8
        .value_kind:     by_value
      - .offset:         96
        .size:           4
        .value_kind:     by_value
      - .offset:         104
        .size:           4
        .value_kind:     hidden_block_count_x
      - .offset:         108
        .size:           4
        .value_kind:     hidden_block_count_y
      - .offset:         112
        .size:           4
        .value_kind:     hidden_block_count_z
      - .offset:         116
        .size:           2
        .value_kind:     hidden_group_size_x
      - .offset:         118
        .size:           2
        .value_kind:     hidden_group_size_y
      - .offset:         120
        .size:           2
        .value_kind:     hidden_group_size_z
      - .offset:         122
        .size:           2
        .value_kind:     hidden_remainder_x
      - .offset:         124
        .size:           2
        .value_kind:     hidden_remainder_y
      - .offset:         126
        .size:           2
        .value_kind:     hidden_remainder_z
      - .offset:         144
        .size:           8
        .value_kind:     hidden_global_offset_x
      - .offset:         152
        .size:           8
        .value_kind:     hidden_global_offset_y
      - .offset:         160
        .size:           8
        .value_kind:     hidden_global_offset_z
      - .offset:         168
        .size:           2
        .value_kind:     hidden_grid_dims
    .group_segment_fixed_size: 32768
    .kernarg_segment_align: 8
    .kernarg_segment_size: 360
    .language:       OpenCL C
    .language_version:
      - 2
      - 0
    .max_flat_workgroup_size: 64
    .name:           _ZL30rocblas_trsm_small_left_deviceILi64ELi32ELb0E19rocblas_complex_numIfES1_PKPKS1_PKPS1_Ev13rocblas_fill_18rocblas_operation_17rocblas_diagonal_iiT3_T4_lilT5_lili
    .private_segment_fixed_size: 272
    .sgpr_count:     36
    .sgpr_spill_count: 0
    .symbol:         _ZL30rocblas_trsm_small_left_deviceILi64ELi32ELb0E19rocblas_complex_numIfES1_PKPKS1_PKPS1_Ev13rocblas_fill_18rocblas_operation_17rocblas_diagonal_iiT3_T4_lilT5_lili.kd
    .uniform_work_group_size: 1
    .uses_dynamic_stack: false
    .vgpr_count:     18
    .vgpr_spill_count: 0
    .wavefront_size: 32
    .workgroup_processor_mode: 1
  - .args:
      - .offset:         0
        .size:           4
        .value_kind:     by_value
      - .offset:         4
        .size:           4
        .value_kind:     by_value
      - .offset:         8
        .size:           4
        .value_kind:     by_value
      - .offset:         12
        .size:           4
        .value_kind:     by_value
      - .offset:         16
        .size:           4
        .value_kind:     by_value
      - .offset:         20
        .size:           8
        .value_kind:     by_value
      - .address_space:  global
        .offset:         32
        .size:           8
        .value_kind:     global_buffer
      - .offset:         40
        .size:           8
        .value_kind:     by_value
      - .offset:         48
        .size:           4
        .value_kind:     by_value
      - .offset:         56
        .size:           8
        .value_kind:     by_value
      - .address_space:  global
        .offset:         64
        .size:           8
        .value_kind:     global_buffer
      - .offset:         72
        .size:           8
        .value_kind:     by_value
      - .offset:         80
        .size:           4
        .value_kind:     by_value
      - .offset:         88
        .size:           8
        .value_kind:     by_value
      - .offset:         96
        .size:           4
        .value_kind:     by_value
      - .offset:         104
        .size:           4
        .value_kind:     hidden_block_count_x
      - .offset:         108
        .size:           4
        .value_kind:     hidden_block_count_y
      - .offset:         112
        .size:           4
        .value_kind:     hidden_block_count_z
      - .offset:         116
        .size:           2
        .value_kind:     hidden_group_size_x
      - .offset:         118
        .size:           2
        .value_kind:     hidden_group_size_y
      - .offset:         120
        .size:           2
        .value_kind:     hidden_group_size_z
      - .offset:         122
        .size:           2
        .value_kind:     hidden_remainder_x
      - .offset:         124
        .size:           2
        .value_kind:     hidden_remainder_y
      - .offset:         126
        .size:           2
        .value_kind:     hidden_remainder_z
      - .offset:         144
        .size:           8
        .value_kind:     hidden_global_offset_x
      - .offset:         152
        .size:           8
        .value_kind:     hidden_global_offset_y
      - .offset:         160
        .size:           8
        .value_kind:     hidden_global_offset_z
      - .offset:         168
        .size:           2
        .value_kind:     hidden_grid_dims
    .group_segment_fixed_size: 65536
    .kernarg_segment_align: 8
    .kernarg_segment_size: 360
    .language:       OpenCL C
    .language_version:
      - 2
      - 0
    .max_flat_workgroup_size: 64
    .name:           _ZL38rocblas_trsm_small_left_device_sharedBILi64ELi32ELb1E19rocblas_complex_numIfES1_PKPKS1_PKPS1_Ev13rocblas_fill_18rocblas_operation_17rocblas_diagonal_iiT3_T4_lilT5_lili
    .private_segment_fixed_size: 272
    .sgpr_count:     37
    .sgpr_spill_count: 0
    .symbol:         _ZL38rocblas_trsm_small_left_device_sharedBILi64ELi32ELb1E19rocblas_complex_numIfES1_PKPKS1_PKPS1_Ev13rocblas_fill_18rocblas_operation_17rocblas_diagonal_iiT3_T4_lilT5_lili.kd
    .uniform_work_group_size: 1
    .uses_dynamic_stack: false
    .vgpr_count:     29
    .vgpr_spill_count: 0
    .wavefront_size: 32
    .workgroup_processor_mode: 1
  - .args:
      - .offset:         0
        .size:           4
        .value_kind:     by_value
      - .offset:         4
        .size:           4
        .value_kind:     by_value
      - .offset:         8
        .size:           4
        .value_kind:     by_value
      - .offset:         12
        .size:           4
        .value_kind:     by_value
      - .offset:         16
        .size:           4
        .value_kind:     by_value
      - .offset:         20
        .size:           8
        .value_kind:     by_value
      - .address_space:  global
        .offset:         32
        .size:           8
        .value_kind:     global_buffer
      - .offset:         40
        .size:           8
        .value_kind:     by_value
      - .offset:         48
        .size:           4
        .value_kind:     by_value
      - .offset:         56
        .size:           8
        .value_kind:     by_value
      - .address_space:  global
        .offset:         64
        .size:           8
        .value_kind:     global_buffer
      - .offset:         72
        .size:           8
        .value_kind:     by_value
      - .offset:         80
        .size:           4
        .value_kind:     by_value
      - .offset:         88
        .size:           8
        .value_kind:     by_value
      - .offset:         96
        .size:           4
        .value_kind:     by_value
      - .offset:         104
        .size:           4
        .value_kind:     hidden_block_count_x
      - .offset:         108
        .size:           4
        .value_kind:     hidden_block_count_y
      - .offset:         112
        .size:           4
        .value_kind:     hidden_block_count_z
      - .offset:         116
        .size:           2
        .value_kind:     hidden_group_size_x
      - .offset:         118
        .size:           2
        .value_kind:     hidden_group_size_y
      - .offset:         120
        .size:           2
        .value_kind:     hidden_group_size_z
      - .offset:         122
        .size:           2
        .value_kind:     hidden_remainder_x
      - .offset:         124
        .size:           2
        .value_kind:     hidden_remainder_y
      - .offset:         126
        .size:           2
        .value_kind:     hidden_remainder_z
      - .offset:         144
        .size:           8
        .value_kind:     hidden_global_offset_x
      - .offset:         152
        .size:           8
        .value_kind:     hidden_global_offset_y
      - .offset:         160
        .size:           8
        .value_kind:     hidden_global_offset_z
      - .offset:         168
        .size:           2
        .value_kind:     hidden_grid_dims
    .group_segment_fixed_size: 32768
    .kernarg_segment_align: 8
    .kernarg_segment_size: 360
    .language:       OpenCL C
    .language_version:
      - 2
      - 0
    .max_flat_workgroup_size: 64
    .name:           _ZL30rocblas_trsm_small_left_deviceILi64ELi32ELb1E19rocblas_complex_numIfES1_PKPKS1_PKPS1_Ev13rocblas_fill_18rocblas_operation_17rocblas_diagonal_iiT3_T4_lilT5_lili
    .private_segment_fixed_size: 272
    .sgpr_count:     36
    .sgpr_spill_count: 0
    .symbol:         _ZL30rocblas_trsm_small_left_deviceILi64ELi32ELb1E19rocblas_complex_numIfES1_PKPKS1_PKPS1_Ev13rocblas_fill_18rocblas_operation_17rocblas_diagonal_iiT3_T4_lilT5_lili.kd
    .uniform_work_group_size: 1
    .uses_dynamic_stack: false
    .vgpr_count:     16
    .vgpr_spill_count: 0
    .wavefront_size: 32
    .workgroup_processor_mode: 1
  - .args:
      - .offset:         0
        .size:           4
        .value_kind:     by_value
      - .offset:         4
        .size:           4
        .value_kind:     by_value
      - .offset:         8
        .size:           4
        .value_kind:     by_value
      - .offset:         12
        .size:           4
        .value_kind:     by_value
      - .offset:         16
        .size:           4
        .value_kind:     by_value
      - .offset:         20
        .size:           8
        .value_kind:     by_value
      - .address_space:  global
        .offset:         32
        .size:           8
        .value_kind:     global_buffer
      - .offset:         40
        .size:           8
        .value_kind:     by_value
      - .offset:         48
        .size:           4
        .value_kind:     by_value
      - .offset:         56
        .size:           8
        .value_kind:     by_value
      - .address_space:  global
        .offset:         64
        .size:           8
        .value_kind:     global_buffer
      - .offset:         72
        .size:           8
        .value_kind:     by_value
      - .offset:         80
        .size:           4
        .value_kind:     by_value
      - .offset:         88
        .size:           8
        .value_kind:     by_value
      - .offset:         96
        .size:           4
        .value_kind:     by_value
      - .offset:         104
        .size:           4
        .value_kind:     hidden_block_count_x
      - .offset:         108
        .size:           4
        .value_kind:     hidden_block_count_y
      - .offset:         112
        .size:           4
        .value_kind:     hidden_block_count_z
      - .offset:         116
        .size:           2
        .value_kind:     hidden_group_size_x
      - .offset:         118
        .size:           2
        .value_kind:     hidden_group_size_y
      - .offset:         120
        .size:           2
        .value_kind:     hidden_group_size_z
      - .offset:         122
        .size:           2
        .value_kind:     hidden_remainder_x
      - .offset:         124
        .size:           2
        .value_kind:     hidden_remainder_y
      - .offset:         126
        .size:           2
        .value_kind:     hidden_remainder_z
      - .offset:         144
        .size:           8
        .value_kind:     hidden_global_offset_x
      - .offset:         152
        .size:           8
        .value_kind:     hidden_global_offset_y
      - .offset:         160
        .size:           8
        .value_kind:     hidden_global_offset_z
      - .offset:         168
        .size:           2
        .value_kind:     hidden_grid_dims
    .group_segment_fixed_size: 65536
    .kernarg_segment_align: 8
    .kernarg_segment_size: 360
    .language:       OpenCL C
    .language_version:
      - 2
      - 0
    .max_flat_workgroup_size: 64
    .name:           _ZL31rocblas_trsm_small_right_deviceI19rocblas_complex_numIfES1_PKPKS1_PKPS1_Li64EEv13rocblas_fill_18rocblas_operation_17rocblas_diagonal_iiT0_T1_lilT2_lili
    .private_segment_fixed_size: 0
    .sgpr_count:     38
    .sgpr_spill_count: 0
    .symbol:         _ZL31rocblas_trsm_small_right_deviceI19rocblas_complex_numIfES1_PKPKS1_PKPS1_Li64EEv13rocblas_fill_18rocblas_operation_17rocblas_diagonal_iiT0_T1_lilT2_lili.kd
    .uniform_work_group_size: 1
    .uses_dynamic_stack: false
    .vgpr_count:     46
    .vgpr_spill_count: 0
    .wavefront_size: 32
    .workgroup_processor_mode: 1
  - .args:
      - .offset:         0
        .size:           4
        .value_kind:     by_value
      - .offset:         8
        .size:           8
        .value_kind:     by_value
      - .offset:         16
        .size:           8
        .value_kind:     by_value
      - .offset:         24
        .size:           8
        .value_kind:     by_value
      - .address_space:  global
        .offset:         32
        .size:           8
        .value_kind:     global_buffer
      - .offset:         40
        .size:           8
        .value_kind:     by_value
      - .offset:         48
        .size:           8
        .value_kind:     by_value
      - .offset:         56
        .size:           8
        .value_kind:     by_value
      - .address_space:  global
        .offset:         64
        .size:           8
        .value_kind:     global_buffer
      - .offset:         72
        .size:           8
        .value_kind:     by_value
      - .offset:         80
        .size:           8
        .value_kind:     by_value
      - .offset:         88
        .size:           8
        .value_kind:     by_value
      - .offset:         96
        .size:           4
        .value_kind:     by_value
      - .offset:         100
        .size:           1
        .value_kind:     by_value
      - .offset:         104
        .size:           4
        .value_kind:     hidden_block_count_x
      - .offset:         108
        .size:           4
        .value_kind:     hidden_block_count_y
      - .offset:         112
        .size:           4
        .value_kind:     hidden_block_count_z
      - .offset:         116
        .size:           2
        .value_kind:     hidden_group_size_x
      - .offset:         118
        .size:           2
        .value_kind:     hidden_group_size_y
      - .offset:         120
        .size:           2
        .value_kind:     hidden_group_size_z
      - .offset:         122
        .size:           2
        .value_kind:     hidden_remainder_x
      - .offset:         124
        .size:           2
        .value_kind:     hidden_remainder_y
      - .offset:         126
        .size:           2
        .value_kind:     hidden_remainder_z
      - .offset:         144
        .size:           8
        .value_kind:     hidden_global_offset_x
      - .offset:         152
        .size:           8
        .value_kind:     hidden_global_offset_y
      - .offset:         160
        .size:           8
        .value_kind:     hidden_global_offset_z
      - .offset:         168
        .size:           2
        .value_kind:     hidden_grid_dims
      - .offset:         224
        .size:           4
        .value_kind:     hidden_dynamic_lds_size
    .group_segment_fixed_size: 0
    .kernarg_segment_align: 8
    .kernarg_segment_size: 360
    .language:       OpenCL C
    .language_version:
      - 2
      - 0
    .max_flat_workgroup_size: 1024
    .name:           _ZL39rocblas_trsm_block_forward_substitutionI19rocblas_complex_numIfES1_PKPKS1_PKPS1_Lb0ELb0ELb0EEv18rocblas_operation_llT0_T1_lllT2_lllib
    .private_segment_fixed_size: 0
    .sgpr_count:     29
    .sgpr_spill_count: 0
    .symbol:         _ZL39rocblas_trsm_block_forward_substitutionI19rocblas_complex_numIfES1_PKPKS1_PKPS1_Lb0ELb0ELb0EEv18rocblas_operation_llT0_T1_lllT2_lllib.kd
    .uniform_work_group_size: 1
    .uses_dynamic_stack: false
    .vgpr_count:     18
    .vgpr_spill_count: 0
    .wavefront_size: 32
    .workgroup_processor_mode: 1
  - .args:
      - .offset:         0
        .size:           4
        .value_kind:     by_value
      - .offset:         8
        .size:           8
        .value_kind:     by_value
      - .offset:         16
        .size:           8
        .value_kind:     by_value
      - .offset:         24
        .size:           8
        .value_kind:     by_value
      - .address_space:  global
        .offset:         32
        .size:           8
        .value_kind:     global_buffer
      - .offset:         40
        .size:           8
        .value_kind:     by_value
      - .offset:         48
        .size:           8
        .value_kind:     by_value
      - .offset:         56
        .size:           8
        .value_kind:     by_value
      - .address_space:  global
        .offset:         64
        .size:           8
        .value_kind:     global_buffer
      - .offset:         72
        .size:           8
        .value_kind:     by_value
      - .offset:         80
        .size:           8
        .value_kind:     by_value
      - .offset:         88
        .size:           8
        .value_kind:     by_value
      - .offset:         96
        .size:           4
        .value_kind:     by_value
      - .offset:         100
        .size:           1
        .value_kind:     by_value
      - .offset:         104
        .size:           4
        .value_kind:     hidden_block_count_x
      - .offset:         108
        .size:           4
        .value_kind:     hidden_block_count_y
      - .offset:         112
        .size:           4
        .value_kind:     hidden_block_count_z
      - .offset:         116
        .size:           2
        .value_kind:     hidden_group_size_x
      - .offset:         118
        .size:           2
        .value_kind:     hidden_group_size_y
      - .offset:         120
        .size:           2
        .value_kind:     hidden_group_size_z
      - .offset:         122
        .size:           2
        .value_kind:     hidden_remainder_x
      - .offset:         124
        .size:           2
        .value_kind:     hidden_remainder_y
      - .offset:         126
        .size:           2
        .value_kind:     hidden_remainder_z
      - .offset:         144
        .size:           8
        .value_kind:     hidden_global_offset_x
      - .offset:         152
        .size:           8
        .value_kind:     hidden_global_offset_y
      - .offset:         160
        .size:           8
        .value_kind:     hidden_global_offset_z
      - .offset:         168
        .size:           2
        .value_kind:     hidden_grid_dims
      - .offset:         224
        .size:           4
        .value_kind:     hidden_dynamic_lds_size
    .group_segment_fixed_size: 0
    .kernarg_segment_align: 8
    .kernarg_segment_size: 360
    .language:       OpenCL C
    .language_version:
      - 2
      - 0
    .max_flat_workgroup_size: 1024
    .name:           _ZL40rocblas_trsm_block_backward_substitutionI19rocblas_complex_numIfES1_PKPKS1_PKPS1_Lb0ELb0ELb0EEv18rocblas_operation_llT0_T1_lllT2_lllib
    .private_segment_fixed_size: 0
    .sgpr_count:     32
    .sgpr_spill_count: 0
    .symbol:         _ZL40rocblas_trsm_block_backward_substitutionI19rocblas_complex_numIfES1_PKPKS1_PKPS1_Lb0ELb0ELb0EEv18rocblas_operation_llT0_T1_lllT2_lllib.kd
    .uniform_work_group_size: 1
    .uses_dynamic_stack: false
    .vgpr_count:     18
    .vgpr_spill_count: 0
    .wavefront_size: 32
    .workgroup_processor_mode: 1
  - .args:
      - .offset:         0
        .size:           4
        .value_kind:     by_value
      - .offset:         8
        .size:           8
        .value_kind:     by_value
      - .offset:         16
        .size:           8
        .value_kind:     by_value
      - .offset:         24
        .size:           8
        .value_kind:     by_value
      - .address_space:  global
        .offset:         32
        .size:           8
        .value_kind:     global_buffer
      - .offset:         40
        .size:           8
        .value_kind:     by_value
      - .offset:         48
        .size:           8
        .value_kind:     by_value
      - .offset:         56
        .size:           8
        .value_kind:     by_value
      - .address_space:  global
        .offset:         64
        .size:           8
        .value_kind:     global_buffer
      - .offset:         72
        .size:           8
        .value_kind:     by_value
      - .offset:         80
        .size:           8
        .value_kind:     by_value
      - .offset:         88
        .size:           8
        .value_kind:     by_value
      - .offset:         96
        .size:           4
        .value_kind:     by_value
      - .offset:         100
        .size:           1
        .value_kind:     by_value
      - .offset:         104
        .size:           4
        .value_kind:     hidden_block_count_x
      - .offset:         108
        .size:           4
        .value_kind:     hidden_block_count_y
      - .offset:         112
        .size:           4
        .value_kind:     hidden_block_count_z
      - .offset:         116
        .size:           2
        .value_kind:     hidden_group_size_x
      - .offset:         118
        .size:           2
        .value_kind:     hidden_group_size_y
      - .offset:         120
        .size:           2
        .value_kind:     hidden_group_size_z
      - .offset:         122
        .size:           2
        .value_kind:     hidden_remainder_x
      - .offset:         124
        .size:           2
        .value_kind:     hidden_remainder_y
      - .offset:         126
        .size:           2
        .value_kind:     hidden_remainder_z
      - .offset:         144
        .size:           8
        .value_kind:     hidden_global_offset_x
      - .offset:         152
        .size:           8
        .value_kind:     hidden_global_offset_y
      - .offset:         160
        .size:           8
        .value_kind:     hidden_global_offset_z
      - .offset:         168
        .size:           2
        .value_kind:     hidden_grid_dims
      - .offset:         224
        .size:           4
        .value_kind:     hidden_dynamic_lds_size
    .group_segment_fixed_size: 0
    .kernarg_segment_align: 8
    .kernarg_segment_size: 360
    .language:       OpenCL C
    .language_version:
      - 2
      - 0
    .max_flat_workgroup_size: 1024
    .name:           _ZL39rocblas_trsm_block_forward_substitutionI19rocblas_complex_numIfES1_PKPKS1_PKPS1_Lb0ELb0ELb1EEv18rocblas_operation_llT0_T1_lllT2_lllib
    .private_segment_fixed_size: 0
    .sgpr_count:     28
    .sgpr_spill_count: 0
    .symbol:         _ZL39rocblas_trsm_block_forward_substitutionI19rocblas_complex_numIfES1_PKPKS1_PKPS1_Lb0ELb0ELb1EEv18rocblas_operation_llT0_T1_lllT2_lllib.kd
    .uniform_work_group_size: 1
    .uses_dynamic_stack: false
    .vgpr_count:     14
    .vgpr_spill_count: 0
    .wavefront_size: 32
    .workgroup_processor_mode: 1
  - .args:
      - .offset:         0
        .size:           4
        .value_kind:     by_value
      - .offset:         8
        .size:           8
        .value_kind:     by_value
      - .offset:         16
        .size:           8
        .value_kind:     by_value
      - .offset:         24
        .size:           8
        .value_kind:     by_value
      - .address_space:  global
        .offset:         32
        .size:           8
        .value_kind:     global_buffer
      - .offset:         40
        .size:           8
        .value_kind:     by_value
      - .offset:         48
        .size:           8
        .value_kind:     by_value
      - .offset:         56
        .size:           8
        .value_kind:     by_value
      - .address_space:  global
        .offset:         64
        .size:           8
        .value_kind:     global_buffer
      - .offset:         72
        .size:           8
        .value_kind:     by_value
      - .offset:         80
        .size:           8
        .value_kind:     by_value
      - .offset:         88
        .size:           8
        .value_kind:     by_value
      - .offset:         96
        .size:           4
        .value_kind:     by_value
      - .offset:         100
        .size:           1
        .value_kind:     by_value
      - .offset:         104
        .size:           4
        .value_kind:     hidden_block_count_x
      - .offset:         108
        .size:           4
        .value_kind:     hidden_block_count_y
      - .offset:         112
        .size:           4
        .value_kind:     hidden_block_count_z
      - .offset:         116
        .size:           2
        .value_kind:     hidden_group_size_x
      - .offset:         118
        .size:           2
        .value_kind:     hidden_group_size_y
      - .offset:         120
        .size:           2
        .value_kind:     hidden_group_size_z
      - .offset:         122
        .size:           2
        .value_kind:     hidden_remainder_x
      - .offset:         124
        .size:           2
        .value_kind:     hidden_remainder_y
      - .offset:         126
        .size:           2
        .value_kind:     hidden_remainder_z
      - .offset:         144
        .size:           8
        .value_kind:     hidden_global_offset_x
      - .offset:         152
        .size:           8
        .value_kind:     hidden_global_offset_y
      - .offset:         160
        .size:           8
        .value_kind:     hidden_global_offset_z
      - .offset:         168
        .size:           2
        .value_kind:     hidden_grid_dims
      - .offset:         224
        .size:           4
        .value_kind:     hidden_dynamic_lds_size
    .group_segment_fixed_size: 0
    .kernarg_segment_align: 8
    .kernarg_segment_size: 360
    .language:       OpenCL C
    .language_version:
      - 2
      - 0
    .max_flat_workgroup_size: 1024
    .name:           _ZL40rocblas_trsm_block_backward_substitutionI19rocblas_complex_numIfES1_PKPKS1_PKPS1_Lb0ELb0ELb1EEv18rocblas_operation_llT0_T1_lllT2_lllib
    .private_segment_fixed_size: 0
    .sgpr_count:     30
    .sgpr_spill_count: 0
    .symbol:         _ZL40rocblas_trsm_block_backward_substitutionI19rocblas_complex_numIfES1_PKPKS1_PKPS1_Lb0ELb0ELb1EEv18rocblas_operation_llT0_T1_lllT2_lllib.kd
    .uniform_work_group_size: 1
    .uses_dynamic_stack: false
    .vgpr_count:     14
    .vgpr_spill_count: 0
    .wavefront_size: 32
    .workgroup_processor_mode: 1
  - .args:
      - .offset:         0
        .size:           4
        .value_kind:     by_value
      - .offset:         8
        .size:           8
        .value_kind:     by_value
      - .offset:         16
        .size:           8
        .value_kind:     by_value
      - .offset:         24
        .size:           8
        .value_kind:     by_value
      - .address_space:  global
        .offset:         32
        .size:           8
        .value_kind:     global_buffer
      - .offset:         40
        .size:           8
        .value_kind:     by_value
      - .offset:         48
        .size:           8
        .value_kind:     by_value
      - .offset:         56
        .size:           8
        .value_kind:     by_value
      - .address_space:  global
        .offset:         64
        .size:           8
        .value_kind:     global_buffer
      - .offset:         72
        .size:           8
        .value_kind:     by_value
      - .offset:         80
        .size:           8
        .value_kind:     by_value
      - .offset:         88
        .size:           8
        .value_kind:     by_value
      - .offset:         96
        .size:           4
        .value_kind:     by_value
      - .offset:         100
        .size:           1
        .value_kind:     by_value
      - .offset:         104
        .size:           4
        .value_kind:     hidden_block_count_x
      - .offset:         108
        .size:           4
        .value_kind:     hidden_block_count_y
      - .offset:         112
        .size:           4
        .value_kind:     hidden_block_count_z
      - .offset:         116
        .size:           2
        .value_kind:     hidden_group_size_x
      - .offset:         118
        .size:           2
        .value_kind:     hidden_group_size_y
      - .offset:         120
        .size:           2
        .value_kind:     hidden_group_size_z
      - .offset:         122
        .size:           2
        .value_kind:     hidden_remainder_x
      - .offset:         124
        .size:           2
        .value_kind:     hidden_remainder_y
      - .offset:         126
        .size:           2
        .value_kind:     hidden_remainder_z
      - .offset:         144
        .size:           8
        .value_kind:     hidden_global_offset_x
      - .offset:         152
        .size:           8
        .value_kind:     hidden_global_offset_y
      - .offset:         160
        .size:           8
        .value_kind:     hidden_global_offset_z
      - .offset:         168
        .size:           2
        .value_kind:     hidden_grid_dims
      - .offset:         224
        .size:           4
        .value_kind:     hidden_dynamic_lds_size
    .group_segment_fixed_size: 0
    .kernarg_segment_align: 8
    .kernarg_segment_size: 360
    .language:       OpenCL C
    .language_version:
      - 2
      - 0
    .max_flat_workgroup_size: 1024
    .name:           _ZL39rocblas_trsm_block_forward_substitutionI19rocblas_complex_numIfES1_PKPKS1_PKPS1_Lb0ELb1ELb0EEv18rocblas_operation_llT0_T1_lllT2_lllib
    .private_segment_fixed_size: 0
    .sgpr_count:     29
    .sgpr_spill_count: 0
    .symbol:         _ZL39rocblas_trsm_block_forward_substitutionI19rocblas_complex_numIfES1_PKPKS1_PKPS1_Lb0ELb1ELb0EEv18rocblas_operation_llT0_T1_lllT2_lllib.kd
    .uniform_work_group_size: 1
    .uses_dynamic_stack: false
    .vgpr_count:     18
    .vgpr_spill_count: 0
    .wavefront_size: 32
    .workgroup_processor_mode: 1
  - .args:
      - .offset:         0
        .size:           4
        .value_kind:     by_value
      - .offset:         8
        .size:           8
        .value_kind:     by_value
      - .offset:         16
        .size:           8
        .value_kind:     by_value
      - .offset:         24
        .size:           8
        .value_kind:     by_value
      - .address_space:  global
        .offset:         32
        .size:           8
        .value_kind:     global_buffer
      - .offset:         40
        .size:           8
        .value_kind:     by_value
      - .offset:         48
        .size:           8
        .value_kind:     by_value
      - .offset:         56
        .size:           8
        .value_kind:     by_value
      - .address_space:  global
        .offset:         64
        .size:           8
        .value_kind:     global_buffer
      - .offset:         72
        .size:           8
        .value_kind:     by_value
      - .offset:         80
        .size:           8
        .value_kind:     by_value
      - .offset:         88
        .size:           8
        .value_kind:     by_value
      - .offset:         96
        .size:           4
        .value_kind:     by_value
      - .offset:         100
        .size:           1
        .value_kind:     by_value
      - .offset:         104
        .size:           4
        .value_kind:     hidden_block_count_x
      - .offset:         108
        .size:           4
        .value_kind:     hidden_block_count_y
      - .offset:         112
        .size:           4
        .value_kind:     hidden_block_count_z
      - .offset:         116
        .size:           2
        .value_kind:     hidden_group_size_x
      - .offset:         118
        .size:           2
        .value_kind:     hidden_group_size_y
      - .offset:         120
        .size:           2
        .value_kind:     hidden_group_size_z
      - .offset:         122
        .size:           2
        .value_kind:     hidden_remainder_x
      - .offset:         124
        .size:           2
        .value_kind:     hidden_remainder_y
      - .offset:         126
        .size:           2
        .value_kind:     hidden_remainder_z
      - .offset:         144
        .size:           8
        .value_kind:     hidden_global_offset_x
      - .offset:         152
        .size:           8
        .value_kind:     hidden_global_offset_y
      - .offset:         160
        .size:           8
        .value_kind:     hidden_global_offset_z
      - .offset:         168
        .size:           2
        .value_kind:     hidden_grid_dims
      - .offset:         224
        .size:           4
        .value_kind:     hidden_dynamic_lds_size
    .group_segment_fixed_size: 0
    .kernarg_segment_align: 8
    .kernarg_segment_size: 360
    .language:       OpenCL C
    .language_version:
      - 2
      - 0
    .max_flat_workgroup_size: 1024
    .name:           _ZL40rocblas_trsm_block_backward_substitutionI19rocblas_complex_numIfES1_PKPKS1_PKPS1_Lb0ELb1ELb0EEv18rocblas_operation_llT0_T1_lllT2_lllib
    .private_segment_fixed_size: 0
    .sgpr_count:     32
    .sgpr_spill_count: 0
    .symbol:         _ZL40rocblas_trsm_block_backward_substitutionI19rocblas_complex_numIfES1_PKPKS1_PKPS1_Lb0ELb1ELb0EEv18rocblas_operation_llT0_T1_lllT2_lllib.kd
    .uniform_work_group_size: 1
    .uses_dynamic_stack: false
    .vgpr_count:     18
    .vgpr_spill_count: 0
    .wavefront_size: 32
    .workgroup_processor_mode: 1
  - .args:
      - .offset:         0
        .size:           4
        .value_kind:     by_value
      - .offset:         8
        .size:           8
        .value_kind:     by_value
      - .offset:         16
        .size:           8
        .value_kind:     by_value
      - .offset:         24
        .size:           8
        .value_kind:     by_value
      - .address_space:  global
        .offset:         32
        .size:           8
        .value_kind:     global_buffer
      - .offset:         40
        .size:           8
        .value_kind:     by_value
      - .offset:         48
        .size:           8
        .value_kind:     by_value
      - .offset:         56
        .size:           8
        .value_kind:     by_value
      - .address_space:  global
        .offset:         64
        .size:           8
        .value_kind:     global_buffer
      - .offset:         72
        .size:           8
        .value_kind:     by_value
      - .offset:         80
        .size:           8
        .value_kind:     by_value
      - .offset:         88
        .size:           8
        .value_kind:     by_value
      - .offset:         96
        .size:           4
        .value_kind:     by_value
      - .offset:         100
        .size:           1
        .value_kind:     by_value
      - .offset:         104
        .size:           4
        .value_kind:     hidden_block_count_x
      - .offset:         108
        .size:           4
        .value_kind:     hidden_block_count_y
      - .offset:         112
        .size:           4
        .value_kind:     hidden_block_count_z
      - .offset:         116
        .size:           2
        .value_kind:     hidden_group_size_x
      - .offset:         118
        .size:           2
        .value_kind:     hidden_group_size_y
      - .offset:         120
        .size:           2
        .value_kind:     hidden_group_size_z
      - .offset:         122
        .size:           2
        .value_kind:     hidden_remainder_x
      - .offset:         124
        .size:           2
        .value_kind:     hidden_remainder_y
      - .offset:         126
        .size:           2
        .value_kind:     hidden_remainder_z
      - .offset:         144
        .size:           8
        .value_kind:     hidden_global_offset_x
      - .offset:         152
        .size:           8
        .value_kind:     hidden_global_offset_y
      - .offset:         160
        .size:           8
        .value_kind:     hidden_global_offset_z
      - .offset:         168
        .size:           2
        .value_kind:     hidden_grid_dims
      - .offset:         224
        .size:           4
        .value_kind:     hidden_dynamic_lds_size
    .group_segment_fixed_size: 0
    .kernarg_segment_align: 8
    .kernarg_segment_size: 360
    .language:       OpenCL C
    .language_version:
      - 2
      - 0
    .max_flat_workgroup_size: 1024
    .name:           _ZL39rocblas_trsm_block_forward_substitutionI19rocblas_complex_numIfES1_PKPKS1_PKPS1_Lb0ELb1ELb1EEv18rocblas_operation_llT0_T1_lllT2_lllib
    .private_segment_fixed_size: 0
    .sgpr_count:     28
    .sgpr_spill_count: 0
    .symbol:         _ZL39rocblas_trsm_block_forward_substitutionI19rocblas_complex_numIfES1_PKPKS1_PKPS1_Lb0ELb1ELb1EEv18rocblas_operation_llT0_T1_lllT2_lllib.kd
    .uniform_work_group_size: 1
    .uses_dynamic_stack: false
    .vgpr_count:     14
    .vgpr_spill_count: 0
    .wavefront_size: 32
    .workgroup_processor_mode: 1
  - .args:
      - .offset:         0
        .size:           4
        .value_kind:     by_value
      - .offset:         8
        .size:           8
        .value_kind:     by_value
      - .offset:         16
        .size:           8
        .value_kind:     by_value
      - .offset:         24
        .size:           8
        .value_kind:     by_value
      - .address_space:  global
        .offset:         32
        .size:           8
        .value_kind:     global_buffer
      - .offset:         40
        .size:           8
        .value_kind:     by_value
      - .offset:         48
        .size:           8
        .value_kind:     by_value
      - .offset:         56
        .size:           8
        .value_kind:     by_value
      - .address_space:  global
        .offset:         64
        .size:           8
        .value_kind:     global_buffer
      - .offset:         72
        .size:           8
        .value_kind:     by_value
      - .offset:         80
        .size:           8
        .value_kind:     by_value
      - .offset:         88
        .size:           8
        .value_kind:     by_value
      - .offset:         96
        .size:           4
        .value_kind:     by_value
      - .offset:         100
        .size:           1
        .value_kind:     by_value
      - .offset:         104
        .size:           4
        .value_kind:     hidden_block_count_x
      - .offset:         108
        .size:           4
        .value_kind:     hidden_block_count_y
      - .offset:         112
        .size:           4
        .value_kind:     hidden_block_count_z
      - .offset:         116
        .size:           2
        .value_kind:     hidden_group_size_x
      - .offset:         118
        .size:           2
        .value_kind:     hidden_group_size_y
      - .offset:         120
        .size:           2
        .value_kind:     hidden_group_size_z
      - .offset:         122
        .size:           2
        .value_kind:     hidden_remainder_x
      - .offset:         124
        .size:           2
        .value_kind:     hidden_remainder_y
      - .offset:         126
        .size:           2
        .value_kind:     hidden_remainder_z
      - .offset:         144
        .size:           8
        .value_kind:     hidden_global_offset_x
      - .offset:         152
        .size:           8
        .value_kind:     hidden_global_offset_y
      - .offset:         160
        .size:           8
        .value_kind:     hidden_global_offset_z
      - .offset:         168
        .size:           2
        .value_kind:     hidden_grid_dims
      - .offset:         224
        .size:           4
        .value_kind:     hidden_dynamic_lds_size
    .group_segment_fixed_size: 0
    .kernarg_segment_align: 8
    .kernarg_segment_size: 360
    .language:       OpenCL C
    .language_version:
      - 2
      - 0
    .max_flat_workgroup_size: 1024
    .name:           _ZL40rocblas_trsm_block_backward_substitutionI19rocblas_complex_numIfES1_PKPKS1_PKPS1_Lb0ELb1ELb1EEv18rocblas_operation_llT0_T1_lllT2_lllib
    .private_segment_fixed_size: 0
    .sgpr_count:     30
    .sgpr_spill_count: 0
    .symbol:         _ZL40rocblas_trsm_block_backward_substitutionI19rocblas_complex_numIfES1_PKPKS1_PKPS1_Lb0ELb1ELb1EEv18rocblas_operation_llT0_T1_lllT2_lllib.kd
    .uniform_work_group_size: 1
    .uses_dynamic_stack: false
    .vgpr_count:     14
    .vgpr_spill_count: 0
    .wavefront_size: 32
    .workgroup_processor_mode: 1
  - .args:
      - .offset:         0
        .size:           4
        .value_kind:     by_value
      - .offset:         8
        .size:           8
        .value_kind:     by_value
      - .offset:         16
        .size:           8
        .value_kind:     by_value
      - .offset:         24
        .size:           8
        .value_kind:     by_value
      - .address_space:  global
        .offset:         32
        .size:           8
        .value_kind:     global_buffer
      - .offset:         40
        .size:           8
        .value_kind:     by_value
      - .offset:         48
        .size:           8
        .value_kind:     by_value
      - .offset:         56
        .size:           8
        .value_kind:     by_value
      - .address_space:  global
        .offset:         64
        .size:           8
        .value_kind:     global_buffer
      - .offset:         72
        .size:           8
        .value_kind:     by_value
      - .offset:         80
        .size:           8
        .value_kind:     by_value
      - .offset:         88
        .size:           8
        .value_kind:     by_value
      - .offset:         96
        .size:           4
        .value_kind:     by_value
      - .offset:         100
        .size:           1
        .value_kind:     by_value
      - .offset:         104
        .size:           4
        .value_kind:     hidden_block_count_x
      - .offset:         108
        .size:           4
        .value_kind:     hidden_block_count_y
      - .offset:         112
        .size:           4
        .value_kind:     hidden_block_count_z
      - .offset:         116
        .size:           2
        .value_kind:     hidden_group_size_x
      - .offset:         118
        .size:           2
        .value_kind:     hidden_group_size_y
      - .offset:         120
        .size:           2
        .value_kind:     hidden_group_size_z
      - .offset:         122
        .size:           2
        .value_kind:     hidden_remainder_x
      - .offset:         124
        .size:           2
        .value_kind:     hidden_remainder_y
      - .offset:         126
        .size:           2
        .value_kind:     hidden_remainder_z
      - .offset:         144
        .size:           8
        .value_kind:     hidden_global_offset_x
      - .offset:         152
        .size:           8
        .value_kind:     hidden_global_offset_y
      - .offset:         160
        .size:           8
        .value_kind:     hidden_global_offset_z
      - .offset:         168
        .size:           2
        .value_kind:     hidden_grid_dims
      - .offset:         224
        .size:           4
        .value_kind:     hidden_dynamic_lds_size
    .group_segment_fixed_size: 0
    .kernarg_segment_align: 8
    .kernarg_segment_size: 360
    .language:       OpenCL C
    .language_version:
      - 2
      - 0
    .max_flat_workgroup_size: 1024
    .name:           _ZL39rocblas_trsm_block_forward_substitutionI19rocblas_complex_numIfES1_PKPKS1_PKPS1_Lb1ELb1ELb0EEv18rocblas_operation_llT0_T1_lllT2_lllib
    .private_segment_fixed_size: 0
    .sgpr_count:     31
    .sgpr_spill_count: 0
    .symbol:         _ZL39rocblas_trsm_block_forward_substitutionI19rocblas_complex_numIfES1_PKPKS1_PKPS1_Lb1ELb1ELb0EEv18rocblas_operation_llT0_T1_lllT2_lllib.kd
    .uniform_work_group_size: 1
    .uses_dynamic_stack: false
    .vgpr_count:     18
    .vgpr_spill_count: 0
    .wavefront_size: 32
    .workgroup_processor_mode: 1
  - .args:
      - .offset:         0
        .size:           4
        .value_kind:     by_value
      - .offset:         8
        .size:           8
        .value_kind:     by_value
      - .offset:         16
        .size:           8
        .value_kind:     by_value
      - .offset:         24
        .size:           8
        .value_kind:     by_value
      - .address_space:  global
        .offset:         32
        .size:           8
        .value_kind:     global_buffer
      - .offset:         40
        .size:           8
        .value_kind:     by_value
      - .offset:         48
        .size:           8
        .value_kind:     by_value
      - .offset:         56
        .size:           8
        .value_kind:     by_value
      - .address_space:  global
        .offset:         64
        .size:           8
        .value_kind:     global_buffer
      - .offset:         72
        .size:           8
        .value_kind:     by_value
      - .offset:         80
        .size:           8
        .value_kind:     by_value
      - .offset:         88
        .size:           8
        .value_kind:     by_value
      - .offset:         96
        .size:           4
        .value_kind:     by_value
      - .offset:         100
        .size:           1
        .value_kind:     by_value
      - .offset:         104
        .size:           4
        .value_kind:     hidden_block_count_x
      - .offset:         108
        .size:           4
        .value_kind:     hidden_block_count_y
      - .offset:         112
        .size:           4
        .value_kind:     hidden_block_count_z
      - .offset:         116
        .size:           2
        .value_kind:     hidden_group_size_x
      - .offset:         118
        .size:           2
        .value_kind:     hidden_group_size_y
      - .offset:         120
        .size:           2
        .value_kind:     hidden_group_size_z
      - .offset:         122
        .size:           2
        .value_kind:     hidden_remainder_x
      - .offset:         124
        .size:           2
        .value_kind:     hidden_remainder_y
      - .offset:         126
        .size:           2
        .value_kind:     hidden_remainder_z
      - .offset:         144
        .size:           8
        .value_kind:     hidden_global_offset_x
      - .offset:         152
        .size:           8
        .value_kind:     hidden_global_offset_y
      - .offset:         160
        .size:           8
        .value_kind:     hidden_global_offset_z
      - .offset:         168
        .size:           2
        .value_kind:     hidden_grid_dims
      - .offset:         224
        .size:           4
        .value_kind:     hidden_dynamic_lds_size
    .group_segment_fixed_size: 0
    .kernarg_segment_align: 8
    .kernarg_segment_size: 360
    .language:       OpenCL C
    .language_version:
      - 2
      - 0
    .max_flat_workgroup_size: 1024
    .name:           _ZL40rocblas_trsm_block_backward_substitutionI19rocblas_complex_numIfES1_PKPKS1_PKPS1_Lb1ELb1ELb0EEv18rocblas_operation_llT0_T1_lllT2_lllib
    .private_segment_fixed_size: 0
    .sgpr_count:     32
    .sgpr_spill_count: 0
    .symbol:         _ZL40rocblas_trsm_block_backward_substitutionI19rocblas_complex_numIfES1_PKPKS1_PKPS1_Lb1ELb1ELb0EEv18rocblas_operation_llT0_T1_lllT2_lllib.kd
    .uniform_work_group_size: 1
    .uses_dynamic_stack: false
    .vgpr_count:     18
    .vgpr_spill_count: 0
    .wavefront_size: 32
    .workgroup_processor_mode: 1
  - .args:
      - .offset:         0
        .size:           4
        .value_kind:     by_value
      - .offset:         8
        .size:           8
        .value_kind:     by_value
      - .offset:         16
        .size:           8
        .value_kind:     by_value
      - .offset:         24
        .size:           8
        .value_kind:     by_value
      - .address_space:  global
        .offset:         32
        .size:           8
        .value_kind:     global_buffer
      - .offset:         40
        .size:           8
        .value_kind:     by_value
      - .offset:         48
        .size:           8
        .value_kind:     by_value
      - .offset:         56
        .size:           8
        .value_kind:     by_value
      - .address_space:  global
        .offset:         64
        .size:           8
        .value_kind:     global_buffer
      - .offset:         72
        .size:           8
        .value_kind:     by_value
      - .offset:         80
        .size:           8
        .value_kind:     by_value
      - .offset:         88
        .size:           8
        .value_kind:     by_value
      - .offset:         96
        .size:           4
        .value_kind:     by_value
      - .offset:         100
        .size:           1
        .value_kind:     by_value
      - .offset:         104
        .size:           4
        .value_kind:     hidden_block_count_x
      - .offset:         108
        .size:           4
        .value_kind:     hidden_block_count_y
      - .offset:         112
        .size:           4
        .value_kind:     hidden_block_count_z
      - .offset:         116
        .size:           2
        .value_kind:     hidden_group_size_x
      - .offset:         118
        .size:           2
        .value_kind:     hidden_group_size_y
      - .offset:         120
        .size:           2
        .value_kind:     hidden_group_size_z
      - .offset:         122
        .size:           2
        .value_kind:     hidden_remainder_x
      - .offset:         124
        .size:           2
        .value_kind:     hidden_remainder_y
      - .offset:         126
        .size:           2
        .value_kind:     hidden_remainder_z
      - .offset:         144
        .size:           8
        .value_kind:     hidden_global_offset_x
      - .offset:         152
        .size:           8
        .value_kind:     hidden_global_offset_y
      - .offset:         160
        .size:           8
        .value_kind:     hidden_global_offset_z
      - .offset:         168
        .size:           2
        .value_kind:     hidden_grid_dims
      - .offset:         224
        .size:           4
        .value_kind:     hidden_dynamic_lds_size
    .group_segment_fixed_size: 0
    .kernarg_segment_align: 8
    .kernarg_segment_size: 360
    .language:       OpenCL C
    .language_version:
      - 2
      - 0
    .max_flat_workgroup_size: 1024
    .name:           _ZL39rocblas_trsm_block_forward_substitutionI19rocblas_complex_numIfES1_PKPKS1_PKPS1_Lb1ELb1ELb1EEv18rocblas_operation_llT0_T1_lllT2_lllib
    .private_segment_fixed_size: 0
    .sgpr_count:     30
    .sgpr_spill_count: 0
    .symbol:         _ZL39rocblas_trsm_block_forward_substitutionI19rocblas_complex_numIfES1_PKPKS1_PKPS1_Lb1ELb1ELb1EEv18rocblas_operation_llT0_T1_lllT2_lllib.kd
    .uniform_work_group_size: 1
    .uses_dynamic_stack: false
    .vgpr_count:     14
    .vgpr_spill_count: 0
    .wavefront_size: 32
    .workgroup_processor_mode: 1
  - .args:
      - .offset:         0
        .size:           4
        .value_kind:     by_value
      - .offset:         8
        .size:           8
        .value_kind:     by_value
      - .offset:         16
        .size:           8
        .value_kind:     by_value
      - .offset:         24
        .size:           8
        .value_kind:     by_value
      - .address_space:  global
        .offset:         32
        .size:           8
        .value_kind:     global_buffer
      - .offset:         40
        .size:           8
        .value_kind:     by_value
      - .offset:         48
        .size:           8
        .value_kind:     by_value
      - .offset:         56
        .size:           8
        .value_kind:     by_value
      - .address_space:  global
        .offset:         64
        .size:           8
        .value_kind:     global_buffer
      - .offset:         72
        .size:           8
        .value_kind:     by_value
      - .offset:         80
        .size:           8
        .value_kind:     by_value
      - .offset:         88
        .size:           8
        .value_kind:     by_value
      - .offset:         96
        .size:           4
        .value_kind:     by_value
      - .offset:         100
        .size:           1
        .value_kind:     by_value
      - .offset:         104
        .size:           4
        .value_kind:     hidden_block_count_x
      - .offset:         108
        .size:           4
        .value_kind:     hidden_block_count_y
      - .offset:         112
        .size:           4
        .value_kind:     hidden_block_count_z
      - .offset:         116
        .size:           2
        .value_kind:     hidden_group_size_x
      - .offset:         118
        .size:           2
        .value_kind:     hidden_group_size_y
      - .offset:         120
        .size:           2
        .value_kind:     hidden_group_size_z
      - .offset:         122
        .size:           2
        .value_kind:     hidden_remainder_x
      - .offset:         124
        .size:           2
        .value_kind:     hidden_remainder_y
      - .offset:         126
        .size:           2
        .value_kind:     hidden_remainder_z
      - .offset:         144
        .size:           8
        .value_kind:     hidden_global_offset_x
      - .offset:         152
        .size:           8
        .value_kind:     hidden_global_offset_y
      - .offset:         160
        .size:           8
        .value_kind:     hidden_global_offset_z
      - .offset:         168
        .size:           2
        .value_kind:     hidden_grid_dims
      - .offset:         224
        .size:           4
        .value_kind:     hidden_dynamic_lds_size
    .group_segment_fixed_size: 0
    .kernarg_segment_align: 8
    .kernarg_segment_size: 360
    .language:       OpenCL C
    .language_version:
      - 2
      - 0
    .max_flat_workgroup_size: 1024
    .name:           _ZL40rocblas_trsm_block_backward_substitutionI19rocblas_complex_numIfES1_PKPKS1_PKPS1_Lb1ELb1ELb1EEv18rocblas_operation_llT0_T1_lllT2_lllib
    .private_segment_fixed_size: 0
    .sgpr_count:     28
    .sgpr_spill_count: 0
    .symbol:         _ZL40rocblas_trsm_block_backward_substitutionI19rocblas_complex_numIfES1_PKPKS1_PKPS1_Lb1ELb1ELb1EEv18rocblas_operation_llT0_T1_lllT2_lllib.kd
    .uniform_work_group_size: 1
    .uses_dynamic_stack: false
    .vgpr_count:     14
    .vgpr_spill_count: 0
    .wavefront_size: 32
    .workgroup_processor_mode: 1
  - .args:
      - .offset:         0
        .size:           4
        .value_kind:     by_value
      - .offset:         8
        .size:           8
        .value_kind:     by_value
      - .offset:         16
        .size:           8
        .value_kind:     by_value
      - .offset:         24
        .size:           8
        .value_kind:     by_value
      - .address_space:  global
        .offset:         32
        .size:           8
        .value_kind:     global_buffer
      - .offset:         40
        .size:           8
        .value_kind:     by_value
      - .offset:         48
        .size:           8
        .value_kind:     by_value
      - .offset:         56
        .size:           8
        .value_kind:     by_value
      - .address_space:  global
        .offset:         64
        .size:           8
        .value_kind:     global_buffer
      - .offset:         72
        .size:           8
        .value_kind:     by_value
      - .offset:         80
        .size:           8
        .value_kind:     by_value
      - .offset:         88
        .size:           8
        .value_kind:     by_value
      - .offset:         96
        .size:           4
        .value_kind:     by_value
      - .offset:         100
        .size:           1
        .value_kind:     by_value
      - .offset:         104
        .size:           4
        .value_kind:     hidden_block_count_x
      - .offset:         108
        .size:           4
        .value_kind:     hidden_block_count_y
      - .offset:         112
        .size:           4
        .value_kind:     hidden_block_count_z
      - .offset:         116
        .size:           2
        .value_kind:     hidden_group_size_x
      - .offset:         118
        .size:           2
        .value_kind:     hidden_group_size_y
      - .offset:         120
        .size:           2
        .value_kind:     hidden_group_size_z
      - .offset:         122
        .size:           2
        .value_kind:     hidden_remainder_x
      - .offset:         124
        .size:           2
        .value_kind:     hidden_remainder_y
      - .offset:         126
        .size:           2
        .value_kind:     hidden_remainder_z
      - .offset:         144
        .size:           8
        .value_kind:     hidden_global_offset_x
      - .offset:         152
        .size:           8
        .value_kind:     hidden_global_offset_y
      - .offset:         160
        .size:           8
        .value_kind:     hidden_global_offset_z
      - .offset:         168
        .size:           2
        .value_kind:     hidden_grid_dims
      - .offset:         224
        .size:           4
        .value_kind:     hidden_dynamic_lds_size
    .group_segment_fixed_size: 0
    .kernarg_segment_align: 8
    .kernarg_segment_size: 360
    .language:       OpenCL C
    .language_version:
      - 2
      - 0
    .max_flat_workgroup_size: 1024
    .name:           _ZL39rocblas_trsm_block_forward_substitutionI19rocblas_complex_numIfES1_PKPKS1_PKPS1_Lb1ELb0ELb0EEv18rocblas_operation_llT0_T1_lllT2_lllib
    .private_segment_fixed_size: 0
    .sgpr_count:     31
    .sgpr_spill_count: 0
    .symbol:         _ZL39rocblas_trsm_block_forward_substitutionI19rocblas_complex_numIfES1_PKPKS1_PKPS1_Lb1ELb0ELb0EEv18rocblas_operation_llT0_T1_lllT2_lllib.kd
    .uniform_work_group_size: 1
    .uses_dynamic_stack: false
    .vgpr_count:     18
    .vgpr_spill_count: 0
    .wavefront_size: 32
    .workgroup_processor_mode: 1
  - .args:
      - .offset:         0
        .size:           4
        .value_kind:     by_value
      - .offset:         8
        .size:           8
        .value_kind:     by_value
      - .offset:         16
        .size:           8
        .value_kind:     by_value
      - .offset:         24
        .size:           8
        .value_kind:     by_value
      - .address_space:  global
        .offset:         32
        .size:           8
        .value_kind:     global_buffer
      - .offset:         40
        .size:           8
        .value_kind:     by_value
      - .offset:         48
        .size:           8
        .value_kind:     by_value
      - .offset:         56
        .size:           8
        .value_kind:     by_value
      - .address_space:  global
        .offset:         64
        .size:           8
        .value_kind:     global_buffer
      - .offset:         72
        .size:           8
        .value_kind:     by_value
      - .offset:         80
        .size:           8
        .value_kind:     by_value
      - .offset:         88
        .size:           8
        .value_kind:     by_value
      - .offset:         96
        .size:           4
        .value_kind:     by_value
      - .offset:         100
        .size:           1
        .value_kind:     by_value
      - .offset:         104
        .size:           4
        .value_kind:     hidden_block_count_x
      - .offset:         108
        .size:           4
        .value_kind:     hidden_block_count_y
      - .offset:         112
        .size:           4
        .value_kind:     hidden_block_count_z
      - .offset:         116
        .size:           2
        .value_kind:     hidden_group_size_x
      - .offset:         118
        .size:           2
        .value_kind:     hidden_group_size_y
      - .offset:         120
        .size:           2
        .value_kind:     hidden_group_size_z
      - .offset:         122
        .size:           2
        .value_kind:     hidden_remainder_x
      - .offset:         124
        .size:           2
        .value_kind:     hidden_remainder_y
      - .offset:         126
        .size:           2
        .value_kind:     hidden_remainder_z
      - .offset:         144
        .size:           8
        .value_kind:     hidden_global_offset_x
      - .offset:         152
        .size:           8
        .value_kind:     hidden_global_offset_y
      - .offset:         160
        .size:           8
        .value_kind:     hidden_global_offset_z
      - .offset:         168
        .size:           2
        .value_kind:     hidden_grid_dims
      - .offset:         224
        .size:           4
        .value_kind:     hidden_dynamic_lds_size
    .group_segment_fixed_size: 0
    .kernarg_segment_align: 8
    .kernarg_segment_size: 360
    .language:       OpenCL C
    .language_version:
      - 2
      - 0
    .max_flat_workgroup_size: 1024
    .name:           _ZL40rocblas_trsm_block_backward_substitutionI19rocblas_complex_numIfES1_PKPKS1_PKPS1_Lb1ELb0ELb0EEv18rocblas_operation_llT0_T1_lllT2_lllib
    .private_segment_fixed_size: 0
    .sgpr_count:     32
    .sgpr_spill_count: 0
    .symbol:         _ZL40rocblas_trsm_block_backward_substitutionI19rocblas_complex_numIfES1_PKPKS1_PKPS1_Lb1ELb0ELb0EEv18rocblas_operation_llT0_T1_lllT2_lllib.kd
    .uniform_work_group_size: 1
    .uses_dynamic_stack: false
    .vgpr_count:     18
    .vgpr_spill_count: 0
    .wavefront_size: 32
    .workgroup_processor_mode: 1
  - .args:
      - .offset:         0
        .size:           4
        .value_kind:     by_value
      - .offset:         8
        .size:           8
        .value_kind:     by_value
      - .offset:         16
        .size:           8
        .value_kind:     by_value
      - .offset:         24
        .size:           8
        .value_kind:     by_value
      - .address_space:  global
        .offset:         32
        .size:           8
        .value_kind:     global_buffer
      - .offset:         40
        .size:           8
        .value_kind:     by_value
      - .offset:         48
        .size:           8
        .value_kind:     by_value
      - .offset:         56
        .size:           8
        .value_kind:     by_value
      - .address_space:  global
        .offset:         64
        .size:           8
        .value_kind:     global_buffer
      - .offset:         72
        .size:           8
        .value_kind:     by_value
      - .offset:         80
        .size:           8
        .value_kind:     by_value
      - .offset:         88
        .size:           8
        .value_kind:     by_value
      - .offset:         96
        .size:           4
        .value_kind:     by_value
      - .offset:         100
        .size:           1
        .value_kind:     by_value
      - .offset:         104
        .size:           4
        .value_kind:     hidden_block_count_x
      - .offset:         108
        .size:           4
        .value_kind:     hidden_block_count_y
      - .offset:         112
        .size:           4
        .value_kind:     hidden_block_count_z
      - .offset:         116
        .size:           2
        .value_kind:     hidden_group_size_x
      - .offset:         118
        .size:           2
        .value_kind:     hidden_group_size_y
      - .offset:         120
        .size:           2
        .value_kind:     hidden_group_size_z
      - .offset:         122
        .size:           2
        .value_kind:     hidden_remainder_x
      - .offset:         124
        .size:           2
        .value_kind:     hidden_remainder_y
      - .offset:         126
        .size:           2
        .value_kind:     hidden_remainder_z
      - .offset:         144
        .size:           8
        .value_kind:     hidden_global_offset_x
      - .offset:         152
        .size:           8
        .value_kind:     hidden_global_offset_y
      - .offset:         160
        .size:           8
        .value_kind:     hidden_global_offset_z
      - .offset:         168
        .size:           2
        .value_kind:     hidden_grid_dims
      - .offset:         224
        .size:           4
        .value_kind:     hidden_dynamic_lds_size
    .group_segment_fixed_size: 0
    .kernarg_segment_align: 8
    .kernarg_segment_size: 360
    .language:       OpenCL C
    .language_version:
      - 2
      - 0
    .max_flat_workgroup_size: 1024
    .name:           _ZL39rocblas_trsm_block_forward_substitutionI19rocblas_complex_numIfES1_PKPKS1_PKPS1_Lb1ELb0ELb1EEv18rocblas_operation_llT0_T1_lllT2_lllib
    .private_segment_fixed_size: 0
    .sgpr_count:     30
    .sgpr_spill_count: 0
    .symbol:         _ZL39rocblas_trsm_block_forward_substitutionI19rocblas_complex_numIfES1_PKPKS1_PKPS1_Lb1ELb0ELb1EEv18rocblas_operation_llT0_T1_lllT2_lllib.kd
    .uniform_work_group_size: 1
    .uses_dynamic_stack: false
    .vgpr_count:     14
    .vgpr_spill_count: 0
    .wavefront_size: 32
    .workgroup_processor_mode: 1
  - .args:
      - .offset:         0
        .size:           4
        .value_kind:     by_value
      - .offset:         8
        .size:           8
        .value_kind:     by_value
      - .offset:         16
        .size:           8
        .value_kind:     by_value
      - .offset:         24
        .size:           8
        .value_kind:     by_value
      - .address_space:  global
        .offset:         32
        .size:           8
        .value_kind:     global_buffer
      - .offset:         40
        .size:           8
        .value_kind:     by_value
      - .offset:         48
        .size:           8
        .value_kind:     by_value
      - .offset:         56
        .size:           8
        .value_kind:     by_value
      - .address_space:  global
        .offset:         64
        .size:           8
        .value_kind:     global_buffer
      - .offset:         72
        .size:           8
        .value_kind:     by_value
      - .offset:         80
        .size:           8
        .value_kind:     by_value
      - .offset:         88
        .size:           8
        .value_kind:     by_value
      - .offset:         96
        .size:           4
        .value_kind:     by_value
      - .offset:         100
        .size:           1
        .value_kind:     by_value
      - .offset:         104
        .size:           4
        .value_kind:     hidden_block_count_x
      - .offset:         108
        .size:           4
        .value_kind:     hidden_block_count_y
      - .offset:         112
        .size:           4
        .value_kind:     hidden_block_count_z
      - .offset:         116
        .size:           2
        .value_kind:     hidden_group_size_x
      - .offset:         118
        .size:           2
        .value_kind:     hidden_group_size_y
      - .offset:         120
        .size:           2
        .value_kind:     hidden_group_size_z
      - .offset:         122
        .size:           2
        .value_kind:     hidden_remainder_x
      - .offset:         124
        .size:           2
        .value_kind:     hidden_remainder_y
      - .offset:         126
        .size:           2
        .value_kind:     hidden_remainder_z
      - .offset:         144
        .size:           8
        .value_kind:     hidden_global_offset_x
      - .offset:         152
        .size:           8
        .value_kind:     hidden_global_offset_y
      - .offset:         160
        .size:           8
        .value_kind:     hidden_global_offset_z
      - .offset:         168
        .size:           2
        .value_kind:     hidden_grid_dims
      - .offset:         224
        .size:           4
        .value_kind:     hidden_dynamic_lds_size
    .group_segment_fixed_size: 0
    .kernarg_segment_align: 8
    .kernarg_segment_size: 360
    .language:       OpenCL C
    .language_version:
      - 2
      - 0
    .max_flat_workgroup_size: 1024
    .name:           _ZL40rocblas_trsm_block_backward_substitutionI19rocblas_complex_numIfES1_PKPKS1_PKPS1_Lb1ELb0ELb1EEv18rocblas_operation_llT0_T1_lllT2_lllib
    .private_segment_fixed_size: 0
    .sgpr_count:     28
    .sgpr_spill_count: 0
    .symbol:         _ZL40rocblas_trsm_block_backward_substitutionI19rocblas_complex_numIfES1_PKPKS1_PKPS1_Lb1ELb0ELb1EEv18rocblas_operation_llT0_T1_lllT2_lllib.kd
    .uniform_work_group_size: 1
    .uses_dynamic_stack: false
    .vgpr_count:     14
    .vgpr_spill_count: 0
    .wavefront_size: 32
    .workgroup_processor_mode: 1
  - .args:
      - .address_space:  global
        .offset:         0
        .size:           8
        .value_kind:     global_buffer
      - .offset:         8
        .size:           8
        .value_kind:     by_value
      - .address_space:  global
        .offset:         16
        .size:           8
        .value_kind:     global_buffer
    .group_segment_fixed_size: 0
    .kernarg_segment_align: 8
    .kernarg_segment_size: 24
    .language:       OpenCL C
    .language_version:
      - 2
      - 0
    .max_flat_workgroup_size: 128
    .name:           _ZL26setup_batched_array_kernelILi128E19rocblas_complex_numIfEEvPT0_lPS3_
    .private_segment_fixed_size: 0
    .sgpr_count:     16
    .sgpr_spill_count: 0
    .symbol:         _ZL26setup_batched_array_kernelILi128E19rocblas_complex_numIfEEvPT0_lPS3_.kd
    .uniform_work_group_size: 1
    .uses_dynamic_stack: false
    .vgpr_count:     3
    .vgpr_spill_count: 0
    .wavefront_size: 32
    .workgroup_processor_mode: 1
  - .args:
      - .offset:         0
        .size:           4
        .value_kind:     by_value
      - .offset:         4
        .size:           4
        .value_kind:     by_value
      - .address_space:  global
        .offset:         8
        .size:           8
        .value_kind:     global_buffer
      - .offset:         16
        .size:           8
        .value_kind:     by_value
      - .offset:         24
        .size:           4
        .value_kind:     by_value
      - .offset:         32
        .size:           8
        .value_kind:     by_value
      - .address_space:  global
        .offset:         40
        .size:           8
        .value_kind:     global_buffer
      - .offset:         48
        .size:           8
        .value_kind:     by_value
      - .offset:         56
        .size:           8
        .value_kind:     by_value
      - .offset:         64
        .size:           4
        .value_kind:     by_value
    .group_segment_fixed_size: 8192
    .kernarg_segment_align: 8
    .kernarg_segment_size: 68
    .language:       OpenCL C
    .language_version:
      - 2
      - 0
    .max_flat_workgroup_size: 256
    .name:           _ZL25rocblas_trtri_trsm_kernelILi128ELi16ELi8E19rocblas_complex_numIfEPKPKS1_PKPS1_Ev13rocblas_fill_17rocblas_diagonal_T3_lilT4_lli
    .private_segment_fixed_size: 0
    .sgpr_count:     26
    .sgpr_spill_count: 0
    .symbol:         _ZL25rocblas_trtri_trsm_kernelILi128ELi16ELi8E19rocblas_complex_numIfEPKPKS1_PKPS1_Ev13rocblas_fill_17rocblas_diagonal_T3_lilT4_lli.kd
    .uniform_work_group_size: 1
    .uses_dynamic_stack: false
    .vgpr_count:     49
    .vgpr_spill_count: 0
    .wavefront_size: 32
    .workgroup_processor_mode: 1
  - .args:
      - .address_space:  global
        .offset:         0
        .size:           8
        .value_kind:     global_buffer
      - .offset:         8
        .size:           4
        .value_kind:     by_value
      - .offset:         12
        .size:           4
        .value_kind:     by_value
      - .offset:         16
        .size:           8
        .value_kind:     by_value
      - .offset:         24
        .size:           4
        .value_kind:     by_value
      - .offset:         32
        .size:           8
        .value_kind:     by_value
      - .address_space:  global
        .offset:         40
        .size:           8
        .value_kind:     global_buffer
      - .offset:         48
        .size:           8
        .value_kind:     by_value
      - .offset:         56
        .size:           8
        .value_kind:     by_value
      - .offset:         64
        .size:           4
        .value_kind:     by_value
      - .offset:         68
        .size:           4
        .value_kind:     by_value
      - .offset:         72
        .size:           4
        .value_kind:     hidden_block_count_x
      - .offset:         76
        .size:           4
        .value_kind:     hidden_block_count_y
      - .offset:         80
        .size:           4
        .value_kind:     hidden_block_count_z
      - .offset:         84
        .size:           2
        .value_kind:     hidden_group_size_x
      - .offset:         86
        .size:           2
        .value_kind:     hidden_group_size_y
      - .offset:         88
        .size:           2
        .value_kind:     hidden_group_size_z
      - .offset:         90
        .size:           2
        .value_kind:     hidden_remainder_x
      - .offset:         92
        .size:           2
        .value_kind:     hidden_remainder_y
      - .offset:         94
        .size:           2
        .value_kind:     hidden_remainder_z
      - .offset:         112
        .size:           8
        .value_kind:     hidden_global_offset_x
      - .offset:         120
        .size:           8
        .value_kind:     hidden_global_offset_y
      - .offset:         128
        .size:           8
        .value_kind:     hidden_global_offset_z
      - .offset:         136
        .size:           2
        .value_kind:     hidden_grid_dims
    .group_segment_fixed_size: 0
    .kernarg_segment_align: 8
    .kernarg_segment_size: 328
    .language:       OpenCL C
    .language_version:
      - 2
      - 0
    .max_flat_workgroup_size: 128
    .name:           _ZL18rocblas_trtri_fillILi128E19rocblas_complex_numIfEPKPS1_EvP15_rocblas_handle13rocblas_fill_ililT1_llii
    .private_segment_fixed_size: 0
    .sgpr_count:     25
    .sgpr_spill_count: 0
    .symbol:         _ZL18rocblas_trtri_fillILi128E19rocblas_complex_numIfEPKPS1_EvP15_rocblas_handle13rocblas_fill_ililT1_llii.kd
    .uniform_work_group_size: 1
    .uses_dynamic_stack: false
    .vgpr_count:     26
    .vgpr_spill_count: 0
    .wavefront_size: 32
    .workgroup_processor_mode: 1
  - .args:
      - .offset:         0
        .size:           4
        .value_kind:     by_value
      - .offset:         4
        .size:           4
        .value_kind:     by_value
      - .offset:         8
        .size:           4
        .value_kind:     by_value
      - .address_space:  global
        .offset:         16
        .size:           8
        .value_kind:     global_buffer
      - .offset:         24
        .size:           4
        .value_kind:     by_value
      - .offset:         32
        .size:           8
        .value_kind:     by_value
      - .address_space:  global
        .offset:         40
        .size:           8
        .value_kind:     global_buffer
      - .offset:         48
        .size:           4
        .value_kind:     by_value
      - .offset:         56
        .size:           8
        .value_kind:     by_value
      - .offset:         64
        .size:           8
        .value_kind:     by_value
      - .offset:         72
        .size:           8
        .value_kind:     by_value
      - .offset:         80
        .size:           4
        .value_kind:     by_value
      - .offset:         88
        .size:           4
        .value_kind:     hidden_block_count_x
      - .offset:         92
        .size:           4
        .value_kind:     hidden_block_count_y
      - .offset:         96
        .size:           4
        .value_kind:     hidden_block_count_z
      - .offset:         100
        .size:           2
        .value_kind:     hidden_group_size_x
      - .offset:         102
        .size:           2
        .value_kind:     hidden_group_size_y
      - .offset:         104
        .size:           2
        .value_kind:     hidden_group_size_z
      - .offset:         106
        .size:           2
        .value_kind:     hidden_remainder_x
      - .offset:         108
        .size:           2
        .value_kind:     hidden_remainder_y
      - .offset:         110
        .size:           2
        .value_kind:     hidden_remainder_z
      - .offset:         128
        .size:           8
        .value_kind:     hidden_global_offset_x
      - .offset:         136
        .size:           8
        .value_kind:     hidden_global_offset_y
      - .offset:         144
        .size:           8
        .value_kind:     hidden_global_offset_z
      - .offset:         152
        .size:           2
        .value_kind:     hidden_grid_dims
    .group_segment_fixed_size: 0
    .kernarg_segment_align: 8
    .kernarg_segment_size: 344
    .language:       OpenCL C
    .language_version:
      - 2
      - 0
    .max_flat_workgroup_size: 1024
    .name:           _ZL24rocblas_copy_matrix_trsmILi128ELi8E19rocblas_complex_numIfEPKPKS1_PKPS1_EviiiT2_ilT3_illli
    .private_segment_fixed_size: 0
    .sgpr_count:     21
    .sgpr_spill_count: 0
    .symbol:         _ZL24rocblas_copy_matrix_trsmILi128ELi8E19rocblas_complex_numIfEPKPKS1_PKPS1_EviiiT2_ilT3_illli.kd
    .uniform_work_group_size: 1
    .uses_dynamic_stack: false
    .vgpr_count:     11
    .vgpr_spill_count: 0
    .wavefront_size: 32
    .workgroup_processor_mode: 1
  - .args:
      - .offset:         0
        .size:           8
        .value_kind:     by_value
      - .offset:         8
        .size:           8
        .value_kind:     by_value
      - .offset:         16
        .size:           4
        .value_kind:     by_value
      - .address_space:  global
        .offset:         24
        .size:           8
        .value_kind:     global_buffer
      - .offset:         32
        .size:           8
        .value_kind:     by_value
      - .offset:         40
        .size:           8
        .value_kind:     by_value
      - .offset:         48
        .size:           16
        .value_kind:     by_value
      - .offset:         64
        .size:           8
        .value_kind:     by_value
      - .offset:         72
        .size:           4
        .value_kind:     by_value
    .group_segment_fixed_size: 0
    .kernarg_segment_align: 8
    .kernarg_segment_size: 76
    .language:       OpenCL C
    .language_version:
      - 2
      - 0
    .max_flat_workgroup_size: 1024
    .name:           _ZL23rocblas_set_matrix_trsmILi128ELi8E19rocblas_complex_numIdEPKPS1_EvlliT2_llT1_li
    .private_segment_fixed_size: 0
    .sgpr_count:     18
    .sgpr_spill_count: 0
    .symbol:         _ZL23rocblas_set_matrix_trsmILi128ELi8E19rocblas_complex_numIdEPKPS1_EvlliT2_llT1_li.kd
    .uniform_work_group_size: 1
    .uses_dynamic_stack: false
    .vgpr_count:     7
    .vgpr_spill_count: 0
    .wavefront_size: 32
    .workgroup_processor_mode: 1
  - .args:
      - .offset:         0
        .size:           4
        .value_kind:     by_value
      - .offset:         4
        .size:           4
        .value_kind:     by_value
      - .offset:         8
        .size:           4
        .value_kind:     by_value
      - .offset:         12
        .size:           4
        .value_kind:     by_value
      - .offset:         16
        .size:           4
        .value_kind:     by_value
      - .offset:         24
        .size:           16
        .value_kind:     by_value
      - .address_space:  global
        .offset:         40
        .size:           8
        .value_kind:     global_buffer
      - .offset:         48
        .size:           8
        .value_kind:     by_value
      - .offset:         56
        .size:           4
        .value_kind:     by_value
      - .offset:         64
        .size:           8
        .value_kind:     by_value
      - .address_space:  global
        .offset:         72
        .size:           8
        .value_kind:     global_buffer
      - .offset:         80
        .size:           8
        .value_kind:     by_value
      - .offset:         88
        .size:           4
        .value_kind:     by_value
      - .offset:         96
        .size:           8
        .value_kind:     by_value
      - .offset:         104
        .size:           4
        .value_kind:     by_value
      - .offset:         112
        .size:           4
        .value_kind:     hidden_block_count_x
      - .offset:         116
        .size:           4
        .value_kind:     hidden_block_count_y
      - .offset:         120
        .size:           4
        .value_kind:     hidden_block_count_z
      - .offset:         124
        .size:           2
        .value_kind:     hidden_group_size_x
      - .offset:         126
        .size:           2
        .value_kind:     hidden_group_size_y
      - .offset:         128
        .size:           2
        .value_kind:     hidden_group_size_z
      - .offset:         130
        .size:           2
        .value_kind:     hidden_remainder_x
      - .offset:         132
        .size:           2
        .value_kind:     hidden_remainder_y
      - .offset:         134
        .size:           2
        .value_kind:     hidden_remainder_z
      - .offset:         152
        .size:           8
        .value_kind:     hidden_global_offset_x
      - .offset:         160
        .size:           8
        .value_kind:     hidden_global_offset_y
      - .offset:         168
        .size:           8
        .value_kind:     hidden_global_offset_z
      - .offset:         176
        .size:           2
        .value_kind:     hidden_grid_dims
    .group_segment_fixed_size: 768
    .kernarg_segment_align: 8
    .kernarg_segment_size: 368
    .language:       OpenCL C
    .language_version:
      - 2
      - 0
    .max_flat_workgroup_size: 4
    .name:           _ZL38rocblas_trsm_small_left_device_sharedBILi4ELi4ELb0E19rocblas_complex_numIdES1_PKPKS1_PKPS1_Ev13rocblas_fill_18rocblas_operation_17rocblas_diagonal_iiT3_T4_lilT5_lili
    .private_segment_fixed_size: 0
    .sgpr_count:     37
    .sgpr_spill_count: 0
    .symbol:         _ZL38rocblas_trsm_small_left_device_sharedBILi4ELi4ELb0E19rocblas_complex_numIdES1_PKPKS1_PKPS1_Ev13rocblas_fill_18rocblas_operation_17rocblas_diagonal_iiT3_T4_lilT5_lili.kd
    .uniform_work_group_size: 1
    .uses_dynamic_stack: false
    .vgpr_count:     25
    .vgpr_spill_count: 0
    .wavefront_size: 32
    .workgroup_processor_mode: 1
  - .args:
      - .offset:         0
        .size:           4
        .value_kind:     by_value
      - .offset:         4
        .size:           4
        .value_kind:     by_value
      - .offset:         8
        .size:           4
        .value_kind:     by_value
      - .offset:         12
        .size:           4
        .value_kind:     by_value
      - .offset:         16
        .size:           4
        .value_kind:     by_value
      - .offset:         24
        .size:           16
        .value_kind:     by_value
      - .address_space:  global
        .offset:         40
        .size:           8
        .value_kind:     global_buffer
      - .offset:         48
        .size:           8
        .value_kind:     by_value
      - .offset:         56
        .size:           4
        .value_kind:     by_value
      - .offset:         64
        .size:           8
        .value_kind:     by_value
      - .address_space:  global
        .offset:         72
        .size:           8
        .value_kind:     global_buffer
      - .offset:         80
        .size:           8
        .value_kind:     by_value
      - .offset:         88
        .size:           4
        .value_kind:     by_value
      - .offset:         96
        .size:           8
        .value_kind:     by_value
      - .offset:         104
        .size:           4
        .value_kind:     by_value
      - .offset:         112
        .size:           4
        .value_kind:     hidden_block_count_x
      - .offset:         116
        .size:           4
        .value_kind:     hidden_block_count_y
      - .offset:         120
        .size:           4
        .value_kind:     hidden_block_count_z
      - .offset:         124
        .size:           2
        .value_kind:     hidden_group_size_x
      - .offset:         126
        .size:           2
        .value_kind:     hidden_group_size_y
      - .offset:         128
        .size:           2
        .value_kind:     hidden_group_size_z
      - .offset:         130
        .size:           2
        .value_kind:     hidden_remainder_x
      - .offset:         132
        .size:           2
        .value_kind:     hidden_remainder_y
      - .offset:         134
        .size:           2
        .value_kind:     hidden_remainder_z
      - .offset:         152
        .size:           8
        .value_kind:     hidden_global_offset_x
      - .offset:         160
        .size:           8
        .value_kind:     hidden_global_offset_y
      - .offset:         168
        .size:           8
        .value_kind:     hidden_global_offset_z
      - .offset:         176
        .size:           2
        .value_kind:     hidden_grid_dims
    .group_segment_fixed_size: 512
    .kernarg_segment_align: 8
    .kernarg_segment_size: 368
    .language:       OpenCL C
    .language_version:
      - 2
      - 0
    .max_flat_workgroup_size: 4
    .name:           _ZL30rocblas_trsm_small_left_deviceILi4ELi4ELb0E19rocblas_complex_numIdES1_PKPKS1_PKPS1_Ev13rocblas_fill_18rocblas_operation_17rocblas_diagonal_iiT3_T4_lilT5_lili
    .private_segment_fixed_size: 0
    .sgpr_count:     36
    .sgpr_spill_count: 0
    .symbol:         _ZL30rocblas_trsm_small_left_deviceILi4ELi4ELb0E19rocblas_complex_numIdES1_PKPKS1_PKPS1_Ev13rocblas_fill_18rocblas_operation_17rocblas_diagonal_iiT3_T4_lilT5_lili.kd
    .uniform_work_group_size: 1
    .uses_dynamic_stack: false
    .vgpr_count:     26
    .vgpr_spill_count: 0
    .wavefront_size: 32
    .workgroup_processor_mode: 1
  - .args:
      - .offset:         0
        .size:           4
        .value_kind:     by_value
      - .offset:         4
        .size:           4
        .value_kind:     by_value
      - .offset:         8
        .size:           4
        .value_kind:     by_value
      - .offset:         12
        .size:           4
        .value_kind:     by_value
      - .offset:         16
        .size:           4
        .value_kind:     by_value
      - .offset:         24
        .size:           16
        .value_kind:     by_value
      - .address_space:  global
        .offset:         40
        .size:           8
        .value_kind:     global_buffer
      - .offset:         48
        .size:           8
        .value_kind:     by_value
      - .offset:         56
        .size:           4
        .value_kind:     by_value
      - .offset:         64
        .size:           8
        .value_kind:     by_value
      - .address_space:  global
        .offset:         72
        .size:           8
        .value_kind:     global_buffer
      - .offset:         80
        .size:           8
        .value_kind:     by_value
      - .offset:         88
        .size:           4
        .value_kind:     by_value
      - .offset:         96
        .size:           8
        .value_kind:     by_value
      - .offset:         104
        .size:           4
        .value_kind:     by_value
      - .offset:         112
        .size:           4
        .value_kind:     hidden_block_count_x
      - .offset:         116
        .size:           4
        .value_kind:     hidden_block_count_y
      - .offset:         120
        .size:           4
        .value_kind:     hidden_block_count_z
      - .offset:         124
        .size:           2
        .value_kind:     hidden_group_size_x
      - .offset:         126
        .size:           2
        .value_kind:     hidden_group_size_y
      - .offset:         128
        .size:           2
        .value_kind:     hidden_group_size_z
      - .offset:         130
        .size:           2
        .value_kind:     hidden_remainder_x
      - .offset:         132
        .size:           2
        .value_kind:     hidden_remainder_y
      - .offset:         134
        .size:           2
        .value_kind:     hidden_remainder_z
      - .offset:         152
        .size:           8
        .value_kind:     hidden_global_offset_x
      - .offset:         160
        .size:           8
        .value_kind:     hidden_global_offset_y
      - .offset:         168
        .size:           8
        .value_kind:     hidden_global_offset_z
      - .offset:         176
        .size:           2
        .value_kind:     hidden_grid_dims
    .group_segment_fixed_size: 768
    .kernarg_segment_align: 8
    .kernarg_segment_size: 368
    .language:       OpenCL C
    .language_version:
      - 2
      - 0
    .max_flat_workgroup_size: 4
    .name:           _ZL38rocblas_trsm_small_left_device_sharedBILi4ELi4ELb1E19rocblas_complex_numIdES1_PKPKS1_PKPS1_Ev13rocblas_fill_18rocblas_operation_17rocblas_diagonal_iiT3_T4_lilT5_lili
    .private_segment_fixed_size: 0
    .sgpr_count:     37
    .sgpr_spill_count: 0
    .symbol:         _ZL38rocblas_trsm_small_left_device_sharedBILi4ELi4ELb1E19rocblas_complex_numIdES1_PKPKS1_PKPS1_Ev13rocblas_fill_18rocblas_operation_17rocblas_diagonal_iiT3_T4_lilT5_lili.kd
    .uniform_work_group_size: 1
    .uses_dynamic_stack: false
    .vgpr_count:     25
    .vgpr_spill_count: 0
    .wavefront_size: 32
    .workgroup_processor_mode: 1
  - .args:
      - .offset:         0
        .size:           4
        .value_kind:     by_value
      - .offset:         4
        .size:           4
        .value_kind:     by_value
      - .offset:         8
        .size:           4
        .value_kind:     by_value
      - .offset:         12
        .size:           4
        .value_kind:     by_value
      - .offset:         16
        .size:           4
        .value_kind:     by_value
      - .offset:         24
        .size:           16
        .value_kind:     by_value
      - .address_space:  global
        .offset:         40
        .size:           8
        .value_kind:     global_buffer
      - .offset:         48
        .size:           8
        .value_kind:     by_value
      - .offset:         56
        .size:           4
        .value_kind:     by_value
      - .offset:         64
        .size:           8
        .value_kind:     by_value
      - .address_space:  global
        .offset:         72
        .size:           8
        .value_kind:     global_buffer
      - .offset:         80
        .size:           8
        .value_kind:     by_value
      - .offset:         88
        .size:           4
        .value_kind:     by_value
      - .offset:         96
        .size:           8
        .value_kind:     by_value
      - .offset:         104
        .size:           4
        .value_kind:     by_value
      - .offset:         112
        .size:           4
        .value_kind:     hidden_block_count_x
      - .offset:         116
        .size:           4
        .value_kind:     hidden_block_count_y
      - .offset:         120
        .size:           4
        .value_kind:     hidden_block_count_z
      - .offset:         124
        .size:           2
        .value_kind:     hidden_group_size_x
      - .offset:         126
        .size:           2
        .value_kind:     hidden_group_size_y
      - .offset:         128
        .size:           2
        .value_kind:     hidden_group_size_z
      - .offset:         130
        .size:           2
        .value_kind:     hidden_remainder_x
      - .offset:         132
        .size:           2
        .value_kind:     hidden_remainder_y
      - .offset:         134
        .size:           2
        .value_kind:     hidden_remainder_z
      - .offset:         152
        .size:           8
        .value_kind:     hidden_global_offset_x
      - .offset:         160
        .size:           8
        .value_kind:     hidden_global_offset_y
      - .offset:         168
        .size:           8
        .value_kind:     hidden_global_offset_z
      - .offset:         176
        .size:           2
        .value_kind:     hidden_grid_dims
    .group_segment_fixed_size: 512
    .kernarg_segment_align: 8
    .kernarg_segment_size: 368
    .language:       OpenCL C
    .language_version:
      - 2
      - 0
    .max_flat_workgroup_size: 4
    .name:           _ZL30rocblas_trsm_small_left_deviceILi4ELi4ELb1E19rocblas_complex_numIdES1_PKPKS1_PKPS1_Ev13rocblas_fill_18rocblas_operation_17rocblas_diagonal_iiT3_T4_lilT5_lili
    .private_segment_fixed_size: 0
    .sgpr_count:     36
    .sgpr_spill_count: 0
    .symbol:         _ZL30rocblas_trsm_small_left_deviceILi4ELi4ELb1E19rocblas_complex_numIdES1_PKPKS1_PKPS1_Ev13rocblas_fill_18rocblas_operation_17rocblas_diagonal_iiT3_T4_lilT5_lili.kd
    .uniform_work_group_size: 1
    .uses_dynamic_stack: false
    .vgpr_count:     26
    .vgpr_spill_count: 0
    .wavefront_size: 32
    .workgroup_processor_mode: 1
  - .args:
      - .offset:         0
        .size:           4
        .value_kind:     by_value
      - .offset:         4
        .size:           4
        .value_kind:     by_value
      - .offset:         8
        .size:           4
        .value_kind:     by_value
      - .offset:         12
        .size:           4
        .value_kind:     by_value
      - .offset:         16
        .size:           4
        .value_kind:     by_value
      - .offset:         24
        .size:           16
        .value_kind:     by_value
      - .address_space:  global
        .offset:         40
        .size:           8
        .value_kind:     global_buffer
      - .offset:         48
        .size:           8
        .value_kind:     by_value
      - .offset:         56
        .size:           4
        .value_kind:     by_value
      - .offset:         64
        .size:           8
        .value_kind:     by_value
      - .address_space:  global
        .offset:         72
        .size:           8
        .value_kind:     global_buffer
      - .offset:         80
        .size:           8
        .value_kind:     by_value
      - .offset:         88
        .size:           4
        .value_kind:     by_value
      - .offset:         96
        .size:           8
        .value_kind:     by_value
      - .offset:         104
        .size:           4
        .value_kind:     by_value
      - .offset:         112
        .size:           4
        .value_kind:     hidden_block_count_x
      - .offset:         116
        .size:           4
        .value_kind:     hidden_block_count_y
      - .offset:         120
        .size:           4
        .value_kind:     hidden_block_count_z
      - .offset:         124
        .size:           2
        .value_kind:     hidden_group_size_x
      - .offset:         126
        .size:           2
        .value_kind:     hidden_group_size_y
      - .offset:         128
        .size:           2
        .value_kind:     hidden_group_size_z
      - .offset:         130
        .size:           2
        .value_kind:     hidden_remainder_x
      - .offset:         132
        .size:           2
        .value_kind:     hidden_remainder_y
      - .offset:         134
        .size:           2
        .value_kind:     hidden_remainder_z
      - .offset:         152
        .size:           8
        .value_kind:     hidden_global_offset_x
      - .offset:         160
        .size:           8
        .value_kind:     hidden_global_offset_y
      - .offset:         168
        .size:           8
        .value_kind:     hidden_global_offset_z
      - .offset:         176
        .size:           2
        .value_kind:     hidden_grid_dims
    .group_segment_fixed_size: 512
    .kernarg_segment_align: 8
    .kernarg_segment_size: 368
    .language:       OpenCL C
    .language_version:
      - 2
      - 0
    .max_flat_workgroup_size: 4
    .name:           _ZL31rocblas_trsm_small_right_deviceI19rocblas_complex_numIdES1_PKPKS1_PKPS1_Li4EEv13rocblas_fill_18rocblas_operation_17rocblas_diagonal_iiT0_T1_lilT2_lili
    .private_segment_fixed_size: 0
    .sgpr_count:     34
    .sgpr_spill_count: 0
    .symbol:         _ZL31rocblas_trsm_small_right_deviceI19rocblas_complex_numIdES1_PKPKS1_PKPS1_Li4EEv13rocblas_fill_18rocblas_operation_17rocblas_diagonal_iiT0_T1_lilT2_lili.kd
    .uniform_work_group_size: 1
    .uses_dynamic_stack: false
    .vgpr_count:     37
    .vgpr_spill_count: 0
    .wavefront_size: 32
    .workgroup_processor_mode: 1
  - .args:
      - .offset:         0
        .size:           4
        .value_kind:     by_value
      - .offset:         4
        .size:           4
        .value_kind:     by_value
      - .offset:         8
        .size:           4
        .value_kind:     by_value
      - .offset:         12
        .size:           4
        .value_kind:     by_value
      - .offset:         16
        .size:           4
        .value_kind:     by_value
      - .offset:         24
        .size:           16
        .value_kind:     by_value
      - .address_space:  global
        .offset:         40
        .size:           8
        .value_kind:     global_buffer
      - .offset:         48
        .size:           8
        .value_kind:     by_value
      - .offset:         56
        .size:           4
        .value_kind:     by_value
      - .offset:         64
        .size:           8
        .value_kind:     by_value
      - .address_space:  global
        .offset:         72
        .size:           8
        .value_kind:     global_buffer
      - .offset:         80
        .size:           8
        .value_kind:     by_value
      - .offset:         88
        .size:           4
        .value_kind:     by_value
      - .offset:         96
        .size:           8
        .value_kind:     by_value
      - .offset:         104
        .size:           4
        .value_kind:     by_value
      - .offset:         112
        .size:           4
        .value_kind:     hidden_block_count_x
      - .offset:         116
        .size:           4
        .value_kind:     hidden_block_count_y
      - .offset:         120
        .size:           4
        .value_kind:     hidden_block_count_z
      - .offset:         124
        .size:           2
        .value_kind:     hidden_group_size_x
      - .offset:         126
        .size:           2
        .value_kind:     hidden_group_size_y
      - .offset:         128
        .size:           2
        .value_kind:     hidden_group_size_z
      - .offset:         130
        .size:           2
        .value_kind:     hidden_remainder_x
      - .offset:         132
        .size:           2
        .value_kind:     hidden_remainder_y
      - .offset:         134
        .size:           2
        .value_kind:     hidden_remainder_z
      - .offset:         152
        .size:           8
        .value_kind:     hidden_global_offset_x
      - .offset:         160
        .size:           8
        .value_kind:     hidden_global_offset_y
      - .offset:         168
        .size:           8
        .value_kind:     hidden_global_offset_z
      - .offset:         176
        .size:           2
        .value_kind:     hidden_grid_dims
    .group_segment_fixed_size: 2048
    .kernarg_segment_align: 8
    .kernarg_segment_size: 368
    .language:       OpenCL C
    .language_version:
      - 2
      - 0
    .max_flat_workgroup_size: 8
    .name:           _ZL38rocblas_trsm_small_left_device_sharedBILi8ELi8ELb0E19rocblas_complex_numIdES1_PKPKS1_PKPS1_Ev13rocblas_fill_18rocblas_operation_17rocblas_diagonal_iiT3_T4_lilT5_lili
    .private_segment_fixed_size: 144
    .sgpr_count:     34
    .sgpr_spill_count: 0
    .symbol:         _ZL38rocblas_trsm_small_left_device_sharedBILi8ELi8ELb0E19rocblas_complex_numIdES1_PKPKS1_PKPS1_Ev13rocblas_fill_18rocblas_operation_17rocblas_diagonal_iiT3_T4_lilT5_lili.kd
    .uniform_work_group_size: 1
    .uses_dynamic_stack: false
    .vgpr_count:     24
    .vgpr_spill_count: 0
    .wavefront_size: 32
    .workgroup_processor_mode: 1
  - .args:
      - .offset:         0
        .size:           4
        .value_kind:     by_value
      - .offset:         4
        .size:           4
        .value_kind:     by_value
      - .offset:         8
        .size:           4
        .value_kind:     by_value
      - .offset:         12
        .size:           4
        .value_kind:     by_value
      - .offset:         16
        .size:           4
        .value_kind:     by_value
      - .offset:         24
        .size:           16
        .value_kind:     by_value
      - .address_space:  global
        .offset:         40
        .size:           8
        .value_kind:     global_buffer
      - .offset:         48
        .size:           8
        .value_kind:     by_value
      - .offset:         56
        .size:           4
        .value_kind:     by_value
      - .offset:         64
        .size:           8
        .value_kind:     by_value
      - .address_space:  global
        .offset:         72
        .size:           8
        .value_kind:     global_buffer
      - .offset:         80
        .size:           8
        .value_kind:     by_value
      - .offset:         88
        .size:           4
        .value_kind:     by_value
      - .offset:         96
        .size:           8
        .value_kind:     by_value
      - .offset:         104
        .size:           4
        .value_kind:     by_value
      - .offset:         112
        .size:           4
        .value_kind:     hidden_block_count_x
      - .offset:         116
        .size:           4
        .value_kind:     hidden_block_count_y
      - .offset:         120
        .size:           4
        .value_kind:     hidden_block_count_z
      - .offset:         124
        .size:           2
        .value_kind:     hidden_group_size_x
      - .offset:         126
        .size:           2
        .value_kind:     hidden_group_size_y
      - .offset:         128
        .size:           2
        .value_kind:     hidden_group_size_z
      - .offset:         130
        .size:           2
        .value_kind:     hidden_remainder_x
      - .offset:         132
        .size:           2
        .value_kind:     hidden_remainder_y
      - .offset:         134
        .size:           2
        .value_kind:     hidden_remainder_z
      - .offset:         152
        .size:           8
        .value_kind:     hidden_global_offset_x
      - .offset:         160
        .size:           8
        .value_kind:     hidden_global_offset_y
      - .offset:         168
        .size:           8
        .value_kind:     hidden_global_offset_z
      - .offset:         176
        .size:           2
        .value_kind:     hidden_grid_dims
    .group_segment_fixed_size: 2048
    .kernarg_segment_align: 8
    .kernarg_segment_size: 368
    .language:       OpenCL C
    .language_version:
      - 2
      - 0
    .max_flat_workgroup_size: 8
    .name:           _ZL30rocblas_trsm_small_left_deviceILi8ELi8ELb0E19rocblas_complex_numIdES1_PKPKS1_PKPS1_Ev13rocblas_fill_18rocblas_operation_17rocblas_diagonal_iiT3_T4_lilT5_lili
    .private_segment_fixed_size: 0
    .sgpr_count:     36
    .sgpr_spill_count: 0
    .symbol:         _ZL30rocblas_trsm_small_left_deviceILi8ELi8ELb0E19rocblas_complex_numIdES1_PKPKS1_PKPS1_Ev13rocblas_fill_18rocblas_operation_17rocblas_diagonal_iiT3_T4_lilT5_lili.kd
    .uniform_work_group_size: 1
    .uses_dynamic_stack: false
    .vgpr_count:     26
    .vgpr_spill_count: 0
    .wavefront_size: 32
    .workgroup_processor_mode: 1
  - .args:
      - .offset:         0
        .size:           4
        .value_kind:     by_value
      - .offset:         4
        .size:           4
        .value_kind:     by_value
      - .offset:         8
        .size:           4
        .value_kind:     by_value
      - .offset:         12
        .size:           4
        .value_kind:     by_value
      - .offset:         16
        .size:           4
        .value_kind:     by_value
      - .offset:         24
        .size:           16
        .value_kind:     by_value
      - .address_space:  global
        .offset:         40
        .size:           8
        .value_kind:     global_buffer
      - .offset:         48
        .size:           8
        .value_kind:     by_value
      - .offset:         56
        .size:           4
        .value_kind:     by_value
      - .offset:         64
        .size:           8
        .value_kind:     by_value
      - .address_space:  global
        .offset:         72
        .size:           8
        .value_kind:     global_buffer
      - .offset:         80
        .size:           8
        .value_kind:     by_value
      - .offset:         88
        .size:           4
        .value_kind:     by_value
      - .offset:         96
        .size:           8
        .value_kind:     by_value
      - .offset:         104
        .size:           4
        .value_kind:     by_value
      - .offset:         112
        .size:           4
        .value_kind:     hidden_block_count_x
      - .offset:         116
        .size:           4
        .value_kind:     hidden_block_count_y
      - .offset:         120
        .size:           4
        .value_kind:     hidden_block_count_z
      - .offset:         124
        .size:           2
        .value_kind:     hidden_group_size_x
      - .offset:         126
        .size:           2
        .value_kind:     hidden_group_size_y
      - .offset:         128
        .size:           2
        .value_kind:     hidden_group_size_z
      - .offset:         130
        .size:           2
        .value_kind:     hidden_remainder_x
      - .offset:         132
        .size:           2
        .value_kind:     hidden_remainder_y
      - .offset:         134
        .size:           2
        .value_kind:     hidden_remainder_z
      - .offset:         152
        .size:           8
        .value_kind:     hidden_global_offset_x
      - .offset:         160
        .size:           8
        .value_kind:     hidden_global_offset_y
      - .offset:         168
        .size:           8
        .value_kind:     hidden_global_offset_z
      - .offset:         176
        .size:           2
        .value_kind:     hidden_grid_dims
    .group_segment_fixed_size: 2048
    .kernarg_segment_align: 8
    .kernarg_segment_size: 368
    .language:       OpenCL C
    .language_version:
      - 2
      - 0
    .max_flat_workgroup_size: 8
    .name:           _ZL38rocblas_trsm_small_left_device_sharedBILi8ELi8ELb1E19rocblas_complex_numIdES1_PKPKS1_PKPS1_Ev13rocblas_fill_18rocblas_operation_17rocblas_diagonal_iiT3_T4_lilT5_lili
    .private_segment_fixed_size: 144
    .sgpr_count:     34
    .sgpr_spill_count: 0
    .symbol:         _ZL38rocblas_trsm_small_left_device_sharedBILi8ELi8ELb1E19rocblas_complex_numIdES1_PKPKS1_PKPS1_Ev13rocblas_fill_18rocblas_operation_17rocblas_diagonal_iiT3_T4_lilT5_lili.kd
    .uniform_work_group_size: 1
    .uses_dynamic_stack: false
    .vgpr_count:     24
    .vgpr_spill_count: 0
    .wavefront_size: 32
    .workgroup_processor_mode: 1
  - .args:
      - .offset:         0
        .size:           4
        .value_kind:     by_value
      - .offset:         4
        .size:           4
        .value_kind:     by_value
      - .offset:         8
        .size:           4
        .value_kind:     by_value
      - .offset:         12
        .size:           4
        .value_kind:     by_value
      - .offset:         16
        .size:           4
        .value_kind:     by_value
      - .offset:         24
        .size:           16
        .value_kind:     by_value
      - .address_space:  global
        .offset:         40
        .size:           8
        .value_kind:     global_buffer
      - .offset:         48
        .size:           8
        .value_kind:     by_value
      - .offset:         56
        .size:           4
        .value_kind:     by_value
      - .offset:         64
        .size:           8
        .value_kind:     by_value
      - .address_space:  global
        .offset:         72
        .size:           8
        .value_kind:     global_buffer
      - .offset:         80
        .size:           8
        .value_kind:     by_value
      - .offset:         88
        .size:           4
        .value_kind:     by_value
      - .offset:         96
        .size:           8
        .value_kind:     by_value
      - .offset:         104
        .size:           4
        .value_kind:     by_value
      - .offset:         112
        .size:           4
        .value_kind:     hidden_block_count_x
      - .offset:         116
        .size:           4
        .value_kind:     hidden_block_count_y
      - .offset:         120
        .size:           4
        .value_kind:     hidden_block_count_z
      - .offset:         124
        .size:           2
        .value_kind:     hidden_group_size_x
      - .offset:         126
        .size:           2
        .value_kind:     hidden_group_size_y
      - .offset:         128
        .size:           2
        .value_kind:     hidden_group_size_z
      - .offset:         130
        .size:           2
        .value_kind:     hidden_remainder_x
      - .offset:         132
        .size:           2
        .value_kind:     hidden_remainder_y
      - .offset:         134
        .size:           2
        .value_kind:     hidden_remainder_z
      - .offset:         152
        .size:           8
        .value_kind:     hidden_global_offset_x
      - .offset:         160
        .size:           8
        .value_kind:     hidden_global_offset_y
      - .offset:         168
        .size:           8
        .value_kind:     hidden_global_offset_z
      - .offset:         176
        .size:           2
        .value_kind:     hidden_grid_dims
    .group_segment_fixed_size: 2048
    .kernarg_segment_align: 8
    .kernarg_segment_size: 368
    .language:       OpenCL C
    .language_version:
      - 2
      - 0
    .max_flat_workgroup_size: 8
    .name:           _ZL30rocblas_trsm_small_left_deviceILi8ELi8ELb1E19rocblas_complex_numIdES1_PKPKS1_PKPS1_Ev13rocblas_fill_18rocblas_operation_17rocblas_diagonal_iiT3_T4_lilT5_lili
    .private_segment_fixed_size: 0
    .sgpr_count:     36
    .sgpr_spill_count: 0
    .symbol:         _ZL30rocblas_trsm_small_left_deviceILi8ELi8ELb1E19rocblas_complex_numIdES1_PKPKS1_PKPS1_Ev13rocblas_fill_18rocblas_operation_17rocblas_diagonal_iiT3_T4_lilT5_lili.kd
    .uniform_work_group_size: 1
    .uses_dynamic_stack: false
    .vgpr_count:     26
    .vgpr_spill_count: 0
    .wavefront_size: 32
    .workgroup_processor_mode: 1
  - .args:
      - .offset:         0
        .size:           4
        .value_kind:     by_value
      - .offset:         4
        .size:           4
        .value_kind:     by_value
      - .offset:         8
        .size:           4
        .value_kind:     by_value
      - .offset:         12
        .size:           4
        .value_kind:     by_value
      - .offset:         16
        .size:           4
        .value_kind:     by_value
      - .offset:         24
        .size:           16
        .value_kind:     by_value
      - .address_space:  global
        .offset:         40
        .size:           8
        .value_kind:     global_buffer
      - .offset:         48
        .size:           8
        .value_kind:     by_value
      - .offset:         56
        .size:           4
        .value_kind:     by_value
      - .offset:         64
        .size:           8
        .value_kind:     by_value
      - .address_space:  global
        .offset:         72
        .size:           8
        .value_kind:     global_buffer
      - .offset:         80
        .size:           8
        .value_kind:     by_value
      - .offset:         88
        .size:           4
        .value_kind:     by_value
      - .offset:         96
        .size:           8
        .value_kind:     by_value
      - .offset:         104
        .size:           4
        .value_kind:     by_value
      - .offset:         112
        .size:           4
        .value_kind:     hidden_block_count_x
      - .offset:         116
        .size:           4
        .value_kind:     hidden_block_count_y
      - .offset:         120
        .size:           4
        .value_kind:     hidden_block_count_z
      - .offset:         124
        .size:           2
        .value_kind:     hidden_group_size_x
      - .offset:         126
        .size:           2
        .value_kind:     hidden_group_size_y
      - .offset:         128
        .size:           2
        .value_kind:     hidden_group_size_z
      - .offset:         130
        .size:           2
        .value_kind:     hidden_remainder_x
      - .offset:         132
        .size:           2
        .value_kind:     hidden_remainder_y
      - .offset:         134
        .size:           2
        .value_kind:     hidden_remainder_z
      - .offset:         152
        .size:           8
        .value_kind:     hidden_global_offset_x
      - .offset:         160
        .size:           8
        .value_kind:     hidden_global_offset_y
      - .offset:         168
        .size:           8
        .value_kind:     hidden_global_offset_z
      - .offset:         176
        .size:           2
        .value_kind:     hidden_grid_dims
    .group_segment_fixed_size: 2048
    .kernarg_segment_align: 8
    .kernarg_segment_size: 368
    .language:       OpenCL C
    .language_version:
      - 2
      - 0
    .max_flat_workgroup_size: 8
    .name:           _ZL31rocblas_trsm_small_right_deviceI19rocblas_complex_numIdES1_PKPKS1_PKPS1_Li8EEv13rocblas_fill_18rocblas_operation_17rocblas_diagonal_iiT0_T1_lilT2_lili
    .private_segment_fixed_size: 0
    .sgpr_count:     34
    .sgpr_spill_count: 0
    .symbol:         _ZL31rocblas_trsm_small_right_deviceI19rocblas_complex_numIdES1_PKPKS1_PKPS1_Li8EEv13rocblas_fill_18rocblas_operation_17rocblas_diagonal_iiT0_T1_lilT2_lili.kd
    .uniform_work_group_size: 1
    .uses_dynamic_stack: false
    .vgpr_count:     81
    .vgpr_spill_count: 0
    .wavefront_size: 32
    .workgroup_processor_mode: 1
  - .args:
      - .offset:         0
        .size:           4
        .value_kind:     by_value
      - .offset:         4
        .size:           4
        .value_kind:     by_value
      - .offset:         8
        .size:           4
        .value_kind:     by_value
      - .offset:         12
        .size:           4
        .value_kind:     by_value
      - .offset:         16
        .size:           4
        .value_kind:     by_value
      - .offset:         24
        .size:           16
        .value_kind:     by_value
      - .address_space:  global
        .offset:         40
        .size:           8
        .value_kind:     global_buffer
      - .offset:         48
        .size:           8
        .value_kind:     by_value
      - .offset:         56
        .size:           4
        .value_kind:     by_value
      - .offset:         64
        .size:           8
        .value_kind:     by_value
      - .address_space:  global
        .offset:         72
        .size:           8
        .value_kind:     global_buffer
      - .offset:         80
        .size:           8
        .value_kind:     by_value
      - .offset:         88
        .size:           4
        .value_kind:     by_value
      - .offset:         96
        .size:           8
        .value_kind:     by_value
      - .offset:         104
        .size:           4
        .value_kind:     by_value
      - .offset:         112
        .size:           4
        .value_kind:     hidden_block_count_x
      - .offset:         116
        .size:           4
        .value_kind:     hidden_block_count_y
      - .offset:         120
        .size:           4
        .value_kind:     hidden_block_count_z
      - .offset:         124
        .size:           2
        .value_kind:     hidden_group_size_x
      - .offset:         126
        .size:           2
        .value_kind:     hidden_group_size_y
      - .offset:         128
        .size:           2
        .value_kind:     hidden_group_size_z
      - .offset:         130
        .size:           2
        .value_kind:     hidden_remainder_x
      - .offset:         132
        .size:           2
        .value_kind:     hidden_remainder_y
      - .offset:         134
        .size:           2
        .value_kind:     hidden_remainder_z
      - .offset:         152
        .size:           8
        .value_kind:     hidden_global_offset_x
      - .offset:         160
        .size:           8
        .value_kind:     hidden_global_offset_y
      - .offset:         168
        .size:           8
        .value_kind:     hidden_global_offset_z
      - .offset:         176
        .size:           2
        .value_kind:     hidden_grid_dims
    .group_segment_fixed_size: 4608
    .kernarg_segment_align: 8
    .kernarg_segment_size: 368
    .language:       OpenCL C
    .language_version:
      - 2
      - 0
    .max_flat_workgroup_size: 12
    .name:           _ZL38rocblas_trsm_small_left_device_sharedBILi12ELi12ELb0E19rocblas_complex_numIdES1_PKPKS1_PKPS1_Ev13rocblas_fill_18rocblas_operation_17rocblas_diagonal_iiT3_T4_lilT5_lili
    .private_segment_fixed_size: 208
    .sgpr_count:     36
    .sgpr_spill_count: 0
    .symbol:         _ZL38rocblas_trsm_small_left_device_sharedBILi12ELi12ELb0E19rocblas_complex_numIdES1_PKPKS1_PKPS1_Ev13rocblas_fill_18rocblas_operation_17rocblas_diagonal_iiT3_T4_lilT5_lili.kd
    .uniform_work_group_size: 1
    .uses_dynamic_stack: false
    .vgpr_count:     54
    .vgpr_spill_count: 0
    .wavefront_size: 32
    .workgroup_processor_mode: 1
  - .args:
      - .offset:         0
        .size:           4
        .value_kind:     by_value
      - .offset:         4
        .size:           4
        .value_kind:     by_value
      - .offset:         8
        .size:           4
        .value_kind:     by_value
      - .offset:         12
        .size:           4
        .value_kind:     by_value
      - .offset:         16
        .size:           4
        .value_kind:     by_value
      - .offset:         24
        .size:           16
        .value_kind:     by_value
      - .address_space:  global
        .offset:         40
        .size:           8
        .value_kind:     global_buffer
      - .offset:         48
        .size:           8
        .value_kind:     by_value
      - .offset:         56
        .size:           4
        .value_kind:     by_value
      - .offset:         64
        .size:           8
        .value_kind:     by_value
      - .address_space:  global
        .offset:         72
        .size:           8
        .value_kind:     global_buffer
      - .offset:         80
        .size:           8
        .value_kind:     by_value
      - .offset:         88
        .size:           4
        .value_kind:     by_value
      - .offset:         96
        .size:           8
        .value_kind:     by_value
      - .offset:         104
        .size:           4
        .value_kind:     by_value
      - .offset:         112
        .size:           4
        .value_kind:     hidden_block_count_x
      - .offset:         116
        .size:           4
        .value_kind:     hidden_block_count_y
      - .offset:         120
        .size:           4
        .value_kind:     hidden_block_count_z
      - .offset:         124
        .size:           2
        .value_kind:     hidden_group_size_x
      - .offset:         126
        .size:           2
        .value_kind:     hidden_group_size_y
      - .offset:         128
        .size:           2
        .value_kind:     hidden_group_size_z
      - .offset:         130
        .size:           2
        .value_kind:     hidden_remainder_x
      - .offset:         132
        .size:           2
        .value_kind:     hidden_remainder_y
      - .offset:         134
        .size:           2
        .value_kind:     hidden_remainder_z
      - .offset:         152
        .size:           8
        .value_kind:     hidden_global_offset_x
      - .offset:         160
        .size:           8
        .value_kind:     hidden_global_offset_y
      - .offset:         168
        .size:           8
        .value_kind:     hidden_global_offset_z
      - .offset:         176
        .size:           2
        .value_kind:     hidden_grid_dims
    .group_segment_fixed_size: 2304
    .kernarg_segment_align: 8
    .kernarg_segment_size: 368
    .language:       OpenCL C
    .language_version:
      - 2
      - 0
    .max_flat_workgroup_size: 12
    .name:           _ZL30rocblas_trsm_small_left_deviceILi12ELi12ELb0E19rocblas_complex_numIdES1_PKPKS1_PKPS1_Ev13rocblas_fill_18rocblas_operation_17rocblas_diagonal_iiT3_T4_lilT5_lili
    .private_segment_fixed_size: 208
    .sgpr_count:     33
    .sgpr_spill_count: 0
    .symbol:         _ZL30rocblas_trsm_small_left_deviceILi12ELi12ELb0E19rocblas_complex_numIdES1_PKPKS1_PKPS1_Ev13rocblas_fill_18rocblas_operation_17rocblas_diagonal_iiT3_T4_lilT5_lili.kd
    .uniform_work_group_size: 1
    .uses_dynamic_stack: false
    .vgpr_count:     25
    .vgpr_spill_count: 0
    .wavefront_size: 32
    .workgroup_processor_mode: 1
  - .args:
      - .offset:         0
        .size:           4
        .value_kind:     by_value
      - .offset:         4
        .size:           4
        .value_kind:     by_value
      - .offset:         8
        .size:           4
        .value_kind:     by_value
      - .offset:         12
        .size:           4
        .value_kind:     by_value
      - .offset:         16
        .size:           4
        .value_kind:     by_value
      - .offset:         24
        .size:           16
        .value_kind:     by_value
      - .address_space:  global
        .offset:         40
        .size:           8
        .value_kind:     global_buffer
      - .offset:         48
        .size:           8
        .value_kind:     by_value
      - .offset:         56
        .size:           4
        .value_kind:     by_value
      - .offset:         64
        .size:           8
        .value_kind:     by_value
      - .address_space:  global
        .offset:         72
        .size:           8
        .value_kind:     global_buffer
      - .offset:         80
        .size:           8
        .value_kind:     by_value
      - .offset:         88
        .size:           4
        .value_kind:     by_value
      - .offset:         96
        .size:           8
        .value_kind:     by_value
      - .offset:         104
        .size:           4
        .value_kind:     by_value
      - .offset:         112
        .size:           4
        .value_kind:     hidden_block_count_x
      - .offset:         116
        .size:           4
        .value_kind:     hidden_block_count_y
      - .offset:         120
        .size:           4
        .value_kind:     hidden_block_count_z
      - .offset:         124
        .size:           2
        .value_kind:     hidden_group_size_x
      - .offset:         126
        .size:           2
        .value_kind:     hidden_group_size_y
      - .offset:         128
        .size:           2
        .value_kind:     hidden_group_size_z
      - .offset:         130
        .size:           2
        .value_kind:     hidden_remainder_x
      - .offset:         132
        .size:           2
        .value_kind:     hidden_remainder_y
      - .offset:         134
        .size:           2
        .value_kind:     hidden_remainder_z
      - .offset:         152
        .size:           8
        .value_kind:     hidden_global_offset_x
      - .offset:         160
        .size:           8
        .value_kind:     hidden_global_offset_y
      - .offset:         168
        .size:           8
        .value_kind:     hidden_global_offset_z
      - .offset:         176
        .size:           2
        .value_kind:     hidden_grid_dims
    .group_segment_fixed_size: 4608
    .kernarg_segment_align: 8
    .kernarg_segment_size: 368
    .language:       OpenCL C
    .language_version:
      - 2
      - 0
    .max_flat_workgroup_size: 12
    .name:           _ZL38rocblas_trsm_small_left_device_sharedBILi12ELi12ELb1E19rocblas_complex_numIdES1_PKPKS1_PKPS1_Ev13rocblas_fill_18rocblas_operation_17rocblas_diagonal_iiT3_T4_lilT5_lili
    .private_segment_fixed_size: 208
    .sgpr_count:     37
    .sgpr_spill_count: 0
    .symbol:         _ZL38rocblas_trsm_small_left_device_sharedBILi12ELi12ELb1E19rocblas_complex_numIdES1_PKPKS1_PKPS1_Ev13rocblas_fill_18rocblas_operation_17rocblas_diagonal_iiT3_T4_lilT5_lili.kd
    .uniform_work_group_size: 1
    .uses_dynamic_stack: false
    .vgpr_count:     54
    .vgpr_spill_count: 0
    .wavefront_size: 32
    .workgroup_processor_mode: 1
  - .args:
      - .offset:         0
        .size:           4
        .value_kind:     by_value
      - .offset:         4
        .size:           4
        .value_kind:     by_value
      - .offset:         8
        .size:           4
        .value_kind:     by_value
      - .offset:         12
        .size:           4
        .value_kind:     by_value
      - .offset:         16
        .size:           4
        .value_kind:     by_value
      - .offset:         24
        .size:           16
        .value_kind:     by_value
      - .address_space:  global
        .offset:         40
        .size:           8
        .value_kind:     global_buffer
      - .offset:         48
        .size:           8
        .value_kind:     by_value
      - .offset:         56
        .size:           4
        .value_kind:     by_value
      - .offset:         64
        .size:           8
        .value_kind:     by_value
      - .address_space:  global
        .offset:         72
        .size:           8
        .value_kind:     global_buffer
      - .offset:         80
        .size:           8
        .value_kind:     by_value
      - .offset:         88
        .size:           4
        .value_kind:     by_value
      - .offset:         96
        .size:           8
        .value_kind:     by_value
      - .offset:         104
        .size:           4
        .value_kind:     by_value
      - .offset:         112
        .size:           4
        .value_kind:     hidden_block_count_x
      - .offset:         116
        .size:           4
        .value_kind:     hidden_block_count_y
      - .offset:         120
        .size:           4
        .value_kind:     hidden_block_count_z
      - .offset:         124
        .size:           2
        .value_kind:     hidden_group_size_x
      - .offset:         126
        .size:           2
        .value_kind:     hidden_group_size_y
      - .offset:         128
        .size:           2
        .value_kind:     hidden_group_size_z
      - .offset:         130
        .size:           2
        .value_kind:     hidden_remainder_x
      - .offset:         132
        .size:           2
        .value_kind:     hidden_remainder_y
      - .offset:         134
        .size:           2
        .value_kind:     hidden_remainder_z
      - .offset:         152
        .size:           8
        .value_kind:     hidden_global_offset_x
      - .offset:         160
        .size:           8
        .value_kind:     hidden_global_offset_y
      - .offset:         168
        .size:           8
        .value_kind:     hidden_global_offset_z
      - .offset:         176
        .size:           2
        .value_kind:     hidden_grid_dims
    .group_segment_fixed_size: 2304
    .kernarg_segment_align: 8
    .kernarg_segment_size: 368
    .language:       OpenCL C
    .language_version:
      - 2
      - 0
    .max_flat_workgroup_size: 12
    .name:           _ZL30rocblas_trsm_small_left_deviceILi12ELi12ELb1E19rocblas_complex_numIdES1_PKPKS1_PKPS1_Ev13rocblas_fill_18rocblas_operation_17rocblas_diagonal_iiT3_T4_lilT5_lili
    .private_segment_fixed_size: 208
    .sgpr_count:     33
    .sgpr_spill_count: 0
    .symbol:         _ZL30rocblas_trsm_small_left_deviceILi12ELi12ELb1E19rocblas_complex_numIdES1_PKPKS1_PKPS1_Ev13rocblas_fill_18rocblas_operation_17rocblas_diagonal_iiT3_T4_lilT5_lili.kd
    .uniform_work_group_size: 1
    .uses_dynamic_stack: false
    .vgpr_count:     25
    .vgpr_spill_count: 0
    .wavefront_size: 32
    .workgroup_processor_mode: 1
  - .args:
      - .offset:         0
        .size:           4
        .value_kind:     by_value
      - .offset:         4
        .size:           4
        .value_kind:     by_value
      - .offset:         8
        .size:           4
        .value_kind:     by_value
      - .offset:         12
        .size:           4
        .value_kind:     by_value
      - .offset:         16
        .size:           4
        .value_kind:     by_value
      - .offset:         24
        .size:           16
        .value_kind:     by_value
      - .address_space:  global
        .offset:         40
        .size:           8
        .value_kind:     global_buffer
      - .offset:         48
        .size:           8
        .value_kind:     by_value
      - .offset:         56
        .size:           4
        .value_kind:     by_value
      - .offset:         64
        .size:           8
        .value_kind:     by_value
      - .address_space:  global
        .offset:         72
        .size:           8
        .value_kind:     global_buffer
      - .offset:         80
        .size:           8
        .value_kind:     by_value
      - .offset:         88
        .size:           4
        .value_kind:     by_value
      - .offset:         96
        .size:           8
        .value_kind:     by_value
      - .offset:         104
        .size:           4
        .value_kind:     by_value
      - .offset:         112
        .size:           4
        .value_kind:     hidden_block_count_x
      - .offset:         116
        .size:           4
        .value_kind:     hidden_block_count_y
      - .offset:         120
        .size:           4
        .value_kind:     hidden_block_count_z
      - .offset:         124
        .size:           2
        .value_kind:     hidden_group_size_x
      - .offset:         126
        .size:           2
        .value_kind:     hidden_group_size_y
      - .offset:         128
        .size:           2
        .value_kind:     hidden_group_size_z
      - .offset:         130
        .size:           2
        .value_kind:     hidden_remainder_x
      - .offset:         132
        .size:           2
        .value_kind:     hidden_remainder_y
      - .offset:         134
        .size:           2
        .value_kind:     hidden_remainder_z
      - .offset:         152
        .size:           8
        .value_kind:     hidden_global_offset_x
      - .offset:         160
        .size:           8
        .value_kind:     hidden_global_offset_y
      - .offset:         168
        .size:           8
        .value_kind:     hidden_global_offset_z
      - .offset:         176
        .size:           2
        .value_kind:     hidden_grid_dims
    .group_segment_fixed_size: 4608
    .kernarg_segment_align: 8
    .kernarg_segment_size: 368
    .language:       OpenCL C
    .language_version:
      - 2
      - 0
    .max_flat_workgroup_size: 12
    .name:           _ZL31rocblas_trsm_small_right_deviceI19rocblas_complex_numIdES1_PKPKS1_PKPS1_Li12EEv13rocblas_fill_18rocblas_operation_17rocblas_diagonal_iiT0_T1_lilT2_lili
    .private_segment_fixed_size: 0
    .sgpr_count:     34
    .sgpr_spill_count: 0
    .symbol:         _ZL31rocblas_trsm_small_right_deviceI19rocblas_complex_numIdES1_PKPKS1_PKPS1_Li12EEv13rocblas_fill_18rocblas_operation_17rocblas_diagonal_iiT0_T1_lilT2_lili.kd
    .uniform_work_group_size: 1
    .uses_dynamic_stack: false
    .vgpr_count:     80
    .vgpr_spill_count: 0
    .wavefront_size: 32
    .workgroup_processor_mode: 1
  - .args:
      - .offset:         0
        .size:           4
        .value_kind:     by_value
      - .offset:         4
        .size:           4
        .value_kind:     by_value
      - .offset:         8
        .size:           4
        .value_kind:     by_value
      - .offset:         12
        .size:           4
        .value_kind:     by_value
      - .offset:         16
        .size:           4
        .value_kind:     by_value
      - .offset:         24
        .size:           16
        .value_kind:     by_value
      - .address_space:  global
        .offset:         40
        .size:           8
        .value_kind:     global_buffer
      - .offset:         48
        .size:           8
        .value_kind:     by_value
      - .offset:         56
        .size:           4
        .value_kind:     by_value
      - .offset:         64
        .size:           8
        .value_kind:     by_value
      - .address_space:  global
        .offset:         72
        .size:           8
        .value_kind:     global_buffer
      - .offset:         80
        .size:           8
        .value_kind:     by_value
      - .offset:         88
        .size:           4
        .value_kind:     by_value
      - .offset:         96
        .size:           8
        .value_kind:     by_value
      - .offset:         104
        .size:           4
        .value_kind:     by_value
      - .offset:         112
        .size:           4
        .value_kind:     hidden_block_count_x
      - .offset:         116
        .size:           4
        .value_kind:     hidden_block_count_y
      - .offset:         120
        .size:           4
        .value_kind:     hidden_block_count_z
      - .offset:         124
        .size:           2
        .value_kind:     hidden_group_size_x
      - .offset:         126
        .size:           2
        .value_kind:     hidden_group_size_y
      - .offset:         128
        .size:           2
        .value_kind:     hidden_group_size_z
      - .offset:         130
        .size:           2
        .value_kind:     hidden_remainder_x
      - .offset:         132
        .size:           2
        .value_kind:     hidden_remainder_y
      - .offset:         134
        .size:           2
        .value_kind:     hidden_remainder_z
      - .offset:         152
        .size:           8
        .value_kind:     hidden_global_offset_x
      - .offset:         160
        .size:           8
        .value_kind:     hidden_global_offset_y
      - .offset:         168
        .size:           8
        .value_kind:     hidden_global_offset_z
      - .offset:         176
        .size:           2
        .value_kind:     hidden_grid_dims
    .group_segment_fixed_size: 8192
    .kernarg_segment_align: 8
    .kernarg_segment_size: 368
    .language:       OpenCL C
    .language_version:
      - 2
      - 0
    .max_flat_workgroup_size: 16
    .name:           _ZL38rocblas_trsm_small_left_device_sharedBILi16ELi16ELb0E19rocblas_complex_numIdES1_PKPKS1_PKPS1_Ev13rocblas_fill_18rocblas_operation_17rocblas_diagonal_iiT3_T4_lilT5_lili
    .private_segment_fixed_size: 272
    .sgpr_count:     36
    .sgpr_spill_count: 0
    .symbol:         _ZL38rocblas_trsm_small_left_device_sharedBILi16ELi16ELb0E19rocblas_complex_numIdES1_PKPKS1_PKPS1_Ev13rocblas_fill_18rocblas_operation_17rocblas_diagonal_iiT3_T4_lilT5_lili.kd
    .uniform_work_group_size: 1
    .uses_dynamic_stack: false
    .vgpr_count:     54
    .vgpr_spill_count: 0
    .wavefront_size: 32
    .workgroup_processor_mode: 1
  - .args:
      - .offset:         0
        .size:           4
        .value_kind:     by_value
      - .offset:         4
        .size:           4
        .value_kind:     by_value
      - .offset:         8
        .size:           4
        .value_kind:     by_value
      - .offset:         12
        .size:           4
        .value_kind:     by_value
      - .offset:         16
        .size:           4
        .value_kind:     by_value
      - .offset:         24
        .size:           16
        .value_kind:     by_value
      - .address_space:  global
        .offset:         40
        .size:           8
        .value_kind:     global_buffer
      - .offset:         48
        .size:           8
        .value_kind:     by_value
      - .offset:         56
        .size:           4
        .value_kind:     by_value
      - .offset:         64
        .size:           8
        .value_kind:     by_value
      - .address_space:  global
        .offset:         72
        .size:           8
        .value_kind:     global_buffer
      - .offset:         80
        .size:           8
        .value_kind:     by_value
      - .offset:         88
        .size:           4
        .value_kind:     by_value
      - .offset:         96
        .size:           8
        .value_kind:     by_value
      - .offset:         104
        .size:           4
        .value_kind:     by_value
      - .offset:         112
        .size:           4
        .value_kind:     hidden_block_count_x
      - .offset:         116
        .size:           4
        .value_kind:     hidden_block_count_y
      - .offset:         120
        .size:           4
        .value_kind:     hidden_block_count_z
      - .offset:         124
        .size:           2
        .value_kind:     hidden_group_size_x
      - .offset:         126
        .size:           2
        .value_kind:     hidden_group_size_y
      - .offset:         128
        .size:           2
        .value_kind:     hidden_group_size_z
      - .offset:         130
        .size:           2
        .value_kind:     hidden_remainder_x
      - .offset:         132
        .size:           2
        .value_kind:     hidden_remainder_y
      - .offset:         134
        .size:           2
        .value_kind:     hidden_remainder_z
      - .offset:         152
        .size:           8
        .value_kind:     hidden_global_offset_x
      - .offset:         160
        .size:           8
        .value_kind:     hidden_global_offset_y
      - .offset:         168
        .size:           8
        .value_kind:     hidden_global_offset_z
      - .offset:         176
        .size:           2
        .value_kind:     hidden_grid_dims
    .group_segment_fixed_size: 4096
    .kernarg_segment_align: 8
    .kernarg_segment_size: 368
    .language:       OpenCL C
    .language_version:
      - 2
      - 0
    .max_flat_workgroup_size: 16
    .name:           _ZL30rocblas_trsm_small_left_deviceILi16ELi16ELb0E19rocblas_complex_numIdES1_PKPKS1_PKPS1_Ev13rocblas_fill_18rocblas_operation_17rocblas_diagonal_iiT3_T4_lilT5_lili
    .private_segment_fixed_size: 272
    .sgpr_count:     33
    .sgpr_spill_count: 0
    .symbol:         _ZL30rocblas_trsm_small_left_deviceILi16ELi16ELb0E19rocblas_complex_numIdES1_PKPKS1_PKPS1_Ev13rocblas_fill_18rocblas_operation_17rocblas_diagonal_iiT3_T4_lilT5_lili.kd
    .uniform_work_group_size: 1
    .uses_dynamic_stack: false
    .vgpr_count:     25
    .vgpr_spill_count: 0
    .wavefront_size: 32
    .workgroup_processor_mode: 1
  - .args:
      - .offset:         0
        .size:           4
        .value_kind:     by_value
      - .offset:         4
        .size:           4
        .value_kind:     by_value
      - .offset:         8
        .size:           4
        .value_kind:     by_value
      - .offset:         12
        .size:           4
        .value_kind:     by_value
      - .offset:         16
        .size:           4
        .value_kind:     by_value
      - .offset:         24
        .size:           16
        .value_kind:     by_value
      - .address_space:  global
        .offset:         40
        .size:           8
        .value_kind:     global_buffer
      - .offset:         48
        .size:           8
        .value_kind:     by_value
      - .offset:         56
        .size:           4
        .value_kind:     by_value
      - .offset:         64
        .size:           8
        .value_kind:     by_value
      - .address_space:  global
        .offset:         72
        .size:           8
        .value_kind:     global_buffer
      - .offset:         80
        .size:           8
        .value_kind:     by_value
      - .offset:         88
        .size:           4
        .value_kind:     by_value
      - .offset:         96
        .size:           8
        .value_kind:     by_value
      - .offset:         104
        .size:           4
        .value_kind:     by_value
      - .offset:         112
        .size:           4
        .value_kind:     hidden_block_count_x
      - .offset:         116
        .size:           4
        .value_kind:     hidden_block_count_y
      - .offset:         120
        .size:           4
        .value_kind:     hidden_block_count_z
      - .offset:         124
        .size:           2
        .value_kind:     hidden_group_size_x
      - .offset:         126
        .size:           2
        .value_kind:     hidden_group_size_y
      - .offset:         128
        .size:           2
        .value_kind:     hidden_group_size_z
      - .offset:         130
        .size:           2
        .value_kind:     hidden_remainder_x
      - .offset:         132
        .size:           2
        .value_kind:     hidden_remainder_y
      - .offset:         134
        .size:           2
        .value_kind:     hidden_remainder_z
      - .offset:         152
        .size:           8
        .value_kind:     hidden_global_offset_x
      - .offset:         160
        .size:           8
        .value_kind:     hidden_global_offset_y
      - .offset:         168
        .size:           8
        .value_kind:     hidden_global_offset_z
      - .offset:         176
        .size:           2
        .value_kind:     hidden_grid_dims
    .group_segment_fixed_size: 8192
    .kernarg_segment_align: 8
    .kernarg_segment_size: 368
    .language:       OpenCL C
    .language_version:
      - 2
      - 0
    .max_flat_workgroup_size: 16
    .name:           _ZL38rocblas_trsm_small_left_device_sharedBILi16ELi16ELb1E19rocblas_complex_numIdES1_PKPKS1_PKPS1_Ev13rocblas_fill_18rocblas_operation_17rocblas_diagonal_iiT3_T4_lilT5_lili
    .private_segment_fixed_size: 272
    .sgpr_count:     37
    .sgpr_spill_count: 0
    .symbol:         _ZL38rocblas_trsm_small_left_device_sharedBILi16ELi16ELb1E19rocblas_complex_numIdES1_PKPKS1_PKPS1_Ev13rocblas_fill_18rocblas_operation_17rocblas_diagonal_iiT3_T4_lilT5_lili.kd
    .uniform_work_group_size: 1
    .uses_dynamic_stack: false
    .vgpr_count:     54
    .vgpr_spill_count: 0
    .wavefront_size: 32
    .workgroup_processor_mode: 1
  - .args:
      - .offset:         0
        .size:           4
        .value_kind:     by_value
      - .offset:         4
        .size:           4
        .value_kind:     by_value
      - .offset:         8
        .size:           4
        .value_kind:     by_value
      - .offset:         12
        .size:           4
        .value_kind:     by_value
      - .offset:         16
        .size:           4
        .value_kind:     by_value
      - .offset:         24
        .size:           16
        .value_kind:     by_value
      - .address_space:  global
        .offset:         40
        .size:           8
        .value_kind:     global_buffer
      - .offset:         48
        .size:           8
        .value_kind:     by_value
      - .offset:         56
        .size:           4
        .value_kind:     by_value
      - .offset:         64
        .size:           8
        .value_kind:     by_value
      - .address_space:  global
        .offset:         72
        .size:           8
        .value_kind:     global_buffer
      - .offset:         80
        .size:           8
        .value_kind:     by_value
      - .offset:         88
        .size:           4
        .value_kind:     by_value
      - .offset:         96
        .size:           8
        .value_kind:     by_value
      - .offset:         104
        .size:           4
        .value_kind:     by_value
      - .offset:         112
        .size:           4
        .value_kind:     hidden_block_count_x
      - .offset:         116
        .size:           4
        .value_kind:     hidden_block_count_y
      - .offset:         120
        .size:           4
        .value_kind:     hidden_block_count_z
      - .offset:         124
        .size:           2
        .value_kind:     hidden_group_size_x
      - .offset:         126
        .size:           2
        .value_kind:     hidden_group_size_y
      - .offset:         128
        .size:           2
        .value_kind:     hidden_group_size_z
      - .offset:         130
        .size:           2
        .value_kind:     hidden_remainder_x
      - .offset:         132
        .size:           2
        .value_kind:     hidden_remainder_y
      - .offset:         134
        .size:           2
        .value_kind:     hidden_remainder_z
      - .offset:         152
        .size:           8
        .value_kind:     hidden_global_offset_x
      - .offset:         160
        .size:           8
        .value_kind:     hidden_global_offset_y
      - .offset:         168
        .size:           8
        .value_kind:     hidden_global_offset_z
      - .offset:         176
        .size:           2
        .value_kind:     hidden_grid_dims
    .group_segment_fixed_size: 4096
    .kernarg_segment_align: 8
    .kernarg_segment_size: 368
    .language:       OpenCL C
    .language_version:
      - 2
      - 0
    .max_flat_workgroup_size: 16
    .name:           _ZL30rocblas_trsm_small_left_deviceILi16ELi16ELb1E19rocblas_complex_numIdES1_PKPKS1_PKPS1_Ev13rocblas_fill_18rocblas_operation_17rocblas_diagonal_iiT3_T4_lilT5_lili
    .private_segment_fixed_size: 272
    .sgpr_count:     33
    .sgpr_spill_count: 0
    .symbol:         _ZL30rocblas_trsm_small_left_deviceILi16ELi16ELb1E19rocblas_complex_numIdES1_PKPKS1_PKPS1_Ev13rocblas_fill_18rocblas_operation_17rocblas_diagonal_iiT3_T4_lilT5_lili.kd
    .uniform_work_group_size: 1
    .uses_dynamic_stack: false
    .vgpr_count:     25
    .vgpr_spill_count: 0
    .wavefront_size: 32
    .workgroup_processor_mode: 1
  - .args:
      - .offset:         0
        .size:           4
        .value_kind:     by_value
      - .offset:         4
        .size:           4
        .value_kind:     by_value
      - .offset:         8
        .size:           4
        .value_kind:     by_value
      - .offset:         12
        .size:           4
        .value_kind:     by_value
      - .offset:         16
        .size:           4
        .value_kind:     by_value
      - .offset:         24
        .size:           16
        .value_kind:     by_value
      - .address_space:  global
        .offset:         40
        .size:           8
        .value_kind:     global_buffer
      - .offset:         48
        .size:           8
        .value_kind:     by_value
      - .offset:         56
        .size:           4
        .value_kind:     by_value
      - .offset:         64
        .size:           8
        .value_kind:     by_value
      - .address_space:  global
        .offset:         72
        .size:           8
        .value_kind:     global_buffer
      - .offset:         80
        .size:           8
        .value_kind:     by_value
      - .offset:         88
        .size:           4
        .value_kind:     by_value
      - .offset:         96
        .size:           8
        .value_kind:     by_value
      - .offset:         104
        .size:           4
        .value_kind:     by_value
      - .offset:         112
        .size:           4
        .value_kind:     hidden_block_count_x
      - .offset:         116
        .size:           4
        .value_kind:     hidden_block_count_y
      - .offset:         120
        .size:           4
        .value_kind:     hidden_block_count_z
      - .offset:         124
        .size:           2
        .value_kind:     hidden_group_size_x
      - .offset:         126
        .size:           2
        .value_kind:     hidden_group_size_y
      - .offset:         128
        .size:           2
        .value_kind:     hidden_group_size_z
      - .offset:         130
        .size:           2
        .value_kind:     hidden_remainder_x
      - .offset:         132
        .size:           2
        .value_kind:     hidden_remainder_y
      - .offset:         134
        .size:           2
        .value_kind:     hidden_remainder_z
      - .offset:         152
        .size:           8
        .value_kind:     hidden_global_offset_x
      - .offset:         160
        .size:           8
        .value_kind:     hidden_global_offset_y
      - .offset:         168
        .size:           8
        .value_kind:     hidden_global_offset_z
      - .offset:         176
        .size:           2
        .value_kind:     hidden_grid_dims
    .group_segment_fixed_size: 8192
    .kernarg_segment_align: 8
    .kernarg_segment_size: 368
    .language:       OpenCL C
    .language_version:
      - 2
      - 0
    .max_flat_workgroup_size: 16
    .name:           _ZL31rocblas_trsm_small_right_deviceI19rocblas_complex_numIdES1_PKPKS1_PKPS1_Li16EEv13rocblas_fill_18rocblas_operation_17rocblas_diagonal_iiT0_T1_lilT2_lili
    .private_segment_fixed_size: 0
    .sgpr_count:     34
    .sgpr_spill_count: 0
    .symbol:         _ZL31rocblas_trsm_small_right_deviceI19rocblas_complex_numIdES1_PKPKS1_PKPS1_Li16EEv13rocblas_fill_18rocblas_operation_17rocblas_diagonal_iiT0_T1_lilT2_lili.kd
    .uniform_work_group_size: 1
    .uses_dynamic_stack: false
    .vgpr_count:     81
    .vgpr_spill_count: 0
    .wavefront_size: 32
    .workgroup_processor_mode: 1
  - .args:
      - .offset:         0
        .size:           4
        .value_kind:     by_value
      - .offset:         4
        .size:           4
        .value_kind:     by_value
      - .offset:         8
        .size:           4
        .value_kind:     by_value
      - .offset:         12
        .size:           4
        .value_kind:     by_value
      - .offset:         16
        .size:           4
        .value_kind:     by_value
      - .offset:         24
        .size:           16
        .value_kind:     by_value
      - .address_space:  global
        .offset:         40
        .size:           8
        .value_kind:     global_buffer
      - .offset:         48
        .size:           8
        .value_kind:     by_value
      - .offset:         56
        .size:           4
        .value_kind:     by_value
      - .offset:         64
        .size:           8
        .value_kind:     by_value
      - .address_space:  global
        .offset:         72
        .size:           8
        .value_kind:     global_buffer
      - .offset:         80
        .size:           8
        .value_kind:     by_value
      - .offset:         88
        .size:           4
        .value_kind:     by_value
      - .offset:         96
        .size:           8
        .value_kind:     by_value
      - .offset:         104
        .size:           4
        .value_kind:     by_value
      - .offset:         112
        .size:           4
        .value_kind:     hidden_block_count_x
      - .offset:         116
        .size:           4
        .value_kind:     hidden_block_count_y
      - .offset:         120
        .size:           4
        .value_kind:     hidden_block_count_z
      - .offset:         124
        .size:           2
        .value_kind:     hidden_group_size_x
      - .offset:         126
        .size:           2
        .value_kind:     hidden_group_size_y
      - .offset:         128
        .size:           2
        .value_kind:     hidden_group_size_z
      - .offset:         130
        .size:           2
        .value_kind:     hidden_remainder_x
      - .offset:         132
        .size:           2
        .value_kind:     hidden_remainder_y
      - .offset:         134
        .size:           2
        .value_kind:     hidden_remainder_z
      - .offset:         152
        .size:           8
        .value_kind:     hidden_global_offset_x
      - .offset:         160
        .size:           8
        .value_kind:     hidden_global_offset_y
      - .offset:         168
        .size:           8
        .value_kind:     hidden_global_offset_z
      - .offset:         176
        .size:           2
        .value_kind:     hidden_grid_dims
    .group_segment_fixed_size: 12800
    .kernarg_segment_align: 8
    .kernarg_segment_size: 368
    .language:       OpenCL C
    .language_version:
      - 2
      - 0
    .max_flat_workgroup_size: 20
    .name:           _ZL38rocblas_trsm_small_left_device_sharedBILi20ELi20ELb0E19rocblas_complex_numIdES1_PKPKS1_PKPS1_Ev13rocblas_fill_18rocblas_operation_17rocblas_diagonal_iiT3_T4_lilT5_lili
    .private_segment_fixed_size: 336
    .sgpr_count:     36
    .sgpr_spill_count: 0
    .symbol:         _ZL38rocblas_trsm_small_left_device_sharedBILi20ELi20ELb0E19rocblas_complex_numIdES1_PKPKS1_PKPS1_Ev13rocblas_fill_18rocblas_operation_17rocblas_diagonal_iiT3_T4_lilT5_lili.kd
    .uniform_work_group_size: 1
    .uses_dynamic_stack: false
    .vgpr_count:     54
    .vgpr_spill_count: 0
    .wavefront_size: 32
    .workgroup_processor_mode: 1
  - .args:
      - .offset:         0
        .size:           4
        .value_kind:     by_value
      - .offset:         4
        .size:           4
        .value_kind:     by_value
      - .offset:         8
        .size:           4
        .value_kind:     by_value
      - .offset:         12
        .size:           4
        .value_kind:     by_value
      - .offset:         16
        .size:           4
        .value_kind:     by_value
      - .offset:         24
        .size:           16
        .value_kind:     by_value
      - .address_space:  global
        .offset:         40
        .size:           8
        .value_kind:     global_buffer
      - .offset:         48
        .size:           8
        .value_kind:     by_value
      - .offset:         56
        .size:           4
        .value_kind:     by_value
      - .offset:         64
        .size:           8
        .value_kind:     by_value
      - .address_space:  global
        .offset:         72
        .size:           8
        .value_kind:     global_buffer
      - .offset:         80
        .size:           8
        .value_kind:     by_value
      - .offset:         88
        .size:           4
        .value_kind:     by_value
      - .offset:         96
        .size:           8
        .value_kind:     by_value
      - .offset:         104
        .size:           4
        .value_kind:     by_value
      - .offset:         112
        .size:           4
        .value_kind:     hidden_block_count_x
      - .offset:         116
        .size:           4
        .value_kind:     hidden_block_count_y
      - .offset:         120
        .size:           4
        .value_kind:     hidden_block_count_z
      - .offset:         124
        .size:           2
        .value_kind:     hidden_group_size_x
      - .offset:         126
        .size:           2
        .value_kind:     hidden_group_size_y
      - .offset:         128
        .size:           2
        .value_kind:     hidden_group_size_z
      - .offset:         130
        .size:           2
        .value_kind:     hidden_remainder_x
      - .offset:         132
        .size:           2
        .value_kind:     hidden_remainder_y
      - .offset:         134
        .size:           2
        .value_kind:     hidden_remainder_z
      - .offset:         152
        .size:           8
        .value_kind:     hidden_global_offset_x
      - .offset:         160
        .size:           8
        .value_kind:     hidden_global_offset_y
      - .offset:         168
        .size:           8
        .value_kind:     hidden_global_offset_z
      - .offset:         176
        .size:           2
        .value_kind:     hidden_grid_dims
    .group_segment_fixed_size: 6400
    .kernarg_segment_align: 8
    .kernarg_segment_size: 368
    .language:       OpenCL C
    .language_version:
      - 2
      - 0
    .max_flat_workgroup_size: 20
    .name:           _ZL30rocblas_trsm_small_left_deviceILi20ELi20ELb0E19rocblas_complex_numIdES1_PKPKS1_PKPS1_Ev13rocblas_fill_18rocblas_operation_17rocblas_diagonal_iiT3_T4_lilT5_lili
    .private_segment_fixed_size: 336
    .sgpr_count:     33
    .sgpr_spill_count: 0
    .symbol:         _ZL30rocblas_trsm_small_left_deviceILi20ELi20ELb0E19rocblas_complex_numIdES1_PKPKS1_PKPS1_Ev13rocblas_fill_18rocblas_operation_17rocblas_diagonal_iiT3_T4_lilT5_lili.kd
    .uniform_work_group_size: 1
    .uses_dynamic_stack: false
    .vgpr_count:     25
    .vgpr_spill_count: 0
    .wavefront_size: 32
    .workgroup_processor_mode: 1
  - .args:
      - .offset:         0
        .size:           4
        .value_kind:     by_value
      - .offset:         4
        .size:           4
        .value_kind:     by_value
      - .offset:         8
        .size:           4
        .value_kind:     by_value
      - .offset:         12
        .size:           4
        .value_kind:     by_value
      - .offset:         16
        .size:           4
        .value_kind:     by_value
      - .offset:         24
        .size:           16
        .value_kind:     by_value
      - .address_space:  global
        .offset:         40
        .size:           8
        .value_kind:     global_buffer
      - .offset:         48
        .size:           8
        .value_kind:     by_value
      - .offset:         56
        .size:           4
        .value_kind:     by_value
      - .offset:         64
        .size:           8
        .value_kind:     by_value
      - .address_space:  global
        .offset:         72
        .size:           8
        .value_kind:     global_buffer
      - .offset:         80
        .size:           8
        .value_kind:     by_value
      - .offset:         88
        .size:           4
        .value_kind:     by_value
      - .offset:         96
        .size:           8
        .value_kind:     by_value
      - .offset:         104
        .size:           4
        .value_kind:     by_value
      - .offset:         112
        .size:           4
        .value_kind:     hidden_block_count_x
      - .offset:         116
        .size:           4
        .value_kind:     hidden_block_count_y
      - .offset:         120
        .size:           4
        .value_kind:     hidden_block_count_z
      - .offset:         124
        .size:           2
        .value_kind:     hidden_group_size_x
      - .offset:         126
        .size:           2
        .value_kind:     hidden_group_size_y
      - .offset:         128
        .size:           2
        .value_kind:     hidden_group_size_z
      - .offset:         130
        .size:           2
        .value_kind:     hidden_remainder_x
      - .offset:         132
        .size:           2
        .value_kind:     hidden_remainder_y
      - .offset:         134
        .size:           2
        .value_kind:     hidden_remainder_z
      - .offset:         152
        .size:           8
        .value_kind:     hidden_global_offset_x
      - .offset:         160
        .size:           8
        .value_kind:     hidden_global_offset_y
      - .offset:         168
        .size:           8
        .value_kind:     hidden_global_offset_z
      - .offset:         176
        .size:           2
        .value_kind:     hidden_grid_dims
    .group_segment_fixed_size: 12800
    .kernarg_segment_align: 8
    .kernarg_segment_size: 368
    .language:       OpenCL C
    .language_version:
      - 2
      - 0
    .max_flat_workgroup_size: 20
    .name:           _ZL38rocblas_trsm_small_left_device_sharedBILi20ELi20ELb1E19rocblas_complex_numIdES1_PKPKS1_PKPS1_Ev13rocblas_fill_18rocblas_operation_17rocblas_diagonal_iiT3_T4_lilT5_lili
    .private_segment_fixed_size: 336
    .sgpr_count:     37
    .sgpr_spill_count: 0
    .symbol:         _ZL38rocblas_trsm_small_left_device_sharedBILi20ELi20ELb1E19rocblas_complex_numIdES1_PKPKS1_PKPS1_Ev13rocblas_fill_18rocblas_operation_17rocblas_diagonal_iiT3_T4_lilT5_lili.kd
    .uniform_work_group_size: 1
    .uses_dynamic_stack: false
    .vgpr_count:     54
    .vgpr_spill_count: 0
    .wavefront_size: 32
    .workgroup_processor_mode: 1
  - .args:
      - .offset:         0
        .size:           4
        .value_kind:     by_value
      - .offset:         4
        .size:           4
        .value_kind:     by_value
      - .offset:         8
        .size:           4
        .value_kind:     by_value
      - .offset:         12
        .size:           4
        .value_kind:     by_value
      - .offset:         16
        .size:           4
        .value_kind:     by_value
      - .offset:         24
        .size:           16
        .value_kind:     by_value
      - .address_space:  global
        .offset:         40
        .size:           8
        .value_kind:     global_buffer
      - .offset:         48
        .size:           8
        .value_kind:     by_value
      - .offset:         56
        .size:           4
        .value_kind:     by_value
      - .offset:         64
        .size:           8
        .value_kind:     by_value
      - .address_space:  global
        .offset:         72
        .size:           8
        .value_kind:     global_buffer
      - .offset:         80
        .size:           8
        .value_kind:     by_value
      - .offset:         88
        .size:           4
        .value_kind:     by_value
      - .offset:         96
        .size:           8
        .value_kind:     by_value
      - .offset:         104
        .size:           4
        .value_kind:     by_value
      - .offset:         112
        .size:           4
        .value_kind:     hidden_block_count_x
      - .offset:         116
        .size:           4
        .value_kind:     hidden_block_count_y
      - .offset:         120
        .size:           4
        .value_kind:     hidden_block_count_z
      - .offset:         124
        .size:           2
        .value_kind:     hidden_group_size_x
      - .offset:         126
        .size:           2
        .value_kind:     hidden_group_size_y
      - .offset:         128
        .size:           2
        .value_kind:     hidden_group_size_z
      - .offset:         130
        .size:           2
        .value_kind:     hidden_remainder_x
      - .offset:         132
        .size:           2
        .value_kind:     hidden_remainder_y
      - .offset:         134
        .size:           2
        .value_kind:     hidden_remainder_z
      - .offset:         152
        .size:           8
        .value_kind:     hidden_global_offset_x
      - .offset:         160
        .size:           8
        .value_kind:     hidden_global_offset_y
      - .offset:         168
        .size:           8
        .value_kind:     hidden_global_offset_z
      - .offset:         176
        .size:           2
        .value_kind:     hidden_grid_dims
    .group_segment_fixed_size: 6400
    .kernarg_segment_align: 8
    .kernarg_segment_size: 368
    .language:       OpenCL C
    .language_version:
      - 2
      - 0
    .max_flat_workgroup_size: 20
    .name:           _ZL30rocblas_trsm_small_left_deviceILi20ELi20ELb1E19rocblas_complex_numIdES1_PKPKS1_PKPS1_Ev13rocblas_fill_18rocblas_operation_17rocblas_diagonal_iiT3_T4_lilT5_lili
    .private_segment_fixed_size: 336
    .sgpr_count:     33
    .sgpr_spill_count: 0
    .symbol:         _ZL30rocblas_trsm_small_left_deviceILi20ELi20ELb1E19rocblas_complex_numIdES1_PKPKS1_PKPS1_Ev13rocblas_fill_18rocblas_operation_17rocblas_diagonal_iiT3_T4_lilT5_lili.kd
    .uniform_work_group_size: 1
    .uses_dynamic_stack: false
    .vgpr_count:     25
    .vgpr_spill_count: 0
    .wavefront_size: 32
    .workgroup_processor_mode: 1
  - .args:
      - .offset:         0
        .size:           4
        .value_kind:     by_value
      - .offset:         4
        .size:           4
        .value_kind:     by_value
      - .offset:         8
        .size:           4
        .value_kind:     by_value
      - .offset:         12
        .size:           4
        .value_kind:     by_value
      - .offset:         16
        .size:           4
        .value_kind:     by_value
      - .offset:         24
        .size:           16
        .value_kind:     by_value
      - .address_space:  global
        .offset:         40
        .size:           8
        .value_kind:     global_buffer
      - .offset:         48
        .size:           8
        .value_kind:     by_value
      - .offset:         56
        .size:           4
        .value_kind:     by_value
      - .offset:         64
        .size:           8
        .value_kind:     by_value
      - .address_space:  global
        .offset:         72
        .size:           8
        .value_kind:     global_buffer
      - .offset:         80
        .size:           8
        .value_kind:     by_value
      - .offset:         88
        .size:           4
        .value_kind:     by_value
      - .offset:         96
        .size:           8
        .value_kind:     by_value
      - .offset:         104
        .size:           4
        .value_kind:     by_value
      - .offset:         112
        .size:           4
        .value_kind:     hidden_block_count_x
      - .offset:         116
        .size:           4
        .value_kind:     hidden_block_count_y
      - .offset:         120
        .size:           4
        .value_kind:     hidden_block_count_z
      - .offset:         124
        .size:           2
        .value_kind:     hidden_group_size_x
      - .offset:         126
        .size:           2
        .value_kind:     hidden_group_size_y
      - .offset:         128
        .size:           2
        .value_kind:     hidden_group_size_z
      - .offset:         130
        .size:           2
        .value_kind:     hidden_remainder_x
      - .offset:         132
        .size:           2
        .value_kind:     hidden_remainder_y
      - .offset:         134
        .size:           2
        .value_kind:     hidden_remainder_z
      - .offset:         152
        .size:           8
        .value_kind:     hidden_global_offset_x
      - .offset:         160
        .size:           8
        .value_kind:     hidden_global_offset_y
      - .offset:         168
        .size:           8
        .value_kind:     hidden_global_offset_z
      - .offset:         176
        .size:           2
        .value_kind:     hidden_grid_dims
    .group_segment_fixed_size: 12800
    .kernarg_segment_align: 8
    .kernarg_segment_size: 368
    .language:       OpenCL C
    .language_version:
      - 2
      - 0
    .max_flat_workgroup_size: 20
    .name:           _ZL31rocblas_trsm_small_right_deviceI19rocblas_complex_numIdES1_PKPKS1_PKPS1_Li20EEv13rocblas_fill_18rocblas_operation_17rocblas_diagonal_iiT0_T1_lilT2_lili
    .private_segment_fixed_size: 0
    .sgpr_count:     34
    .sgpr_spill_count: 0
    .symbol:         _ZL31rocblas_trsm_small_right_deviceI19rocblas_complex_numIdES1_PKPKS1_PKPS1_Li20EEv13rocblas_fill_18rocblas_operation_17rocblas_diagonal_iiT0_T1_lilT2_lili.kd
    .uniform_work_group_size: 1
    .uses_dynamic_stack: false
    .vgpr_count:     80
    .vgpr_spill_count: 0
    .wavefront_size: 32
    .workgroup_processor_mode: 1
  - .args:
      - .offset:         0
        .size:           4
        .value_kind:     by_value
      - .offset:         4
        .size:           4
        .value_kind:     by_value
      - .offset:         8
        .size:           4
        .value_kind:     by_value
      - .offset:         12
        .size:           4
        .value_kind:     by_value
      - .offset:         16
        .size:           4
        .value_kind:     by_value
      - .offset:         24
        .size:           16
        .value_kind:     by_value
      - .address_space:  global
        .offset:         40
        .size:           8
        .value_kind:     global_buffer
      - .offset:         48
        .size:           8
        .value_kind:     by_value
      - .offset:         56
        .size:           4
        .value_kind:     by_value
      - .offset:         64
        .size:           8
        .value_kind:     by_value
      - .address_space:  global
        .offset:         72
        .size:           8
        .value_kind:     global_buffer
      - .offset:         80
        .size:           8
        .value_kind:     by_value
      - .offset:         88
        .size:           4
        .value_kind:     by_value
      - .offset:         96
        .size:           8
        .value_kind:     by_value
      - .offset:         104
        .size:           4
        .value_kind:     by_value
      - .offset:         112
        .size:           4
        .value_kind:     hidden_block_count_x
      - .offset:         116
        .size:           4
        .value_kind:     hidden_block_count_y
      - .offset:         120
        .size:           4
        .value_kind:     hidden_block_count_z
      - .offset:         124
        .size:           2
        .value_kind:     hidden_group_size_x
      - .offset:         126
        .size:           2
        .value_kind:     hidden_group_size_y
      - .offset:         128
        .size:           2
        .value_kind:     hidden_group_size_z
      - .offset:         130
        .size:           2
        .value_kind:     hidden_remainder_x
      - .offset:         132
        .size:           2
        .value_kind:     hidden_remainder_y
      - .offset:         134
        .size:           2
        .value_kind:     hidden_remainder_z
      - .offset:         152
        .size:           8
        .value_kind:     hidden_global_offset_x
      - .offset:         160
        .size:           8
        .value_kind:     hidden_global_offset_y
      - .offset:         168
        .size:           8
        .value_kind:     hidden_global_offset_z
      - .offset:         176
        .size:           2
        .value_kind:     hidden_grid_dims
    .group_segment_fixed_size: 18432
    .kernarg_segment_align: 8
    .kernarg_segment_size: 368
    .language:       OpenCL C
    .language_version:
      - 2
      - 0
    .max_flat_workgroup_size: 24
    .name:           _ZL38rocblas_trsm_small_left_device_sharedBILi24ELi24ELb0E19rocblas_complex_numIdES1_PKPKS1_PKPS1_Ev13rocblas_fill_18rocblas_operation_17rocblas_diagonal_iiT3_T4_lilT5_lili
    .private_segment_fixed_size: 400
    .sgpr_count:     36
    .sgpr_spill_count: 0
    .symbol:         _ZL38rocblas_trsm_small_left_device_sharedBILi24ELi24ELb0E19rocblas_complex_numIdES1_PKPKS1_PKPS1_Ev13rocblas_fill_18rocblas_operation_17rocblas_diagonal_iiT3_T4_lilT5_lili.kd
    .uniform_work_group_size: 1
    .uses_dynamic_stack: false
    .vgpr_count:     54
    .vgpr_spill_count: 0
    .wavefront_size: 32
    .workgroup_processor_mode: 1
  - .args:
      - .offset:         0
        .size:           4
        .value_kind:     by_value
      - .offset:         4
        .size:           4
        .value_kind:     by_value
      - .offset:         8
        .size:           4
        .value_kind:     by_value
      - .offset:         12
        .size:           4
        .value_kind:     by_value
      - .offset:         16
        .size:           4
        .value_kind:     by_value
      - .offset:         24
        .size:           16
        .value_kind:     by_value
      - .address_space:  global
        .offset:         40
        .size:           8
        .value_kind:     global_buffer
      - .offset:         48
        .size:           8
        .value_kind:     by_value
      - .offset:         56
        .size:           4
        .value_kind:     by_value
      - .offset:         64
        .size:           8
        .value_kind:     by_value
      - .address_space:  global
        .offset:         72
        .size:           8
        .value_kind:     global_buffer
      - .offset:         80
        .size:           8
        .value_kind:     by_value
      - .offset:         88
        .size:           4
        .value_kind:     by_value
      - .offset:         96
        .size:           8
        .value_kind:     by_value
      - .offset:         104
        .size:           4
        .value_kind:     by_value
      - .offset:         112
        .size:           4
        .value_kind:     hidden_block_count_x
      - .offset:         116
        .size:           4
        .value_kind:     hidden_block_count_y
      - .offset:         120
        .size:           4
        .value_kind:     hidden_block_count_z
      - .offset:         124
        .size:           2
        .value_kind:     hidden_group_size_x
      - .offset:         126
        .size:           2
        .value_kind:     hidden_group_size_y
      - .offset:         128
        .size:           2
        .value_kind:     hidden_group_size_z
      - .offset:         130
        .size:           2
        .value_kind:     hidden_remainder_x
      - .offset:         132
        .size:           2
        .value_kind:     hidden_remainder_y
      - .offset:         134
        .size:           2
        .value_kind:     hidden_remainder_z
      - .offset:         152
        .size:           8
        .value_kind:     hidden_global_offset_x
      - .offset:         160
        .size:           8
        .value_kind:     hidden_global_offset_y
      - .offset:         168
        .size:           8
        .value_kind:     hidden_global_offset_z
      - .offset:         176
        .size:           2
        .value_kind:     hidden_grid_dims
    .group_segment_fixed_size: 9216
    .kernarg_segment_align: 8
    .kernarg_segment_size: 368
    .language:       OpenCL C
    .language_version:
      - 2
      - 0
    .max_flat_workgroup_size: 24
    .name:           _ZL30rocblas_trsm_small_left_deviceILi24ELi24ELb0E19rocblas_complex_numIdES1_PKPKS1_PKPS1_Ev13rocblas_fill_18rocblas_operation_17rocblas_diagonal_iiT3_T4_lilT5_lili
    .private_segment_fixed_size: 400
    .sgpr_count:     33
    .sgpr_spill_count: 0
    .symbol:         _ZL30rocblas_trsm_small_left_deviceILi24ELi24ELb0E19rocblas_complex_numIdES1_PKPKS1_PKPS1_Ev13rocblas_fill_18rocblas_operation_17rocblas_diagonal_iiT3_T4_lilT5_lili.kd
    .uniform_work_group_size: 1
    .uses_dynamic_stack: false
    .vgpr_count:     25
    .vgpr_spill_count: 0
    .wavefront_size: 32
    .workgroup_processor_mode: 1
  - .args:
      - .offset:         0
        .size:           4
        .value_kind:     by_value
      - .offset:         4
        .size:           4
        .value_kind:     by_value
      - .offset:         8
        .size:           4
        .value_kind:     by_value
      - .offset:         12
        .size:           4
        .value_kind:     by_value
      - .offset:         16
        .size:           4
        .value_kind:     by_value
      - .offset:         24
        .size:           16
        .value_kind:     by_value
      - .address_space:  global
        .offset:         40
        .size:           8
        .value_kind:     global_buffer
      - .offset:         48
        .size:           8
        .value_kind:     by_value
      - .offset:         56
        .size:           4
        .value_kind:     by_value
      - .offset:         64
        .size:           8
        .value_kind:     by_value
      - .address_space:  global
        .offset:         72
        .size:           8
        .value_kind:     global_buffer
      - .offset:         80
        .size:           8
        .value_kind:     by_value
      - .offset:         88
        .size:           4
        .value_kind:     by_value
      - .offset:         96
        .size:           8
        .value_kind:     by_value
      - .offset:         104
        .size:           4
        .value_kind:     by_value
      - .offset:         112
        .size:           4
        .value_kind:     hidden_block_count_x
      - .offset:         116
        .size:           4
        .value_kind:     hidden_block_count_y
      - .offset:         120
        .size:           4
        .value_kind:     hidden_block_count_z
      - .offset:         124
        .size:           2
        .value_kind:     hidden_group_size_x
      - .offset:         126
        .size:           2
        .value_kind:     hidden_group_size_y
      - .offset:         128
        .size:           2
        .value_kind:     hidden_group_size_z
      - .offset:         130
        .size:           2
        .value_kind:     hidden_remainder_x
      - .offset:         132
        .size:           2
        .value_kind:     hidden_remainder_y
      - .offset:         134
        .size:           2
        .value_kind:     hidden_remainder_z
      - .offset:         152
        .size:           8
        .value_kind:     hidden_global_offset_x
      - .offset:         160
        .size:           8
        .value_kind:     hidden_global_offset_y
      - .offset:         168
        .size:           8
        .value_kind:     hidden_global_offset_z
      - .offset:         176
        .size:           2
        .value_kind:     hidden_grid_dims
    .group_segment_fixed_size: 18432
    .kernarg_segment_align: 8
    .kernarg_segment_size: 368
    .language:       OpenCL C
    .language_version:
      - 2
      - 0
    .max_flat_workgroup_size: 24
    .name:           _ZL38rocblas_trsm_small_left_device_sharedBILi24ELi24ELb1E19rocblas_complex_numIdES1_PKPKS1_PKPS1_Ev13rocblas_fill_18rocblas_operation_17rocblas_diagonal_iiT3_T4_lilT5_lili
    .private_segment_fixed_size: 400
    .sgpr_count:     37
    .sgpr_spill_count: 0
    .symbol:         _ZL38rocblas_trsm_small_left_device_sharedBILi24ELi24ELb1E19rocblas_complex_numIdES1_PKPKS1_PKPS1_Ev13rocblas_fill_18rocblas_operation_17rocblas_diagonal_iiT3_T4_lilT5_lili.kd
    .uniform_work_group_size: 1
    .uses_dynamic_stack: false
    .vgpr_count:     54
    .vgpr_spill_count: 0
    .wavefront_size: 32
    .workgroup_processor_mode: 1
  - .args:
      - .offset:         0
        .size:           4
        .value_kind:     by_value
      - .offset:         4
        .size:           4
        .value_kind:     by_value
      - .offset:         8
        .size:           4
        .value_kind:     by_value
      - .offset:         12
        .size:           4
        .value_kind:     by_value
      - .offset:         16
        .size:           4
        .value_kind:     by_value
      - .offset:         24
        .size:           16
        .value_kind:     by_value
      - .address_space:  global
        .offset:         40
        .size:           8
        .value_kind:     global_buffer
      - .offset:         48
        .size:           8
        .value_kind:     by_value
      - .offset:         56
        .size:           4
        .value_kind:     by_value
      - .offset:         64
        .size:           8
        .value_kind:     by_value
      - .address_space:  global
        .offset:         72
        .size:           8
        .value_kind:     global_buffer
      - .offset:         80
        .size:           8
        .value_kind:     by_value
      - .offset:         88
        .size:           4
        .value_kind:     by_value
      - .offset:         96
        .size:           8
        .value_kind:     by_value
      - .offset:         104
        .size:           4
        .value_kind:     by_value
      - .offset:         112
        .size:           4
        .value_kind:     hidden_block_count_x
      - .offset:         116
        .size:           4
        .value_kind:     hidden_block_count_y
      - .offset:         120
        .size:           4
        .value_kind:     hidden_block_count_z
      - .offset:         124
        .size:           2
        .value_kind:     hidden_group_size_x
      - .offset:         126
        .size:           2
        .value_kind:     hidden_group_size_y
      - .offset:         128
        .size:           2
        .value_kind:     hidden_group_size_z
      - .offset:         130
        .size:           2
        .value_kind:     hidden_remainder_x
      - .offset:         132
        .size:           2
        .value_kind:     hidden_remainder_y
      - .offset:         134
        .size:           2
        .value_kind:     hidden_remainder_z
      - .offset:         152
        .size:           8
        .value_kind:     hidden_global_offset_x
      - .offset:         160
        .size:           8
        .value_kind:     hidden_global_offset_y
      - .offset:         168
        .size:           8
        .value_kind:     hidden_global_offset_z
      - .offset:         176
        .size:           2
        .value_kind:     hidden_grid_dims
    .group_segment_fixed_size: 9216
    .kernarg_segment_align: 8
    .kernarg_segment_size: 368
    .language:       OpenCL C
    .language_version:
      - 2
      - 0
    .max_flat_workgroup_size: 24
    .name:           _ZL30rocblas_trsm_small_left_deviceILi24ELi24ELb1E19rocblas_complex_numIdES1_PKPKS1_PKPS1_Ev13rocblas_fill_18rocblas_operation_17rocblas_diagonal_iiT3_T4_lilT5_lili
    .private_segment_fixed_size: 400
    .sgpr_count:     33
    .sgpr_spill_count: 0
    .symbol:         _ZL30rocblas_trsm_small_left_deviceILi24ELi24ELb1E19rocblas_complex_numIdES1_PKPKS1_PKPS1_Ev13rocblas_fill_18rocblas_operation_17rocblas_diagonal_iiT3_T4_lilT5_lili.kd
    .uniform_work_group_size: 1
    .uses_dynamic_stack: false
    .vgpr_count:     25
    .vgpr_spill_count: 0
    .wavefront_size: 32
    .workgroup_processor_mode: 1
  - .args:
      - .offset:         0
        .size:           4
        .value_kind:     by_value
      - .offset:         4
        .size:           4
        .value_kind:     by_value
      - .offset:         8
        .size:           4
        .value_kind:     by_value
      - .offset:         12
        .size:           4
        .value_kind:     by_value
      - .offset:         16
        .size:           4
        .value_kind:     by_value
      - .offset:         24
        .size:           16
        .value_kind:     by_value
      - .address_space:  global
        .offset:         40
        .size:           8
        .value_kind:     global_buffer
      - .offset:         48
        .size:           8
        .value_kind:     by_value
      - .offset:         56
        .size:           4
        .value_kind:     by_value
      - .offset:         64
        .size:           8
        .value_kind:     by_value
      - .address_space:  global
        .offset:         72
        .size:           8
        .value_kind:     global_buffer
      - .offset:         80
        .size:           8
        .value_kind:     by_value
      - .offset:         88
        .size:           4
        .value_kind:     by_value
      - .offset:         96
        .size:           8
        .value_kind:     by_value
      - .offset:         104
        .size:           4
        .value_kind:     by_value
      - .offset:         112
        .size:           4
        .value_kind:     hidden_block_count_x
      - .offset:         116
        .size:           4
        .value_kind:     hidden_block_count_y
      - .offset:         120
        .size:           4
        .value_kind:     hidden_block_count_z
      - .offset:         124
        .size:           2
        .value_kind:     hidden_group_size_x
      - .offset:         126
        .size:           2
        .value_kind:     hidden_group_size_y
      - .offset:         128
        .size:           2
        .value_kind:     hidden_group_size_z
      - .offset:         130
        .size:           2
        .value_kind:     hidden_remainder_x
      - .offset:         132
        .size:           2
        .value_kind:     hidden_remainder_y
      - .offset:         134
        .size:           2
        .value_kind:     hidden_remainder_z
      - .offset:         152
        .size:           8
        .value_kind:     hidden_global_offset_x
      - .offset:         160
        .size:           8
        .value_kind:     hidden_global_offset_y
      - .offset:         168
        .size:           8
        .value_kind:     hidden_global_offset_z
      - .offset:         176
        .size:           2
        .value_kind:     hidden_grid_dims
    .group_segment_fixed_size: 18432
    .kernarg_segment_align: 8
    .kernarg_segment_size: 368
    .language:       OpenCL C
    .language_version:
      - 2
      - 0
    .max_flat_workgroup_size: 24
    .name:           _ZL31rocblas_trsm_small_right_deviceI19rocblas_complex_numIdES1_PKPKS1_PKPS1_Li24EEv13rocblas_fill_18rocblas_operation_17rocblas_diagonal_iiT0_T1_lilT2_lili
    .private_segment_fixed_size: 0
    .sgpr_count:     34
    .sgpr_spill_count: 0
    .symbol:         _ZL31rocblas_trsm_small_right_deviceI19rocblas_complex_numIdES1_PKPKS1_PKPS1_Li24EEv13rocblas_fill_18rocblas_operation_17rocblas_diagonal_iiT0_T1_lilT2_lili.kd
    .uniform_work_group_size: 1
    .uses_dynamic_stack: false
    .vgpr_count:     80
    .vgpr_spill_count: 0
    .wavefront_size: 32
    .workgroup_processor_mode: 1
  - .args:
      - .offset:         0
        .size:           4
        .value_kind:     by_value
      - .offset:         4
        .size:           4
        .value_kind:     by_value
      - .offset:         8
        .size:           4
        .value_kind:     by_value
      - .offset:         12
        .size:           4
        .value_kind:     by_value
      - .offset:         16
        .size:           4
        .value_kind:     by_value
      - .offset:         24
        .size:           16
        .value_kind:     by_value
      - .address_space:  global
        .offset:         40
        .size:           8
        .value_kind:     global_buffer
      - .offset:         48
        .size:           8
        .value_kind:     by_value
      - .offset:         56
        .size:           4
        .value_kind:     by_value
      - .offset:         64
        .size:           8
        .value_kind:     by_value
      - .address_space:  global
        .offset:         72
        .size:           8
        .value_kind:     global_buffer
      - .offset:         80
        .size:           8
        .value_kind:     by_value
      - .offset:         88
        .size:           4
        .value_kind:     by_value
      - .offset:         96
        .size:           8
        .value_kind:     by_value
      - .offset:         104
        .size:           4
        .value_kind:     by_value
      - .offset:         112
        .size:           4
        .value_kind:     hidden_block_count_x
      - .offset:         116
        .size:           4
        .value_kind:     hidden_block_count_y
      - .offset:         120
        .size:           4
        .value_kind:     hidden_block_count_z
      - .offset:         124
        .size:           2
        .value_kind:     hidden_group_size_x
      - .offset:         126
        .size:           2
        .value_kind:     hidden_group_size_y
      - .offset:         128
        .size:           2
        .value_kind:     hidden_group_size_z
      - .offset:         130
        .size:           2
        .value_kind:     hidden_remainder_x
      - .offset:         132
        .size:           2
        .value_kind:     hidden_remainder_y
      - .offset:         134
        .size:           2
        .value_kind:     hidden_remainder_z
      - .offset:         152
        .size:           8
        .value_kind:     hidden_global_offset_x
      - .offset:         160
        .size:           8
        .value_kind:     hidden_global_offset_y
      - .offset:         168
        .size:           8
        .value_kind:     hidden_global_offset_z
      - .offset:         176
        .size:           2
        .value_kind:     hidden_grid_dims
    .group_segment_fixed_size: 25088
    .kernarg_segment_align: 8
    .kernarg_segment_size: 368
    .language:       OpenCL C
    .language_version:
      - 2
      - 0
    .max_flat_workgroup_size: 28
    .name:           _ZL38rocblas_trsm_small_left_device_sharedBILi28ELi28ELb0E19rocblas_complex_numIdES1_PKPKS1_PKPS1_Ev13rocblas_fill_18rocblas_operation_17rocblas_diagonal_iiT3_T4_lilT5_lili
    .private_segment_fixed_size: 464
    .sgpr_count:     36
    .sgpr_spill_count: 0
    .symbol:         _ZL38rocblas_trsm_small_left_device_sharedBILi28ELi28ELb0E19rocblas_complex_numIdES1_PKPKS1_PKPS1_Ev13rocblas_fill_18rocblas_operation_17rocblas_diagonal_iiT3_T4_lilT5_lili.kd
    .uniform_work_group_size: 1
    .uses_dynamic_stack: false
    .vgpr_count:     54
    .vgpr_spill_count: 0
    .wavefront_size: 32
    .workgroup_processor_mode: 1
  - .args:
      - .offset:         0
        .size:           4
        .value_kind:     by_value
      - .offset:         4
        .size:           4
        .value_kind:     by_value
      - .offset:         8
        .size:           4
        .value_kind:     by_value
      - .offset:         12
        .size:           4
        .value_kind:     by_value
      - .offset:         16
        .size:           4
        .value_kind:     by_value
      - .offset:         24
        .size:           16
        .value_kind:     by_value
      - .address_space:  global
        .offset:         40
        .size:           8
        .value_kind:     global_buffer
      - .offset:         48
        .size:           8
        .value_kind:     by_value
      - .offset:         56
        .size:           4
        .value_kind:     by_value
      - .offset:         64
        .size:           8
        .value_kind:     by_value
      - .address_space:  global
        .offset:         72
        .size:           8
        .value_kind:     global_buffer
      - .offset:         80
        .size:           8
        .value_kind:     by_value
      - .offset:         88
        .size:           4
        .value_kind:     by_value
      - .offset:         96
        .size:           8
        .value_kind:     by_value
      - .offset:         104
        .size:           4
        .value_kind:     by_value
      - .offset:         112
        .size:           4
        .value_kind:     hidden_block_count_x
      - .offset:         116
        .size:           4
        .value_kind:     hidden_block_count_y
      - .offset:         120
        .size:           4
        .value_kind:     hidden_block_count_z
      - .offset:         124
        .size:           2
        .value_kind:     hidden_group_size_x
      - .offset:         126
        .size:           2
        .value_kind:     hidden_group_size_y
      - .offset:         128
        .size:           2
        .value_kind:     hidden_group_size_z
      - .offset:         130
        .size:           2
        .value_kind:     hidden_remainder_x
      - .offset:         132
        .size:           2
        .value_kind:     hidden_remainder_y
      - .offset:         134
        .size:           2
        .value_kind:     hidden_remainder_z
      - .offset:         152
        .size:           8
        .value_kind:     hidden_global_offset_x
      - .offset:         160
        .size:           8
        .value_kind:     hidden_global_offset_y
      - .offset:         168
        .size:           8
        .value_kind:     hidden_global_offset_z
      - .offset:         176
        .size:           2
        .value_kind:     hidden_grid_dims
    .group_segment_fixed_size: 12544
    .kernarg_segment_align: 8
    .kernarg_segment_size: 368
    .language:       OpenCL C
    .language_version:
      - 2
      - 0
    .max_flat_workgroup_size: 28
    .name:           _ZL30rocblas_trsm_small_left_deviceILi28ELi28ELb0E19rocblas_complex_numIdES1_PKPKS1_PKPS1_Ev13rocblas_fill_18rocblas_operation_17rocblas_diagonal_iiT3_T4_lilT5_lili
    .private_segment_fixed_size: 464
    .sgpr_count:     33
    .sgpr_spill_count: 0
    .symbol:         _ZL30rocblas_trsm_small_left_deviceILi28ELi28ELb0E19rocblas_complex_numIdES1_PKPKS1_PKPS1_Ev13rocblas_fill_18rocblas_operation_17rocblas_diagonal_iiT3_T4_lilT5_lili.kd
    .uniform_work_group_size: 1
    .uses_dynamic_stack: false
    .vgpr_count:     25
    .vgpr_spill_count: 0
    .wavefront_size: 32
    .workgroup_processor_mode: 1
  - .args:
      - .offset:         0
        .size:           4
        .value_kind:     by_value
      - .offset:         4
        .size:           4
        .value_kind:     by_value
      - .offset:         8
        .size:           4
        .value_kind:     by_value
      - .offset:         12
        .size:           4
        .value_kind:     by_value
      - .offset:         16
        .size:           4
        .value_kind:     by_value
      - .offset:         24
        .size:           16
        .value_kind:     by_value
      - .address_space:  global
        .offset:         40
        .size:           8
        .value_kind:     global_buffer
      - .offset:         48
        .size:           8
        .value_kind:     by_value
      - .offset:         56
        .size:           4
        .value_kind:     by_value
      - .offset:         64
        .size:           8
        .value_kind:     by_value
      - .address_space:  global
        .offset:         72
        .size:           8
        .value_kind:     global_buffer
      - .offset:         80
        .size:           8
        .value_kind:     by_value
      - .offset:         88
        .size:           4
        .value_kind:     by_value
      - .offset:         96
        .size:           8
        .value_kind:     by_value
      - .offset:         104
        .size:           4
        .value_kind:     by_value
      - .offset:         112
        .size:           4
        .value_kind:     hidden_block_count_x
      - .offset:         116
        .size:           4
        .value_kind:     hidden_block_count_y
      - .offset:         120
        .size:           4
        .value_kind:     hidden_block_count_z
      - .offset:         124
        .size:           2
        .value_kind:     hidden_group_size_x
      - .offset:         126
        .size:           2
        .value_kind:     hidden_group_size_y
      - .offset:         128
        .size:           2
        .value_kind:     hidden_group_size_z
      - .offset:         130
        .size:           2
        .value_kind:     hidden_remainder_x
      - .offset:         132
        .size:           2
        .value_kind:     hidden_remainder_y
      - .offset:         134
        .size:           2
        .value_kind:     hidden_remainder_z
      - .offset:         152
        .size:           8
        .value_kind:     hidden_global_offset_x
      - .offset:         160
        .size:           8
        .value_kind:     hidden_global_offset_y
      - .offset:         168
        .size:           8
        .value_kind:     hidden_global_offset_z
      - .offset:         176
        .size:           2
        .value_kind:     hidden_grid_dims
    .group_segment_fixed_size: 25088
    .kernarg_segment_align: 8
    .kernarg_segment_size: 368
    .language:       OpenCL C
    .language_version:
      - 2
      - 0
    .max_flat_workgroup_size: 28
    .name:           _ZL38rocblas_trsm_small_left_device_sharedBILi28ELi28ELb1E19rocblas_complex_numIdES1_PKPKS1_PKPS1_Ev13rocblas_fill_18rocblas_operation_17rocblas_diagonal_iiT3_T4_lilT5_lili
    .private_segment_fixed_size: 464
    .sgpr_count:     37
    .sgpr_spill_count: 0
    .symbol:         _ZL38rocblas_trsm_small_left_device_sharedBILi28ELi28ELb1E19rocblas_complex_numIdES1_PKPKS1_PKPS1_Ev13rocblas_fill_18rocblas_operation_17rocblas_diagonal_iiT3_T4_lilT5_lili.kd
    .uniform_work_group_size: 1
    .uses_dynamic_stack: false
    .vgpr_count:     54
    .vgpr_spill_count: 0
    .wavefront_size: 32
    .workgroup_processor_mode: 1
  - .args:
      - .offset:         0
        .size:           4
        .value_kind:     by_value
      - .offset:         4
        .size:           4
        .value_kind:     by_value
      - .offset:         8
        .size:           4
        .value_kind:     by_value
      - .offset:         12
        .size:           4
        .value_kind:     by_value
      - .offset:         16
        .size:           4
        .value_kind:     by_value
      - .offset:         24
        .size:           16
        .value_kind:     by_value
      - .address_space:  global
        .offset:         40
        .size:           8
        .value_kind:     global_buffer
      - .offset:         48
        .size:           8
        .value_kind:     by_value
      - .offset:         56
        .size:           4
        .value_kind:     by_value
      - .offset:         64
        .size:           8
        .value_kind:     by_value
      - .address_space:  global
        .offset:         72
        .size:           8
        .value_kind:     global_buffer
      - .offset:         80
        .size:           8
        .value_kind:     by_value
      - .offset:         88
        .size:           4
        .value_kind:     by_value
      - .offset:         96
        .size:           8
        .value_kind:     by_value
      - .offset:         104
        .size:           4
        .value_kind:     by_value
      - .offset:         112
        .size:           4
        .value_kind:     hidden_block_count_x
      - .offset:         116
        .size:           4
        .value_kind:     hidden_block_count_y
      - .offset:         120
        .size:           4
        .value_kind:     hidden_block_count_z
      - .offset:         124
        .size:           2
        .value_kind:     hidden_group_size_x
      - .offset:         126
        .size:           2
        .value_kind:     hidden_group_size_y
      - .offset:         128
        .size:           2
        .value_kind:     hidden_group_size_z
      - .offset:         130
        .size:           2
        .value_kind:     hidden_remainder_x
      - .offset:         132
        .size:           2
        .value_kind:     hidden_remainder_y
      - .offset:         134
        .size:           2
        .value_kind:     hidden_remainder_z
      - .offset:         152
        .size:           8
        .value_kind:     hidden_global_offset_x
      - .offset:         160
        .size:           8
        .value_kind:     hidden_global_offset_y
      - .offset:         168
        .size:           8
        .value_kind:     hidden_global_offset_z
      - .offset:         176
        .size:           2
        .value_kind:     hidden_grid_dims
    .group_segment_fixed_size: 12544
    .kernarg_segment_align: 8
    .kernarg_segment_size: 368
    .language:       OpenCL C
    .language_version:
      - 2
      - 0
    .max_flat_workgroup_size: 28
    .name:           _ZL30rocblas_trsm_small_left_deviceILi28ELi28ELb1E19rocblas_complex_numIdES1_PKPKS1_PKPS1_Ev13rocblas_fill_18rocblas_operation_17rocblas_diagonal_iiT3_T4_lilT5_lili
    .private_segment_fixed_size: 464
    .sgpr_count:     33
    .sgpr_spill_count: 0
    .symbol:         _ZL30rocblas_trsm_small_left_deviceILi28ELi28ELb1E19rocblas_complex_numIdES1_PKPKS1_PKPS1_Ev13rocblas_fill_18rocblas_operation_17rocblas_diagonal_iiT3_T4_lilT5_lili.kd
    .uniform_work_group_size: 1
    .uses_dynamic_stack: false
    .vgpr_count:     25
    .vgpr_spill_count: 0
    .wavefront_size: 32
    .workgroup_processor_mode: 1
  - .args:
      - .offset:         0
        .size:           4
        .value_kind:     by_value
      - .offset:         4
        .size:           4
        .value_kind:     by_value
      - .offset:         8
        .size:           4
        .value_kind:     by_value
      - .offset:         12
        .size:           4
        .value_kind:     by_value
      - .offset:         16
        .size:           4
        .value_kind:     by_value
      - .offset:         24
        .size:           16
        .value_kind:     by_value
      - .address_space:  global
        .offset:         40
        .size:           8
        .value_kind:     global_buffer
      - .offset:         48
        .size:           8
        .value_kind:     by_value
      - .offset:         56
        .size:           4
        .value_kind:     by_value
      - .offset:         64
        .size:           8
        .value_kind:     by_value
      - .address_space:  global
        .offset:         72
        .size:           8
        .value_kind:     global_buffer
      - .offset:         80
        .size:           8
        .value_kind:     by_value
      - .offset:         88
        .size:           4
        .value_kind:     by_value
      - .offset:         96
        .size:           8
        .value_kind:     by_value
      - .offset:         104
        .size:           4
        .value_kind:     by_value
      - .offset:         112
        .size:           4
        .value_kind:     hidden_block_count_x
      - .offset:         116
        .size:           4
        .value_kind:     hidden_block_count_y
      - .offset:         120
        .size:           4
        .value_kind:     hidden_block_count_z
      - .offset:         124
        .size:           2
        .value_kind:     hidden_group_size_x
      - .offset:         126
        .size:           2
        .value_kind:     hidden_group_size_y
      - .offset:         128
        .size:           2
        .value_kind:     hidden_group_size_z
      - .offset:         130
        .size:           2
        .value_kind:     hidden_remainder_x
      - .offset:         132
        .size:           2
        .value_kind:     hidden_remainder_y
      - .offset:         134
        .size:           2
        .value_kind:     hidden_remainder_z
      - .offset:         152
        .size:           8
        .value_kind:     hidden_global_offset_x
      - .offset:         160
        .size:           8
        .value_kind:     hidden_global_offset_y
      - .offset:         168
        .size:           8
        .value_kind:     hidden_global_offset_z
      - .offset:         176
        .size:           2
        .value_kind:     hidden_grid_dims
    .group_segment_fixed_size: 25088
    .kernarg_segment_align: 8
    .kernarg_segment_size: 368
    .language:       OpenCL C
    .language_version:
      - 2
      - 0
    .max_flat_workgroup_size: 28
    .name:           _ZL31rocblas_trsm_small_right_deviceI19rocblas_complex_numIdES1_PKPKS1_PKPS1_Li28EEv13rocblas_fill_18rocblas_operation_17rocblas_diagonal_iiT0_T1_lilT2_lili
    .private_segment_fixed_size: 0
    .sgpr_count:     34
    .sgpr_spill_count: 0
    .symbol:         _ZL31rocblas_trsm_small_right_deviceI19rocblas_complex_numIdES1_PKPKS1_PKPS1_Li28EEv13rocblas_fill_18rocblas_operation_17rocblas_diagonal_iiT0_T1_lilT2_lili.kd
    .uniform_work_group_size: 1
    .uses_dynamic_stack: false
    .vgpr_count:     80
    .vgpr_spill_count: 0
    .wavefront_size: 32
    .workgroup_processor_mode: 1
  - .args:
      - .offset:         0
        .size:           4
        .value_kind:     by_value
      - .offset:         4
        .size:           4
        .value_kind:     by_value
      - .offset:         8
        .size:           4
        .value_kind:     by_value
      - .offset:         12
        .size:           4
        .value_kind:     by_value
      - .offset:         16
        .size:           4
        .value_kind:     by_value
      - .offset:         24
        .size:           16
        .value_kind:     by_value
      - .address_space:  global
        .offset:         40
        .size:           8
        .value_kind:     global_buffer
      - .offset:         48
        .size:           8
        .value_kind:     by_value
      - .offset:         56
        .size:           4
        .value_kind:     by_value
      - .offset:         64
        .size:           8
        .value_kind:     by_value
      - .address_space:  global
        .offset:         72
        .size:           8
        .value_kind:     global_buffer
      - .offset:         80
        .size:           8
        .value_kind:     by_value
      - .offset:         88
        .size:           4
        .value_kind:     by_value
      - .offset:         96
        .size:           8
        .value_kind:     by_value
      - .offset:         104
        .size:           4
        .value_kind:     by_value
      - .offset:         112
        .size:           4
        .value_kind:     hidden_block_count_x
      - .offset:         116
        .size:           4
        .value_kind:     hidden_block_count_y
      - .offset:         120
        .size:           4
        .value_kind:     hidden_block_count_z
      - .offset:         124
        .size:           2
        .value_kind:     hidden_group_size_x
      - .offset:         126
        .size:           2
        .value_kind:     hidden_group_size_y
      - .offset:         128
        .size:           2
        .value_kind:     hidden_group_size_z
      - .offset:         130
        .size:           2
        .value_kind:     hidden_remainder_x
      - .offset:         132
        .size:           2
        .value_kind:     hidden_remainder_y
      - .offset:         134
        .size:           2
        .value_kind:     hidden_remainder_z
      - .offset:         152
        .size:           8
        .value_kind:     hidden_global_offset_x
      - .offset:         160
        .size:           8
        .value_kind:     hidden_global_offset_y
      - .offset:         168
        .size:           8
        .value_kind:     hidden_global_offset_z
      - .offset:         176
        .size:           2
        .value_kind:     hidden_grid_dims
    .group_segment_fixed_size: 32768
    .kernarg_segment_align: 8
    .kernarg_segment_size: 368
    .language:       OpenCL C
    .language_version:
      - 2
      - 0
    .max_flat_workgroup_size: 32
    .name:           _ZL38rocblas_trsm_small_left_device_sharedBILi32ELi32ELb0E19rocblas_complex_numIdES1_PKPKS1_PKPS1_Ev13rocblas_fill_18rocblas_operation_17rocblas_diagonal_iiT3_T4_lilT5_lili
    .private_segment_fixed_size: 528
    .sgpr_count:     36
    .sgpr_spill_count: 0
    .symbol:         _ZL38rocblas_trsm_small_left_device_sharedBILi32ELi32ELb0E19rocblas_complex_numIdES1_PKPKS1_PKPS1_Ev13rocblas_fill_18rocblas_operation_17rocblas_diagonal_iiT3_T4_lilT5_lili.kd
    .uniform_work_group_size: 1
    .uses_dynamic_stack: false
    .vgpr_count:     54
    .vgpr_spill_count: 0
    .wavefront_size: 32
    .workgroup_processor_mode: 1
  - .args:
      - .offset:         0
        .size:           4
        .value_kind:     by_value
      - .offset:         4
        .size:           4
        .value_kind:     by_value
      - .offset:         8
        .size:           4
        .value_kind:     by_value
      - .offset:         12
        .size:           4
        .value_kind:     by_value
      - .offset:         16
        .size:           4
        .value_kind:     by_value
      - .offset:         24
        .size:           16
        .value_kind:     by_value
      - .address_space:  global
        .offset:         40
        .size:           8
        .value_kind:     global_buffer
      - .offset:         48
        .size:           8
        .value_kind:     by_value
      - .offset:         56
        .size:           4
        .value_kind:     by_value
      - .offset:         64
        .size:           8
        .value_kind:     by_value
      - .address_space:  global
        .offset:         72
        .size:           8
        .value_kind:     global_buffer
      - .offset:         80
        .size:           8
        .value_kind:     by_value
      - .offset:         88
        .size:           4
        .value_kind:     by_value
      - .offset:         96
        .size:           8
        .value_kind:     by_value
      - .offset:         104
        .size:           4
        .value_kind:     by_value
      - .offset:         112
        .size:           4
        .value_kind:     hidden_block_count_x
      - .offset:         116
        .size:           4
        .value_kind:     hidden_block_count_y
      - .offset:         120
        .size:           4
        .value_kind:     hidden_block_count_z
      - .offset:         124
        .size:           2
        .value_kind:     hidden_group_size_x
      - .offset:         126
        .size:           2
        .value_kind:     hidden_group_size_y
      - .offset:         128
        .size:           2
        .value_kind:     hidden_group_size_z
      - .offset:         130
        .size:           2
        .value_kind:     hidden_remainder_x
      - .offset:         132
        .size:           2
        .value_kind:     hidden_remainder_y
      - .offset:         134
        .size:           2
        .value_kind:     hidden_remainder_z
      - .offset:         152
        .size:           8
        .value_kind:     hidden_global_offset_x
      - .offset:         160
        .size:           8
        .value_kind:     hidden_global_offset_y
      - .offset:         168
        .size:           8
        .value_kind:     hidden_global_offset_z
      - .offset:         176
        .size:           2
        .value_kind:     hidden_grid_dims
    .group_segment_fixed_size: 16384
    .kernarg_segment_align: 8
    .kernarg_segment_size: 368
    .language:       OpenCL C
    .language_version:
      - 2
      - 0
    .max_flat_workgroup_size: 32
    .name:           _ZL30rocblas_trsm_small_left_deviceILi32ELi32ELb0E19rocblas_complex_numIdES1_PKPKS1_PKPS1_Ev13rocblas_fill_18rocblas_operation_17rocblas_diagonal_iiT3_T4_lilT5_lili
    .private_segment_fixed_size: 528
    .sgpr_count:     33
    .sgpr_spill_count: 0
    .symbol:         _ZL30rocblas_trsm_small_left_deviceILi32ELi32ELb0E19rocblas_complex_numIdES1_PKPKS1_PKPS1_Ev13rocblas_fill_18rocblas_operation_17rocblas_diagonal_iiT3_T4_lilT5_lili.kd
    .uniform_work_group_size: 1
    .uses_dynamic_stack: false
    .vgpr_count:     25
    .vgpr_spill_count: 0
    .wavefront_size: 32
    .workgroup_processor_mode: 1
  - .args:
      - .offset:         0
        .size:           4
        .value_kind:     by_value
      - .offset:         4
        .size:           4
        .value_kind:     by_value
      - .offset:         8
        .size:           4
        .value_kind:     by_value
      - .offset:         12
        .size:           4
        .value_kind:     by_value
      - .offset:         16
        .size:           4
        .value_kind:     by_value
      - .offset:         24
        .size:           16
        .value_kind:     by_value
      - .address_space:  global
        .offset:         40
        .size:           8
        .value_kind:     global_buffer
      - .offset:         48
        .size:           8
        .value_kind:     by_value
      - .offset:         56
        .size:           4
        .value_kind:     by_value
      - .offset:         64
        .size:           8
        .value_kind:     by_value
      - .address_space:  global
        .offset:         72
        .size:           8
        .value_kind:     global_buffer
      - .offset:         80
        .size:           8
        .value_kind:     by_value
      - .offset:         88
        .size:           4
        .value_kind:     by_value
      - .offset:         96
        .size:           8
        .value_kind:     by_value
      - .offset:         104
        .size:           4
        .value_kind:     by_value
      - .offset:         112
        .size:           4
        .value_kind:     hidden_block_count_x
      - .offset:         116
        .size:           4
        .value_kind:     hidden_block_count_y
      - .offset:         120
        .size:           4
        .value_kind:     hidden_block_count_z
      - .offset:         124
        .size:           2
        .value_kind:     hidden_group_size_x
      - .offset:         126
        .size:           2
        .value_kind:     hidden_group_size_y
      - .offset:         128
        .size:           2
        .value_kind:     hidden_group_size_z
      - .offset:         130
        .size:           2
        .value_kind:     hidden_remainder_x
      - .offset:         132
        .size:           2
        .value_kind:     hidden_remainder_y
      - .offset:         134
        .size:           2
        .value_kind:     hidden_remainder_z
      - .offset:         152
        .size:           8
        .value_kind:     hidden_global_offset_x
      - .offset:         160
        .size:           8
        .value_kind:     hidden_global_offset_y
      - .offset:         168
        .size:           8
        .value_kind:     hidden_global_offset_z
      - .offset:         176
        .size:           2
        .value_kind:     hidden_grid_dims
    .group_segment_fixed_size: 32768
    .kernarg_segment_align: 8
    .kernarg_segment_size: 368
    .language:       OpenCL C
    .language_version:
      - 2
      - 0
    .max_flat_workgroup_size: 32
    .name:           _ZL38rocblas_trsm_small_left_device_sharedBILi32ELi32ELb1E19rocblas_complex_numIdES1_PKPKS1_PKPS1_Ev13rocblas_fill_18rocblas_operation_17rocblas_diagonal_iiT3_T4_lilT5_lili
    .private_segment_fixed_size: 528
    .sgpr_count:     37
    .sgpr_spill_count: 0
    .symbol:         _ZL38rocblas_trsm_small_left_device_sharedBILi32ELi32ELb1E19rocblas_complex_numIdES1_PKPKS1_PKPS1_Ev13rocblas_fill_18rocblas_operation_17rocblas_diagonal_iiT3_T4_lilT5_lili.kd
    .uniform_work_group_size: 1
    .uses_dynamic_stack: false
    .vgpr_count:     54
    .vgpr_spill_count: 0
    .wavefront_size: 32
    .workgroup_processor_mode: 1
  - .args:
      - .offset:         0
        .size:           4
        .value_kind:     by_value
      - .offset:         4
        .size:           4
        .value_kind:     by_value
      - .offset:         8
        .size:           4
        .value_kind:     by_value
      - .offset:         12
        .size:           4
        .value_kind:     by_value
      - .offset:         16
        .size:           4
        .value_kind:     by_value
      - .offset:         24
        .size:           16
        .value_kind:     by_value
      - .address_space:  global
        .offset:         40
        .size:           8
        .value_kind:     global_buffer
      - .offset:         48
        .size:           8
        .value_kind:     by_value
      - .offset:         56
        .size:           4
        .value_kind:     by_value
      - .offset:         64
        .size:           8
        .value_kind:     by_value
      - .address_space:  global
        .offset:         72
        .size:           8
        .value_kind:     global_buffer
      - .offset:         80
        .size:           8
        .value_kind:     by_value
      - .offset:         88
        .size:           4
        .value_kind:     by_value
      - .offset:         96
        .size:           8
        .value_kind:     by_value
      - .offset:         104
        .size:           4
        .value_kind:     by_value
      - .offset:         112
        .size:           4
        .value_kind:     hidden_block_count_x
      - .offset:         116
        .size:           4
        .value_kind:     hidden_block_count_y
      - .offset:         120
        .size:           4
        .value_kind:     hidden_block_count_z
      - .offset:         124
        .size:           2
        .value_kind:     hidden_group_size_x
      - .offset:         126
        .size:           2
        .value_kind:     hidden_group_size_y
      - .offset:         128
        .size:           2
        .value_kind:     hidden_group_size_z
      - .offset:         130
        .size:           2
        .value_kind:     hidden_remainder_x
      - .offset:         132
        .size:           2
        .value_kind:     hidden_remainder_y
      - .offset:         134
        .size:           2
        .value_kind:     hidden_remainder_z
      - .offset:         152
        .size:           8
        .value_kind:     hidden_global_offset_x
      - .offset:         160
        .size:           8
        .value_kind:     hidden_global_offset_y
      - .offset:         168
        .size:           8
        .value_kind:     hidden_global_offset_z
      - .offset:         176
        .size:           2
        .value_kind:     hidden_grid_dims
    .group_segment_fixed_size: 16384
    .kernarg_segment_align: 8
    .kernarg_segment_size: 368
    .language:       OpenCL C
    .language_version:
      - 2
      - 0
    .max_flat_workgroup_size: 32
    .name:           _ZL30rocblas_trsm_small_left_deviceILi32ELi32ELb1E19rocblas_complex_numIdES1_PKPKS1_PKPS1_Ev13rocblas_fill_18rocblas_operation_17rocblas_diagonal_iiT3_T4_lilT5_lili
    .private_segment_fixed_size: 528
    .sgpr_count:     33
    .sgpr_spill_count: 0
    .symbol:         _ZL30rocblas_trsm_small_left_deviceILi32ELi32ELb1E19rocblas_complex_numIdES1_PKPKS1_PKPS1_Ev13rocblas_fill_18rocblas_operation_17rocblas_diagonal_iiT3_T4_lilT5_lili.kd
    .uniform_work_group_size: 1
    .uses_dynamic_stack: false
    .vgpr_count:     25
    .vgpr_spill_count: 0
    .wavefront_size: 32
    .workgroup_processor_mode: 1
  - .args:
      - .offset:         0
        .size:           4
        .value_kind:     by_value
      - .offset:         4
        .size:           4
        .value_kind:     by_value
      - .offset:         8
        .size:           4
        .value_kind:     by_value
      - .offset:         12
        .size:           4
        .value_kind:     by_value
      - .offset:         16
        .size:           4
        .value_kind:     by_value
      - .offset:         24
        .size:           16
        .value_kind:     by_value
      - .address_space:  global
        .offset:         40
        .size:           8
        .value_kind:     global_buffer
      - .offset:         48
        .size:           8
        .value_kind:     by_value
      - .offset:         56
        .size:           4
        .value_kind:     by_value
      - .offset:         64
        .size:           8
        .value_kind:     by_value
      - .address_space:  global
        .offset:         72
        .size:           8
        .value_kind:     global_buffer
      - .offset:         80
        .size:           8
        .value_kind:     by_value
      - .offset:         88
        .size:           4
        .value_kind:     by_value
      - .offset:         96
        .size:           8
        .value_kind:     by_value
      - .offset:         104
        .size:           4
        .value_kind:     by_value
      - .offset:         112
        .size:           4
        .value_kind:     hidden_block_count_x
      - .offset:         116
        .size:           4
        .value_kind:     hidden_block_count_y
      - .offset:         120
        .size:           4
        .value_kind:     hidden_block_count_z
      - .offset:         124
        .size:           2
        .value_kind:     hidden_group_size_x
      - .offset:         126
        .size:           2
        .value_kind:     hidden_group_size_y
      - .offset:         128
        .size:           2
        .value_kind:     hidden_group_size_z
      - .offset:         130
        .size:           2
        .value_kind:     hidden_remainder_x
      - .offset:         132
        .size:           2
        .value_kind:     hidden_remainder_y
      - .offset:         134
        .size:           2
        .value_kind:     hidden_remainder_z
      - .offset:         152
        .size:           8
        .value_kind:     hidden_global_offset_x
      - .offset:         160
        .size:           8
        .value_kind:     hidden_global_offset_y
      - .offset:         168
        .size:           8
        .value_kind:     hidden_global_offset_z
      - .offset:         176
        .size:           2
        .value_kind:     hidden_grid_dims
    .group_segment_fixed_size: 32768
    .kernarg_segment_align: 8
    .kernarg_segment_size: 368
    .language:       OpenCL C
    .language_version:
      - 2
      - 0
    .max_flat_workgroup_size: 32
    .name:           _ZL31rocblas_trsm_small_right_deviceI19rocblas_complex_numIdES1_PKPKS1_PKPS1_Li32EEv13rocblas_fill_18rocblas_operation_17rocblas_diagonal_iiT0_T1_lilT2_lili
    .private_segment_fixed_size: 0
    .sgpr_count:     34
    .sgpr_spill_count: 0
    .symbol:         _ZL31rocblas_trsm_small_right_deviceI19rocblas_complex_numIdES1_PKPKS1_PKPS1_Li32EEv13rocblas_fill_18rocblas_operation_17rocblas_diagonal_iiT0_T1_lilT2_lili.kd
    .uniform_work_group_size: 1
    .uses_dynamic_stack: false
    .vgpr_count:     81
    .vgpr_spill_count: 0
    .wavefront_size: 32
    .workgroup_processor_mode: 1
  - .args:
      - .offset:         0
        .size:           4
        .value_kind:     by_value
      - .offset:         4
        .size:           4
        .value_kind:     by_value
      - .offset:         8
        .size:           4
        .value_kind:     by_value
      - .offset:         12
        .size:           4
        .value_kind:     by_value
      - .offset:         16
        .size:           4
        .value_kind:     by_value
      - .offset:         24
        .size:           16
        .value_kind:     by_value
      - .address_space:  global
        .offset:         40
        .size:           8
        .value_kind:     global_buffer
      - .offset:         48
        .size:           8
        .value_kind:     by_value
      - .offset:         56
        .size:           4
        .value_kind:     by_value
      - .offset:         64
        .size:           8
        .value_kind:     by_value
      - .address_space:  global
        .offset:         72
        .size:           8
        .value_kind:     global_buffer
      - .offset:         80
        .size:           8
        .value_kind:     by_value
      - .offset:         88
        .size:           4
        .value_kind:     by_value
      - .offset:         96
        .size:           8
        .value_kind:     by_value
      - .offset:         104
        .size:           4
        .value_kind:     by_value
      - .offset:         112
        .size:           4
        .value_kind:     hidden_block_count_x
      - .offset:         116
        .size:           4
        .value_kind:     hidden_block_count_y
      - .offset:         120
        .size:           4
        .value_kind:     hidden_block_count_z
      - .offset:         124
        .size:           2
        .value_kind:     hidden_group_size_x
      - .offset:         126
        .size:           2
        .value_kind:     hidden_group_size_y
      - .offset:         128
        .size:           2
        .value_kind:     hidden_group_size_z
      - .offset:         130
        .size:           2
        .value_kind:     hidden_remainder_x
      - .offset:         132
        .size:           2
        .value_kind:     hidden_remainder_y
      - .offset:         134
        .size:           2
        .value_kind:     hidden_remainder_z
      - .offset:         152
        .size:           8
        .value_kind:     hidden_global_offset_x
      - .offset:         160
        .size:           8
        .value_kind:     hidden_global_offset_y
      - .offset:         168
        .size:           8
        .value_kind:     hidden_global_offset_z
      - .offset:         176
        .size:           2
        .value_kind:     hidden_grid_dims
    .group_segment_fixed_size: 65536
    .kernarg_segment_align: 8
    .kernarg_segment_size: 368
    .language:       OpenCL C
    .language_version:
      - 2
      - 0
    .max_flat_workgroup_size: 64
    .name:           _ZL33rocblas_trsm_small_64_left_deviceI19rocblas_complex_numIdES1_PKPKS1_PKPS1_Li64EEv13rocblas_fill_18rocblas_operation_17rocblas_diagonal_iiT0_T1_lilT2_lili
    .private_segment_fixed_size: 0
    .sgpr_count:     72
    .sgpr_spill_count: 0
    .symbol:         _ZL33rocblas_trsm_small_64_left_deviceI19rocblas_complex_numIdES1_PKPKS1_PKPS1_Li64EEv13rocblas_fill_18rocblas_operation_17rocblas_diagonal_iiT0_T1_lilT2_lili.kd
    .uniform_work_group_size: 1
    .uses_dynamic_stack: false
    .vgpr_count:     31
    .vgpr_spill_count: 0
    .wavefront_size: 32
    .workgroup_processor_mode: 1
  - .args:
      - .offset:         0
        .size:           4
        .value_kind:     by_value
      - .offset:         4
        .size:           4
        .value_kind:     by_value
      - .offset:         8
        .size:           4
        .value_kind:     by_value
      - .offset:         12
        .size:           4
        .value_kind:     by_value
      - .offset:         16
        .size:           4
        .value_kind:     by_value
      - .offset:         24
        .size:           16
        .value_kind:     by_value
      - .address_space:  global
        .offset:         40
        .size:           8
        .value_kind:     global_buffer
      - .offset:         48
        .size:           8
        .value_kind:     by_value
      - .offset:         56
        .size:           4
        .value_kind:     by_value
      - .offset:         64
        .size:           8
        .value_kind:     by_value
      - .address_space:  global
        .offset:         72
        .size:           8
        .value_kind:     global_buffer
      - .offset:         80
        .size:           8
        .value_kind:     by_value
      - .offset:         88
        .size:           4
        .value_kind:     by_value
      - .offset:         96
        .size:           8
        .value_kind:     by_value
      - .offset:         104
        .size:           4
        .value_kind:     by_value
      - .offset:         112
        .size:           4
        .value_kind:     hidden_block_count_x
      - .offset:         116
        .size:           4
        .value_kind:     hidden_block_count_y
      - .offset:         120
        .size:           4
        .value_kind:     hidden_block_count_z
      - .offset:         124
        .size:           2
        .value_kind:     hidden_group_size_x
      - .offset:         126
        .size:           2
        .value_kind:     hidden_group_size_y
      - .offset:         128
        .size:           2
        .value_kind:     hidden_group_size_z
      - .offset:         130
        .size:           2
        .value_kind:     hidden_remainder_x
      - .offset:         132
        .size:           2
        .value_kind:     hidden_remainder_y
      - .offset:         134
        .size:           2
        .value_kind:     hidden_remainder_z
      - .offset:         152
        .size:           8
        .value_kind:     hidden_global_offset_x
      - .offset:         160
        .size:           8
        .value_kind:     hidden_global_offset_y
      - .offset:         168
        .size:           8
        .value_kind:     hidden_global_offset_z
      - .offset:         176
        .size:           2
        .value_kind:     hidden_grid_dims
    .group_segment_fixed_size: 65536
    .kernarg_segment_align: 8
    .kernarg_segment_size: 368
    .language:       OpenCL C
    .language_version:
      - 2
      - 0
    .max_flat_workgroup_size: 64
    .name:           _ZL34rocblas_trsm_small_64_right_deviceI19rocblas_complex_numIdES1_PKPKS1_PKPS1_Li64EEv13rocblas_fill_18rocblas_operation_17rocblas_diagonal_iiT0_T1_lilT2_lili
    .private_segment_fixed_size: 0
    .sgpr_count:     65
    .sgpr_spill_count: 0
    .symbol:         _ZL34rocblas_trsm_small_64_right_deviceI19rocblas_complex_numIdES1_PKPKS1_PKPS1_Li64EEv13rocblas_fill_18rocblas_operation_17rocblas_diagonal_iiT0_T1_lilT2_lili.kd
    .uniform_work_group_size: 1
    .uses_dynamic_stack: false
    .vgpr_count:     31
    .vgpr_spill_count: 0
    .wavefront_size: 32
    .workgroup_processor_mode: 1
  - .args:
      - .offset:         0
        .size:           4
        .value_kind:     by_value
      - .offset:         8
        .size:           8
        .value_kind:     by_value
      - .offset:         16
        .size:           8
        .value_kind:     by_value
      - .offset:         24
        .size:           16
        .value_kind:     by_value
      - .address_space:  global
        .offset:         40
        .size:           8
        .value_kind:     global_buffer
      - .offset:         48
        .size:           8
        .value_kind:     by_value
      - .offset:         56
        .size:           8
        .value_kind:     by_value
      - .offset:         64
        .size:           8
        .value_kind:     by_value
      - .address_space:  global
        .offset:         72
        .size:           8
        .value_kind:     global_buffer
      - .offset:         80
        .size:           8
        .value_kind:     by_value
      - .offset:         88
        .size:           8
        .value_kind:     by_value
      - .offset:         96
        .size:           8
        .value_kind:     by_value
      - .offset:         104
        .size:           4
        .value_kind:     by_value
      - .offset:         108
        .size:           1
        .value_kind:     by_value
      - .offset:         112
        .size:           4
        .value_kind:     hidden_block_count_x
      - .offset:         116
        .size:           4
        .value_kind:     hidden_block_count_y
      - .offset:         120
        .size:           4
        .value_kind:     hidden_block_count_z
      - .offset:         124
        .size:           2
        .value_kind:     hidden_group_size_x
      - .offset:         126
        .size:           2
        .value_kind:     hidden_group_size_y
      - .offset:         128
        .size:           2
        .value_kind:     hidden_group_size_z
      - .offset:         130
        .size:           2
        .value_kind:     hidden_remainder_x
      - .offset:         132
        .size:           2
        .value_kind:     hidden_remainder_y
      - .offset:         134
        .size:           2
        .value_kind:     hidden_remainder_z
      - .offset:         152
        .size:           8
        .value_kind:     hidden_global_offset_x
      - .offset:         160
        .size:           8
        .value_kind:     hidden_global_offset_y
      - .offset:         168
        .size:           8
        .value_kind:     hidden_global_offset_z
      - .offset:         176
        .size:           2
        .value_kind:     hidden_grid_dims
      - .offset:         232
        .size:           4
        .value_kind:     hidden_dynamic_lds_size
    .group_segment_fixed_size: 0
    .kernarg_segment_align: 8
    .kernarg_segment_size: 368
    .language:       OpenCL C
    .language_version:
      - 2
      - 0
    .max_flat_workgroup_size: 1024
    .name:           _ZL39rocblas_trsm_block_forward_substitutionI19rocblas_complex_numIdES1_PKPKS1_PKPS1_Lb0ELb0ELb0EEv18rocblas_operation_llT0_T1_lllT2_lllib
    .private_segment_fixed_size: 0
    .sgpr_count:     31
    .sgpr_spill_count: 0
    .symbol:         _ZL39rocblas_trsm_block_forward_substitutionI19rocblas_complex_numIdES1_PKPKS1_PKPS1_Lb0ELb0ELb0EEv18rocblas_operation_llT0_T1_lllT2_lllib.kd
    .uniform_work_group_size: 1
    .uses_dynamic_stack: false
    .vgpr_count:     25
    .vgpr_spill_count: 0
    .wavefront_size: 32
    .workgroup_processor_mode: 1
  - .args:
      - .offset:         0
        .size:           4
        .value_kind:     by_value
      - .offset:         8
        .size:           8
        .value_kind:     by_value
      - .offset:         16
        .size:           8
        .value_kind:     by_value
      - .offset:         24
        .size:           16
        .value_kind:     by_value
      - .address_space:  global
        .offset:         40
        .size:           8
        .value_kind:     global_buffer
      - .offset:         48
        .size:           8
        .value_kind:     by_value
      - .offset:         56
        .size:           8
        .value_kind:     by_value
      - .offset:         64
        .size:           8
        .value_kind:     by_value
      - .address_space:  global
        .offset:         72
        .size:           8
        .value_kind:     global_buffer
      - .offset:         80
        .size:           8
        .value_kind:     by_value
      - .offset:         88
        .size:           8
        .value_kind:     by_value
      - .offset:         96
        .size:           8
        .value_kind:     by_value
      - .offset:         104
        .size:           4
        .value_kind:     by_value
      - .offset:         108
        .size:           1
        .value_kind:     by_value
      - .offset:         112
        .size:           4
        .value_kind:     hidden_block_count_x
      - .offset:         116
        .size:           4
        .value_kind:     hidden_block_count_y
      - .offset:         120
        .size:           4
        .value_kind:     hidden_block_count_z
      - .offset:         124
        .size:           2
        .value_kind:     hidden_group_size_x
      - .offset:         126
        .size:           2
        .value_kind:     hidden_group_size_y
      - .offset:         128
        .size:           2
        .value_kind:     hidden_group_size_z
      - .offset:         130
        .size:           2
        .value_kind:     hidden_remainder_x
      - .offset:         132
        .size:           2
        .value_kind:     hidden_remainder_y
      - .offset:         134
        .size:           2
        .value_kind:     hidden_remainder_z
      - .offset:         152
        .size:           8
        .value_kind:     hidden_global_offset_x
      - .offset:         160
        .size:           8
        .value_kind:     hidden_global_offset_y
      - .offset:         168
        .size:           8
        .value_kind:     hidden_global_offset_z
      - .offset:         176
        .size:           2
        .value_kind:     hidden_grid_dims
      - .offset:         232
        .size:           4
        .value_kind:     hidden_dynamic_lds_size
    .group_segment_fixed_size: 0
    .kernarg_segment_align: 8
    .kernarg_segment_size: 368
    .language:       OpenCL C
    .language_version:
      - 2
      - 0
    .max_flat_workgroup_size: 1024
    .name:           _ZL40rocblas_trsm_block_backward_substitutionI19rocblas_complex_numIdES1_PKPKS1_PKPS1_Lb0ELb0ELb0EEv18rocblas_operation_llT0_T1_lllT2_lllib
    .private_segment_fixed_size: 0
    .sgpr_count:     34
    .sgpr_spill_count: 0
    .symbol:         _ZL40rocblas_trsm_block_backward_substitutionI19rocblas_complex_numIdES1_PKPKS1_PKPS1_Lb0ELb0ELb0EEv18rocblas_operation_llT0_T1_lllT2_lllib.kd
    .uniform_work_group_size: 1
    .uses_dynamic_stack: false
    .vgpr_count:     25
    .vgpr_spill_count: 0
    .wavefront_size: 32
    .workgroup_processor_mode: 1
  - .args:
      - .offset:         0
        .size:           4
        .value_kind:     by_value
      - .offset:         8
        .size:           8
        .value_kind:     by_value
      - .offset:         16
        .size:           8
        .value_kind:     by_value
      - .offset:         24
        .size:           16
        .value_kind:     by_value
      - .address_space:  global
        .offset:         40
        .size:           8
        .value_kind:     global_buffer
      - .offset:         48
        .size:           8
        .value_kind:     by_value
      - .offset:         56
        .size:           8
        .value_kind:     by_value
      - .offset:         64
        .size:           8
        .value_kind:     by_value
      - .address_space:  global
        .offset:         72
        .size:           8
        .value_kind:     global_buffer
      - .offset:         80
        .size:           8
        .value_kind:     by_value
      - .offset:         88
        .size:           8
        .value_kind:     by_value
      - .offset:         96
        .size:           8
        .value_kind:     by_value
      - .offset:         104
        .size:           4
        .value_kind:     by_value
      - .offset:         108
        .size:           1
        .value_kind:     by_value
      - .offset:         112
        .size:           4
        .value_kind:     hidden_block_count_x
      - .offset:         116
        .size:           4
        .value_kind:     hidden_block_count_y
      - .offset:         120
        .size:           4
        .value_kind:     hidden_block_count_z
      - .offset:         124
        .size:           2
        .value_kind:     hidden_group_size_x
      - .offset:         126
        .size:           2
        .value_kind:     hidden_group_size_y
      - .offset:         128
        .size:           2
        .value_kind:     hidden_group_size_z
      - .offset:         130
        .size:           2
        .value_kind:     hidden_remainder_x
      - .offset:         132
        .size:           2
        .value_kind:     hidden_remainder_y
      - .offset:         134
        .size:           2
        .value_kind:     hidden_remainder_z
      - .offset:         152
        .size:           8
        .value_kind:     hidden_global_offset_x
      - .offset:         160
        .size:           8
        .value_kind:     hidden_global_offset_y
      - .offset:         168
        .size:           8
        .value_kind:     hidden_global_offset_z
      - .offset:         176
        .size:           2
        .value_kind:     hidden_grid_dims
      - .offset:         232
        .size:           4
        .value_kind:     hidden_dynamic_lds_size
    .group_segment_fixed_size: 0
    .kernarg_segment_align: 8
    .kernarg_segment_size: 368
    .language:       OpenCL C
    .language_version:
      - 2
      - 0
    .max_flat_workgroup_size: 1024
    .name:           _ZL39rocblas_trsm_block_forward_substitutionI19rocblas_complex_numIdES1_PKPKS1_PKPS1_Lb0ELb0ELb1EEv18rocblas_operation_llT0_T1_lllT2_lllib
    .private_segment_fixed_size: 0
    .sgpr_count:     30
    .sgpr_spill_count: 0
    .symbol:         _ZL39rocblas_trsm_block_forward_substitutionI19rocblas_complex_numIdES1_PKPKS1_PKPS1_Lb0ELb0ELb1EEv18rocblas_operation_llT0_T1_lllT2_lllib.kd
    .uniform_work_group_size: 1
    .uses_dynamic_stack: false
    .vgpr_count:     21
    .vgpr_spill_count: 0
    .wavefront_size: 32
    .workgroup_processor_mode: 1
  - .args:
      - .offset:         0
        .size:           4
        .value_kind:     by_value
      - .offset:         8
        .size:           8
        .value_kind:     by_value
      - .offset:         16
        .size:           8
        .value_kind:     by_value
      - .offset:         24
        .size:           16
        .value_kind:     by_value
      - .address_space:  global
        .offset:         40
        .size:           8
        .value_kind:     global_buffer
      - .offset:         48
        .size:           8
        .value_kind:     by_value
      - .offset:         56
        .size:           8
        .value_kind:     by_value
      - .offset:         64
        .size:           8
        .value_kind:     by_value
      - .address_space:  global
        .offset:         72
        .size:           8
        .value_kind:     global_buffer
      - .offset:         80
        .size:           8
        .value_kind:     by_value
      - .offset:         88
        .size:           8
        .value_kind:     by_value
      - .offset:         96
        .size:           8
        .value_kind:     by_value
      - .offset:         104
        .size:           4
        .value_kind:     by_value
      - .offset:         108
        .size:           1
        .value_kind:     by_value
      - .offset:         112
        .size:           4
        .value_kind:     hidden_block_count_x
      - .offset:         116
        .size:           4
        .value_kind:     hidden_block_count_y
      - .offset:         120
        .size:           4
        .value_kind:     hidden_block_count_z
      - .offset:         124
        .size:           2
        .value_kind:     hidden_group_size_x
      - .offset:         126
        .size:           2
        .value_kind:     hidden_group_size_y
      - .offset:         128
        .size:           2
        .value_kind:     hidden_group_size_z
      - .offset:         130
        .size:           2
        .value_kind:     hidden_remainder_x
      - .offset:         132
        .size:           2
        .value_kind:     hidden_remainder_y
      - .offset:         134
        .size:           2
        .value_kind:     hidden_remainder_z
      - .offset:         152
        .size:           8
        .value_kind:     hidden_global_offset_x
      - .offset:         160
        .size:           8
        .value_kind:     hidden_global_offset_y
      - .offset:         168
        .size:           8
        .value_kind:     hidden_global_offset_z
      - .offset:         176
        .size:           2
        .value_kind:     hidden_grid_dims
      - .offset:         232
        .size:           4
        .value_kind:     hidden_dynamic_lds_size
    .group_segment_fixed_size: 0
    .kernarg_segment_align: 8
    .kernarg_segment_size: 368
    .language:       OpenCL C
    .language_version:
      - 2
      - 0
    .max_flat_workgroup_size: 1024
    .name:           _ZL40rocblas_trsm_block_backward_substitutionI19rocblas_complex_numIdES1_PKPKS1_PKPS1_Lb0ELb0ELb1EEv18rocblas_operation_llT0_T1_lllT2_lllib
    .private_segment_fixed_size: 0
    .sgpr_count:     32
    .sgpr_spill_count: 0
    .symbol:         _ZL40rocblas_trsm_block_backward_substitutionI19rocblas_complex_numIdES1_PKPKS1_PKPS1_Lb0ELb0ELb1EEv18rocblas_operation_llT0_T1_lllT2_lllib.kd
    .uniform_work_group_size: 1
    .uses_dynamic_stack: false
    .vgpr_count:     21
    .vgpr_spill_count: 0
    .wavefront_size: 32
    .workgroup_processor_mode: 1
  - .args:
      - .offset:         0
        .size:           4
        .value_kind:     by_value
      - .offset:         8
        .size:           8
        .value_kind:     by_value
      - .offset:         16
        .size:           8
        .value_kind:     by_value
      - .offset:         24
        .size:           16
        .value_kind:     by_value
      - .address_space:  global
        .offset:         40
        .size:           8
        .value_kind:     global_buffer
      - .offset:         48
        .size:           8
        .value_kind:     by_value
      - .offset:         56
        .size:           8
        .value_kind:     by_value
      - .offset:         64
        .size:           8
        .value_kind:     by_value
      - .address_space:  global
        .offset:         72
        .size:           8
        .value_kind:     global_buffer
      - .offset:         80
        .size:           8
        .value_kind:     by_value
      - .offset:         88
        .size:           8
        .value_kind:     by_value
      - .offset:         96
        .size:           8
        .value_kind:     by_value
      - .offset:         104
        .size:           4
        .value_kind:     by_value
      - .offset:         108
        .size:           1
        .value_kind:     by_value
      - .offset:         112
        .size:           4
        .value_kind:     hidden_block_count_x
      - .offset:         116
        .size:           4
        .value_kind:     hidden_block_count_y
      - .offset:         120
        .size:           4
        .value_kind:     hidden_block_count_z
      - .offset:         124
        .size:           2
        .value_kind:     hidden_group_size_x
      - .offset:         126
        .size:           2
        .value_kind:     hidden_group_size_y
      - .offset:         128
        .size:           2
        .value_kind:     hidden_group_size_z
      - .offset:         130
        .size:           2
        .value_kind:     hidden_remainder_x
      - .offset:         132
        .size:           2
        .value_kind:     hidden_remainder_y
      - .offset:         134
        .size:           2
        .value_kind:     hidden_remainder_z
      - .offset:         152
        .size:           8
        .value_kind:     hidden_global_offset_x
      - .offset:         160
        .size:           8
        .value_kind:     hidden_global_offset_y
      - .offset:         168
        .size:           8
        .value_kind:     hidden_global_offset_z
      - .offset:         176
        .size:           2
        .value_kind:     hidden_grid_dims
      - .offset:         232
        .size:           4
        .value_kind:     hidden_dynamic_lds_size
    .group_segment_fixed_size: 0
    .kernarg_segment_align: 8
    .kernarg_segment_size: 368
    .language:       OpenCL C
    .language_version:
      - 2
      - 0
    .max_flat_workgroup_size: 1024
    .name:           _ZL39rocblas_trsm_block_forward_substitutionI19rocblas_complex_numIdES1_PKPKS1_PKPS1_Lb0ELb1ELb0EEv18rocblas_operation_llT0_T1_lllT2_lllib
    .private_segment_fixed_size: 0
    .sgpr_count:     31
    .sgpr_spill_count: 0
    .symbol:         _ZL39rocblas_trsm_block_forward_substitutionI19rocblas_complex_numIdES1_PKPKS1_PKPS1_Lb0ELb1ELb0EEv18rocblas_operation_llT0_T1_lllT2_lllib.kd
    .uniform_work_group_size: 1
    .uses_dynamic_stack: false
    .vgpr_count:     25
    .vgpr_spill_count: 0
    .wavefront_size: 32
    .workgroup_processor_mode: 1
  - .args:
      - .offset:         0
        .size:           4
        .value_kind:     by_value
      - .offset:         8
        .size:           8
        .value_kind:     by_value
      - .offset:         16
        .size:           8
        .value_kind:     by_value
      - .offset:         24
        .size:           16
        .value_kind:     by_value
      - .address_space:  global
        .offset:         40
        .size:           8
        .value_kind:     global_buffer
      - .offset:         48
        .size:           8
        .value_kind:     by_value
      - .offset:         56
        .size:           8
        .value_kind:     by_value
      - .offset:         64
        .size:           8
        .value_kind:     by_value
      - .address_space:  global
        .offset:         72
        .size:           8
        .value_kind:     global_buffer
      - .offset:         80
        .size:           8
        .value_kind:     by_value
      - .offset:         88
        .size:           8
        .value_kind:     by_value
      - .offset:         96
        .size:           8
        .value_kind:     by_value
      - .offset:         104
        .size:           4
        .value_kind:     by_value
      - .offset:         108
        .size:           1
        .value_kind:     by_value
      - .offset:         112
        .size:           4
        .value_kind:     hidden_block_count_x
      - .offset:         116
        .size:           4
        .value_kind:     hidden_block_count_y
      - .offset:         120
        .size:           4
        .value_kind:     hidden_block_count_z
      - .offset:         124
        .size:           2
        .value_kind:     hidden_group_size_x
      - .offset:         126
        .size:           2
        .value_kind:     hidden_group_size_y
      - .offset:         128
        .size:           2
        .value_kind:     hidden_group_size_z
      - .offset:         130
        .size:           2
        .value_kind:     hidden_remainder_x
      - .offset:         132
        .size:           2
        .value_kind:     hidden_remainder_y
      - .offset:         134
        .size:           2
        .value_kind:     hidden_remainder_z
      - .offset:         152
        .size:           8
        .value_kind:     hidden_global_offset_x
      - .offset:         160
        .size:           8
        .value_kind:     hidden_global_offset_y
      - .offset:         168
        .size:           8
        .value_kind:     hidden_global_offset_z
      - .offset:         176
        .size:           2
        .value_kind:     hidden_grid_dims
      - .offset:         232
        .size:           4
        .value_kind:     hidden_dynamic_lds_size
    .group_segment_fixed_size: 0
    .kernarg_segment_align: 8
    .kernarg_segment_size: 368
    .language:       OpenCL C
    .language_version:
      - 2
      - 0
    .max_flat_workgroup_size: 1024
    .name:           _ZL40rocblas_trsm_block_backward_substitutionI19rocblas_complex_numIdES1_PKPKS1_PKPS1_Lb0ELb1ELb0EEv18rocblas_operation_llT0_T1_lllT2_lllib
    .private_segment_fixed_size: 0
    .sgpr_count:     34
    .sgpr_spill_count: 0
    .symbol:         _ZL40rocblas_trsm_block_backward_substitutionI19rocblas_complex_numIdES1_PKPKS1_PKPS1_Lb0ELb1ELb0EEv18rocblas_operation_llT0_T1_lllT2_lllib.kd
    .uniform_work_group_size: 1
    .uses_dynamic_stack: false
    .vgpr_count:     25
    .vgpr_spill_count: 0
    .wavefront_size: 32
    .workgroup_processor_mode: 1
  - .args:
      - .offset:         0
        .size:           4
        .value_kind:     by_value
      - .offset:         8
        .size:           8
        .value_kind:     by_value
      - .offset:         16
        .size:           8
        .value_kind:     by_value
      - .offset:         24
        .size:           16
        .value_kind:     by_value
      - .address_space:  global
        .offset:         40
        .size:           8
        .value_kind:     global_buffer
      - .offset:         48
        .size:           8
        .value_kind:     by_value
      - .offset:         56
        .size:           8
        .value_kind:     by_value
      - .offset:         64
        .size:           8
        .value_kind:     by_value
      - .address_space:  global
        .offset:         72
        .size:           8
        .value_kind:     global_buffer
      - .offset:         80
        .size:           8
        .value_kind:     by_value
      - .offset:         88
        .size:           8
        .value_kind:     by_value
      - .offset:         96
        .size:           8
        .value_kind:     by_value
      - .offset:         104
        .size:           4
        .value_kind:     by_value
      - .offset:         108
        .size:           1
        .value_kind:     by_value
      - .offset:         112
        .size:           4
        .value_kind:     hidden_block_count_x
      - .offset:         116
        .size:           4
        .value_kind:     hidden_block_count_y
      - .offset:         120
        .size:           4
        .value_kind:     hidden_block_count_z
      - .offset:         124
        .size:           2
        .value_kind:     hidden_group_size_x
      - .offset:         126
        .size:           2
        .value_kind:     hidden_group_size_y
      - .offset:         128
        .size:           2
        .value_kind:     hidden_group_size_z
      - .offset:         130
        .size:           2
        .value_kind:     hidden_remainder_x
      - .offset:         132
        .size:           2
        .value_kind:     hidden_remainder_y
      - .offset:         134
        .size:           2
        .value_kind:     hidden_remainder_z
      - .offset:         152
        .size:           8
        .value_kind:     hidden_global_offset_x
      - .offset:         160
        .size:           8
        .value_kind:     hidden_global_offset_y
      - .offset:         168
        .size:           8
        .value_kind:     hidden_global_offset_z
      - .offset:         176
        .size:           2
        .value_kind:     hidden_grid_dims
      - .offset:         232
        .size:           4
        .value_kind:     hidden_dynamic_lds_size
    .group_segment_fixed_size: 0
    .kernarg_segment_align: 8
    .kernarg_segment_size: 368
    .language:       OpenCL C
    .language_version:
      - 2
      - 0
    .max_flat_workgroup_size: 1024
    .name:           _ZL39rocblas_trsm_block_forward_substitutionI19rocblas_complex_numIdES1_PKPKS1_PKPS1_Lb0ELb1ELb1EEv18rocblas_operation_llT0_T1_lllT2_lllib
    .private_segment_fixed_size: 0
    .sgpr_count:     30
    .sgpr_spill_count: 0
    .symbol:         _ZL39rocblas_trsm_block_forward_substitutionI19rocblas_complex_numIdES1_PKPKS1_PKPS1_Lb0ELb1ELb1EEv18rocblas_operation_llT0_T1_lllT2_lllib.kd
    .uniform_work_group_size: 1
    .uses_dynamic_stack: false
    .vgpr_count:     21
    .vgpr_spill_count: 0
    .wavefront_size: 32
    .workgroup_processor_mode: 1
  - .args:
      - .offset:         0
        .size:           4
        .value_kind:     by_value
      - .offset:         8
        .size:           8
        .value_kind:     by_value
      - .offset:         16
        .size:           8
        .value_kind:     by_value
      - .offset:         24
        .size:           16
        .value_kind:     by_value
      - .address_space:  global
        .offset:         40
        .size:           8
        .value_kind:     global_buffer
      - .offset:         48
        .size:           8
        .value_kind:     by_value
      - .offset:         56
        .size:           8
        .value_kind:     by_value
      - .offset:         64
        .size:           8
        .value_kind:     by_value
      - .address_space:  global
        .offset:         72
        .size:           8
        .value_kind:     global_buffer
      - .offset:         80
        .size:           8
        .value_kind:     by_value
      - .offset:         88
        .size:           8
        .value_kind:     by_value
      - .offset:         96
        .size:           8
        .value_kind:     by_value
      - .offset:         104
        .size:           4
        .value_kind:     by_value
      - .offset:         108
        .size:           1
        .value_kind:     by_value
      - .offset:         112
        .size:           4
        .value_kind:     hidden_block_count_x
      - .offset:         116
        .size:           4
        .value_kind:     hidden_block_count_y
      - .offset:         120
        .size:           4
        .value_kind:     hidden_block_count_z
      - .offset:         124
        .size:           2
        .value_kind:     hidden_group_size_x
      - .offset:         126
        .size:           2
        .value_kind:     hidden_group_size_y
      - .offset:         128
        .size:           2
        .value_kind:     hidden_group_size_z
      - .offset:         130
        .size:           2
        .value_kind:     hidden_remainder_x
      - .offset:         132
        .size:           2
        .value_kind:     hidden_remainder_y
      - .offset:         134
        .size:           2
        .value_kind:     hidden_remainder_z
      - .offset:         152
        .size:           8
        .value_kind:     hidden_global_offset_x
      - .offset:         160
        .size:           8
        .value_kind:     hidden_global_offset_y
      - .offset:         168
        .size:           8
        .value_kind:     hidden_global_offset_z
      - .offset:         176
        .size:           2
        .value_kind:     hidden_grid_dims
      - .offset:         232
        .size:           4
        .value_kind:     hidden_dynamic_lds_size
    .group_segment_fixed_size: 0
    .kernarg_segment_align: 8
    .kernarg_segment_size: 368
    .language:       OpenCL C
    .language_version:
      - 2
      - 0
    .max_flat_workgroup_size: 1024
    .name:           _ZL40rocblas_trsm_block_backward_substitutionI19rocblas_complex_numIdES1_PKPKS1_PKPS1_Lb0ELb1ELb1EEv18rocblas_operation_llT0_T1_lllT2_lllib
    .private_segment_fixed_size: 0
    .sgpr_count:     32
    .sgpr_spill_count: 0
    .symbol:         _ZL40rocblas_trsm_block_backward_substitutionI19rocblas_complex_numIdES1_PKPKS1_PKPS1_Lb0ELb1ELb1EEv18rocblas_operation_llT0_T1_lllT2_lllib.kd
    .uniform_work_group_size: 1
    .uses_dynamic_stack: false
    .vgpr_count:     21
    .vgpr_spill_count: 0
    .wavefront_size: 32
    .workgroup_processor_mode: 1
  - .args:
      - .offset:         0
        .size:           4
        .value_kind:     by_value
      - .offset:         8
        .size:           8
        .value_kind:     by_value
      - .offset:         16
        .size:           8
        .value_kind:     by_value
      - .offset:         24
        .size:           16
        .value_kind:     by_value
      - .address_space:  global
        .offset:         40
        .size:           8
        .value_kind:     global_buffer
      - .offset:         48
        .size:           8
        .value_kind:     by_value
      - .offset:         56
        .size:           8
        .value_kind:     by_value
      - .offset:         64
        .size:           8
        .value_kind:     by_value
      - .address_space:  global
        .offset:         72
        .size:           8
        .value_kind:     global_buffer
      - .offset:         80
        .size:           8
        .value_kind:     by_value
      - .offset:         88
        .size:           8
        .value_kind:     by_value
      - .offset:         96
        .size:           8
        .value_kind:     by_value
      - .offset:         104
        .size:           4
        .value_kind:     by_value
      - .offset:         108
        .size:           1
        .value_kind:     by_value
      - .offset:         112
        .size:           4
        .value_kind:     hidden_block_count_x
      - .offset:         116
        .size:           4
        .value_kind:     hidden_block_count_y
      - .offset:         120
        .size:           4
        .value_kind:     hidden_block_count_z
      - .offset:         124
        .size:           2
        .value_kind:     hidden_group_size_x
      - .offset:         126
        .size:           2
        .value_kind:     hidden_group_size_y
      - .offset:         128
        .size:           2
        .value_kind:     hidden_group_size_z
      - .offset:         130
        .size:           2
        .value_kind:     hidden_remainder_x
      - .offset:         132
        .size:           2
        .value_kind:     hidden_remainder_y
      - .offset:         134
        .size:           2
        .value_kind:     hidden_remainder_z
      - .offset:         152
        .size:           8
        .value_kind:     hidden_global_offset_x
      - .offset:         160
        .size:           8
        .value_kind:     hidden_global_offset_y
      - .offset:         168
        .size:           8
        .value_kind:     hidden_global_offset_z
      - .offset:         176
        .size:           2
        .value_kind:     hidden_grid_dims
      - .offset:         232
        .size:           4
        .value_kind:     hidden_dynamic_lds_size
    .group_segment_fixed_size: 0
    .kernarg_segment_align: 8
    .kernarg_segment_size: 368
    .language:       OpenCL C
    .language_version:
      - 2
      - 0
    .max_flat_workgroup_size: 1024
    .name:           _ZL39rocblas_trsm_block_forward_substitutionI19rocblas_complex_numIdES1_PKPKS1_PKPS1_Lb1ELb1ELb0EEv18rocblas_operation_llT0_T1_lllT2_lllib
    .private_segment_fixed_size: 0
    .sgpr_count:     33
    .sgpr_spill_count: 0
    .symbol:         _ZL39rocblas_trsm_block_forward_substitutionI19rocblas_complex_numIdES1_PKPKS1_PKPS1_Lb1ELb1ELb0EEv18rocblas_operation_llT0_T1_lllT2_lllib.kd
    .uniform_work_group_size: 1
    .uses_dynamic_stack: false
    .vgpr_count:     25
    .vgpr_spill_count: 0
    .wavefront_size: 32
    .workgroup_processor_mode: 1
  - .args:
      - .offset:         0
        .size:           4
        .value_kind:     by_value
      - .offset:         8
        .size:           8
        .value_kind:     by_value
      - .offset:         16
        .size:           8
        .value_kind:     by_value
      - .offset:         24
        .size:           16
        .value_kind:     by_value
      - .address_space:  global
        .offset:         40
        .size:           8
        .value_kind:     global_buffer
      - .offset:         48
        .size:           8
        .value_kind:     by_value
      - .offset:         56
        .size:           8
        .value_kind:     by_value
      - .offset:         64
        .size:           8
        .value_kind:     by_value
      - .address_space:  global
        .offset:         72
        .size:           8
        .value_kind:     global_buffer
      - .offset:         80
        .size:           8
        .value_kind:     by_value
      - .offset:         88
        .size:           8
        .value_kind:     by_value
      - .offset:         96
        .size:           8
        .value_kind:     by_value
      - .offset:         104
        .size:           4
        .value_kind:     by_value
      - .offset:         108
        .size:           1
        .value_kind:     by_value
      - .offset:         112
        .size:           4
        .value_kind:     hidden_block_count_x
      - .offset:         116
        .size:           4
        .value_kind:     hidden_block_count_y
      - .offset:         120
        .size:           4
        .value_kind:     hidden_block_count_z
      - .offset:         124
        .size:           2
        .value_kind:     hidden_group_size_x
      - .offset:         126
        .size:           2
        .value_kind:     hidden_group_size_y
      - .offset:         128
        .size:           2
        .value_kind:     hidden_group_size_z
      - .offset:         130
        .size:           2
        .value_kind:     hidden_remainder_x
      - .offset:         132
        .size:           2
        .value_kind:     hidden_remainder_y
      - .offset:         134
        .size:           2
        .value_kind:     hidden_remainder_z
      - .offset:         152
        .size:           8
        .value_kind:     hidden_global_offset_x
      - .offset:         160
        .size:           8
        .value_kind:     hidden_global_offset_y
      - .offset:         168
        .size:           8
        .value_kind:     hidden_global_offset_z
      - .offset:         176
        .size:           2
        .value_kind:     hidden_grid_dims
      - .offset:         232
        .size:           4
        .value_kind:     hidden_dynamic_lds_size
    .group_segment_fixed_size: 0
    .kernarg_segment_align: 8
    .kernarg_segment_size: 368
    .language:       OpenCL C
    .language_version:
      - 2
      - 0
    .max_flat_workgroup_size: 1024
    .name:           _ZL40rocblas_trsm_block_backward_substitutionI19rocblas_complex_numIdES1_PKPKS1_PKPS1_Lb1ELb1ELb0EEv18rocblas_operation_llT0_T1_lllT2_lllib
    .private_segment_fixed_size: 0
    .sgpr_count:     34
    .sgpr_spill_count: 0
    .symbol:         _ZL40rocblas_trsm_block_backward_substitutionI19rocblas_complex_numIdES1_PKPKS1_PKPS1_Lb1ELb1ELb0EEv18rocblas_operation_llT0_T1_lllT2_lllib.kd
    .uniform_work_group_size: 1
    .uses_dynamic_stack: false
    .vgpr_count:     25
    .vgpr_spill_count: 0
    .wavefront_size: 32
    .workgroup_processor_mode: 1
  - .args:
      - .offset:         0
        .size:           4
        .value_kind:     by_value
      - .offset:         8
        .size:           8
        .value_kind:     by_value
      - .offset:         16
        .size:           8
        .value_kind:     by_value
      - .offset:         24
        .size:           16
        .value_kind:     by_value
      - .address_space:  global
        .offset:         40
        .size:           8
        .value_kind:     global_buffer
      - .offset:         48
        .size:           8
        .value_kind:     by_value
      - .offset:         56
        .size:           8
        .value_kind:     by_value
      - .offset:         64
        .size:           8
        .value_kind:     by_value
      - .address_space:  global
        .offset:         72
        .size:           8
        .value_kind:     global_buffer
      - .offset:         80
        .size:           8
        .value_kind:     by_value
      - .offset:         88
        .size:           8
        .value_kind:     by_value
      - .offset:         96
        .size:           8
        .value_kind:     by_value
      - .offset:         104
        .size:           4
        .value_kind:     by_value
      - .offset:         108
        .size:           1
        .value_kind:     by_value
      - .offset:         112
        .size:           4
        .value_kind:     hidden_block_count_x
      - .offset:         116
        .size:           4
        .value_kind:     hidden_block_count_y
      - .offset:         120
        .size:           4
        .value_kind:     hidden_block_count_z
      - .offset:         124
        .size:           2
        .value_kind:     hidden_group_size_x
      - .offset:         126
        .size:           2
        .value_kind:     hidden_group_size_y
      - .offset:         128
        .size:           2
        .value_kind:     hidden_group_size_z
      - .offset:         130
        .size:           2
        .value_kind:     hidden_remainder_x
      - .offset:         132
        .size:           2
        .value_kind:     hidden_remainder_y
      - .offset:         134
        .size:           2
        .value_kind:     hidden_remainder_z
      - .offset:         152
        .size:           8
        .value_kind:     hidden_global_offset_x
      - .offset:         160
        .size:           8
        .value_kind:     hidden_global_offset_y
      - .offset:         168
        .size:           8
        .value_kind:     hidden_global_offset_z
      - .offset:         176
        .size:           2
        .value_kind:     hidden_grid_dims
      - .offset:         232
        .size:           4
        .value_kind:     hidden_dynamic_lds_size
    .group_segment_fixed_size: 0
    .kernarg_segment_align: 8
    .kernarg_segment_size: 368
    .language:       OpenCL C
    .language_version:
      - 2
      - 0
    .max_flat_workgroup_size: 1024
    .name:           _ZL39rocblas_trsm_block_forward_substitutionI19rocblas_complex_numIdES1_PKPKS1_PKPS1_Lb1ELb1ELb1EEv18rocblas_operation_llT0_T1_lllT2_lllib
    .private_segment_fixed_size: 0
    .sgpr_count:     32
    .sgpr_spill_count: 0
    .symbol:         _ZL39rocblas_trsm_block_forward_substitutionI19rocblas_complex_numIdES1_PKPKS1_PKPS1_Lb1ELb1ELb1EEv18rocblas_operation_llT0_T1_lllT2_lllib.kd
    .uniform_work_group_size: 1
    .uses_dynamic_stack: false
    .vgpr_count:     21
    .vgpr_spill_count: 0
    .wavefront_size: 32
    .workgroup_processor_mode: 1
  - .args:
      - .offset:         0
        .size:           4
        .value_kind:     by_value
      - .offset:         8
        .size:           8
        .value_kind:     by_value
      - .offset:         16
        .size:           8
        .value_kind:     by_value
      - .offset:         24
        .size:           16
        .value_kind:     by_value
      - .address_space:  global
        .offset:         40
        .size:           8
        .value_kind:     global_buffer
      - .offset:         48
        .size:           8
        .value_kind:     by_value
      - .offset:         56
        .size:           8
        .value_kind:     by_value
      - .offset:         64
        .size:           8
        .value_kind:     by_value
      - .address_space:  global
        .offset:         72
        .size:           8
        .value_kind:     global_buffer
      - .offset:         80
        .size:           8
        .value_kind:     by_value
      - .offset:         88
        .size:           8
        .value_kind:     by_value
      - .offset:         96
        .size:           8
        .value_kind:     by_value
      - .offset:         104
        .size:           4
        .value_kind:     by_value
      - .offset:         108
        .size:           1
        .value_kind:     by_value
      - .offset:         112
        .size:           4
        .value_kind:     hidden_block_count_x
      - .offset:         116
        .size:           4
        .value_kind:     hidden_block_count_y
      - .offset:         120
        .size:           4
        .value_kind:     hidden_block_count_z
      - .offset:         124
        .size:           2
        .value_kind:     hidden_group_size_x
      - .offset:         126
        .size:           2
        .value_kind:     hidden_group_size_y
      - .offset:         128
        .size:           2
        .value_kind:     hidden_group_size_z
      - .offset:         130
        .size:           2
        .value_kind:     hidden_remainder_x
      - .offset:         132
        .size:           2
        .value_kind:     hidden_remainder_y
      - .offset:         134
        .size:           2
        .value_kind:     hidden_remainder_z
      - .offset:         152
        .size:           8
        .value_kind:     hidden_global_offset_x
      - .offset:         160
        .size:           8
        .value_kind:     hidden_global_offset_y
      - .offset:         168
        .size:           8
        .value_kind:     hidden_global_offset_z
      - .offset:         176
        .size:           2
        .value_kind:     hidden_grid_dims
      - .offset:         232
        .size:           4
        .value_kind:     hidden_dynamic_lds_size
    .group_segment_fixed_size: 0
    .kernarg_segment_align: 8
    .kernarg_segment_size: 368
    .language:       OpenCL C
    .language_version:
      - 2
      - 0
    .max_flat_workgroup_size: 1024
    .name:           _ZL40rocblas_trsm_block_backward_substitutionI19rocblas_complex_numIdES1_PKPKS1_PKPS1_Lb1ELb1ELb1EEv18rocblas_operation_llT0_T1_lllT2_lllib
    .private_segment_fixed_size: 0
    .sgpr_count:     30
    .sgpr_spill_count: 0
    .symbol:         _ZL40rocblas_trsm_block_backward_substitutionI19rocblas_complex_numIdES1_PKPKS1_PKPS1_Lb1ELb1ELb1EEv18rocblas_operation_llT0_T1_lllT2_lllib.kd
    .uniform_work_group_size: 1
    .uses_dynamic_stack: false
    .vgpr_count:     21
    .vgpr_spill_count: 0
    .wavefront_size: 32
    .workgroup_processor_mode: 1
  - .args:
      - .offset:         0
        .size:           4
        .value_kind:     by_value
      - .offset:         8
        .size:           8
        .value_kind:     by_value
      - .offset:         16
        .size:           8
        .value_kind:     by_value
      - .offset:         24
        .size:           16
        .value_kind:     by_value
      - .address_space:  global
        .offset:         40
        .size:           8
        .value_kind:     global_buffer
      - .offset:         48
        .size:           8
        .value_kind:     by_value
      - .offset:         56
        .size:           8
        .value_kind:     by_value
      - .offset:         64
        .size:           8
        .value_kind:     by_value
      - .address_space:  global
        .offset:         72
        .size:           8
        .value_kind:     global_buffer
      - .offset:         80
        .size:           8
        .value_kind:     by_value
      - .offset:         88
        .size:           8
        .value_kind:     by_value
      - .offset:         96
        .size:           8
        .value_kind:     by_value
      - .offset:         104
        .size:           4
        .value_kind:     by_value
      - .offset:         108
        .size:           1
        .value_kind:     by_value
      - .offset:         112
        .size:           4
        .value_kind:     hidden_block_count_x
      - .offset:         116
        .size:           4
        .value_kind:     hidden_block_count_y
      - .offset:         120
        .size:           4
        .value_kind:     hidden_block_count_z
      - .offset:         124
        .size:           2
        .value_kind:     hidden_group_size_x
      - .offset:         126
        .size:           2
        .value_kind:     hidden_group_size_y
      - .offset:         128
        .size:           2
        .value_kind:     hidden_group_size_z
      - .offset:         130
        .size:           2
        .value_kind:     hidden_remainder_x
      - .offset:         132
        .size:           2
        .value_kind:     hidden_remainder_y
      - .offset:         134
        .size:           2
        .value_kind:     hidden_remainder_z
      - .offset:         152
        .size:           8
        .value_kind:     hidden_global_offset_x
      - .offset:         160
        .size:           8
        .value_kind:     hidden_global_offset_y
      - .offset:         168
        .size:           8
        .value_kind:     hidden_global_offset_z
      - .offset:         176
        .size:           2
        .value_kind:     hidden_grid_dims
      - .offset:         232
        .size:           4
        .value_kind:     hidden_dynamic_lds_size
    .group_segment_fixed_size: 0
    .kernarg_segment_align: 8
    .kernarg_segment_size: 368
    .language:       OpenCL C
    .language_version:
      - 2
      - 0
    .max_flat_workgroup_size: 1024
    .name:           _ZL39rocblas_trsm_block_forward_substitutionI19rocblas_complex_numIdES1_PKPKS1_PKPS1_Lb1ELb0ELb0EEv18rocblas_operation_llT0_T1_lllT2_lllib
    .private_segment_fixed_size: 0
    .sgpr_count:     33
    .sgpr_spill_count: 0
    .symbol:         _ZL39rocblas_trsm_block_forward_substitutionI19rocblas_complex_numIdES1_PKPKS1_PKPS1_Lb1ELb0ELb0EEv18rocblas_operation_llT0_T1_lllT2_lllib.kd
    .uniform_work_group_size: 1
    .uses_dynamic_stack: false
    .vgpr_count:     25
    .vgpr_spill_count: 0
    .wavefront_size: 32
    .workgroup_processor_mode: 1
  - .args:
      - .offset:         0
        .size:           4
        .value_kind:     by_value
      - .offset:         8
        .size:           8
        .value_kind:     by_value
      - .offset:         16
        .size:           8
        .value_kind:     by_value
      - .offset:         24
        .size:           16
        .value_kind:     by_value
      - .address_space:  global
        .offset:         40
        .size:           8
        .value_kind:     global_buffer
      - .offset:         48
        .size:           8
        .value_kind:     by_value
      - .offset:         56
        .size:           8
        .value_kind:     by_value
      - .offset:         64
        .size:           8
        .value_kind:     by_value
      - .address_space:  global
        .offset:         72
        .size:           8
        .value_kind:     global_buffer
      - .offset:         80
        .size:           8
        .value_kind:     by_value
      - .offset:         88
        .size:           8
        .value_kind:     by_value
      - .offset:         96
        .size:           8
        .value_kind:     by_value
      - .offset:         104
        .size:           4
        .value_kind:     by_value
      - .offset:         108
        .size:           1
        .value_kind:     by_value
      - .offset:         112
        .size:           4
        .value_kind:     hidden_block_count_x
      - .offset:         116
        .size:           4
        .value_kind:     hidden_block_count_y
      - .offset:         120
        .size:           4
        .value_kind:     hidden_block_count_z
      - .offset:         124
        .size:           2
        .value_kind:     hidden_group_size_x
      - .offset:         126
        .size:           2
        .value_kind:     hidden_group_size_y
      - .offset:         128
        .size:           2
        .value_kind:     hidden_group_size_z
      - .offset:         130
        .size:           2
        .value_kind:     hidden_remainder_x
      - .offset:         132
        .size:           2
        .value_kind:     hidden_remainder_y
      - .offset:         134
        .size:           2
        .value_kind:     hidden_remainder_z
      - .offset:         152
        .size:           8
        .value_kind:     hidden_global_offset_x
      - .offset:         160
        .size:           8
        .value_kind:     hidden_global_offset_y
      - .offset:         168
        .size:           8
        .value_kind:     hidden_global_offset_z
      - .offset:         176
        .size:           2
        .value_kind:     hidden_grid_dims
      - .offset:         232
        .size:           4
        .value_kind:     hidden_dynamic_lds_size
    .group_segment_fixed_size: 0
    .kernarg_segment_align: 8
    .kernarg_segment_size: 368
    .language:       OpenCL C
    .language_version:
      - 2
      - 0
    .max_flat_workgroup_size: 1024
    .name:           _ZL40rocblas_trsm_block_backward_substitutionI19rocblas_complex_numIdES1_PKPKS1_PKPS1_Lb1ELb0ELb0EEv18rocblas_operation_llT0_T1_lllT2_lllib
    .private_segment_fixed_size: 0
    .sgpr_count:     34
    .sgpr_spill_count: 0
    .symbol:         _ZL40rocblas_trsm_block_backward_substitutionI19rocblas_complex_numIdES1_PKPKS1_PKPS1_Lb1ELb0ELb0EEv18rocblas_operation_llT0_T1_lllT2_lllib.kd
    .uniform_work_group_size: 1
    .uses_dynamic_stack: false
    .vgpr_count:     25
    .vgpr_spill_count: 0
    .wavefront_size: 32
    .workgroup_processor_mode: 1
  - .args:
      - .offset:         0
        .size:           4
        .value_kind:     by_value
      - .offset:         8
        .size:           8
        .value_kind:     by_value
      - .offset:         16
        .size:           8
        .value_kind:     by_value
      - .offset:         24
        .size:           16
        .value_kind:     by_value
      - .address_space:  global
        .offset:         40
        .size:           8
        .value_kind:     global_buffer
      - .offset:         48
        .size:           8
        .value_kind:     by_value
      - .offset:         56
        .size:           8
        .value_kind:     by_value
      - .offset:         64
        .size:           8
        .value_kind:     by_value
      - .address_space:  global
        .offset:         72
        .size:           8
        .value_kind:     global_buffer
      - .offset:         80
        .size:           8
        .value_kind:     by_value
      - .offset:         88
        .size:           8
        .value_kind:     by_value
      - .offset:         96
        .size:           8
        .value_kind:     by_value
      - .offset:         104
        .size:           4
        .value_kind:     by_value
      - .offset:         108
        .size:           1
        .value_kind:     by_value
      - .offset:         112
        .size:           4
        .value_kind:     hidden_block_count_x
      - .offset:         116
        .size:           4
        .value_kind:     hidden_block_count_y
      - .offset:         120
        .size:           4
        .value_kind:     hidden_block_count_z
      - .offset:         124
        .size:           2
        .value_kind:     hidden_group_size_x
      - .offset:         126
        .size:           2
        .value_kind:     hidden_group_size_y
      - .offset:         128
        .size:           2
        .value_kind:     hidden_group_size_z
      - .offset:         130
        .size:           2
        .value_kind:     hidden_remainder_x
      - .offset:         132
        .size:           2
        .value_kind:     hidden_remainder_y
      - .offset:         134
        .size:           2
        .value_kind:     hidden_remainder_z
      - .offset:         152
        .size:           8
        .value_kind:     hidden_global_offset_x
      - .offset:         160
        .size:           8
        .value_kind:     hidden_global_offset_y
      - .offset:         168
        .size:           8
        .value_kind:     hidden_global_offset_z
      - .offset:         176
        .size:           2
        .value_kind:     hidden_grid_dims
      - .offset:         232
        .size:           4
        .value_kind:     hidden_dynamic_lds_size
    .group_segment_fixed_size: 0
    .kernarg_segment_align: 8
    .kernarg_segment_size: 368
    .language:       OpenCL C
    .language_version:
      - 2
      - 0
    .max_flat_workgroup_size: 1024
    .name:           _ZL39rocblas_trsm_block_forward_substitutionI19rocblas_complex_numIdES1_PKPKS1_PKPS1_Lb1ELb0ELb1EEv18rocblas_operation_llT0_T1_lllT2_lllib
    .private_segment_fixed_size: 0
    .sgpr_count:     32
    .sgpr_spill_count: 0
    .symbol:         _ZL39rocblas_trsm_block_forward_substitutionI19rocblas_complex_numIdES1_PKPKS1_PKPS1_Lb1ELb0ELb1EEv18rocblas_operation_llT0_T1_lllT2_lllib.kd
    .uniform_work_group_size: 1
    .uses_dynamic_stack: false
    .vgpr_count:     21
    .vgpr_spill_count: 0
    .wavefront_size: 32
    .workgroup_processor_mode: 1
  - .args:
      - .offset:         0
        .size:           4
        .value_kind:     by_value
      - .offset:         8
        .size:           8
        .value_kind:     by_value
      - .offset:         16
        .size:           8
        .value_kind:     by_value
      - .offset:         24
        .size:           16
        .value_kind:     by_value
      - .address_space:  global
        .offset:         40
        .size:           8
        .value_kind:     global_buffer
      - .offset:         48
        .size:           8
        .value_kind:     by_value
      - .offset:         56
        .size:           8
        .value_kind:     by_value
      - .offset:         64
        .size:           8
        .value_kind:     by_value
      - .address_space:  global
        .offset:         72
        .size:           8
        .value_kind:     global_buffer
      - .offset:         80
        .size:           8
        .value_kind:     by_value
      - .offset:         88
        .size:           8
        .value_kind:     by_value
      - .offset:         96
        .size:           8
        .value_kind:     by_value
      - .offset:         104
        .size:           4
        .value_kind:     by_value
      - .offset:         108
        .size:           1
        .value_kind:     by_value
      - .offset:         112
        .size:           4
        .value_kind:     hidden_block_count_x
      - .offset:         116
        .size:           4
        .value_kind:     hidden_block_count_y
      - .offset:         120
        .size:           4
        .value_kind:     hidden_block_count_z
      - .offset:         124
        .size:           2
        .value_kind:     hidden_group_size_x
      - .offset:         126
        .size:           2
        .value_kind:     hidden_group_size_y
      - .offset:         128
        .size:           2
        .value_kind:     hidden_group_size_z
      - .offset:         130
        .size:           2
        .value_kind:     hidden_remainder_x
      - .offset:         132
        .size:           2
        .value_kind:     hidden_remainder_y
      - .offset:         134
        .size:           2
        .value_kind:     hidden_remainder_z
      - .offset:         152
        .size:           8
        .value_kind:     hidden_global_offset_x
      - .offset:         160
        .size:           8
        .value_kind:     hidden_global_offset_y
      - .offset:         168
        .size:           8
        .value_kind:     hidden_global_offset_z
      - .offset:         176
        .size:           2
        .value_kind:     hidden_grid_dims
      - .offset:         232
        .size:           4
        .value_kind:     hidden_dynamic_lds_size
    .group_segment_fixed_size: 0
    .kernarg_segment_align: 8
    .kernarg_segment_size: 368
    .language:       OpenCL C
    .language_version:
      - 2
      - 0
    .max_flat_workgroup_size: 1024
    .name:           _ZL40rocblas_trsm_block_backward_substitutionI19rocblas_complex_numIdES1_PKPKS1_PKPS1_Lb1ELb0ELb1EEv18rocblas_operation_llT0_T1_lllT2_lllib
    .private_segment_fixed_size: 0
    .sgpr_count:     30
    .sgpr_spill_count: 0
    .symbol:         _ZL40rocblas_trsm_block_backward_substitutionI19rocblas_complex_numIdES1_PKPKS1_PKPS1_Lb1ELb0ELb1EEv18rocblas_operation_llT0_T1_lllT2_lllib.kd
    .uniform_work_group_size: 1
    .uses_dynamic_stack: false
    .vgpr_count:     21
    .vgpr_spill_count: 0
    .wavefront_size: 32
    .workgroup_processor_mode: 1
  - .args:
      - .address_space:  global
        .offset:         0
        .size:           8
        .value_kind:     global_buffer
      - .offset:         8
        .size:           8
        .value_kind:     by_value
      - .address_space:  global
        .offset:         16
        .size:           8
        .value_kind:     global_buffer
    .group_segment_fixed_size: 0
    .kernarg_segment_align: 8
    .kernarg_segment_size: 24
    .language:       OpenCL C
    .language_version:
      - 2
      - 0
    .max_flat_workgroup_size: 128
    .name:           _ZL26setup_batched_array_kernelILi128E19rocblas_complex_numIdEEvPT0_lPS3_
    .private_segment_fixed_size: 0
    .sgpr_count:     16
    .sgpr_spill_count: 0
    .symbol:         _ZL26setup_batched_array_kernelILi128E19rocblas_complex_numIdEEvPT0_lPS3_.kd
    .uniform_work_group_size: 1
    .uses_dynamic_stack: false
    .vgpr_count:     3
    .vgpr_spill_count: 0
    .wavefront_size: 32
    .workgroup_processor_mode: 1
  - .args:
      - .offset:         0
        .size:           4
        .value_kind:     by_value
      - .offset:         4
        .size:           4
        .value_kind:     by_value
      - .address_space:  global
        .offset:         8
        .size:           8
        .value_kind:     global_buffer
      - .offset:         16
        .size:           8
        .value_kind:     by_value
      - .offset:         24
        .size:           4
        .value_kind:     by_value
      - .offset:         32
        .size:           8
        .value_kind:     by_value
      - .address_space:  global
        .offset:         40
        .size:           8
        .value_kind:     global_buffer
      - .offset:         48
        .size:           8
        .value_kind:     by_value
      - .offset:         56
        .size:           8
        .value_kind:     by_value
      - .offset:         64
        .size:           4
        .value_kind:     by_value
    .group_segment_fixed_size: 16384
    .kernarg_segment_align: 8
    .kernarg_segment_size: 68
    .language:       OpenCL C
    .language_version:
      - 2
      - 0
    .max_flat_workgroup_size: 256
    .name:           _ZL25rocblas_trtri_trsm_kernelILi128ELi16ELi8E19rocblas_complex_numIdEPKPKS1_PKPS1_Ev13rocblas_fill_17rocblas_diagonal_T3_lilT4_lli
    .private_segment_fixed_size: 0
    .sgpr_count:     26
    .sgpr_spill_count: 0
    .symbol:         _ZL25rocblas_trtri_trsm_kernelILi128ELi16ELi8E19rocblas_complex_numIdEPKPKS1_PKPS1_Ev13rocblas_fill_17rocblas_diagonal_T3_lilT4_lli.kd
    .uniform_work_group_size: 1
    .uses_dynamic_stack: false
    .vgpr_count:     78
    .vgpr_spill_count: 0
    .wavefront_size: 32
    .workgroup_processor_mode: 1
  - .args:
      - .address_space:  global
        .offset:         0
        .size:           8
        .value_kind:     global_buffer
      - .offset:         8
        .size:           4
        .value_kind:     by_value
      - .offset:         12
        .size:           4
        .value_kind:     by_value
      - .offset:         16
        .size:           8
        .value_kind:     by_value
      - .offset:         24
        .size:           4
        .value_kind:     by_value
      - .offset:         32
        .size:           8
        .value_kind:     by_value
      - .address_space:  global
        .offset:         40
        .size:           8
        .value_kind:     global_buffer
      - .offset:         48
        .size:           8
        .value_kind:     by_value
      - .offset:         56
        .size:           8
        .value_kind:     by_value
      - .offset:         64
        .size:           4
        .value_kind:     by_value
      - .offset:         68
        .size:           4
        .value_kind:     by_value
      - .offset:         72
        .size:           4
        .value_kind:     hidden_block_count_x
      - .offset:         76
        .size:           4
        .value_kind:     hidden_block_count_y
      - .offset:         80
        .size:           4
        .value_kind:     hidden_block_count_z
      - .offset:         84
        .size:           2
        .value_kind:     hidden_group_size_x
      - .offset:         86
        .size:           2
        .value_kind:     hidden_group_size_y
      - .offset:         88
        .size:           2
        .value_kind:     hidden_group_size_z
      - .offset:         90
        .size:           2
        .value_kind:     hidden_remainder_x
      - .offset:         92
        .size:           2
        .value_kind:     hidden_remainder_y
      - .offset:         94
        .size:           2
        .value_kind:     hidden_remainder_z
      - .offset:         112
        .size:           8
        .value_kind:     hidden_global_offset_x
      - .offset:         120
        .size:           8
        .value_kind:     hidden_global_offset_y
      - .offset:         128
        .size:           8
        .value_kind:     hidden_global_offset_z
      - .offset:         136
        .size:           2
        .value_kind:     hidden_grid_dims
    .group_segment_fixed_size: 0
    .kernarg_segment_align: 8
    .kernarg_segment_size: 328
    .language:       OpenCL C
    .language_version:
      - 2
      - 0
    .max_flat_workgroup_size: 128
    .name:           _ZL18rocblas_trtri_fillILi128E19rocblas_complex_numIdEPKPS1_EvP15_rocblas_handle13rocblas_fill_ililT1_llii
    .private_segment_fixed_size: 0
    .sgpr_count:     25
    .sgpr_spill_count: 0
    .symbol:         _ZL18rocblas_trtri_fillILi128E19rocblas_complex_numIdEPKPS1_EvP15_rocblas_handle13rocblas_fill_ililT1_llii.kd
    .uniform_work_group_size: 1
    .uses_dynamic_stack: false
    .vgpr_count:     26
    .vgpr_spill_count: 0
    .wavefront_size: 32
    .workgroup_processor_mode: 1
  - .args:
      - .offset:         0
        .size:           4
        .value_kind:     by_value
      - .offset:         4
        .size:           4
        .value_kind:     by_value
      - .offset:         8
        .size:           4
        .value_kind:     by_value
      - .address_space:  global
        .offset:         16
        .size:           8
        .value_kind:     global_buffer
      - .offset:         24
        .size:           4
        .value_kind:     by_value
      - .offset:         32
        .size:           8
        .value_kind:     by_value
      - .address_space:  global
        .offset:         40
        .size:           8
        .value_kind:     global_buffer
      - .offset:         48
        .size:           4
        .value_kind:     by_value
      - .offset:         56
        .size:           8
        .value_kind:     by_value
      - .offset:         64
        .size:           8
        .value_kind:     by_value
      - .offset:         72
        .size:           8
        .value_kind:     by_value
      - .offset:         80
        .size:           4
        .value_kind:     by_value
      - .offset:         88
        .size:           4
        .value_kind:     hidden_block_count_x
      - .offset:         92
        .size:           4
        .value_kind:     hidden_block_count_y
      - .offset:         96
        .size:           4
        .value_kind:     hidden_block_count_z
      - .offset:         100
        .size:           2
        .value_kind:     hidden_group_size_x
      - .offset:         102
        .size:           2
        .value_kind:     hidden_group_size_y
      - .offset:         104
        .size:           2
        .value_kind:     hidden_group_size_z
      - .offset:         106
        .size:           2
        .value_kind:     hidden_remainder_x
      - .offset:         108
        .size:           2
        .value_kind:     hidden_remainder_y
      - .offset:         110
        .size:           2
        .value_kind:     hidden_remainder_z
      - .offset:         128
        .size:           8
        .value_kind:     hidden_global_offset_x
      - .offset:         136
        .size:           8
        .value_kind:     hidden_global_offset_y
      - .offset:         144
        .size:           8
        .value_kind:     hidden_global_offset_z
      - .offset:         152
        .size:           2
        .value_kind:     hidden_grid_dims
    .group_segment_fixed_size: 0
    .kernarg_segment_align: 8
    .kernarg_segment_size: 344
    .language:       OpenCL C
    .language_version:
      - 2
      - 0
    .max_flat_workgroup_size: 1024
    .name:           _ZL24rocblas_copy_matrix_trsmILi128ELi8E19rocblas_complex_numIdEPKPKS1_PKPS1_EviiiT2_ilT3_illli
    .private_segment_fixed_size: 0
    .sgpr_count:     21
    .sgpr_spill_count: 0
    .symbol:         _ZL24rocblas_copy_matrix_trsmILi128ELi8E19rocblas_complex_numIdEPKPKS1_PKPS1_EviiiT2_ilT3_illli.kd
    .uniform_work_group_size: 1
    .uses_dynamic_stack: false
    .vgpr_count:     11
    .vgpr_spill_count: 0
    .wavefront_size: 32
    .workgroup_processor_mode: 1
amdhsa.target:   amdgcn-amd-amdhsa--gfx1100
amdhsa.version:
  - 1
  - 2
...

	.end_amdgpu_metadata
